;; amdgpu-corpus repo=ROCm/rocThrust kind=compiled arch=gfx1030 opt=O3
	.amdgcn_target "amdgcn-amd-amdhsa--gfx1030"
	.amdhsa_code_object_version 6
	.section	.text._ZN6thrust23THRUST_200600_302600_NS11hip_rocprim14__parallel_for6kernelILj256ENS1_20__uninitialized_fill7functorINS0_10device_ptrIiEEiEEmLj1EEEvT0_T1_SA_,"axG",@progbits,_ZN6thrust23THRUST_200600_302600_NS11hip_rocprim14__parallel_for6kernelILj256ENS1_20__uninitialized_fill7functorINS0_10device_ptrIiEEiEEmLj1EEEvT0_T1_SA_,comdat
	.protected	_ZN6thrust23THRUST_200600_302600_NS11hip_rocprim14__parallel_for6kernelILj256ENS1_20__uninitialized_fill7functorINS0_10device_ptrIiEEiEEmLj1EEEvT0_T1_SA_ ; -- Begin function _ZN6thrust23THRUST_200600_302600_NS11hip_rocprim14__parallel_for6kernelILj256ENS1_20__uninitialized_fill7functorINS0_10device_ptrIiEEiEEmLj1EEEvT0_T1_SA_
	.globl	_ZN6thrust23THRUST_200600_302600_NS11hip_rocprim14__parallel_for6kernelILj256ENS1_20__uninitialized_fill7functorINS0_10device_ptrIiEEiEEmLj1EEEvT0_T1_SA_
	.p2align	8
	.type	_ZN6thrust23THRUST_200600_302600_NS11hip_rocprim14__parallel_for6kernelILj256ENS1_20__uninitialized_fill7functorINS0_10device_ptrIiEEiEEmLj1EEEvT0_T1_SA_,@function
_ZN6thrust23THRUST_200600_302600_NS11hip_rocprim14__parallel_for6kernelILj256ENS1_20__uninitialized_fill7functorINS0_10device_ptrIiEEiEEmLj1EEEvT0_T1_SA_: ; @_ZN6thrust23THRUST_200600_302600_NS11hip_rocprim14__parallel_for6kernelILj256ENS1_20__uninitialized_fill7functorINS0_10device_ptrIiEEiEEmLj1EEEvT0_T1_SA_
; %bb.0:
	s_clause 0x2
	s_load_dwordx4 s[8:11], s[4:5], 0x10
	s_load_dwordx2 s[0:1], s[4:5], 0x0
	s_load_dword s7, s[4:5], 0x8
	s_lshl_b32 s2, s6, 8
	s_waitcnt lgkmcnt(0)
	s_add_u32 s2, s10, s2
	s_addc_u32 s3, s11, 0
	s_sub_u32 s4, s8, s2
	s_subb_u32 s5, s9, s3
	v_cmp_lt_u64_e64 s5, 0xff, s[4:5]
	s_and_b32 vcc_lo, exec_lo, s5
	s_mov_b32 s5, -1
	s_cbranch_vccz .LBB0_3
; %bb.1:
	s_andn2_b32 vcc_lo, exec_lo, s5
	s_cbranch_vccz .LBB0_6
.LBB0_2:
	s_endpgm
.LBB0_3:
	v_cmp_gt_u32_e32 vcc_lo, s4, v0
	s_and_saveexec_b32 s4, vcc_lo
	s_cbranch_execz .LBB0_5
; %bb.4:
	v_lshlrev_b32_e32 v1, 2, v0
	s_lshl_b64 s[8:9], s[2:3], 2
	v_mov_b32_e32 v3, s7
	s_add_u32 s5, s0, s8
	s_addc_u32 s6, s1, s9
	v_add_co_u32 v1, s5, s5, v1
	v_add_co_ci_u32_e64 v2, null, s6, 0, s5
	flat_store_dword v[1:2], v3
.LBB0_5:
	s_or_b32 exec_lo, exec_lo, s4
	s_cbranch_execnz .LBB0_2
.LBB0_6:
	v_lshlrev_b32_e32 v0, 2, v0
	s_lshl_b64 s[2:3], s[2:3], 2
	v_mov_b32_e32 v2, s7
	s_add_u32 s0, s0, s2
	s_addc_u32 s1, s1, s3
	v_add_co_u32 v0, s0, s0, v0
	v_add_co_ci_u32_e64 v1, null, s1, 0, s0
	flat_store_dword v[0:1], v2
	s_endpgm
	.section	.rodata,"a",@progbits
	.p2align	6, 0x0
	.amdhsa_kernel _ZN6thrust23THRUST_200600_302600_NS11hip_rocprim14__parallel_for6kernelILj256ENS1_20__uninitialized_fill7functorINS0_10device_ptrIiEEiEEmLj1EEEvT0_T1_SA_
		.amdhsa_group_segment_fixed_size 0
		.amdhsa_private_segment_fixed_size 0
		.amdhsa_kernarg_size 32
		.amdhsa_user_sgpr_count 6
		.amdhsa_user_sgpr_private_segment_buffer 1
		.amdhsa_user_sgpr_dispatch_ptr 0
		.amdhsa_user_sgpr_queue_ptr 0
		.amdhsa_user_sgpr_kernarg_segment_ptr 1
		.amdhsa_user_sgpr_dispatch_id 0
		.amdhsa_user_sgpr_flat_scratch_init 0
		.amdhsa_user_sgpr_private_segment_size 0
		.amdhsa_wavefront_size32 1
		.amdhsa_uses_dynamic_stack 0
		.amdhsa_system_sgpr_private_segment_wavefront_offset 0
		.amdhsa_system_sgpr_workgroup_id_x 1
		.amdhsa_system_sgpr_workgroup_id_y 0
		.amdhsa_system_sgpr_workgroup_id_z 0
		.amdhsa_system_sgpr_workgroup_info 0
		.amdhsa_system_vgpr_workitem_id 0
		.amdhsa_next_free_vgpr 4
		.amdhsa_next_free_sgpr 12
		.amdhsa_reserve_vcc 1
		.amdhsa_reserve_flat_scratch 0
		.amdhsa_float_round_mode_32 0
		.amdhsa_float_round_mode_16_64 0
		.amdhsa_float_denorm_mode_32 3
		.amdhsa_float_denorm_mode_16_64 3
		.amdhsa_dx10_clamp 1
		.amdhsa_ieee_mode 1
		.amdhsa_fp16_overflow 0
		.amdhsa_workgroup_processor_mode 1
		.amdhsa_memory_ordered 1
		.amdhsa_forward_progress 1
		.amdhsa_shared_vgpr_count 0
		.amdhsa_exception_fp_ieee_invalid_op 0
		.amdhsa_exception_fp_denorm_src 0
		.amdhsa_exception_fp_ieee_div_zero 0
		.amdhsa_exception_fp_ieee_overflow 0
		.amdhsa_exception_fp_ieee_underflow 0
		.amdhsa_exception_fp_ieee_inexact 0
		.amdhsa_exception_int_div_zero 0
	.end_amdhsa_kernel
	.section	.text._ZN6thrust23THRUST_200600_302600_NS11hip_rocprim14__parallel_for6kernelILj256ENS1_20__uninitialized_fill7functorINS0_10device_ptrIiEEiEEmLj1EEEvT0_T1_SA_,"axG",@progbits,_ZN6thrust23THRUST_200600_302600_NS11hip_rocprim14__parallel_for6kernelILj256ENS1_20__uninitialized_fill7functorINS0_10device_ptrIiEEiEEmLj1EEEvT0_T1_SA_,comdat
.Lfunc_end0:
	.size	_ZN6thrust23THRUST_200600_302600_NS11hip_rocprim14__parallel_for6kernelILj256ENS1_20__uninitialized_fill7functorINS0_10device_ptrIiEEiEEmLj1EEEvT0_T1_SA_, .Lfunc_end0-_ZN6thrust23THRUST_200600_302600_NS11hip_rocprim14__parallel_for6kernelILj256ENS1_20__uninitialized_fill7functorINS0_10device_ptrIiEEiEEmLj1EEEvT0_T1_SA_
                                        ; -- End function
	.set _ZN6thrust23THRUST_200600_302600_NS11hip_rocprim14__parallel_for6kernelILj256ENS1_20__uninitialized_fill7functorINS0_10device_ptrIiEEiEEmLj1EEEvT0_T1_SA_.num_vgpr, 4
	.set _ZN6thrust23THRUST_200600_302600_NS11hip_rocprim14__parallel_for6kernelILj256ENS1_20__uninitialized_fill7functorINS0_10device_ptrIiEEiEEmLj1EEEvT0_T1_SA_.num_agpr, 0
	.set _ZN6thrust23THRUST_200600_302600_NS11hip_rocprim14__parallel_for6kernelILj256ENS1_20__uninitialized_fill7functorINS0_10device_ptrIiEEiEEmLj1EEEvT0_T1_SA_.numbered_sgpr, 12
	.set _ZN6thrust23THRUST_200600_302600_NS11hip_rocprim14__parallel_for6kernelILj256ENS1_20__uninitialized_fill7functorINS0_10device_ptrIiEEiEEmLj1EEEvT0_T1_SA_.num_named_barrier, 0
	.set _ZN6thrust23THRUST_200600_302600_NS11hip_rocprim14__parallel_for6kernelILj256ENS1_20__uninitialized_fill7functorINS0_10device_ptrIiEEiEEmLj1EEEvT0_T1_SA_.private_seg_size, 0
	.set _ZN6thrust23THRUST_200600_302600_NS11hip_rocprim14__parallel_for6kernelILj256ENS1_20__uninitialized_fill7functorINS0_10device_ptrIiEEiEEmLj1EEEvT0_T1_SA_.uses_vcc, 1
	.set _ZN6thrust23THRUST_200600_302600_NS11hip_rocprim14__parallel_for6kernelILj256ENS1_20__uninitialized_fill7functorINS0_10device_ptrIiEEiEEmLj1EEEvT0_T1_SA_.uses_flat_scratch, 0
	.set _ZN6thrust23THRUST_200600_302600_NS11hip_rocprim14__parallel_for6kernelILj256ENS1_20__uninitialized_fill7functorINS0_10device_ptrIiEEiEEmLj1EEEvT0_T1_SA_.has_dyn_sized_stack, 0
	.set _ZN6thrust23THRUST_200600_302600_NS11hip_rocprim14__parallel_for6kernelILj256ENS1_20__uninitialized_fill7functorINS0_10device_ptrIiEEiEEmLj1EEEvT0_T1_SA_.has_recursion, 0
	.set _ZN6thrust23THRUST_200600_302600_NS11hip_rocprim14__parallel_for6kernelILj256ENS1_20__uninitialized_fill7functorINS0_10device_ptrIiEEiEEmLj1EEEvT0_T1_SA_.has_indirect_call, 0
	.section	.AMDGPU.csdata,"",@progbits
; Kernel info:
; codeLenInByte = 200
; TotalNumSgprs: 14
; NumVgprs: 4
; ScratchSize: 0
; MemoryBound: 0
; FloatMode: 240
; IeeeMode: 1
; LDSByteSize: 0 bytes/workgroup (compile time only)
; SGPRBlocks: 0
; VGPRBlocks: 0
; NumSGPRsForWavesPerEU: 14
; NumVGPRsForWavesPerEU: 4
; Occupancy: 16
; WaveLimiterHint : 0
; COMPUTE_PGM_RSRC2:SCRATCH_EN: 0
; COMPUTE_PGM_RSRC2:USER_SGPR: 6
; COMPUTE_PGM_RSRC2:TRAP_HANDLER: 0
; COMPUTE_PGM_RSRC2:TGID_X_EN: 1
; COMPUTE_PGM_RSRC2:TGID_Y_EN: 0
; COMPUTE_PGM_RSRC2:TGID_Z_EN: 0
; COMPUTE_PGM_RSRC2:TIDIG_COMP_CNT: 0
	.section	.text._ZN7rocprim17ROCPRIM_400000_NS6detail17trampoline_kernelINS0_13kernel_configILj256ELj4ELj4294967295EEENS1_37radix_sort_block_sort_config_selectorIiNS0_10empty_typeEEEZNS1_21radix_sort_block_sortIS4_Lb0EN6thrust23THRUST_200600_302600_NS6detail15normal_iteratorINSA_10device_ptrIiEEEESF_PS6_SG_NS0_19identity_decomposerEEE10hipError_tT1_T2_T3_T4_jRjT5_jjP12ihipStream_tbEUlT_E_NS1_11comp_targetILNS1_3genE0ELNS1_11target_archE4294967295ELNS1_3gpuE0ELNS1_3repE0EEENS1_44radix_sort_block_sort_config_static_selectorELNS0_4arch9wavefront6targetE0EEEvSJ_,"axG",@progbits,_ZN7rocprim17ROCPRIM_400000_NS6detail17trampoline_kernelINS0_13kernel_configILj256ELj4ELj4294967295EEENS1_37radix_sort_block_sort_config_selectorIiNS0_10empty_typeEEEZNS1_21radix_sort_block_sortIS4_Lb0EN6thrust23THRUST_200600_302600_NS6detail15normal_iteratorINSA_10device_ptrIiEEEESF_PS6_SG_NS0_19identity_decomposerEEE10hipError_tT1_T2_T3_T4_jRjT5_jjP12ihipStream_tbEUlT_E_NS1_11comp_targetILNS1_3genE0ELNS1_11target_archE4294967295ELNS1_3gpuE0ELNS1_3repE0EEENS1_44radix_sort_block_sort_config_static_selectorELNS0_4arch9wavefront6targetE0EEEvSJ_,comdat
	.protected	_ZN7rocprim17ROCPRIM_400000_NS6detail17trampoline_kernelINS0_13kernel_configILj256ELj4ELj4294967295EEENS1_37radix_sort_block_sort_config_selectorIiNS0_10empty_typeEEEZNS1_21radix_sort_block_sortIS4_Lb0EN6thrust23THRUST_200600_302600_NS6detail15normal_iteratorINSA_10device_ptrIiEEEESF_PS6_SG_NS0_19identity_decomposerEEE10hipError_tT1_T2_T3_T4_jRjT5_jjP12ihipStream_tbEUlT_E_NS1_11comp_targetILNS1_3genE0ELNS1_11target_archE4294967295ELNS1_3gpuE0ELNS1_3repE0EEENS1_44radix_sort_block_sort_config_static_selectorELNS0_4arch9wavefront6targetE0EEEvSJ_ ; -- Begin function _ZN7rocprim17ROCPRIM_400000_NS6detail17trampoline_kernelINS0_13kernel_configILj256ELj4ELj4294967295EEENS1_37radix_sort_block_sort_config_selectorIiNS0_10empty_typeEEEZNS1_21radix_sort_block_sortIS4_Lb0EN6thrust23THRUST_200600_302600_NS6detail15normal_iteratorINSA_10device_ptrIiEEEESF_PS6_SG_NS0_19identity_decomposerEEE10hipError_tT1_T2_T3_T4_jRjT5_jjP12ihipStream_tbEUlT_E_NS1_11comp_targetILNS1_3genE0ELNS1_11target_archE4294967295ELNS1_3gpuE0ELNS1_3repE0EEENS1_44radix_sort_block_sort_config_static_selectorELNS0_4arch9wavefront6targetE0EEEvSJ_
	.globl	_ZN7rocprim17ROCPRIM_400000_NS6detail17trampoline_kernelINS0_13kernel_configILj256ELj4ELj4294967295EEENS1_37radix_sort_block_sort_config_selectorIiNS0_10empty_typeEEEZNS1_21radix_sort_block_sortIS4_Lb0EN6thrust23THRUST_200600_302600_NS6detail15normal_iteratorINSA_10device_ptrIiEEEESF_PS6_SG_NS0_19identity_decomposerEEE10hipError_tT1_T2_T3_T4_jRjT5_jjP12ihipStream_tbEUlT_E_NS1_11comp_targetILNS1_3genE0ELNS1_11target_archE4294967295ELNS1_3gpuE0ELNS1_3repE0EEENS1_44radix_sort_block_sort_config_static_selectorELNS0_4arch9wavefront6targetE0EEEvSJ_
	.p2align	8
	.type	_ZN7rocprim17ROCPRIM_400000_NS6detail17trampoline_kernelINS0_13kernel_configILj256ELj4ELj4294967295EEENS1_37radix_sort_block_sort_config_selectorIiNS0_10empty_typeEEEZNS1_21radix_sort_block_sortIS4_Lb0EN6thrust23THRUST_200600_302600_NS6detail15normal_iteratorINSA_10device_ptrIiEEEESF_PS6_SG_NS0_19identity_decomposerEEE10hipError_tT1_T2_T3_T4_jRjT5_jjP12ihipStream_tbEUlT_E_NS1_11comp_targetILNS1_3genE0ELNS1_11target_archE4294967295ELNS1_3gpuE0ELNS1_3repE0EEENS1_44radix_sort_block_sort_config_static_selectorELNS0_4arch9wavefront6targetE0EEEvSJ_,@function
_ZN7rocprim17ROCPRIM_400000_NS6detail17trampoline_kernelINS0_13kernel_configILj256ELj4ELj4294967295EEENS1_37radix_sort_block_sort_config_selectorIiNS0_10empty_typeEEEZNS1_21radix_sort_block_sortIS4_Lb0EN6thrust23THRUST_200600_302600_NS6detail15normal_iteratorINSA_10device_ptrIiEEEESF_PS6_SG_NS0_19identity_decomposerEEE10hipError_tT1_T2_T3_T4_jRjT5_jjP12ihipStream_tbEUlT_E_NS1_11comp_targetILNS1_3genE0ELNS1_11target_archE4294967295ELNS1_3gpuE0ELNS1_3repE0EEENS1_44radix_sort_block_sort_config_static_selectorELNS0_4arch9wavefront6targetE0EEEvSJ_: ; @_ZN7rocprim17ROCPRIM_400000_NS6detail17trampoline_kernelINS0_13kernel_configILj256ELj4ELj4294967295EEENS1_37radix_sort_block_sort_config_selectorIiNS0_10empty_typeEEEZNS1_21radix_sort_block_sortIS4_Lb0EN6thrust23THRUST_200600_302600_NS6detail15normal_iteratorINSA_10device_ptrIiEEEESF_PS6_SG_NS0_19identity_decomposerEEE10hipError_tT1_T2_T3_T4_jRjT5_jjP12ihipStream_tbEUlT_E_NS1_11comp_targetILNS1_3genE0ELNS1_11target_archE4294967295ELNS1_3gpuE0ELNS1_3repE0EEENS1_44radix_sort_block_sort_config_static_selectorELNS0_4arch9wavefront6targetE0EEEvSJ_
; %bb.0:
	.section	.rodata,"a",@progbits
	.p2align	6, 0x0
	.amdhsa_kernel _ZN7rocprim17ROCPRIM_400000_NS6detail17trampoline_kernelINS0_13kernel_configILj256ELj4ELj4294967295EEENS1_37radix_sort_block_sort_config_selectorIiNS0_10empty_typeEEEZNS1_21radix_sort_block_sortIS4_Lb0EN6thrust23THRUST_200600_302600_NS6detail15normal_iteratorINSA_10device_ptrIiEEEESF_PS6_SG_NS0_19identity_decomposerEEE10hipError_tT1_T2_T3_T4_jRjT5_jjP12ihipStream_tbEUlT_E_NS1_11comp_targetILNS1_3genE0ELNS1_11target_archE4294967295ELNS1_3gpuE0ELNS1_3repE0EEENS1_44radix_sort_block_sort_config_static_selectorELNS0_4arch9wavefront6targetE0EEEvSJ_
		.amdhsa_group_segment_fixed_size 0
		.amdhsa_private_segment_fixed_size 0
		.amdhsa_kernarg_size 48
		.amdhsa_user_sgpr_count 6
		.amdhsa_user_sgpr_private_segment_buffer 1
		.amdhsa_user_sgpr_dispatch_ptr 0
		.amdhsa_user_sgpr_queue_ptr 0
		.amdhsa_user_sgpr_kernarg_segment_ptr 1
		.amdhsa_user_sgpr_dispatch_id 0
		.amdhsa_user_sgpr_flat_scratch_init 0
		.amdhsa_user_sgpr_private_segment_size 0
		.amdhsa_wavefront_size32 1
		.amdhsa_uses_dynamic_stack 0
		.amdhsa_system_sgpr_private_segment_wavefront_offset 0
		.amdhsa_system_sgpr_workgroup_id_x 1
		.amdhsa_system_sgpr_workgroup_id_y 0
		.amdhsa_system_sgpr_workgroup_id_z 0
		.amdhsa_system_sgpr_workgroup_info 0
		.amdhsa_system_vgpr_workitem_id 0
		.amdhsa_next_free_vgpr 1
		.amdhsa_next_free_sgpr 1
		.amdhsa_reserve_vcc 0
		.amdhsa_reserve_flat_scratch 0
		.amdhsa_float_round_mode_32 0
		.amdhsa_float_round_mode_16_64 0
		.amdhsa_float_denorm_mode_32 3
		.amdhsa_float_denorm_mode_16_64 3
		.amdhsa_dx10_clamp 1
		.amdhsa_ieee_mode 1
		.amdhsa_fp16_overflow 0
		.amdhsa_workgroup_processor_mode 1
		.amdhsa_memory_ordered 1
		.amdhsa_forward_progress 1
		.amdhsa_shared_vgpr_count 0
		.amdhsa_exception_fp_ieee_invalid_op 0
		.amdhsa_exception_fp_denorm_src 0
		.amdhsa_exception_fp_ieee_div_zero 0
		.amdhsa_exception_fp_ieee_overflow 0
		.amdhsa_exception_fp_ieee_underflow 0
		.amdhsa_exception_fp_ieee_inexact 0
		.amdhsa_exception_int_div_zero 0
	.end_amdhsa_kernel
	.section	.text._ZN7rocprim17ROCPRIM_400000_NS6detail17trampoline_kernelINS0_13kernel_configILj256ELj4ELj4294967295EEENS1_37radix_sort_block_sort_config_selectorIiNS0_10empty_typeEEEZNS1_21radix_sort_block_sortIS4_Lb0EN6thrust23THRUST_200600_302600_NS6detail15normal_iteratorINSA_10device_ptrIiEEEESF_PS6_SG_NS0_19identity_decomposerEEE10hipError_tT1_T2_T3_T4_jRjT5_jjP12ihipStream_tbEUlT_E_NS1_11comp_targetILNS1_3genE0ELNS1_11target_archE4294967295ELNS1_3gpuE0ELNS1_3repE0EEENS1_44radix_sort_block_sort_config_static_selectorELNS0_4arch9wavefront6targetE0EEEvSJ_,"axG",@progbits,_ZN7rocprim17ROCPRIM_400000_NS6detail17trampoline_kernelINS0_13kernel_configILj256ELj4ELj4294967295EEENS1_37radix_sort_block_sort_config_selectorIiNS0_10empty_typeEEEZNS1_21radix_sort_block_sortIS4_Lb0EN6thrust23THRUST_200600_302600_NS6detail15normal_iteratorINSA_10device_ptrIiEEEESF_PS6_SG_NS0_19identity_decomposerEEE10hipError_tT1_T2_T3_T4_jRjT5_jjP12ihipStream_tbEUlT_E_NS1_11comp_targetILNS1_3genE0ELNS1_11target_archE4294967295ELNS1_3gpuE0ELNS1_3repE0EEENS1_44radix_sort_block_sort_config_static_selectorELNS0_4arch9wavefront6targetE0EEEvSJ_,comdat
.Lfunc_end1:
	.size	_ZN7rocprim17ROCPRIM_400000_NS6detail17trampoline_kernelINS0_13kernel_configILj256ELj4ELj4294967295EEENS1_37radix_sort_block_sort_config_selectorIiNS0_10empty_typeEEEZNS1_21radix_sort_block_sortIS4_Lb0EN6thrust23THRUST_200600_302600_NS6detail15normal_iteratorINSA_10device_ptrIiEEEESF_PS6_SG_NS0_19identity_decomposerEEE10hipError_tT1_T2_T3_T4_jRjT5_jjP12ihipStream_tbEUlT_E_NS1_11comp_targetILNS1_3genE0ELNS1_11target_archE4294967295ELNS1_3gpuE0ELNS1_3repE0EEENS1_44radix_sort_block_sort_config_static_selectorELNS0_4arch9wavefront6targetE0EEEvSJ_, .Lfunc_end1-_ZN7rocprim17ROCPRIM_400000_NS6detail17trampoline_kernelINS0_13kernel_configILj256ELj4ELj4294967295EEENS1_37radix_sort_block_sort_config_selectorIiNS0_10empty_typeEEEZNS1_21radix_sort_block_sortIS4_Lb0EN6thrust23THRUST_200600_302600_NS6detail15normal_iteratorINSA_10device_ptrIiEEEESF_PS6_SG_NS0_19identity_decomposerEEE10hipError_tT1_T2_T3_T4_jRjT5_jjP12ihipStream_tbEUlT_E_NS1_11comp_targetILNS1_3genE0ELNS1_11target_archE4294967295ELNS1_3gpuE0ELNS1_3repE0EEENS1_44radix_sort_block_sort_config_static_selectorELNS0_4arch9wavefront6targetE0EEEvSJ_
                                        ; -- End function
	.set _ZN7rocprim17ROCPRIM_400000_NS6detail17trampoline_kernelINS0_13kernel_configILj256ELj4ELj4294967295EEENS1_37radix_sort_block_sort_config_selectorIiNS0_10empty_typeEEEZNS1_21radix_sort_block_sortIS4_Lb0EN6thrust23THRUST_200600_302600_NS6detail15normal_iteratorINSA_10device_ptrIiEEEESF_PS6_SG_NS0_19identity_decomposerEEE10hipError_tT1_T2_T3_T4_jRjT5_jjP12ihipStream_tbEUlT_E_NS1_11comp_targetILNS1_3genE0ELNS1_11target_archE4294967295ELNS1_3gpuE0ELNS1_3repE0EEENS1_44radix_sort_block_sort_config_static_selectorELNS0_4arch9wavefront6targetE0EEEvSJ_.num_vgpr, 0
	.set _ZN7rocprim17ROCPRIM_400000_NS6detail17trampoline_kernelINS0_13kernel_configILj256ELj4ELj4294967295EEENS1_37radix_sort_block_sort_config_selectorIiNS0_10empty_typeEEEZNS1_21radix_sort_block_sortIS4_Lb0EN6thrust23THRUST_200600_302600_NS6detail15normal_iteratorINSA_10device_ptrIiEEEESF_PS6_SG_NS0_19identity_decomposerEEE10hipError_tT1_T2_T3_T4_jRjT5_jjP12ihipStream_tbEUlT_E_NS1_11comp_targetILNS1_3genE0ELNS1_11target_archE4294967295ELNS1_3gpuE0ELNS1_3repE0EEENS1_44radix_sort_block_sort_config_static_selectorELNS0_4arch9wavefront6targetE0EEEvSJ_.num_agpr, 0
	.set _ZN7rocprim17ROCPRIM_400000_NS6detail17trampoline_kernelINS0_13kernel_configILj256ELj4ELj4294967295EEENS1_37radix_sort_block_sort_config_selectorIiNS0_10empty_typeEEEZNS1_21radix_sort_block_sortIS4_Lb0EN6thrust23THRUST_200600_302600_NS6detail15normal_iteratorINSA_10device_ptrIiEEEESF_PS6_SG_NS0_19identity_decomposerEEE10hipError_tT1_T2_T3_T4_jRjT5_jjP12ihipStream_tbEUlT_E_NS1_11comp_targetILNS1_3genE0ELNS1_11target_archE4294967295ELNS1_3gpuE0ELNS1_3repE0EEENS1_44radix_sort_block_sort_config_static_selectorELNS0_4arch9wavefront6targetE0EEEvSJ_.numbered_sgpr, 0
	.set _ZN7rocprim17ROCPRIM_400000_NS6detail17trampoline_kernelINS0_13kernel_configILj256ELj4ELj4294967295EEENS1_37radix_sort_block_sort_config_selectorIiNS0_10empty_typeEEEZNS1_21radix_sort_block_sortIS4_Lb0EN6thrust23THRUST_200600_302600_NS6detail15normal_iteratorINSA_10device_ptrIiEEEESF_PS6_SG_NS0_19identity_decomposerEEE10hipError_tT1_T2_T3_T4_jRjT5_jjP12ihipStream_tbEUlT_E_NS1_11comp_targetILNS1_3genE0ELNS1_11target_archE4294967295ELNS1_3gpuE0ELNS1_3repE0EEENS1_44radix_sort_block_sort_config_static_selectorELNS0_4arch9wavefront6targetE0EEEvSJ_.num_named_barrier, 0
	.set _ZN7rocprim17ROCPRIM_400000_NS6detail17trampoline_kernelINS0_13kernel_configILj256ELj4ELj4294967295EEENS1_37radix_sort_block_sort_config_selectorIiNS0_10empty_typeEEEZNS1_21radix_sort_block_sortIS4_Lb0EN6thrust23THRUST_200600_302600_NS6detail15normal_iteratorINSA_10device_ptrIiEEEESF_PS6_SG_NS0_19identity_decomposerEEE10hipError_tT1_T2_T3_T4_jRjT5_jjP12ihipStream_tbEUlT_E_NS1_11comp_targetILNS1_3genE0ELNS1_11target_archE4294967295ELNS1_3gpuE0ELNS1_3repE0EEENS1_44radix_sort_block_sort_config_static_selectorELNS0_4arch9wavefront6targetE0EEEvSJ_.private_seg_size, 0
	.set _ZN7rocprim17ROCPRIM_400000_NS6detail17trampoline_kernelINS0_13kernel_configILj256ELj4ELj4294967295EEENS1_37radix_sort_block_sort_config_selectorIiNS0_10empty_typeEEEZNS1_21radix_sort_block_sortIS4_Lb0EN6thrust23THRUST_200600_302600_NS6detail15normal_iteratorINSA_10device_ptrIiEEEESF_PS6_SG_NS0_19identity_decomposerEEE10hipError_tT1_T2_T3_T4_jRjT5_jjP12ihipStream_tbEUlT_E_NS1_11comp_targetILNS1_3genE0ELNS1_11target_archE4294967295ELNS1_3gpuE0ELNS1_3repE0EEENS1_44radix_sort_block_sort_config_static_selectorELNS0_4arch9wavefront6targetE0EEEvSJ_.uses_vcc, 0
	.set _ZN7rocprim17ROCPRIM_400000_NS6detail17trampoline_kernelINS0_13kernel_configILj256ELj4ELj4294967295EEENS1_37radix_sort_block_sort_config_selectorIiNS0_10empty_typeEEEZNS1_21radix_sort_block_sortIS4_Lb0EN6thrust23THRUST_200600_302600_NS6detail15normal_iteratorINSA_10device_ptrIiEEEESF_PS6_SG_NS0_19identity_decomposerEEE10hipError_tT1_T2_T3_T4_jRjT5_jjP12ihipStream_tbEUlT_E_NS1_11comp_targetILNS1_3genE0ELNS1_11target_archE4294967295ELNS1_3gpuE0ELNS1_3repE0EEENS1_44radix_sort_block_sort_config_static_selectorELNS0_4arch9wavefront6targetE0EEEvSJ_.uses_flat_scratch, 0
	.set _ZN7rocprim17ROCPRIM_400000_NS6detail17trampoline_kernelINS0_13kernel_configILj256ELj4ELj4294967295EEENS1_37radix_sort_block_sort_config_selectorIiNS0_10empty_typeEEEZNS1_21radix_sort_block_sortIS4_Lb0EN6thrust23THRUST_200600_302600_NS6detail15normal_iteratorINSA_10device_ptrIiEEEESF_PS6_SG_NS0_19identity_decomposerEEE10hipError_tT1_T2_T3_T4_jRjT5_jjP12ihipStream_tbEUlT_E_NS1_11comp_targetILNS1_3genE0ELNS1_11target_archE4294967295ELNS1_3gpuE0ELNS1_3repE0EEENS1_44radix_sort_block_sort_config_static_selectorELNS0_4arch9wavefront6targetE0EEEvSJ_.has_dyn_sized_stack, 0
	.set _ZN7rocprim17ROCPRIM_400000_NS6detail17trampoline_kernelINS0_13kernel_configILj256ELj4ELj4294967295EEENS1_37radix_sort_block_sort_config_selectorIiNS0_10empty_typeEEEZNS1_21radix_sort_block_sortIS4_Lb0EN6thrust23THRUST_200600_302600_NS6detail15normal_iteratorINSA_10device_ptrIiEEEESF_PS6_SG_NS0_19identity_decomposerEEE10hipError_tT1_T2_T3_T4_jRjT5_jjP12ihipStream_tbEUlT_E_NS1_11comp_targetILNS1_3genE0ELNS1_11target_archE4294967295ELNS1_3gpuE0ELNS1_3repE0EEENS1_44radix_sort_block_sort_config_static_selectorELNS0_4arch9wavefront6targetE0EEEvSJ_.has_recursion, 0
	.set _ZN7rocprim17ROCPRIM_400000_NS6detail17trampoline_kernelINS0_13kernel_configILj256ELj4ELj4294967295EEENS1_37radix_sort_block_sort_config_selectorIiNS0_10empty_typeEEEZNS1_21radix_sort_block_sortIS4_Lb0EN6thrust23THRUST_200600_302600_NS6detail15normal_iteratorINSA_10device_ptrIiEEEESF_PS6_SG_NS0_19identity_decomposerEEE10hipError_tT1_T2_T3_T4_jRjT5_jjP12ihipStream_tbEUlT_E_NS1_11comp_targetILNS1_3genE0ELNS1_11target_archE4294967295ELNS1_3gpuE0ELNS1_3repE0EEENS1_44radix_sort_block_sort_config_static_selectorELNS0_4arch9wavefront6targetE0EEEvSJ_.has_indirect_call, 0
	.section	.AMDGPU.csdata,"",@progbits
; Kernel info:
; codeLenInByte = 0
; TotalNumSgprs: 0
; NumVgprs: 0
; ScratchSize: 0
; MemoryBound: 0
; FloatMode: 240
; IeeeMode: 1
; LDSByteSize: 0 bytes/workgroup (compile time only)
; SGPRBlocks: 0
; VGPRBlocks: 0
; NumSGPRsForWavesPerEU: 1
; NumVGPRsForWavesPerEU: 1
; Occupancy: 16
; WaveLimiterHint : 0
; COMPUTE_PGM_RSRC2:SCRATCH_EN: 0
; COMPUTE_PGM_RSRC2:USER_SGPR: 6
; COMPUTE_PGM_RSRC2:TRAP_HANDLER: 0
; COMPUTE_PGM_RSRC2:TGID_X_EN: 1
; COMPUTE_PGM_RSRC2:TGID_Y_EN: 0
; COMPUTE_PGM_RSRC2:TGID_Z_EN: 0
; COMPUTE_PGM_RSRC2:TIDIG_COMP_CNT: 0
	.section	.text._ZN7rocprim17ROCPRIM_400000_NS6detail17trampoline_kernelINS0_13kernel_configILj256ELj4ELj4294967295EEENS1_37radix_sort_block_sort_config_selectorIiNS0_10empty_typeEEEZNS1_21radix_sort_block_sortIS4_Lb0EN6thrust23THRUST_200600_302600_NS6detail15normal_iteratorINSA_10device_ptrIiEEEESF_PS6_SG_NS0_19identity_decomposerEEE10hipError_tT1_T2_T3_T4_jRjT5_jjP12ihipStream_tbEUlT_E_NS1_11comp_targetILNS1_3genE5ELNS1_11target_archE942ELNS1_3gpuE9ELNS1_3repE0EEENS1_44radix_sort_block_sort_config_static_selectorELNS0_4arch9wavefront6targetE0EEEvSJ_,"axG",@progbits,_ZN7rocprim17ROCPRIM_400000_NS6detail17trampoline_kernelINS0_13kernel_configILj256ELj4ELj4294967295EEENS1_37radix_sort_block_sort_config_selectorIiNS0_10empty_typeEEEZNS1_21radix_sort_block_sortIS4_Lb0EN6thrust23THRUST_200600_302600_NS6detail15normal_iteratorINSA_10device_ptrIiEEEESF_PS6_SG_NS0_19identity_decomposerEEE10hipError_tT1_T2_T3_T4_jRjT5_jjP12ihipStream_tbEUlT_E_NS1_11comp_targetILNS1_3genE5ELNS1_11target_archE942ELNS1_3gpuE9ELNS1_3repE0EEENS1_44radix_sort_block_sort_config_static_selectorELNS0_4arch9wavefront6targetE0EEEvSJ_,comdat
	.protected	_ZN7rocprim17ROCPRIM_400000_NS6detail17trampoline_kernelINS0_13kernel_configILj256ELj4ELj4294967295EEENS1_37radix_sort_block_sort_config_selectorIiNS0_10empty_typeEEEZNS1_21radix_sort_block_sortIS4_Lb0EN6thrust23THRUST_200600_302600_NS6detail15normal_iteratorINSA_10device_ptrIiEEEESF_PS6_SG_NS0_19identity_decomposerEEE10hipError_tT1_T2_T3_T4_jRjT5_jjP12ihipStream_tbEUlT_E_NS1_11comp_targetILNS1_3genE5ELNS1_11target_archE942ELNS1_3gpuE9ELNS1_3repE0EEENS1_44radix_sort_block_sort_config_static_selectorELNS0_4arch9wavefront6targetE0EEEvSJ_ ; -- Begin function _ZN7rocprim17ROCPRIM_400000_NS6detail17trampoline_kernelINS0_13kernel_configILj256ELj4ELj4294967295EEENS1_37radix_sort_block_sort_config_selectorIiNS0_10empty_typeEEEZNS1_21radix_sort_block_sortIS4_Lb0EN6thrust23THRUST_200600_302600_NS6detail15normal_iteratorINSA_10device_ptrIiEEEESF_PS6_SG_NS0_19identity_decomposerEEE10hipError_tT1_T2_T3_T4_jRjT5_jjP12ihipStream_tbEUlT_E_NS1_11comp_targetILNS1_3genE5ELNS1_11target_archE942ELNS1_3gpuE9ELNS1_3repE0EEENS1_44radix_sort_block_sort_config_static_selectorELNS0_4arch9wavefront6targetE0EEEvSJ_
	.globl	_ZN7rocprim17ROCPRIM_400000_NS6detail17trampoline_kernelINS0_13kernel_configILj256ELj4ELj4294967295EEENS1_37radix_sort_block_sort_config_selectorIiNS0_10empty_typeEEEZNS1_21radix_sort_block_sortIS4_Lb0EN6thrust23THRUST_200600_302600_NS6detail15normal_iteratorINSA_10device_ptrIiEEEESF_PS6_SG_NS0_19identity_decomposerEEE10hipError_tT1_T2_T3_T4_jRjT5_jjP12ihipStream_tbEUlT_E_NS1_11comp_targetILNS1_3genE5ELNS1_11target_archE942ELNS1_3gpuE9ELNS1_3repE0EEENS1_44radix_sort_block_sort_config_static_selectorELNS0_4arch9wavefront6targetE0EEEvSJ_
	.p2align	8
	.type	_ZN7rocprim17ROCPRIM_400000_NS6detail17trampoline_kernelINS0_13kernel_configILj256ELj4ELj4294967295EEENS1_37radix_sort_block_sort_config_selectorIiNS0_10empty_typeEEEZNS1_21radix_sort_block_sortIS4_Lb0EN6thrust23THRUST_200600_302600_NS6detail15normal_iteratorINSA_10device_ptrIiEEEESF_PS6_SG_NS0_19identity_decomposerEEE10hipError_tT1_T2_T3_T4_jRjT5_jjP12ihipStream_tbEUlT_E_NS1_11comp_targetILNS1_3genE5ELNS1_11target_archE942ELNS1_3gpuE9ELNS1_3repE0EEENS1_44radix_sort_block_sort_config_static_selectorELNS0_4arch9wavefront6targetE0EEEvSJ_,@function
_ZN7rocprim17ROCPRIM_400000_NS6detail17trampoline_kernelINS0_13kernel_configILj256ELj4ELj4294967295EEENS1_37radix_sort_block_sort_config_selectorIiNS0_10empty_typeEEEZNS1_21radix_sort_block_sortIS4_Lb0EN6thrust23THRUST_200600_302600_NS6detail15normal_iteratorINSA_10device_ptrIiEEEESF_PS6_SG_NS0_19identity_decomposerEEE10hipError_tT1_T2_T3_T4_jRjT5_jjP12ihipStream_tbEUlT_E_NS1_11comp_targetILNS1_3genE5ELNS1_11target_archE942ELNS1_3gpuE9ELNS1_3repE0EEENS1_44radix_sort_block_sort_config_static_selectorELNS0_4arch9wavefront6targetE0EEEvSJ_: ; @_ZN7rocprim17ROCPRIM_400000_NS6detail17trampoline_kernelINS0_13kernel_configILj256ELj4ELj4294967295EEENS1_37radix_sort_block_sort_config_selectorIiNS0_10empty_typeEEEZNS1_21radix_sort_block_sortIS4_Lb0EN6thrust23THRUST_200600_302600_NS6detail15normal_iteratorINSA_10device_ptrIiEEEESF_PS6_SG_NS0_19identity_decomposerEEE10hipError_tT1_T2_T3_T4_jRjT5_jjP12ihipStream_tbEUlT_E_NS1_11comp_targetILNS1_3genE5ELNS1_11target_archE942ELNS1_3gpuE9ELNS1_3repE0EEENS1_44radix_sort_block_sort_config_static_selectorELNS0_4arch9wavefront6targetE0EEEvSJ_
; %bb.0:
	.section	.rodata,"a",@progbits
	.p2align	6, 0x0
	.amdhsa_kernel _ZN7rocprim17ROCPRIM_400000_NS6detail17trampoline_kernelINS0_13kernel_configILj256ELj4ELj4294967295EEENS1_37radix_sort_block_sort_config_selectorIiNS0_10empty_typeEEEZNS1_21radix_sort_block_sortIS4_Lb0EN6thrust23THRUST_200600_302600_NS6detail15normal_iteratorINSA_10device_ptrIiEEEESF_PS6_SG_NS0_19identity_decomposerEEE10hipError_tT1_T2_T3_T4_jRjT5_jjP12ihipStream_tbEUlT_E_NS1_11comp_targetILNS1_3genE5ELNS1_11target_archE942ELNS1_3gpuE9ELNS1_3repE0EEENS1_44radix_sort_block_sort_config_static_selectorELNS0_4arch9wavefront6targetE0EEEvSJ_
		.amdhsa_group_segment_fixed_size 0
		.amdhsa_private_segment_fixed_size 0
		.amdhsa_kernarg_size 48
		.amdhsa_user_sgpr_count 6
		.amdhsa_user_sgpr_private_segment_buffer 1
		.amdhsa_user_sgpr_dispatch_ptr 0
		.amdhsa_user_sgpr_queue_ptr 0
		.amdhsa_user_sgpr_kernarg_segment_ptr 1
		.amdhsa_user_sgpr_dispatch_id 0
		.amdhsa_user_sgpr_flat_scratch_init 0
		.amdhsa_user_sgpr_private_segment_size 0
		.amdhsa_wavefront_size32 1
		.amdhsa_uses_dynamic_stack 0
		.amdhsa_system_sgpr_private_segment_wavefront_offset 0
		.amdhsa_system_sgpr_workgroup_id_x 1
		.amdhsa_system_sgpr_workgroup_id_y 0
		.amdhsa_system_sgpr_workgroup_id_z 0
		.amdhsa_system_sgpr_workgroup_info 0
		.amdhsa_system_vgpr_workitem_id 0
		.amdhsa_next_free_vgpr 1
		.amdhsa_next_free_sgpr 1
		.amdhsa_reserve_vcc 0
		.amdhsa_reserve_flat_scratch 0
		.amdhsa_float_round_mode_32 0
		.amdhsa_float_round_mode_16_64 0
		.amdhsa_float_denorm_mode_32 3
		.amdhsa_float_denorm_mode_16_64 3
		.amdhsa_dx10_clamp 1
		.amdhsa_ieee_mode 1
		.amdhsa_fp16_overflow 0
		.amdhsa_workgroup_processor_mode 1
		.amdhsa_memory_ordered 1
		.amdhsa_forward_progress 1
		.amdhsa_shared_vgpr_count 0
		.amdhsa_exception_fp_ieee_invalid_op 0
		.amdhsa_exception_fp_denorm_src 0
		.amdhsa_exception_fp_ieee_div_zero 0
		.amdhsa_exception_fp_ieee_overflow 0
		.amdhsa_exception_fp_ieee_underflow 0
		.amdhsa_exception_fp_ieee_inexact 0
		.amdhsa_exception_int_div_zero 0
	.end_amdhsa_kernel
	.section	.text._ZN7rocprim17ROCPRIM_400000_NS6detail17trampoline_kernelINS0_13kernel_configILj256ELj4ELj4294967295EEENS1_37radix_sort_block_sort_config_selectorIiNS0_10empty_typeEEEZNS1_21radix_sort_block_sortIS4_Lb0EN6thrust23THRUST_200600_302600_NS6detail15normal_iteratorINSA_10device_ptrIiEEEESF_PS6_SG_NS0_19identity_decomposerEEE10hipError_tT1_T2_T3_T4_jRjT5_jjP12ihipStream_tbEUlT_E_NS1_11comp_targetILNS1_3genE5ELNS1_11target_archE942ELNS1_3gpuE9ELNS1_3repE0EEENS1_44radix_sort_block_sort_config_static_selectorELNS0_4arch9wavefront6targetE0EEEvSJ_,"axG",@progbits,_ZN7rocprim17ROCPRIM_400000_NS6detail17trampoline_kernelINS0_13kernel_configILj256ELj4ELj4294967295EEENS1_37radix_sort_block_sort_config_selectorIiNS0_10empty_typeEEEZNS1_21radix_sort_block_sortIS4_Lb0EN6thrust23THRUST_200600_302600_NS6detail15normal_iteratorINSA_10device_ptrIiEEEESF_PS6_SG_NS0_19identity_decomposerEEE10hipError_tT1_T2_T3_T4_jRjT5_jjP12ihipStream_tbEUlT_E_NS1_11comp_targetILNS1_3genE5ELNS1_11target_archE942ELNS1_3gpuE9ELNS1_3repE0EEENS1_44radix_sort_block_sort_config_static_selectorELNS0_4arch9wavefront6targetE0EEEvSJ_,comdat
.Lfunc_end2:
	.size	_ZN7rocprim17ROCPRIM_400000_NS6detail17trampoline_kernelINS0_13kernel_configILj256ELj4ELj4294967295EEENS1_37radix_sort_block_sort_config_selectorIiNS0_10empty_typeEEEZNS1_21radix_sort_block_sortIS4_Lb0EN6thrust23THRUST_200600_302600_NS6detail15normal_iteratorINSA_10device_ptrIiEEEESF_PS6_SG_NS0_19identity_decomposerEEE10hipError_tT1_T2_T3_T4_jRjT5_jjP12ihipStream_tbEUlT_E_NS1_11comp_targetILNS1_3genE5ELNS1_11target_archE942ELNS1_3gpuE9ELNS1_3repE0EEENS1_44radix_sort_block_sort_config_static_selectorELNS0_4arch9wavefront6targetE0EEEvSJ_, .Lfunc_end2-_ZN7rocprim17ROCPRIM_400000_NS6detail17trampoline_kernelINS0_13kernel_configILj256ELj4ELj4294967295EEENS1_37radix_sort_block_sort_config_selectorIiNS0_10empty_typeEEEZNS1_21radix_sort_block_sortIS4_Lb0EN6thrust23THRUST_200600_302600_NS6detail15normal_iteratorINSA_10device_ptrIiEEEESF_PS6_SG_NS0_19identity_decomposerEEE10hipError_tT1_T2_T3_T4_jRjT5_jjP12ihipStream_tbEUlT_E_NS1_11comp_targetILNS1_3genE5ELNS1_11target_archE942ELNS1_3gpuE9ELNS1_3repE0EEENS1_44radix_sort_block_sort_config_static_selectorELNS0_4arch9wavefront6targetE0EEEvSJ_
                                        ; -- End function
	.set _ZN7rocprim17ROCPRIM_400000_NS6detail17trampoline_kernelINS0_13kernel_configILj256ELj4ELj4294967295EEENS1_37radix_sort_block_sort_config_selectorIiNS0_10empty_typeEEEZNS1_21radix_sort_block_sortIS4_Lb0EN6thrust23THRUST_200600_302600_NS6detail15normal_iteratorINSA_10device_ptrIiEEEESF_PS6_SG_NS0_19identity_decomposerEEE10hipError_tT1_T2_T3_T4_jRjT5_jjP12ihipStream_tbEUlT_E_NS1_11comp_targetILNS1_3genE5ELNS1_11target_archE942ELNS1_3gpuE9ELNS1_3repE0EEENS1_44radix_sort_block_sort_config_static_selectorELNS0_4arch9wavefront6targetE0EEEvSJ_.num_vgpr, 0
	.set _ZN7rocprim17ROCPRIM_400000_NS6detail17trampoline_kernelINS0_13kernel_configILj256ELj4ELj4294967295EEENS1_37radix_sort_block_sort_config_selectorIiNS0_10empty_typeEEEZNS1_21radix_sort_block_sortIS4_Lb0EN6thrust23THRUST_200600_302600_NS6detail15normal_iteratorINSA_10device_ptrIiEEEESF_PS6_SG_NS0_19identity_decomposerEEE10hipError_tT1_T2_T3_T4_jRjT5_jjP12ihipStream_tbEUlT_E_NS1_11comp_targetILNS1_3genE5ELNS1_11target_archE942ELNS1_3gpuE9ELNS1_3repE0EEENS1_44radix_sort_block_sort_config_static_selectorELNS0_4arch9wavefront6targetE0EEEvSJ_.num_agpr, 0
	.set _ZN7rocprim17ROCPRIM_400000_NS6detail17trampoline_kernelINS0_13kernel_configILj256ELj4ELj4294967295EEENS1_37radix_sort_block_sort_config_selectorIiNS0_10empty_typeEEEZNS1_21radix_sort_block_sortIS4_Lb0EN6thrust23THRUST_200600_302600_NS6detail15normal_iteratorINSA_10device_ptrIiEEEESF_PS6_SG_NS0_19identity_decomposerEEE10hipError_tT1_T2_T3_T4_jRjT5_jjP12ihipStream_tbEUlT_E_NS1_11comp_targetILNS1_3genE5ELNS1_11target_archE942ELNS1_3gpuE9ELNS1_3repE0EEENS1_44radix_sort_block_sort_config_static_selectorELNS0_4arch9wavefront6targetE0EEEvSJ_.numbered_sgpr, 0
	.set _ZN7rocprim17ROCPRIM_400000_NS6detail17trampoline_kernelINS0_13kernel_configILj256ELj4ELj4294967295EEENS1_37radix_sort_block_sort_config_selectorIiNS0_10empty_typeEEEZNS1_21radix_sort_block_sortIS4_Lb0EN6thrust23THRUST_200600_302600_NS6detail15normal_iteratorINSA_10device_ptrIiEEEESF_PS6_SG_NS0_19identity_decomposerEEE10hipError_tT1_T2_T3_T4_jRjT5_jjP12ihipStream_tbEUlT_E_NS1_11comp_targetILNS1_3genE5ELNS1_11target_archE942ELNS1_3gpuE9ELNS1_3repE0EEENS1_44radix_sort_block_sort_config_static_selectorELNS0_4arch9wavefront6targetE0EEEvSJ_.num_named_barrier, 0
	.set _ZN7rocprim17ROCPRIM_400000_NS6detail17trampoline_kernelINS0_13kernel_configILj256ELj4ELj4294967295EEENS1_37radix_sort_block_sort_config_selectorIiNS0_10empty_typeEEEZNS1_21radix_sort_block_sortIS4_Lb0EN6thrust23THRUST_200600_302600_NS6detail15normal_iteratorINSA_10device_ptrIiEEEESF_PS6_SG_NS0_19identity_decomposerEEE10hipError_tT1_T2_T3_T4_jRjT5_jjP12ihipStream_tbEUlT_E_NS1_11comp_targetILNS1_3genE5ELNS1_11target_archE942ELNS1_3gpuE9ELNS1_3repE0EEENS1_44radix_sort_block_sort_config_static_selectorELNS0_4arch9wavefront6targetE0EEEvSJ_.private_seg_size, 0
	.set _ZN7rocprim17ROCPRIM_400000_NS6detail17trampoline_kernelINS0_13kernel_configILj256ELj4ELj4294967295EEENS1_37radix_sort_block_sort_config_selectorIiNS0_10empty_typeEEEZNS1_21radix_sort_block_sortIS4_Lb0EN6thrust23THRUST_200600_302600_NS6detail15normal_iteratorINSA_10device_ptrIiEEEESF_PS6_SG_NS0_19identity_decomposerEEE10hipError_tT1_T2_T3_T4_jRjT5_jjP12ihipStream_tbEUlT_E_NS1_11comp_targetILNS1_3genE5ELNS1_11target_archE942ELNS1_3gpuE9ELNS1_3repE0EEENS1_44radix_sort_block_sort_config_static_selectorELNS0_4arch9wavefront6targetE0EEEvSJ_.uses_vcc, 0
	.set _ZN7rocprim17ROCPRIM_400000_NS6detail17trampoline_kernelINS0_13kernel_configILj256ELj4ELj4294967295EEENS1_37radix_sort_block_sort_config_selectorIiNS0_10empty_typeEEEZNS1_21radix_sort_block_sortIS4_Lb0EN6thrust23THRUST_200600_302600_NS6detail15normal_iteratorINSA_10device_ptrIiEEEESF_PS6_SG_NS0_19identity_decomposerEEE10hipError_tT1_T2_T3_T4_jRjT5_jjP12ihipStream_tbEUlT_E_NS1_11comp_targetILNS1_3genE5ELNS1_11target_archE942ELNS1_3gpuE9ELNS1_3repE0EEENS1_44radix_sort_block_sort_config_static_selectorELNS0_4arch9wavefront6targetE0EEEvSJ_.uses_flat_scratch, 0
	.set _ZN7rocprim17ROCPRIM_400000_NS6detail17trampoline_kernelINS0_13kernel_configILj256ELj4ELj4294967295EEENS1_37radix_sort_block_sort_config_selectorIiNS0_10empty_typeEEEZNS1_21radix_sort_block_sortIS4_Lb0EN6thrust23THRUST_200600_302600_NS6detail15normal_iteratorINSA_10device_ptrIiEEEESF_PS6_SG_NS0_19identity_decomposerEEE10hipError_tT1_T2_T3_T4_jRjT5_jjP12ihipStream_tbEUlT_E_NS1_11comp_targetILNS1_3genE5ELNS1_11target_archE942ELNS1_3gpuE9ELNS1_3repE0EEENS1_44radix_sort_block_sort_config_static_selectorELNS0_4arch9wavefront6targetE0EEEvSJ_.has_dyn_sized_stack, 0
	.set _ZN7rocprim17ROCPRIM_400000_NS6detail17trampoline_kernelINS0_13kernel_configILj256ELj4ELj4294967295EEENS1_37radix_sort_block_sort_config_selectorIiNS0_10empty_typeEEEZNS1_21radix_sort_block_sortIS4_Lb0EN6thrust23THRUST_200600_302600_NS6detail15normal_iteratorINSA_10device_ptrIiEEEESF_PS6_SG_NS0_19identity_decomposerEEE10hipError_tT1_T2_T3_T4_jRjT5_jjP12ihipStream_tbEUlT_E_NS1_11comp_targetILNS1_3genE5ELNS1_11target_archE942ELNS1_3gpuE9ELNS1_3repE0EEENS1_44radix_sort_block_sort_config_static_selectorELNS0_4arch9wavefront6targetE0EEEvSJ_.has_recursion, 0
	.set _ZN7rocprim17ROCPRIM_400000_NS6detail17trampoline_kernelINS0_13kernel_configILj256ELj4ELj4294967295EEENS1_37radix_sort_block_sort_config_selectorIiNS0_10empty_typeEEEZNS1_21radix_sort_block_sortIS4_Lb0EN6thrust23THRUST_200600_302600_NS6detail15normal_iteratorINSA_10device_ptrIiEEEESF_PS6_SG_NS0_19identity_decomposerEEE10hipError_tT1_T2_T3_T4_jRjT5_jjP12ihipStream_tbEUlT_E_NS1_11comp_targetILNS1_3genE5ELNS1_11target_archE942ELNS1_3gpuE9ELNS1_3repE0EEENS1_44radix_sort_block_sort_config_static_selectorELNS0_4arch9wavefront6targetE0EEEvSJ_.has_indirect_call, 0
	.section	.AMDGPU.csdata,"",@progbits
; Kernel info:
; codeLenInByte = 0
; TotalNumSgprs: 0
; NumVgprs: 0
; ScratchSize: 0
; MemoryBound: 0
; FloatMode: 240
; IeeeMode: 1
; LDSByteSize: 0 bytes/workgroup (compile time only)
; SGPRBlocks: 0
; VGPRBlocks: 0
; NumSGPRsForWavesPerEU: 1
; NumVGPRsForWavesPerEU: 1
; Occupancy: 16
; WaveLimiterHint : 0
; COMPUTE_PGM_RSRC2:SCRATCH_EN: 0
; COMPUTE_PGM_RSRC2:USER_SGPR: 6
; COMPUTE_PGM_RSRC2:TRAP_HANDLER: 0
; COMPUTE_PGM_RSRC2:TGID_X_EN: 1
; COMPUTE_PGM_RSRC2:TGID_Y_EN: 0
; COMPUTE_PGM_RSRC2:TGID_Z_EN: 0
; COMPUTE_PGM_RSRC2:TIDIG_COMP_CNT: 0
	.section	.text._ZN7rocprim17ROCPRIM_400000_NS6detail17trampoline_kernelINS0_13kernel_configILj256ELj4ELj4294967295EEENS1_37radix_sort_block_sort_config_selectorIiNS0_10empty_typeEEEZNS1_21radix_sort_block_sortIS4_Lb0EN6thrust23THRUST_200600_302600_NS6detail15normal_iteratorINSA_10device_ptrIiEEEESF_PS6_SG_NS0_19identity_decomposerEEE10hipError_tT1_T2_T3_T4_jRjT5_jjP12ihipStream_tbEUlT_E_NS1_11comp_targetILNS1_3genE4ELNS1_11target_archE910ELNS1_3gpuE8ELNS1_3repE0EEENS1_44radix_sort_block_sort_config_static_selectorELNS0_4arch9wavefront6targetE0EEEvSJ_,"axG",@progbits,_ZN7rocprim17ROCPRIM_400000_NS6detail17trampoline_kernelINS0_13kernel_configILj256ELj4ELj4294967295EEENS1_37radix_sort_block_sort_config_selectorIiNS0_10empty_typeEEEZNS1_21radix_sort_block_sortIS4_Lb0EN6thrust23THRUST_200600_302600_NS6detail15normal_iteratorINSA_10device_ptrIiEEEESF_PS6_SG_NS0_19identity_decomposerEEE10hipError_tT1_T2_T3_T4_jRjT5_jjP12ihipStream_tbEUlT_E_NS1_11comp_targetILNS1_3genE4ELNS1_11target_archE910ELNS1_3gpuE8ELNS1_3repE0EEENS1_44radix_sort_block_sort_config_static_selectorELNS0_4arch9wavefront6targetE0EEEvSJ_,comdat
	.protected	_ZN7rocprim17ROCPRIM_400000_NS6detail17trampoline_kernelINS0_13kernel_configILj256ELj4ELj4294967295EEENS1_37radix_sort_block_sort_config_selectorIiNS0_10empty_typeEEEZNS1_21radix_sort_block_sortIS4_Lb0EN6thrust23THRUST_200600_302600_NS6detail15normal_iteratorINSA_10device_ptrIiEEEESF_PS6_SG_NS0_19identity_decomposerEEE10hipError_tT1_T2_T3_T4_jRjT5_jjP12ihipStream_tbEUlT_E_NS1_11comp_targetILNS1_3genE4ELNS1_11target_archE910ELNS1_3gpuE8ELNS1_3repE0EEENS1_44radix_sort_block_sort_config_static_selectorELNS0_4arch9wavefront6targetE0EEEvSJ_ ; -- Begin function _ZN7rocprim17ROCPRIM_400000_NS6detail17trampoline_kernelINS0_13kernel_configILj256ELj4ELj4294967295EEENS1_37radix_sort_block_sort_config_selectorIiNS0_10empty_typeEEEZNS1_21radix_sort_block_sortIS4_Lb0EN6thrust23THRUST_200600_302600_NS6detail15normal_iteratorINSA_10device_ptrIiEEEESF_PS6_SG_NS0_19identity_decomposerEEE10hipError_tT1_T2_T3_T4_jRjT5_jjP12ihipStream_tbEUlT_E_NS1_11comp_targetILNS1_3genE4ELNS1_11target_archE910ELNS1_3gpuE8ELNS1_3repE0EEENS1_44radix_sort_block_sort_config_static_selectorELNS0_4arch9wavefront6targetE0EEEvSJ_
	.globl	_ZN7rocprim17ROCPRIM_400000_NS6detail17trampoline_kernelINS0_13kernel_configILj256ELj4ELj4294967295EEENS1_37radix_sort_block_sort_config_selectorIiNS0_10empty_typeEEEZNS1_21radix_sort_block_sortIS4_Lb0EN6thrust23THRUST_200600_302600_NS6detail15normal_iteratorINSA_10device_ptrIiEEEESF_PS6_SG_NS0_19identity_decomposerEEE10hipError_tT1_T2_T3_T4_jRjT5_jjP12ihipStream_tbEUlT_E_NS1_11comp_targetILNS1_3genE4ELNS1_11target_archE910ELNS1_3gpuE8ELNS1_3repE0EEENS1_44radix_sort_block_sort_config_static_selectorELNS0_4arch9wavefront6targetE0EEEvSJ_
	.p2align	8
	.type	_ZN7rocprim17ROCPRIM_400000_NS6detail17trampoline_kernelINS0_13kernel_configILj256ELj4ELj4294967295EEENS1_37radix_sort_block_sort_config_selectorIiNS0_10empty_typeEEEZNS1_21radix_sort_block_sortIS4_Lb0EN6thrust23THRUST_200600_302600_NS6detail15normal_iteratorINSA_10device_ptrIiEEEESF_PS6_SG_NS0_19identity_decomposerEEE10hipError_tT1_T2_T3_T4_jRjT5_jjP12ihipStream_tbEUlT_E_NS1_11comp_targetILNS1_3genE4ELNS1_11target_archE910ELNS1_3gpuE8ELNS1_3repE0EEENS1_44radix_sort_block_sort_config_static_selectorELNS0_4arch9wavefront6targetE0EEEvSJ_,@function
_ZN7rocprim17ROCPRIM_400000_NS6detail17trampoline_kernelINS0_13kernel_configILj256ELj4ELj4294967295EEENS1_37radix_sort_block_sort_config_selectorIiNS0_10empty_typeEEEZNS1_21radix_sort_block_sortIS4_Lb0EN6thrust23THRUST_200600_302600_NS6detail15normal_iteratorINSA_10device_ptrIiEEEESF_PS6_SG_NS0_19identity_decomposerEEE10hipError_tT1_T2_T3_T4_jRjT5_jjP12ihipStream_tbEUlT_E_NS1_11comp_targetILNS1_3genE4ELNS1_11target_archE910ELNS1_3gpuE8ELNS1_3repE0EEENS1_44radix_sort_block_sort_config_static_selectorELNS0_4arch9wavefront6targetE0EEEvSJ_: ; @_ZN7rocprim17ROCPRIM_400000_NS6detail17trampoline_kernelINS0_13kernel_configILj256ELj4ELj4294967295EEENS1_37radix_sort_block_sort_config_selectorIiNS0_10empty_typeEEEZNS1_21radix_sort_block_sortIS4_Lb0EN6thrust23THRUST_200600_302600_NS6detail15normal_iteratorINSA_10device_ptrIiEEEESF_PS6_SG_NS0_19identity_decomposerEEE10hipError_tT1_T2_T3_T4_jRjT5_jjP12ihipStream_tbEUlT_E_NS1_11comp_targetILNS1_3genE4ELNS1_11target_archE910ELNS1_3gpuE8ELNS1_3repE0EEENS1_44radix_sort_block_sort_config_static_selectorELNS0_4arch9wavefront6targetE0EEEvSJ_
; %bb.0:
	.section	.rodata,"a",@progbits
	.p2align	6, 0x0
	.amdhsa_kernel _ZN7rocprim17ROCPRIM_400000_NS6detail17trampoline_kernelINS0_13kernel_configILj256ELj4ELj4294967295EEENS1_37radix_sort_block_sort_config_selectorIiNS0_10empty_typeEEEZNS1_21radix_sort_block_sortIS4_Lb0EN6thrust23THRUST_200600_302600_NS6detail15normal_iteratorINSA_10device_ptrIiEEEESF_PS6_SG_NS0_19identity_decomposerEEE10hipError_tT1_T2_T3_T4_jRjT5_jjP12ihipStream_tbEUlT_E_NS1_11comp_targetILNS1_3genE4ELNS1_11target_archE910ELNS1_3gpuE8ELNS1_3repE0EEENS1_44radix_sort_block_sort_config_static_selectorELNS0_4arch9wavefront6targetE0EEEvSJ_
		.amdhsa_group_segment_fixed_size 0
		.amdhsa_private_segment_fixed_size 0
		.amdhsa_kernarg_size 48
		.amdhsa_user_sgpr_count 6
		.amdhsa_user_sgpr_private_segment_buffer 1
		.amdhsa_user_sgpr_dispatch_ptr 0
		.amdhsa_user_sgpr_queue_ptr 0
		.amdhsa_user_sgpr_kernarg_segment_ptr 1
		.amdhsa_user_sgpr_dispatch_id 0
		.amdhsa_user_sgpr_flat_scratch_init 0
		.amdhsa_user_sgpr_private_segment_size 0
		.amdhsa_wavefront_size32 1
		.amdhsa_uses_dynamic_stack 0
		.amdhsa_system_sgpr_private_segment_wavefront_offset 0
		.amdhsa_system_sgpr_workgroup_id_x 1
		.amdhsa_system_sgpr_workgroup_id_y 0
		.amdhsa_system_sgpr_workgroup_id_z 0
		.amdhsa_system_sgpr_workgroup_info 0
		.amdhsa_system_vgpr_workitem_id 0
		.amdhsa_next_free_vgpr 1
		.amdhsa_next_free_sgpr 1
		.amdhsa_reserve_vcc 0
		.amdhsa_reserve_flat_scratch 0
		.amdhsa_float_round_mode_32 0
		.amdhsa_float_round_mode_16_64 0
		.amdhsa_float_denorm_mode_32 3
		.amdhsa_float_denorm_mode_16_64 3
		.amdhsa_dx10_clamp 1
		.amdhsa_ieee_mode 1
		.amdhsa_fp16_overflow 0
		.amdhsa_workgroup_processor_mode 1
		.amdhsa_memory_ordered 1
		.amdhsa_forward_progress 1
		.amdhsa_shared_vgpr_count 0
		.amdhsa_exception_fp_ieee_invalid_op 0
		.amdhsa_exception_fp_denorm_src 0
		.amdhsa_exception_fp_ieee_div_zero 0
		.amdhsa_exception_fp_ieee_overflow 0
		.amdhsa_exception_fp_ieee_underflow 0
		.amdhsa_exception_fp_ieee_inexact 0
		.amdhsa_exception_int_div_zero 0
	.end_amdhsa_kernel
	.section	.text._ZN7rocprim17ROCPRIM_400000_NS6detail17trampoline_kernelINS0_13kernel_configILj256ELj4ELj4294967295EEENS1_37radix_sort_block_sort_config_selectorIiNS0_10empty_typeEEEZNS1_21radix_sort_block_sortIS4_Lb0EN6thrust23THRUST_200600_302600_NS6detail15normal_iteratorINSA_10device_ptrIiEEEESF_PS6_SG_NS0_19identity_decomposerEEE10hipError_tT1_T2_T3_T4_jRjT5_jjP12ihipStream_tbEUlT_E_NS1_11comp_targetILNS1_3genE4ELNS1_11target_archE910ELNS1_3gpuE8ELNS1_3repE0EEENS1_44radix_sort_block_sort_config_static_selectorELNS0_4arch9wavefront6targetE0EEEvSJ_,"axG",@progbits,_ZN7rocprim17ROCPRIM_400000_NS6detail17trampoline_kernelINS0_13kernel_configILj256ELj4ELj4294967295EEENS1_37radix_sort_block_sort_config_selectorIiNS0_10empty_typeEEEZNS1_21radix_sort_block_sortIS4_Lb0EN6thrust23THRUST_200600_302600_NS6detail15normal_iteratorINSA_10device_ptrIiEEEESF_PS6_SG_NS0_19identity_decomposerEEE10hipError_tT1_T2_T3_T4_jRjT5_jjP12ihipStream_tbEUlT_E_NS1_11comp_targetILNS1_3genE4ELNS1_11target_archE910ELNS1_3gpuE8ELNS1_3repE0EEENS1_44radix_sort_block_sort_config_static_selectorELNS0_4arch9wavefront6targetE0EEEvSJ_,comdat
.Lfunc_end3:
	.size	_ZN7rocprim17ROCPRIM_400000_NS6detail17trampoline_kernelINS0_13kernel_configILj256ELj4ELj4294967295EEENS1_37radix_sort_block_sort_config_selectorIiNS0_10empty_typeEEEZNS1_21radix_sort_block_sortIS4_Lb0EN6thrust23THRUST_200600_302600_NS6detail15normal_iteratorINSA_10device_ptrIiEEEESF_PS6_SG_NS0_19identity_decomposerEEE10hipError_tT1_T2_T3_T4_jRjT5_jjP12ihipStream_tbEUlT_E_NS1_11comp_targetILNS1_3genE4ELNS1_11target_archE910ELNS1_3gpuE8ELNS1_3repE0EEENS1_44radix_sort_block_sort_config_static_selectorELNS0_4arch9wavefront6targetE0EEEvSJ_, .Lfunc_end3-_ZN7rocprim17ROCPRIM_400000_NS6detail17trampoline_kernelINS0_13kernel_configILj256ELj4ELj4294967295EEENS1_37radix_sort_block_sort_config_selectorIiNS0_10empty_typeEEEZNS1_21radix_sort_block_sortIS4_Lb0EN6thrust23THRUST_200600_302600_NS6detail15normal_iteratorINSA_10device_ptrIiEEEESF_PS6_SG_NS0_19identity_decomposerEEE10hipError_tT1_T2_T3_T4_jRjT5_jjP12ihipStream_tbEUlT_E_NS1_11comp_targetILNS1_3genE4ELNS1_11target_archE910ELNS1_3gpuE8ELNS1_3repE0EEENS1_44radix_sort_block_sort_config_static_selectorELNS0_4arch9wavefront6targetE0EEEvSJ_
                                        ; -- End function
	.set _ZN7rocprim17ROCPRIM_400000_NS6detail17trampoline_kernelINS0_13kernel_configILj256ELj4ELj4294967295EEENS1_37radix_sort_block_sort_config_selectorIiNS0_10empty_typeEEEZNS1_21radix_sort_block_sortIS4_Lb0EN6thrust23THRUST_200600_302600_NS6detail15normal_iteratorINSA_10device_ptrIiEEEESF_PS6_SG_NS0_19identity_decomposerEEE10hipError_tT1_T2_T3_T4_jRjT5_jjP12ihipStream_tbEUlT_E_NS1_11comp_targetILNS1_3genE4ELNS1_11target_archE910ELNS1_3gpuE8ELNS1_3repE0EEENS1_44radix_sort_block_sort_config_static_selectorELNS0_4arch9wavefront6targetE0EEEvSJ_.num_vgpr, 0
	.set _ZN7rocprim17ROCPRIM_400000_NS6detail17trampoline_kernelINS0_13kernel_configILj256ELj4ELj4294967295EEENS1_37radix_sort_block_sort_config_selectorIiNS0_10empty_typeEEEZNS1_21radix_sort_block_sortIS4_Lb0EN6thrust23THRUST_200600_302600_NS6detail15normal_iteratorINSA_10device_ptrIiEEEESF_PS6_SG_NS0_19identity_decomposerEEE10hipError_tT1_T2_T3_T4_jRjT5_jjP12ihipStream_tbEUlT_E_NS1_11comp_targetILNS1_3genE4ELNS1_11target_archE910ELNS1_3gpuE8ELNS1_3repE0EEENS1_44radix_sort_block_sort_config_static_selectorELNS0_4arch9wavefront6targetE0EEEvSJ_.num_agpr, 0
	.set _ZN7rocprim17ROCPRIM_400000_NS6detail17trampoline_kernelINS0_13kernel_configILj256ELj4ELj4294967295EEENS1_37radix_sort_block_sort_config_selectorIiNS0_10empty_typeEEEZNS1_21radix_sort_block_sortIS4_Lb0EN6thrust23THRUST_200600_302600_NS6detail15normal_iteratorINSA_10device_ptrIiEEEESF_PS6_SG_NS0_19identity_decomposerEEE10hipError_tT1_T2_T3_T4_jRjT5_jjP12ihipStream_tbEUlT_E_NS1_11comp_targetILNS1_3genE4ELNS1_11target_archE910ELNS1_3gpuE8ELNS1_3repE0EEENS1_44radix_sort_block_sort_config_static_selectorELNS0_4arch9wavefront6targetE0EEEvSJ_.numbered_sgpr, 0
	.set _ZN7rocprim17ROCPRIM_400000_NS6detail17trampoline_kernelINS0_13kernel_configILj256ELj4ELj4294967295EEENS1_37radix_sort_block_sort_config_selectorIiNS0_10empty_typeEEEZNS1_21radix_sort_block_sortIS4_Lb0EN6thrust23THRUST_200600_302600_NS6detail15normal_iteratorINSA_10device_ptrIiEEEESF_PS6_SG_NS0_19identity_decomposerEEE10hipError_tT1_T2_T3_T4_jRjT5_jjP12ihipStream_tbEUlT_E_NS1_11comp_targetILNS1_3genE4ELNS1_11target_archE910ELNS1_3gpuE8ELNS1_3repE0EEENS1_44radix_sort_block_sort_config_static_selectorELNS0_4arch9wavefront6targetE0EEEvSJ_.num_named_barrier, 0
	.set _ZN7rocprim17ROCPRIM_400000_NS6detail17trampoline_kernelINS0_13kernel_configILj256ELj4ELj4294967295EEENS1_37radix_sort_block_sort_config_selectorIiNS0_10empty_typeEEEZNS1_21radix_sort_block_sortIS4_Lb0EN6thrust23THRUST_200600_302600_NS6detail15normal_iteratorINSA_10device_ptrIiEEEESF_PS6_SG_NS0_19identity_decomposerEEE10hipError_tT1_T2_T3_T4_jRjT5_jjP12ihipStream_tbEUlT_E_NS1_11comp_targetILNS1_3genE4ELNS1_11target_archE910ELNS1_3gpuE8ELNS1_3repE0EEENS1_44radix_sort_block_sort_config_static_selectorELNS0_4arch9wavefront6targetE0EEEvSJ_.private_seg_size, 0
	.set _ZN7rocprim17ROCPRIM_400000_NS6detail17trampoline_kernelINS0_13kernel_configILj256ELj4ELj4294967295EEENS1_37radix_sort_block_sort_config_selectorIiNS0_10empty_typeEEEZNS1_21radix_sort_block_sortIS4_Lb0EN6thrust23THRUST_200600_302600_NS6detail15normal_iteratorINSA_10device_ptrIiEEEESF_PS6_SG_NS0_19identity_decomposerEEE10hipError_tT1_T2_T3_T4_jRjT5_jjP12ihipStream_tbEUlT_E_NS1_11comp_targetILNS1_3genE4ELNS1_11target_archE910ELNS1_3gpuE8ELNS1_3repE0EEENS1_44radix_sort_block_sort_config_static_selectorELNS0_4arch9wavefront6targetE0EEEvSJ_.uses_vcc, 0
	.set _ZN7rocprim17ROCPRIM_400000_NS6detail17trampoline_kernelINS0_13kernel_configILj256ELj4ELj4294967295EEENS1_37radix_sort_block_sort_config_selectorIiNS0_10empty_typeEEEZNS1_21radix_sort_block_sortIS4_Lb0EN6thrust23THRUST_200600_302600_NS6detail15normal_iteratorINSA_10device_ptrIiEEEESF_PS6_SG_NS0_19identity_decomposerEEE10hipError_tT1_T2_T3_T4_jRjT5_jjP12ihipStream_tbEUlT_E_NS1_11comp_targetILNS1_3genE4ELNS1_11target_archE910ELNS1_3gpuE8ELNS1_3repE0EEENS1_44radix_sort_block_sort_config_static_selectorELNS0_4arch9wavefront6targetE0EEEvSJ_.uses_flat_scratch, 0
	.set _ZN7rocprim17ROCPRIM_400000_NS6detail17trampoline_kernelINS0_13kernel_configILj256ELj4ELj4294967295EEENS1_37radix_sort_block_sort_config_selectorIiNS0_10empty_typeEEEZNS1_21radix_sort_block_sortIS4_Lb0EN6thrust23THRUST_200600_302600_NS6detail15normal_iteratorINSA_10device_ptrIiEEEESF_PS6_SG_NS0_19identity_decomposerEEE10hipError_tT1_T2_T3_T4_jRjT5_jjP12ihipStream_tbEUlT_E_NS1_11comp_targetILNS1_3genE4ELNS1_11target_archE910ELNS1_3gpuE8ELNS1_3repE0EEENS1_44radix_sort_block_sort_config_static_selectorELNS0_4arch9wavefront6targetE0EEEvSJ_.has_dyn_sized_stack, 0
	.set _ZN7rocprim17ROCPRIM_400000_NS6detail17trampoline_kernelINS0_13kernel_configILj256ELj4ELj4294967295EEENS1_37radix_sort_block_sort_config_selectorIiNS0_10empty_typeEEEZNS1_21radix_sort_block_sortIS4_Lb0EN6thrust23THRUST_200600_302600_NS6detail15normal_iteratorINSA_10device_ptrIiEEEESF_PS6_SG_NS0_19identity_decomposerEEE10hipError_tT1_T2_T3_T4_jRjT5_jjP12ihipStream_tbEUlT_E_NS1_11comp_targetILNS1_3genE4ELNS1_11target_archE910ELNS1_3gpuE8ELNS1_3repE0EEENS1_44radix_sort_block_sort_config_static_selectorELNS0_4arch9wavefront6targetE0EEEvSJ_.has_recursion, 0
	.set _ZN7rocprim17ROCPRIM_400000_NS6detail17trampoline_kernelINS0_13kernel_configILj256ELj4ELj4294967295EEENS1_37radix_sort_block_sort_config_selectorIiNS0_10empty_typeEEEZNS1_21radix_sort_block_sortIS4_Lb0EN6thrust23THRUST_200600_302600_NS6detail15normal_iteratorINSA_10device_ptrIiEEEESF_PS6_SG_NS0_19identity_decomposerEEE10hipError_tT1_T2_T3_T4_jRjT5_jjP12ihipStream_tbEUlT_E_NS1_11comp_targetILNS1_3genE4ELNS1_11target_archE910ELNS1_3gpuE8ELNS1_3repE0EEENS1_44radix_sort_block_sort_config_static_selectorELNS0_4arch9wavefront6targetE0EEEvSJ_.has_indirect_call, 0
	.section	.AMDGPU.csdata,"",@progbits
; Kernel info:
; codeLenInByte = 0
; TotalNumSgprs: 0
; NumVgprs: 0
; ScratchSize: 0
; MemoryBound: 0
; FloatMode: 240
; IeeeMode: 1
; LDSByteSize: 0 bytes/workgroup (compile time only)
; SGPRBlocks: 0
; VGPRBlocks: 0
; NumSGPRsForWavesPerEU: 1
; NumVGPRsForWavesPerEU: 1
; Occupancy: 16
; WaveLimiterHint : 0
; COMPUTE_PGM_RSRC2:SCRATCH_EN: 0
; COMPUTE_PGM_RSRC2:USER_SGPR: 6
; COMPUTE_PGM_RSRC2:TRAP_HANDLER: 0
; COMPUTE_PGM_RSRC2:TGID_X_EN: 1
; COMPUTE_PGM_RSRC2:TGID_Y_EN: 0
; COMPUTE_PGM_RSRC2:TGID_Z_EN: 0
; COMPUTE_PGM_RSRC2:TIDIG_COMP_CNT: 0
	.section	.text._ZN7rocprim17ROCPRIM_400000_NS6detail17trampoline_kernelINS0_13kernel_configILj256ELj4ELj4294967295EEENS1_37radix_sort_block_sort_config_selectorIiNS0_10empty_typeEEEZNS1_21radix_sort_block_sortIS4_Lb0EN6thrust23THRUST_200600_302600_NS6detail15normal_iteratorINSA_10device_ptrIiEEEESF_PS6_SG_NS0_19identity_decomposerEEE10hipError_tT1_T2_T3_T4_jRjT5_jjP12ihipStream_tbEUlT_E_NS1_11comp_targetILNS1_3genE3ELNS1_11target_archE908ELNS1_3gpuE7ELNS1_3repE0EEENS1_44radix_sort_block_sort_config_static_selectorELNS0_4arch9wavefront6targetE0EEEvSJ_,"axG",@progbits,_ZN7rocprim17ROCPRIM_400000_NS6detail17trampoline_kernelINS0_13kernel_configILj256ELj4ELj4294967295EEENS1_37radix_sort_block_sort_config_selectorIiNS0_10empty_typeEEEZNS1_21radix_sort_block_sortIS4_Lb0EN6thrust23THRUST_200600_302600_NS6detail15normal_iteratorINSA_10device_ptrIiEEEESF_PS6_SG_NS0_19identity_decomposerEEE10hipError_tT1_T2_T3_T4_jRjT5_jjP12ihipStream_tbEUlT_E_NS1_11comp_targetILNS1_3genE3ELNS1_11target_archE908ELNS1_3gpuE7ELNS1_3repE0EEENS1_44radix_sort_block_sort_config_static_selectorELNS0_4arch9wavefront6targetE0EEEvSJ_,comdat
	.protected	_ZN7rocprim17ROCPRIM_400000_NS6detail17trampoline_kernelINS0_13kernel_configILj256ELj4ELj4294967295EEENS1_37radix_sort_block_sort_config_selectorIiNS0_10empty_typeEEEZNS1_21radix_sort_block_sortIS4_Lb0EN6thrust23THRUST_200600_302600_NS6detail15normal_iteratorINSA_10device_ptrIiEEEESF_PS6_SG_NS0_19identity_decomposerEEE10hipError_tT1_T2_T3_T4_jRjT5_jjP12ihipStream_tbEUlT_E_NS1_11comp_targetILNS1_3genE3ELNS1_11target_archE908ELNS1_3gpuE7ELNS1_3repE0EEENS1_44radix_sort_block_sort_config_static_selectorELNS0_4arch9wavefront6targetE0EEEvSJ_ ; -- Begin function _ZN7rocprim17ROCPRIM_400000_NS6detail17trampoline_kernelINS0_13kernel_configILj256ELj4ELj4294967295EEENS1_37radix_sort_block_sort_config_selectorIiNS0_10empty_typeEEEZNS1_21radix_sort_block_sortIS4_Lb0EN6thrust23THRUST_200600_302600_NS6detail15normal_iteratorINSA_10device_ptrIiEEEESF_PS6_SG_NS0_19identity_decomposerEEE10hipError_tT1_T2_T3_T4_jRjT5_jjP12ihipStream_tbEUlT_E_NS1_11comp_targetILNS1_3genE3ELNS1_11target_archE908ELNS1_3gpuE7ELNS1_3repE0EEENS1_44radix_sort_block_sort_config_static_selectorELNS0_4arch9wavefront6targetE0EEEvSJ_
	.globl	_ZN7rocprim17ROCPRIM_400000_NS6detail17trampoline_kernelINS0_13kernel_configILj256ELj4ELj4294967295EEENS1_37radix_sort_block_sort_config_selectorIiNS0_10empty_typeEEEZNS1_21radix_sort_block_sortIS4_Lb0EN6thrust23THRUST_200600_302600_NS6detail15normal_iteratorINSA_10device_ptrIiEEEESF_PS6_SG_NS0_19identity_decomposerEEE10hipError_tT1_T2_T3_T4_jRjT5_jjP12ihipStream_tbEUlT_E_NS1_11comp_targetILNS1_3genE3ELNS1_11target_archE908ELNS1_3gpuE7ELNS1_3repE0EEENS1_44radix_sort_block_sort_config_static_selectorELNS0_4arch9wavefront6targetE0EEEvSJ_
	.p2align	8
	.type	_ZN7rocprim17ROCPRIM_400000_NS6detail17trampoline_kernelINS0_13kernel_configILj256ELj4ELj4294967295EEENS1_37radix_sort_block_sort_config_selectorIiNS0_10empty_typeEEEZNS1_21radix_sort_block_sortIS4_Lb0EN6thrust23THRUST_200600_302600_NS6detail15normal_iteratorINSA_10device_ptrIiEEEESF_PS6_SG_NS0_19identity_decomposerEEE10hipError_tT1_T2_T3_T4_jRjT5_jjP12ihipStream_tbEUlT_E_NS1_11comp_targetILNS1_3genE3ELNS1_11target_archE908ELNS1_3gpuE7ELNS1_3repE0EEENS1_44radix_sort_block_sort_config_static_selectorELNS0_4arch9wavefront6targetE0EEEvSJ_,@function
_ZN7rocprim17ROCPRIM_400000_NS6detail17trampoline_kernelINS0_13kernel_configILj256ELj4ELj4294967295EEENS1_37radix_sort_block_sort_config_selectorIiNS0_10empty_typeEEEZNS1_21radix_sort_block_sortIS4_Lb0EN6thrust23THRUST_200600_302600_NS6detail15normal_iteratorINSA_10device_ptrIiEEEESF_PS6_SG_NS0_19identity_decomposerEEE10hipError_tT1_T2_T3_T4_jRjT5_jjP12ihipStream_tbEUlT_E_NS1_11comp_targetILNS1_3genE3ELNS1_11target_archE908ELNS1_3gpuE7ELNS1_3repE0EEENS1_44radix_sort_block_sort_config_static_selectorELNS0_4arch9wavefront6targetE0EEEvSJ_: ; @_ZN7rocprim17ROCPRIM_400000_NS6detail17trampoline_kernelINS0_13kernel_configILj256ELj4ELj4294967295EEENS1_37radix_sort_block_sort_config_selectorIiNS0_10empty_typeEEEZNS1_21radix_sort_block_sortIS4_Lb0EN6thrust23THRUST_200600_302600_NS6detail15normal_iteratorINSA_10device_ptrIiEEEESF_PS6_SG_NS0_19identity_decomposerEEE10hipError_tT1_T2_T3_T4_jRjT5_jjP12ihipStream_tbEUlT_E_NS1_11comp_targetILNS1_3genE3ELNS1_11target_archE908ELNS1_3gpuE7ELNS1_3repE0EEENS1_44radix_sort_block_sort_config_static_selectorELNS0_4arch9wavefront6targetE0EEEvSJ_
; %bb.0:
	.section	.rodata,"a",@progbits
	.p2align	6, 0x0
	.amdhsa_kernel _ZN7rocprim17ROCPRIM_400000_NS6detail17trampoline_kernelINS0_13kernel_configILj256ELj4ELj4294967295EEENS1_37radix_sort_block_sort_config_selectorIiNS0_10empty_typeEEEZNS1_21radix_sort_block_sortIS4_Lb0EN6thrust23THRUST_200600_302600_NS6detail15normal_iteratorINSA_10device_ptrIiEEEESF_PS6_SG_NS0_19identity_decomposerEEE10hipError_tT1_T2_T3_T4_jRjT5_jjP12ihipStream_tbEUlT_E_NS1_11comp_targetILNS1_3genE3ELNS1_11target_archE908ELNS1_3gpuE7ELNS1_3repE0EEENS1_44radix_sort_block_sort_config_static_selectorELNS0_4arch9wavefront6targetE0EEEvSJ_
		.amdhsa_group_segment_fixed_size 0
		.amdhsa_private_segment_fixed_size 0
		.amdhsa_kernarg_size 48
		.amdhsa_user_sgpr_count 6
		.amdhsa_user_sgpr_private_segment_buffer 1
		.amdhsa_user_sgpr_dispatch_ptr 0
		.amdhsa_user_sgpr_queue_ptr 0
		.amdhsa_user_sgpr_kernarg_segment_ptr 1
		.amdhsa_user_sgpr_dispatch_id 0
		.amdhsa_user_sgpr_flat_scratch_init 0
		.amdhsa_user_sgpr_private_segment_size 0
		.amdhsa_wavefront_size32 1
		.amdhsa_uses_dynamic_stack 0
		.amdhsa_system_sgpr_private_segment_wavefront_offset 0
		.amdhsa_system_sgpr_workgroup_id_x 1
		.amdhsa_system_sgpr_workgroup_id_y 0
		.amdhsa_system_sgpr_workgroup_id_z 0
		.amdhsa_system_sgpr_workgroup_info 0
		.amdhsa_system_vgpr_workitem_id 0
		.amdhsa_next_free_vgpr 1
		.amdhsa_next_free_sgpr 1
		.amdhsa_reserve_vcc 0
		.amdhsa_reserve_flat_scratch 0
		.amdhsa_float_round_mode_32 0
		.amdhsa_float_round_mode_16_64 0
		.amdhsa_float_denorm_mode_32 3
		.amdhsa_float_denorm_mode_16_64 3
		.amdhsa_dx10_clamp 1
		.amdhsa_ieee_mode 1
		.amdhsa_fp16_overflow 0
		.amdhsa_workgroup_processor_mode 1
		.amdhsa_memory_ordered 1
		.amdhsa_forward_progress 1
		.amdhsa_shared_vgpr_count 0
		.amdhsa_exception_fp_ieee_invalid_op 0
		.amdhsa_exception_fp_denorm_src 0
		.amdhsa_exception_fp_ieee_div_zero 0
		.amdhsa_exception_fp_ieee_overflow 0
		.amdhsa_exception_fp_ieee_underflow 0
		.amdhsa_exception_fp_ieee_inexact 0
		.amdhsa_exception_int_div_zero 0
	.end_amdhsa_kernel
	.section	.text._ZN7rocprim17ROCPRIM_400000_NS6detail17trampoline_kernelINS0_13kernel_configILj256ELj4ELj4294967295EEENS1_37radix_sort_block_sort_config_selectorIiNS0_10empty_typeEEEZNS1_21radix_sort_block_sortIS4_Lb0EN6thrust23THRUST_200600_302600_NS6detail15normal_iteratorINSA_10device_ptrIiEEEESF_PS6_SG_NS0_19identity_decomposerEEE10hipError_tT1_T2_T3_T4_jRjT5_jjP12ihipStream_tbEUlT_E_NS1_11comp_targetILNS1_3genE3ELNS1_11target_archE908ELNS1_3gpuE7ELNS1_3repE0EEENS1_44radix_sort_block_sort_config_static_selectorELNS0_4arch9wavefront6targetE0EEEvSJ_,"axG",@progbits,_ZN7rocprim17ROCPRIM_400000_NS6detail17trampoline_kernelINS0_13kernel_configILj256ELj4ELj4294967295EEENS1_37radix_sort_block_sort_config_selectorIiNS0_10empty_typeEEEZNS1_21radix_sort_block_sortIS4_Lb0EN6thrust23THRUST_200600_302600_NS6detail15normal_iteratorINSA_10device_ptrIiEEEESF_PS6_SG_NS0_19identity_decomposerEEE10hipError_tT1_T2_T3_T4_jRjT5_jjP12ihipStream_tbEUlT_E_NS1_11comp_targetILNS1_3genE3ELNS1_11target_archE908ELNS1_3gpuE7ELNS1_3repE0EEENS1_44radix_sort_block_sort_config_static_selectorELNS0_4arch9wavefront6targetE0EEEvSJ_,comdat
.Lfunc_end4:
	.size	_ZN7rocprim17ROCPRIM_400000_NS6detail17trampoline_kernelINS0_13kernel_configILj256ELj4ELj4294967295EEENS1_37radix_sort_block_sort_config_selectorIiNS0_10empty_typeEEEZNS1_21radix_sort_block_sortIS4_Lb0EN6thrust23THRUST_200600_302600_NS6detail15normal_iteratorINSA_10device_ptrIiEEEESF_PS6_SG_NS0_19identity_decomposerEEE10hipError_tT1_T2_T3_T4_jRjT5_jjP12ihipStream_tbEUlT_E_NS1_11comp_targetILNS1_3genE3ELNS1_11target_archE908ELNS1_3gpuE7ELNS1_3repE0EEENS1_44radix_sort_block_sort_config_static_selectorELNS0_4arch9wavefront6targetE0EEEvSJ_, .Lfunc_end4-_ZN7rocprim17ROCPRIM_400000_NS6detail17trampoline_kernelINS0_13kernel_configILj256ELj4ELj4294967295EEENS1_37radix_sort_block_sort_config_selectorIiNS0_10empty_typeEEEZNS1_21radix_sort_block_sortIS4_Lb0EN6thrust23THRUST_200600_302600_NS6detail15normal_iteratorINSA_10device_ptrIiEEEESF_PS6_SG_NS0_19identity_decomposerEEE10hipError_tT1_T2_T3_T4_jRjT5_jjP12ihipStream_tbEUlT_E_NS1_11comp_targetILNS1_3genE3ELNS1_11target_archE908ELNS1_3gpuE7ELNS1_3repE0EEENS1_44radix_sort_block_sort_config_static_selectorELNS0_4arch9wavefront6targetE0EEEvSJ_
                                        ; -- End function
	.set _ZN7rocprim17ROCPRIM_400000_NS6detail17trampoline_kernelINS0_13kernel_configILj256ELj4ELj4294967295EEENS1_37radix_sort_block_sort_config_selectorIiNS0_10empty_typeEEEZNS1_21radix_sort_block_sortIS4_Lb0EN6thrust23THRUST_200600_302600_NS6detail15normal_iteratorINSA_10device_ptrIiEEEESF_PS6_SG_NS0_19identity_decomposerEEE10hipError_tT1_T2_T3_T4_jRjT5_jjP12ihipStream_tbEUlT_E_NS1_11comp_targetILNS1_3genE3ELNS1_11target_archE908ELNS1_3gpuE7ELNS1_3repE0EEENS1_44radix_sort_block_sort_config_static_selectorELNS0_4arch9wavefront6targetE0EEEvSJ_.num_vgpr, 0
	.set _ZN7rocprim17ROCPRIM_400000_NS6detail17trampoline_kernelINS0_13kernel_configILj256ELj4ELj4294967295EEENS1_37radix_sort_block_sort_config_selectorIiNS0_10empty_typeEEEZNS1_21radix_sort_block_sortIS4_Lb0EN6thrust23THRUST_200600_302600_NS6detail15normal_iteratorINSA_10device_ptrIiEEEESF_PS6_SG_NS0_19identity_decomposerEEE10hipError_tT1_T2_T3_T4_jRjT5_jjP12ihipStream_tbEUlT_E_NS1_11comp_targetILNS1_3genE3ELNS1_11target_archE908ELNS1_3gpuE7ELNS1_3repE0EEENS1_44radix_sort_block_sort_config_static_selectorELNS0_4arch9wavefront6targetE0EEEvSJ_.num_agpr, 0
	.set _ZN7rocprim17ROCPRIM_400000_NS6detail17trampoline_kernelINS0_13kernel_configILj256ELj4ELj4294967295EEENS1_37radix_sort_block_sort_config_selectorIiNS0_10empty_typeEEEZNS1_21radix_sort_block_sortIS4_Lb0EN6thrust23THRUST_200600_302600_NS6detail15normal_iteratorINSA_10device_ptrIiEEEESF_PS6_SG_NS0_19identity_decomposerEEE10hipError_tT1_T2_T3_T4_jRjT5_jjP12ihipStream_tbEUlT_E_NS1_11comp_targetILNS1_3genE3ELNS1_11target_archE908ELNS1_3gpuE7ELNS1_3repE0EEENS1_44radix_sort_block_sort_config_static_selectorELNS0_4arch9wavefront6targetE0EEEvSJ_.numbered_sgpr, 0
	.set _ZN7rocprim17ROCPRIM_400000_NS6detail17trampoline_kernelINS0_13kernel_configILj256ELj4ELj4294967295EEENS1_37radix_sort_block_sort_config_selectorIiNS0_10empty_typeEEEZNS1_21radix_sort_block_sortIS4_Lb0EN6thrust23THRUST_200600_302600_NS6detail15normal_iteratorINSA_10device_ptrIiEEEESF_PS6_SG_NS0_19identity_decomposerEEE10hipError_tT1_T2_T3_T4_jRjT5_jjP12ihipStream_tbEUlT_E_NS1_11comp_targetILNS1_3genE3ELNS1_11target_archE908ELNS1_3gpuE7ELNS1_3repE0EEENS1_44radix_sort_block_sort_config_static_selectorELNS0_4arch9wavefront6targetE0EEEvSJ_.num_named_barrier, 0
	.set _ZN7rocprim17ROCPRIM_400000_NS6detail17trampoline_kernelINS0_13kernel_configILj256ELj4ELj4294967295EEENS1_37radix_sort_block_sort_config_selectorIiNS0_10empty_typeEEEZNS1_21radix_sort_block_sortIS4_Lb0EN6thrust23THRUST_200600_302600_NS6detail15normal_iteratorINSA_10device_ptrIiEEEESF_PS6_SG_NS0_19identity_decomposerEEE10hipError_tT1_T2_T3_T4_jRjT5_jjP12ihipStream_tbEUlT_E_NS1_11comp_targetILNS1_3genE3ELNS1_11target_archE908ELNS1_3gpuE7ELNS1_3repE0EEENS1_44radix_sort_block_sort_config_static_selectorELNS0_4arch9wavefront6targetE0EEEvSJ_.private_seg_size, 0
	.set _ZN7rocprim17ROCPRIM_400000_NS6detail17trampoline_kernelINS0_13kernel_configILj256ELj4ELj4294967295EEENS1_37radix_sort_block_sort_config_selectorIiNS0_10empty_typeEEEZNS1_21radix_sort_block_sortIS4_Lb0EN6thrust23THRUST_200600_302600_NS6detail15normal_iteratorINSA_10device_ptrIiEEEESF_PS6_SG_NS0_19identity_decomposerEEE10hipError_tT1_T2_T3_T4_jRjT5_jjP12ihipStream_tbEUlT_E_NS1_11comp_targetILNS1_3genE3ELNS1_11target_archE908ELNS1_3gpuE7ELNS1_3repE0EEENS1_44radix_sort_block_sort_config_static_selectorELNS0_4arch9wavefront6targetE0EEEvSJ_.uses_vcc, 0
	.set _ZN7rocprim17ROCPRIM_400000_NS6detail17trampoline_kernelINS0_13kernel_configILj256ELj4ELj4294967295EEENS1_37radix_sort_block_sort_config_selectorIiNS0_10empty_typeEEEZNS1_21radix_sort_block_sortIS4_Lb0EN6thrust23THRUST_200600_302600_NS6detail15normal_iteratorINSA_10device_ptrIiEEEESF_PS6_SG_NS0_19identity_decomposerEEE10hipError_tT1_T2_T3_T4_jRjT5_jjP12ihipStream_tbEUlT_E_NS1_11comp_targetILNS1_3genE3ELNS1_11target_archE908ELNS1_3gpuE7ELNS1_3repE0EEENS1_44radix_sort_block_sort_config_static_selectorELNS0_4arch9wavefront6targetE0EEEvSJ_.uses_flat_scratch, 0
	.set _ZN7rocprim17ROCPRIM_400000_NS6detail17trampoline_kernelINS0_13kernel_configILj256ELj4ELj4294967295EEENS1_37radix_sort_block_sort_config_selectorIiNS0_10empty_typeEEEZNS1_21radix_sort_block_sortIS4_Lb0EN6thrust23THRUST_200600_302600_NS6detail15normal_iteratorINSA_10device_ptrIiEEEESF_PS6_SG_NS0_19identity_decomposerEEE10hipError_tT1_T2_T3_T4_jRjT5_jjP12ihipStream_tbEUlT_E_NS1_11comp_targetILNS1_3genE3ELNS1_11target_archE908ELNS1_3gpuE7ELNS1_3repE0EEENS1_44radix_sort_block_sort_config_static_selectorELNS0_4arch9wavefront6targetE0EEEvSJ_.has_dyn_sized_stack, 0
	.set _ZN7rocprim17ROCPRIM_400000_NS6detail17trampoline_kernelINS0_13kernel_configILj256ELj4ELj4294967295EEENS1_37radix_sort_block_sort_config_selectorIiNS0_10empty_typeEEEZNS1_21radix_sort_block_sortIS4_Lb0EN6thrust23THRUST_200600_302600_NS6detail15normal_iteratorINSA_10device_ptrIiEEEESF_PS6_SG_NS0_19identity_decomposerEEE10hipError_tT1_T2_T3_T4_jRjT5_jjP12ihipStream_tbEUlT_E_NS1_11comp_targetILNS1_3genE3ELNS1_11target_archE908ELNS1_3gpuE7ELNS1_3repE0EEENS1_44radix_sort_block_sort_config_static_selectorELNS0_4arch9wavefront6targetE0EEEvSJ_.has_recursion, 0
	.set _ZN7rocprim17ROCPRIM_400000_NS6detail17trampoline_kernelINS0_13kernel_configILj256ELj4ELj4294967295EEENS1_37radix_sort_block_sort_config_selectorIiNS0_10empty_typeEEEZNS1_21radix_sort_block_sortIS4_Lb0EN6thrust23THRUST_200600_302600_NS6detail15normal_iteratorINSA_10device_ptrIiEEEESF_PS6_SG_NS0_19identity_decomposerEEE10hipError_tT1_T2_T3_T4_jRjT5_jjP12ihipStream_tbEUlT_E_NS1_11comp_targetILNS1_3genE3ELNS1_11target_archE908ELNS1_3gpuE7ELNS1_3repE0EEENS1_44radix_sort_block_sort_config_static_selectorELNS0_4arch9wavefront6targetE0EEEvSJ_.has_indirect_call, 0
	.section	.AMDGPU.csdata,"",@progbits
; Kernel info:
; codeLenInByte = 0
; TotalNumSgprs: 0
; NumVgprs: 0
; ScratchSize: 0
; MemoryBound: 0
; FloatMode: 240
; IeeeMode: 1
; LDSByteSize: 0 bytes/workgroup (compile time only)
; SGPRBlocks: 0
; VGPRBlocks: 0
; NumSGPRsForWavesPerEU: 1
; NumVGPRsForWavesPerEU: 1
; Occupancy: 16
; WaveLimiterHint : 0
; COMPUTE_PGM_RSRC2:SCRATCH_EN: 0
; COMPUTE_PGM_RSRC2:USER_SGPR: 6
; COMPUTE_PGM_RSRC2:TRAP_HANDLER: 0
; COMPUTE_PGM_RSRC2:TGID_X_EN: 1
; COMPUTE_PGM_RSRC2:TGID_Y_EN: 0
; COMPUTE_PGM_RSRC2:TGID_Z_EN: 0
; COMPUTE_PGM_RSRC2:TIDIG_COMP_CNT: 0
	.section	.text._ZN7rocprim17ROCPRIM_400000_NS6detail17trampoline_kernelINS0_13kernel_configILj256ELj4ELj4294967295EEENS1_37radix_sort_block_sort_config_selectorIiNS0_10empty_typeEEEZNS1_21radix_sort_block_sortIS4_Lb0EN6thrust23THRUST_200600_302600_NS6detail15normal_iteratorINSA_10device_ptrIiEEEESF_PS6_SG_NS0_19identity_decomposerEEE10hipError_tT1_T2_T3_T4_jRjT5_jjP12ihipStream_tbEUlT_E_NS1_11comp_targetILNS1_3genE2ELNS1_11target_archE906ELNS1_3gpuE6ELNS1_3repE0EEENS1_44radix_sort_block_sort_config_static_selectorELNS0_4arch9wavefront6targetE0EEEvSJ_,"axG",@progbits,_ZN7rocprim17ROCPRIM_400000_NS6detail17trampoline_kernelINS0_13kernel_configILj256ELj4ELj4294967295EEENS1_37radix_sort_block_sort_config_selectorIiNS0_10empty_typeEEEZNS1_21radix_sort_block_sortIS4_Lb0EN6thrust23THRUST_200600_302600_NS6detail15normal_iteratorINSA_10device_ptrIiEEEESF_PS6_SG_NS0_19identity_decomposerEEE10hipError_tT1_T2_T3_T4_jRjT5_jjP12ihipStream_tbEUlT_E_NS1_11comp_targetILNS1_3genE2ELNS1_11target_archE906ELNS1_3gpuE6ELNS1_3repE0EEENS1_44radix_sort_block_sort_config_static_selectorELNS0_4arch9wavefront6targetE0EEEvSJ_,comdat
	.protected	_ZN7rocprim17ROCPRIM_400000_NS6detail17trampoline_kernelINS0_13kernel_configILj256ELj4ELj4294967295EEENS1_37radix_sort_block_sort_config_selectorIiNS0_10empty_typeEEEZNS1_21radix_sort_block_sortIS4_Lb0EN6thrust23THRUST_200600_302600_NS6detail15normal_iteratorINSA_10device_ptrIiEEEESF_PS6_SG_NS0_19identity_decomposerEEE10hipError_tT1_T2_T3_T4_jRjT5_jjP12ihipStream_tbEUlT_E_NS1_11comp_targetILNS1_3genE2ELNS1_11target_archE906ELNS1_3gpuE6ELNS1_3repE0EEENS1_44radix_sort_block_sort_config_static_selectorELNS0_4arch9wavefront6targetE0EEEvSJ_ ; -- Begin function _ZN7rocprim17ROCPRIM_400000_NS6detail17trampoline_kernelINS0_13kernel_configILj256ELj4ELj4294967295EEENS1_37radix_sort_block_sort_config_selectorIiNS0_10empty_typeEEEZNS1_21radix_sort_block_sortIS4_Lb0EN6thrust23THRUST_200600_302600_NS6detail15normal_iteratorINSA_10device_ptrIiEEEESF_PS6_SG_NS0_19identity_decomposerEEE10hipError_tT1_T2_T3_T4_jRjT5_jjP12ihipStream_tbEUlT_E_NS1_11comp_targetILNS1_3genE2ELNS1_11target_archE906ELNS1_3gpuE6ELNS1_3repE0EEENS1_44radix_sort_block_sort_config_static_selectorELNS0_4arch9wavefront6targetE0EEEvSJ_
	.globl	_ZN7rocprim17ROCPRIM_400000_NS6detail17trampoline_kernelINS0_13kernel_configILj256ELj4ELj4294967295EEENS1_37radix_sort_block_sort_config_selectorIiNS0_10empty_typeEEEZNS1_21radix_sort_block_sortIS4_Lb0EN6thrust23THRUST_200600_302600_NS6detail15normal_iteratorINSA_10device_ptrIiEEEESF_PS6_SG_NS0_19identity_decomposerEEE10hipError_tT1_T2_T3_T4_jRjT5_jjP12ihipStream_tbEUlT_E_NS1_11comp_targetILNS1_3genE2ELNS1_11target_archE906ELNS1_3gpuE6ELNS1_3repE0EEENS1_44radix_sort_block_sort_config_static_selectorELNS0_4arch9wavefront6targetE0EEEvSJ_
	.p2align	8
	.type	_ZN7rocprim17ROCPRIM_400000_NS6detail17trampoline_kernelINS0_13kernel_configILj256ELj4ELj4294967295EEENS1_37radix_sort_block_sort_config_selectorIiNS0_10empty_typeEEEZNS1_21radix_sort_block_sortIS4_Lb0EN6thrust23THRUST_200600_302600_NS6detail15normal_iteratorINSA_10device_ptrIiEEEESF_PS6_SG_NS0_19identity_decomposerEEE10hipError_tT1_T2_T3_T4_jRjT5_jjP12ihipStream_tbEUlT_E_NS1_11comp_targetILNS1_3genE2ELNS1_11target_archE906ELNS1_3gpuE6ELNS1_3repE0EEENS1_44radix_sort_block_sort_config_static_selectorELNS0_4arch9wavefront6targetE0EEEvSJ_,@function
_ZN7rocprim17ROCPRIM_400000_NS6detail17trampoline_kernelINS0_13kernel_configILj256ELj4ELj4294967295EEENS1_37radix_sort_block_sort_config_selectorIiNS0_10empty_typeEEEZNS1_21radix_sort_block_sortIS4_Lb0EN6thrust23THRUST_200600_302600_NS6detail15normal_iteratorINSA_10device_ptrIiEEEESF_PS6_SG_NS0_19identity_decomposerEEE10hipError_tT1_T2_T3_T4_jRjT5_jjP12ihipStream_tbEUlT_E_NS1_11comp_targetILNS1_3genE2ELNS1_11target_archE906ELNS1_3gpuE6ELNS1_3repE0EEENS1_44radix_sort_block_sort_config_static_selectorELNS0_4arch9wavefront6targetE0EEEvSJ_: ; @_ZN7rocprim17ROCPRIM_400000_NS6detail17trampoline_kernelINS0_13kernel_configILj256ELj4ELj4294967295EEENS1_37radix_sort_block_sort_config_selectorIiNS0_10empty_typeEEEZNS1_21radix_sort_block_sortIS4_Lb0EN6thrust23THRUST_200600_302600_NS6detail15normal_iteratorINSA_10device_ptrIiEEEESF_PS6_SG_NS0_19identity_decomposerEEE10hipError_tT1_T2_T3_T4_jRjT5_jjP12ihipStream_tbEUlT_E_NS1_11comp_targetILNS1_3genE2ELNS1_11target_archE906ELNS1_3gpuE6ELNS1_3repE0EEENS1_44radix_sort_block_sort_config_static_selectorELNS0_4arch9wavefront6targetE0EEEvSJ_
; %bb.0:
	.section	.rodata,"a",@progbits
	.p2align	6, 0x0
	.amdhsa_kernel _ZN7rocprim17ROCPRIM_400000_NS6detail17trampoline_kernelINS0_13kernel_configILj256ELj4ELj4294967295EEENS1_37radix_sort_block_sort_config_selectorIiNS0_10empty_typeEEEZNS1_21radix_sort_block_sortIS4_Lb0EN6thrust23THRUST_200600_302600_NS6detail15normal_iteratorINSA_10device_ptrIiEEEESF_PS6_SG_NS0_19identity_decomposerEEE10hipError_tT1_T2_T3_T4_jRjT5_jjP12ihipStream_tbEUlT_E_NS1_11comp_targetILNS1_3genE2ELNS1_11target_archE906ELNS1_3gpuE6ELNS1_3repE0EEENS1_44radix_sort_block_sort_config_static_selectorELNS0_4arch9wavefront6targetE0EEEvSJ_
		.amdhsa_group_segment_fixed_size 0
		.amdhsa_private_segment_fixed_size 0
		.amdhsa_kernarg_size 48
		.amdhsa_user_sgpr_count 6
		.amdhsa_user_sgpr_private_segment_buffer 1
		.amdhsa_user_sgpr_dispatch_ptr 0
		.amdhsa_user_sgpr_queue_ptr 0
		.amdhsa_user_sgpr_kernarg_segment_ptr 1
		.amdhsa_user_sgpr_dispatch_id 0
		.amdhsa_user_sgpr_flat_scratch_init 0
		.amdhsa_user_sgpr_private_segment_size 0
		.amdhsa_wavefront_size32 1
		.amdhsa_uses_dynamic_stack 0
		.amdhsa_system_sgpr_private_segment_wavefront_offset 0
		.amdhsa_system_sgpr_workgroup_id_x 1
		.amdhsa_system_sgpr_workgroup_id_y 0
		.amdhsa_system_sgpr_workgroup_id_z 0
		.amdhsa_system_sgpr_workgroup_info 0
		.amdhsa_system_vgpr_workitem_id 0
		.amdhsa_next_free_vgpr 1
		.amdhsa_next_free_sgpr 1
		.amdhsa_reserve_vcc 0
		.amdhsa_reserve_flat_scratch 0
		.amdhsa_float_round_mode_32 0
		.amdhsa_float_round_mode_16_64 0
		.amdhsa_float_denorm_mode_32 3
		.amdhsa_float_denorm_mode_16_64 3
		.amdhsa_dx10_clamp 1
		.amdhsa_ieee_mode 1
		.amdhsa_fp16_overflow 0
		.amdhsa_workgroup_processor_mode 1
		.amdhsa_memory_ordered 1
		.amdhsa_forward_progress 1
		.amdhsa_shared_vgpr_count 0
		.amdhsa_exception_fp_ieee_invalid_op 0
		.amdhsa_exception_fp_denorm_src 0
		.amdhsa_exception_fp_ieee_div_zero 0
		.amdhsa_exception_fp_ieee_overflow 0
		.amdhsa_exception_fp_ieee_underflow 0
		.amdhsa_exception_fp_ieee_inexact 0
		.amdhsa_exception_int_div_zero 0
	.end_amdhsa_kernel
	.section	.text._ZN7rocprim17ROCPRIM_400000_NS6detail17trampoline_kernelINS0_13kernel_configILj256ELj4ELj4294967295EEENS1_37radix_sort_block_sort_config_selectorIiNS0_10empty_typeEEEZNS1_21radix_sort_block_sortIS4_Lb0EN6thrust23THRUST_200600_302600_NS6detail15normal_iteratorINSA_10device_ptrIiEEEESF_PS6_SG_NS0_19identity_decomposerEEE10hipError_tT1_T2_T3_T4_jRjT5_jjP12ihipStream_tbEUlT_E_NS1_11comp_targetILNS1_3genE2ELNS1_11target_archE906ELNS1_3gpuE6ELNS1_3repE0EEENS1_44radix_sort_block_sort_config_static_selectorELNS0_4arch9wavefront6targetE0EEEvSJ_,"axG",@progbits,_ZN7rocprim17ROCPRIM_400000_NS6detail17trampoline_kernelINS0_13kernel_configILj256ELj4ELj4294967295EEENS1_37radix_sort_block_sort_config_selectorIiNS0_10empty_typeEEEZNS1_21radix_sort_block_sortIS4_Lb0EN6thrust23THRUST_200600_302600_NS6detail15normal_iteratorINSA_10device_ptrIiEEEESF_PS6_SG_NS0_19identity_decomposerEEE10hipError_tT1_T2_T3_T4_jRjT5_jjP12ihipStream_tbEUlT_E_NS1_11comp_targetILNS1_3genE2ELNS1_11target_archE906ELNS1_3gpuE6ELNS1_3repE0EEENS1_44radix_sort_block_sort_config_static_selectorELNS0_4arch9wavefront6targetE0EEEvSJ_,comdat
.Lfunc_end5:
	.size	_ZN7rocprim17ROCPRIM_400000_NS6detail17trampoline_kernelINS0_13kernel_configILj256ELj4ELj4294967295EEENS1_37radix_sort_block_sort_config_selectorIiNS0_10empty_typeEEEZNS1_21radix_sort_block_sortIS4_Lb0EN6thrust23THRUST_200600_302600_NS6detail15normal_iteratorINSA_10device_ptrIiEEEESF_PS6_SG_NS0_19identity_decomposerEEE10hipError_tT1_T2_T3_T4_jRjT5_jjP12ihipStream_tbEUlT_E_NS1_11comp_targetILNS1_3genE2ELNS1_11target_archE906ELNS1_3gpuE6ELNS1_3repE0EEENS1_44radix_sort_block_sort_config_static_selectorELNS0_4arch9wavefront6targetE0EEEvSJ_, .Lfunc_end5-_ZN7rocprim17ROCPRIM_400000_NS6detail17trampoline_kernelINS0_13kernel_configILj256ELj4ELj4294967295EEENS1_37radix_sort_block_sort_config_selectorIiNS0_10empty_typeEEEZNS1_21radix_sort_block_sortIS4_Lb0EN6thrust23THRUST_200600_302600_NS6detail15normal_iteratorINSA_10device_ptrIiEEEESF_PS6_SG_NS0_19identity_decomposerEEE10hipError_tT1_T2_T3_T4_jRjT5_jjP12ihipStream_tbEUlT_E_NS1_11comp_targetILNS1_3genE2ELNS1_11target_archE906ELNS1_3gpuE6ELNS1_3repE0EEENS1_44radix_sort_block_sort_config_static_selectorELNS0_4arch9wavefront6targetE0EEEvSJ_
                                        ; -- End function
	.set _ZN7rocprim17ROCPRIM_400000_NS6detail17trampoline_kernelINS0_13kernel_configILj256ELj4ELj4294967295EEENS1_37radix_sort_block_sort_config_selectorIiNS0_10empty_typeEEEZNS1_21radix_sort_block_sortIS4_Lb0EN6thrust23THRUST_200600_302600_NS6detail15normal_iteratorINSA_10device_ptrIiEEEESF_PS6_SG_NS0_19identity_decomposerEEE10hipError_tT1_T2_T3_T4_jRjT5_jjP12ihipStream_tbEUlT_E_NS1_11comp_targetILNS1_3genE2ELNS1_11target_archE906ELNS1_3gpuE6ELNS1_3repE0EEENS1_44radix_sort_block_sort_config_static_selectorELNS0_4arch9wavefront6targetE0EEEvSJ_.num_vgpr, 0
	.set _ZN7rocprim17ROCPRIM_400000_NS6detail17trampoline_kernelINS0_13kernel_configILj256ELj4ELj4294967295EEENS1_37radix_sort_block_sort_config_selectorIiNS0_10empty_typeEEEZNS1_21radix_sort_block_sortIS4_Lb0EN6thrust23THRUST_200600_302600_NS6detail15normal_iteratorINSA_10device_ptrIiEEEESF_PS6_SG_NS0_19identity_decomposerEEE10hipError_tT1_T2_T3_T4_jRjT5_jjP12ihipStream_tbEUlT_E_NS1_11comp_targetILNS1_3genE2ELNS1_11target_archE906ELNS1_3gpuE6ELNS1_3repE0EEENS1_44radix_sort_block_sort_config_static_selectorELNS0_4arch9wavefront6targetE0EEEvSJ_.num_agpr, 0
	.set _ZN7rocprim17ROCPRIM_400000_NS6detail17trampoline_kernelINS0_13kernel_configILj256ELj4ELj4294967295EEENS1_37radix_sort_block_sort_config_selectorIiNS0_10empty_typeEEEZNS1_21radix_sort_block_sortIS4_Lb0EN6thrust23THRUST_200600_302600_NS6detail15normal_iteratorINSA_10device_ptrIiEEEESF_PS6_SG_NS0_19identity_decomposerEEE10hipError_tT1_T2_T3_T4_jRjT5_jjP12ihipStream_tbEUlT_E_NS1_11comp_targetILNS1_3genE2ELNS1_11target_archE906ELNS1_3gpuE6ELNS1_3repE0EEENS1_44radix_sort_block_sort_config_static_selectorELNS0_4arch9wavefront6targetE0EEEvSJ_.numbered_sgpr, 0
	.set _ZN7rocprim17ROCPRIM_400000_NS6detail17trampoline_kernelINS0_13kernel_configILj256ELj4ELj4294967295EEENS1_37radix_sort_block_sort_config_selectorIiNS0_10empty_typeEEEZNS1_21radix_sort_block_sortIS4_Lb0EN6thrust23THRUST_200600_302600_NS6detail15normal_iteratorINSA_10device_ptrIiEEEESF_PS6_SG_NS0_19identity_decomposerEEE10hipError_tT1_T2_T3_T4_jRjT5_jjP12ihipStream_tbEUlT_E_NS1_11comp_targetILNS1_3genE2ELNS1_11target_archE906ELNS1_3gpuE6ELNS1_3repE0EEENS1_44radix_sort_block_sort_config_static_selectorELNS0_4arch9wavefront6targetE0EEEvSJ_.num_named_barrier, 0
	.set _ZN7rocprim17ROCPRIM_400000_NS6detail17trampoline_kernelINS0_13kernel_configILj256ELj4ELj4294967295EEENS1_37radix_sort_block_sort_config_selectorIiNS0_10empty_typeEEEZNS1_21radix_sort_block_sortIS4_Lb0EN6thrust23THRUST_200600_302600_NS6detail15normal_iteratorINSA_10device_ptrIiEEEESF_PS6_SG_NS0_19identity_decomposerEEE10hipError_tT1_T2_T3_T4_jRjT5_jjP12ihipStream_tbEUlT_E_NS1_11comp_targetILNS1_3genE2ELNS1_11target_archE906ELNS1_3gpuE6ELNS1_3repE0EEENS1_44radix_sort_block_sort_config_static_selectorELNS0_4arch9wavefront6targetE0EEEvSJ_.private_seg_size, 0
	.set _ZN7rocprim17ROCPRIM_400000_NS6detail17trampoline_kernelINS0_13kernel_configILj256ELj4ELj4294967295EEENS1_37radix_sort_block_sort_config_selectorIiNS0_10empty_typeEEEZNS1_21radix_sort_block_sortIS4_Lb0EN6thrust23THRUST_200600_302600_NS6detail15normal_iteratorINSA_10device_ptrIiEEEESF_PS6_SG_NS0_19identity_decomposerEEE10hipError_tT1_T2_T3_T4_jRjT5_jjP12ihipStream_tbEUlT_E_NS1_11comp_targetILNS1_3genE2ELNS1_11target_archE906ELNS1_3gpuE6ELNS1_3repE0EEENS1_44radix_sort_block_sort_config_static_selectorELNS0_4arch9wavefront6targetE0EEEvSJ_.uses_vcc, 0
	.set _ZN7rocprim17ROCPRIM_400000_NS6detail17trampoline_kernelINS0_13kernel_configILj256ELj4ELj4294967295EEENS1_37radix_sort_block_sort_config_selectorIiNS0_10empty_typeEEEZNS1_21radix_sort_block_sortIS4_Lb0EN6thrust23THRUST_200600_302600_NS6detail15normal_iteratorINSA_10device_ptrIiEEEESF_PS6_SG_NS0_19identity_decomposerEEE10hipError_tT1_T2_T3_T4_jRjT5_jjP12ihipStream_tbEUlT_E_NS1_11comp_targetILNS1_3genE2ELNS1_11target_archE906ELNS1_3gpuE6ELNS1_3repE0EEENS1_44radix_sort_block_sort_config_static_selectorELNS0_4arch9wavefront6targetE0EEEvSJ_.uses_flat_scratch, 0
	.set _ZN7rocprim17ROCPRIM_400000_NS6detail17trampoline_kernelINS0_13kernel_configILj256ELj4ELj4294967295EEENS1_37radix_sort_block_sort_config_selectorIiNS0_10empty_typeEEEZNS1_21radix_sort_block_sortIS4_Lb0EN6thrust23THRUST_200600_302600_NS6detail15normal_iteratorINSA_10device_ptrIiEEEESF_PS6_SG_NS0_19identity_decomposerEEE10hipError_tT1_T2_T3_T4_jRjT5_jjP12ihipStream_tbEUlT_E_NS1_11comp_targetILNS1_3genE2ELNS1_11target_archE906ELNS1_3gpuE6ELNS1_3repE0EEENS1_44radix_sort_block_sort_config_static_selectorELNS0_4arch9wavefront6targetE0EEEvSJ_.has_dyn_sized_stack, 0
	.set _ZN7rocprim17ROCPRIM_400000_NS6detail17trampoline_kernelINS0_13kernel_configILj256ELj4ELj4294967295EEENS1_37radix_sort_block_sort_config_selectorIiNS0_10empty_typeEEEZNS1_21radix_sort_block_sortIS4_Lb0EN6thrust23THRUST_200600_302600_NS6detail15normal_iteratorINSA_10device_ptrIiEEEESF_PS6_SG_NS0_19identity_decomposerEEE10hipError_tT1_T2_T3_T4_jRjT5_jjP12ihipStream_tbEUlT_E_NS1_11comp_targetILNS1_3genE2ELNS1_11target_archE906ELNS1_3gpuE6ELNS1_3repE0EEENS1_44radix_sort_block_sort_config_static_selectorELNS0_4arch9wavefront6targetE0EEEvSJ_.has_recursion, 0
	.set _ZN7rocprim17ROCPRIM_400000_NS6detail17trampoline_kernelINS0_13kernel_configILj256ELj4ELj4294967295EEENS1_37radix_sort_block_sort_config_selectorIiNS0_10empty_typeEEEZNS1_21radix_sort_block_sortIS4_Lb0EN6thrust23THRUST_200600_302600_NS6detail15normal_iteratorINSA_10device_ptrIiEEEESF_PS6_SG_NS0_19identity_decomposerEEE10hipError_tT1_T2_T3_T4_jRjT5_jjP12ihipStream_tbEUlT_E_NS1_11comp_targetILNS1_3genE2ELNS1_11target_archE906ELNS1_3gpuE6ELNS1_3repE0EEENS1_44radix_sort_block_sort_config_static_selectorELNS0_4arch9wavefront6targetE0EEEvSJ_.has_indirect_call, 0
	.section	.AMDGPU.csdata,"",@progbits
; Kernel info:
; codeLenInByte = 0
; TotalNumSgprs: 0
; NumVgprs: 0
; ScratchSize: 0
; MemoryBound: 0
; FloatMode: 240
; IeeeMode: 1
; LDSByteSize: 0 bytes/workgroup (compile time only)
; SGPRBlocks: 0
; VGPRBlocks: 0
; NumSGPRsForWavesPerEU: 1
; NumVGPRsForWavesPerEU: 1
; Occupancy: 16
; WaveLimiterHint : 0
; COMPUTE_PGM_RSRC2:SCRATCH_EN: 0
; COMPUTE_PGM_RSRC2:USER_SGPR: 6
; COMPUTE_PGM_RSRC2:TRAP_HANDLER: 0
; COMPUTE_PGM_RSRC2:TGID_X_EN: 1
; COMPUTE_PGM_RSRC2:TGID_Y_EN: 0
; COMPUTE_PGM_RSRC2:TGID_Z_EN: 0
; COMPUTE_PGM_RSRC2:TIDIG_COMP_CNT: 0
	.section	.text._ZN7rocprim17ROCPRIM_400000_NS6detail17trampoline_kernelINS0_13kernel_configILj256ELj4ELj4294967295EEENS1_37radix_sort_block_sort_config_selectorIiNS0_10empty_typeEEEZNS1_21radix_sort_block_sortIS4_Lb0EN6thrust23THRUST_200600_302600_NS6detail15normal_iteratorINSA_10device_ptrIiEEEESF_PS6_SG_NS0_19identity_decomposerEEE10hipError_tT1_T2_T3_T4_jRjT5_jjP12ihipStream_tbEUlT_E_NS1_11comp_targetILNS1_3genE10ELNS1_11target_archE1201ELNS1_3gpuE5ELNS1_3repE0EEENS1_44radix_sort_block_sort_config_static_selectorELNS0_4arch9wavefront6targetE0EEEvSJ_,"axG",@progbits,_ZN7rocprim17ROCPRIM_400000_NS6detail17trampoline_kernelINS0_13kernel_configILj256ELj4ELj4294967295EEENS1_37radix_sort_block_sort_config_selectorIiNS0_10empty_typeEEEZNS1_21radix_sort_block_sortIS4_Lb0EN6thrust23THRUST_200600_302600_NS6detail15normal_iteratorINSA_10device_ptrIiEEEESF_PS6_SG_NS0_19identity_decomposerEEE10hipError_tT1_T2_T3_T4_jRjT5_jjP12ihipStream_tbEUlT_E_NS1_11comp_targetILNS1_3genE10ELNS1_11target_archE1201ELNS1_3gpuE5ELNS1_3repE0EEENS1_44radix_sort_block_sort_config_static_selectorELNS0_4arch9wavefront6targetE0EEEvSJ_,comdat
	.protected	_ZN7rocprim17ROCPRIM_400000_NS6detail17trampoline_kernelINS0_13kernel_configILj256ELj4ELj4294967295EEENS1_37radix_sort_block_sort_config_selectorIiNS0_10empty_typeEEEZNS1_21radix_sort_block_sortIS4_Lb0EN6thrust23THRUST_200600_302600_NS6detail15normal_iteratorINSA_10device_ptrIiEEEESF_PS6_SG_NS0_19identity_decomposerEEE10hipError_tT1_T2_T3_T4_jRjT5_jjP12ihipStream_tbEUlT_E_NS1_11comp_targetILNS1_3genE10ELNS1_11target_archE1201ELNS1_3gpuE5ELNS1_3repE0EEENS1_44radix_sort_block_sort_config_static_selectorELNS0_4arch9wavefront6targetE0EEEvSJ_ ; -- Begin function _ZN7rocprim17ROCPRIM_400000_NS6detail17trampoline_kernelINS0_13kernel_configILj256ELj4ELj4294967295EEENS1_37radix_sort_block_sort_config_selectorIiNS0_10empty_typeEEEZNS1_21radix_sort_block_sortIS4_Lb0EN6thrust23THRUST_200600_302600_NS6detail15normal_iteratorINSA_10device_ptrIiEEEESF_PS6_SG_NS0_19identity_decomposerEEE10hipError_tT1_T2_T3_T4_jRjT5_jjP12ihipStream_tbEUlT_E_NS1_11comp_targetILNS1_3genE10ELNS1_11target_archE1201ELNS1_3gpuE5ELNS1_3repE0EEENS1_44radix_sort_block_sort_config_static_selectorELNS0_4arch9wavefront6targetE0EEEvSJ_
	.globl	_ZN7rocprim17ROCPRIM_400000_NS6detail17trampoline_kernelINS0_13kernel_configILj256ELj4ELj4294967295EEENS1_37radix_sort_block_sort_config_selectorIiNS0_10empty_typeEEEZNS1_21radix_sort_block_sortIS4_Lb0EN6thrust23THRUST_200600_302600_NS6detail15normal_iteratorINSA_10device_ptrIiEEEESF_PS6_SG_NS0_19identity_decomposerEEE10hipError_tT1_T2_T3_T4_jRjT5_jjP12ihipStream_tbEUlT_E_NS1_11comp_targetILNS1_3genE10ELNS1_11target_archE1201ELNS1_3gpuE5ELNS1_3repE0EEENS1_44radix_sort_block_sort_config_static_selectorELNS0_4arch9wavefront6targetE0EEEvSJ_
	.p2align	8
	.type	_ZN7rocprim17ROCPRIM_400000_NS6detail17trampoline_kernelINS0_13kernel_configILj256ELj4ELj4294967295EEENS1_37radix_sort_block_sort_config_selectorIiNS0_10empty_typeEEEZNS1_21radix_sort_block_sortIS4_Lb0EN6thrust23THRUST_200600_302600_NS6detail15normal_iteratorINSA_10device_ptrIiEEEESF_PS6_SG_NS0_19identity_decomposerEEE10hipError_tT1_T2_T3_T4_jRjT5_jjP12ihipStream_tbEUlT_E_NS1_11comp_targetILNS1_3genE10ELNS1_11target_archE1201ELNS1_3gpuE5ELNS1_3repE0EEENS1_44radix_sort_block_sort_config_static_selectorELNS0_4arch9wavefront6targetE0EEEvSJ_,@function
_ZN7rocprim17ROCPRIM_400000_NS6detail17trampoline_kernelINS0_13kernel_configILj256ELj4ELj4294967295EEENS1_37radix_sort_block_sort_config_selectorIiNS0_10empty_typeEEEZNS1_21radix_sort_block_sortIS4_Lb0EN6thrust23THRUST_200600_302600_NS6detail15normal_iteratorINSA_10device_ptrIiEEEESF_PS6_SG_NS0_19identity_decomposerEEE10hipError_tT1_T2_T3_T4_jRjT5_jjP12ihipStream_tbEUlT_E_NS1_11comp_targetILNS1_3genE10ELNS1_11target_archE1201ELNS1_3gpuE5ELNS1_3repE0EEENS1_44radix_sort_block_sort_config_static_selectorELNS0_4arch9wavefront6targetE0EEEvSJ_: ; @_ZN7rocprim17ROCPRIM_400000_NS6detail17trampoline_kernelINS0_13kernel_configILj256ELj4ELj4294967295EEENS1_37radix_sort_block_sort_config_selectorIiNS0_10empty_typeEEEZNS1_21radix_sort_block_sortIS4_Lb0EN6thrust23THRUST_200600_302600_NS6detail15normal_iteratorINSA_10device_ptrIiEEEESF_PS6_SG_NS0_19identity_decomposerEEE10hipError_tT1_T2_T3_T4_jRjT5_jjP12ihipStream_tbEUlT_E_NS1_11comp_targetILNS1_3genE10ELNS1_11target_archE1201ELNS1_3gpuE5ELNS1_3repE0EEENS1_44radix_sort_block_sort_config_static_selectorELNS0_4arch9wavefront6targetE0EEEvSJ_
; %bb.0:
	.section	.rodata,"a",@progbits
	.p2align	6, 0x0
	.amdhsa_kernel _ZN7rocprim17ROCPRIM_400000_NS6detail17trampoline_kernelINS0_13kernel_configILj256ELj4ELj4294967295EEENS1_37radix_sort_block_sort_config_selectorIiNS0_10empty_typeEEEZNS1_21radix_sort_block_sortIS4_Lb0EN6thrust23THRUST_200600_302600_NS6detail15normal_iteratorINSA_10device_ptrIiEEEESF_PS6_SG_NS0_19identity_decomposerEEE10hipError_tT1_T2_T3_T4_jRjT5_jjP12ihipStream_tbEUlT_E_NS1_11comp_targetILNS1_3genE10ELNS1_11target_archE1201ELNS1_3gpuE5ELNS1_3repE0EEENS1_44radix_sort_block_sort_config_static_selectorELNS0_4arch9wavefront6targetE0EEEvSJ_
		.amdhsa_group_segment_fixed_size 0
		.amdhsa_private_segment_fixed_size 0
		.amdhsa_kernarg_size 48
		.amdhsa_user_sgpr_count 6
		.amdhsa_user_sgpr_private_segment_buffer 1
		.amdhsa_user_sgpr_dispatch_ptr 0
		.amdhsa_user_sgpr_queue_ptr 0
		.amdhsa_user_sgpr_kernarg_segment_ptr 1
		.amdhsa_user_sgpr_dispatch_id 0
		.amdhsa_user_sgpr_flat_scratch_init 0
		.amdhsa_user_sgpr_private_segment_size 0
		.amdhsa_wavefront_size32 1
		.amdhsa_uses_dynamic_stack 0
		.amdhsa_system_sgpr_private_segment_wavefront_offset 0
		.amdhsa_system_sgpr_workgroup_id_x 1
		.amdhsa_system_sgpr_workgroup_id_y 0
		.amdhsa_system_sgpr_workgroup_id_z 0
		.amdhsa_system_sgpr_workgroup_info 0
		.amdhsa_system_vgpr_workitem_id 0
		.amdhsa_next_free_vgpr 1
		.amdhsa_next_free_sgpr 1
		.amdhsa_reserve_vcc 0
		.amdhsa_reserve_flat_scratch 0
		.amdhsa_float_round_mode_32 0
		.amdhsa_float_round_mode_16_64 0
		.amdhsa_float_denorm_mode_32 3
		.amdhsa_float_denorm_mode_16_64 3
		.amdhsa_dx10_clamp 1
		.amdhsa_ieee_mode 1
		.amdhsa_fp16_overflow 0
		.amdhsa_workgroup_processor_mode 1
		.amdhsa_memory_ordered 1
		.amdhsa_forward_progress 1
		.amdhsa_shared_vgpr_count 0
		.amdhsa_exception_fp_ieee_invalid_op 0
		.amdhsa_exception_fp_denorm_src 0
		.amdhsa_exception_fp_ieee_div_zero 0
		.amdhsa_exception_fp_ieee_overflow 0
		.amdhsa_exception_fp_ieee_underflow 0
		.amdhsa_exception_fp_ieee_inexact 0
		.amdhsa_exception_int_div_zero 0
	.end_amdhsa_kernel
	.section	.text._ZN7rocprim17ROCPRIM_400000_NS6detail17trampoline_kernelINS0_13kernel_configILj256ELj4ELj4294967295EEENS1_37radix_sort_block_sort_config_selectorIiNS0_10empty_typeEEEZNS1_21radix_sort_block_sortIS4_Lb0EN6thrust23THRUST_200600_302600_NS6detail15normal_iteratorINSA_10device_ptrIiEEEESF_PS6_SG_NS0_19identity_decomposerEEE10hipError_tT1_T2_T3_T4_jRjT5_jjP12ihipStream_tbEUlT_E_NS1_11comp_targetILNS1_3genE10ELNS1_11target_archE1201ELNS1_3gpuE5ELNS1_3repE0EEENS1_44radix_sort_block_sort_config_static_selectorELNS0_4arch9wavefront6targetE0EEEvSJ_,"axG",@progbits,_ZN7rocprim17ROCPRIM_400000_NS6detail17trampoline_kernelINS0_13kernel_configILj256ELj4ELj4294967295EEENS1_37radix_sort_block_sort_config_selectorIiNS0_10empty_typeEEEZNS1_21radix_sort_block_sortIS4_Lb0EN6thrust23THRUST_200600_302600_NS6detail15normal_iteratorINSA_10device_ptrIiEEEESF_PS6_SG_NS0_19identity_decomposerEEE10hipError_tT1_T2_T3_T4_jRjT5_jjP12ihipStream_tbEUlT_E_NS1_11comp_targetILNS1_3genE10ELNS1_11target_archE1201ELNS1_3gpuE5ELNS1_3repE0EEENS1_44radix_sort_block_sort_config_static_selectorELNS0_4arch9wavefront6targetE0EEEvSJ_,comdat
.Lfunc_end6:
	.size	_ZN7rocprim17ROCPRIM_400000_NS6detail17trampoline_kernelINS0_13kernel_configILj256ELj4ELj4294967295EEENS1_37radix_sort_block_sort_config_selectorIiNS0_10empty_typeEEEZNS1_21radix_sort_block_sortIS4_Lb0EN6thrust23THRUST_200600_302600_NS6detail15normal_iteratorINSA_10device_ptrIiEEEESF_PS6_SG_NS0_19identity_decomposerEEE10hipError_tT1_T2_T3_T4_jRjT5_jjP12ihipStream_tbEUlT_E_NS1_11comp_targetILNS1_3genE10ELNS1_11target_archE1201ELNS1_3gpuE5ELNS1_3repE0EEENS1_44radix_sort_block_sort_config_static_selectorELNS0_4arch9wavefront6targetE0EEEvSJ_, .Lfunc_end6-_ZN7rocprim17ROCPRIM_400000_NS6detail17trampoline_kernelINS0_13kernel_configILj256ELj4ELj4294967295EEENS1_37radix_sort_block_sort_config_selectorIiNS0_10empty_typeEEEZNS1_21radix_sort_block_sortIS4_Lb0EN6thrust23THRUST_200600_302600_NS6detail15normal_iteratorINSA_10device_ptrIiEEEESF_PS6_SG_NS0_19identity_decomposerEEE10hipError_tT1_T2_T3_T4_jRjT5_jjP12ihipStream_tbEUlT_E_NS1_11comp_targetILNS1_3genE10ELNS1_11target_archE1201ELNS1_3gpuE5ELNS1_3repE0EEENS1_44radix_sort_block_sort_config_static_selectorELNS0_4arch9wavefront6targetE0EEEvSJ_
                                        ; -- End function
	.set _ZN7rocprim17ROCPRIM_400000_NS6detail17trampoline_kernelINS0_13kernel_configILj256ELj4ELj4294967295EEENS1_37radix_sort_block_sort_config_selectorIiNS0_10empty_typeEEEZNS1_21radix_sort_block_sortIS4_Lb0EN6thrust23THRUST_200600_302600_NS6detail15normal_iteratorINSA_10device_ptrIiEEEESF_PS6_SG_NS0_19identity_decomposerEEE10hipError_tT1_T2_T3_T4_jRjT5_jjP12ihipStream_tbEUlT_E_NS1_11comp_targetILNS1_3genE10ELNS1_11target_archE1201ELNS1_3gpuE5ELNS1_3repE0EEENS1_44radix_sort_block_sort_config_static_selectorELNS0_4arch9wavefront6targetE0EEEvSJ_.num_vgpr, 0
	.set _ZN7rocprim17ROCPRIM_400000_NS6detail17trampoline_kernelINS0_13kernel_configILj256ELj4ELj4294967295EEENS1_37radix_sort_block_sort_config_selectorIiNS0_10empty_typeEEEZNS1_21radix_sort_block_sortIS4_Lb0EN6thrust23THRUST_200600_302600_NS6detail15normal_iteratorINSA_10device_ptrIiEEEESF_PS6_SG_NS0_19identity_decomposerEEE10hipError_tT1_T2_T3_T4_jRjT5_jjP12ihipStream_tbEUlT_E_NS1_11comp_targetILNS1_3genE10ELNS1_11target_archE1201ELNS1_3gpuE5ELNS1_3repE0EEENS1_44radix_sort_block_sort_config_static_selectorELNS0_4arch9wavefront6targetE0EEEvSJ_.num_agpr, 0
	.set _ZN7rocprim17ROCPRIM_400000_NS6detail17trampoline_kernelINS0_13kernel_configILj256ELj4ELj4294967295EEENS1_37radix_sort_block_sort_config_selectorIiNS0_10empty_typeEEEZNS1_21radix_sort_block_sortIS4_Lb0EN6thrust23THRUST_200600_302600_NS6detail15normal_iteratorINSA_10device_ptrIiEEEESF_PS6_SG_NS0_19identity_decomposerEEE10hipError_tT1_T2_T3_T4_jRjT5_jjP12ihipStream_tbEUlT_E_NS1_11comp_targetILNS1_3genE10ELNS1_11target_archE1201ELNS1_3gpuE5ELNS1_3repE0EEENS1_44radix_sort_block_sort_config_static_selectorELNS0_4arch9wavefront6targetE0EEEvSJ_.numbered_sgpr, 0
	.set _ZN7rocprim17ROCPRIM_400000_NS6detail17trampoline_kernelINS0_13kernel_configILj256ELj4ELj4294967295EEENS1_37radix_sort_block_sort_config_selectorIiNS0_10empty_typeEEEZNS1_21radix_sort_block_sortIS4_Lb0EN6thrust23THRUST_200600_302600_NS6detail15normal_iteratorINSA_10device_ptrIiEEEESF_PS6_SG_NS0_19identity_decomposerEEE10hipError_tT1_T2_T3_T4_jRjT5_jjP12ihipStream_tbEUlT_E_NS1_11comp_targetILNS1_3genE10ELNS1_11target_archE1201ELNS1_3gpuE5ELNS1_3repE0EEENS1_44radix_sort_block_sort_config_static_selectorELNS0_4arch9wavefront6targetE0EEEvSJ_.num_named_barrier, 0
	.set _ZN7rocprim17ROCPRIM_400000_NS6detail17trampoline_kernelINS0_13kernel_configILj256ELj4ELj4294967295EEENS1_37radix_sort_block_sort_config_selectorIiNS0_10empty_typeEEEZNS1_21radix_sort_block_sortIS4_Lb0EN6thrust23THRUST_200600_302600_NS6detail15normal_iteratorINSA_10device_ptrIiEEEESF_PS6_SG_NS0_19identity_decomposerEEE10hipError_tT1_T2_T3_T4_jRjT5_jjP12ihipStream_tbEUlT_E_NS1_11comp_targetILNS1_3genE10ELNS1_11target_archE1201ELNS1_3gpuE5ELNS1_3repE0EEENS1_44radix_sort_block_sort_config_static_selectorELNS0_4arch9wavefront6targetE0EEEvSJ_.private_seg_size, 0
	.set _ZN7rocprim17ROCPRIM_400000_NS6detail17trampoline_kernelINS0_13kernel_configILj256ELj4ELj4294967295EEENS1_37radix_sort_block_sort_config_selectorIiNS0_10empty_typeEEEZNS1_21radix_sort_block_sortIS4_Lb0EN6thrust23THRUST_200600_302600_NS6detail15normal_iteratorINSA_10device_ptrIiEEEESF_PS6_SG_NS0_19identity_decomposerEEE10hipError_tT1_T2_T3_T4_jRjT5_jjP12ihipStream_tbEUlT_E_NS1_11comp_targetILNS1_3genE10ELNS1_11target_archE1201ELNS1_3gpuE5ELNS1_3repE0EEENS1_44radix_sort_block_sort_config_static_selectorELNS0_4arch9wavefront6targetE0EEEvSJ_.uses_vcc, 0
	.set _ZN7rocprim17ROCPRIM_400000_NS6detail17trampoline_kernelINS0_13kernel_configILj256ELj4ELj4294967295EEENS1_37radix_sort_block_sort_config_selectorIiNS0_10empty_typeEEEZNS1_21radix_sort_block_sortIS4_Lb0EN6thrust23THRUST_200600_302600_NS6detail15normal_iteratorINSA_10device_ptrIiEEEESF_PS6_SG_NS0_19identity_decomposerEEE10hipError_tT1_T2_T3_T4_jRjT5_jjP12ihipStream_tbEUlT_E_NS1_11comp_targetILNS1_3genE10ELNS1_11target_archE1201ELNS1_3gpuE5ELNS1_3repE0EEENS1_44radix_sort_block_sort_config_static_selectorELNS0_4arch9wavefront6targetE0EEEvSJ_.uses_flat_scratch, 0
	.set _ZN7rocprim17ROCPRIM_400000_NS6detail17trampoline_kernelINS0_13kernel_configILj256ELj4ELj4294967295EEENS1_37radix_sort_block_sort_config_selectorIiNS0_10empty_typeEEEZNS1_21radix_sort_block_sortIS4_Lb0EN6thrust23THRUST_200600_302600_NS6detail15normal_iteratorINSA_10device_ptrIiEEEESF_PS6_SG_NS0_19identity_decomposerEEE10hipError_tT1_T2_T3_T4_jRjT5_jjP12ihipStream_tbEUlT_E_NS1_11comp_targetILNS1_3genE10ELNS1_11target_archE1201ELNS1_3gpuE5ELNS1_3repE0EEENS1_44radix_sort_block_sort_config_static_selectorELNS0_4arch9wavefront6targetE0EEEvSJ_.has_dyn_sized_stack, 0
	.set _ZN7rocprim17ROCPRIM_400000_NS6detail17trampoline_kernelINS0_13kernel_configILj256ELj4ELj4294967295EEENS1_37radix_sort_block_sort_config_selectorIiNS0_10empty_typeEEEZNS1_21radix_sort_block_sortIS4_Lb0EN6thrust23THRUST_200600_302600_NS6detail15normal_iteratorINSA_10device_ptrIiEEEESF_PS6_SG_NS0_19identity_decomposerEEE10hipError_tT1_T2_T3_T4_jRjT5_jjP12ihipStream_tbEUlT_E_NS1_11comp_targetILNS1_3genE10ELNS1_11target_archE1201ELNS1_3gpuE5ELNS1_3repE0EEENS1_44radix_sort_block_sort_config_static_selectorELNS0_4arch9wavefront6targetE0EEEvSJ_.has_recursion, 0
	.set _ZN7rocprim17ROCPRIM_400000_NS6detail17trampoline_kernelINS0_13kernel_configILj256ELj4ELj4294967295EEENS1_37radix_sort_block_sort_config_selectorIiNS0_10empty_typeEEEZNS1_21radix_sort_block_sortIS4_Lb0EN6thrust23THRUST_200600_302600_NS6detail15normal_iteratorINSA_10device_ptrIiEEEESF_PS6_SG_NS0_19identity_decomposerEEE10hipError_tT1_T2_T3_T4_jRjT5_jjP12ihipStream_tbEUlT_E_NS1_11comp_targetILNS1_3genE10ELNS1_11target_archE1201ELNS1_3gpuE5ELNS1_3repE0EEENS1_44radix_sort_block_sort_config_static_selectorELNS0_4arch9wavefront6targetE0EEEvSJ_.has_indirect_call, 0
	.section	.AMDGPU.csdata,"",@progbits
; Kernel info:
; codeLenInByte = 0
; TotalNumSgprs: 0
; NumVgprs: 0
; ScratchSize: 0
; MemoryBound: 0
; FloatMode: 240
; IeeeMode: 1
; LDSByteSize: 0 bytes/workgroup (compile time only)
; SGPRBlocks: 0
; VGPRBlocks: 0
; NumSGPRsForWavesPerEU: 1
; NumVGPRsForWavesPerEU: 1
; Occupancy: 16
; WaveLimiterHint : 0
; COMPUTE_PGM_RSRC2:SCRATCH_EN: 0
; COMPUTE_PGM_RSRC2:USER_SGPR: 6
; COMPUTE_PGM_RSRC2:TRAP_HANDLER: 0
; COMPUTE_PGM_RSRC2:TGID_X_EN: 1
; COMPUTE_PGM_RSRC2:TGID_Y_EN: 0
; COMPUTE_PGM_RSRC2:TGID_Z_EN: 0
; COMPUTE_PGM_RSRC2:TIDIG_COMP_CNT: 0
	.section	.text._ZN7rocprim17ROCPRIM_400000_NS6detail17trampoline_kernelINS0_13kernel_configILj256ELj4ELj4294967295EEENS1_37radix_sort_block_sort_config_selectorIiNS0_10empty_typeEEEZNS1_21radix_sort_block_sortIS4_Lb0EN6thrust23THRUST_200600_302600_NS6detail15normal_iteratorINSA_10device_ptrIiEEEESF_PS6_SG_NS0_19identity_decomposerEEE10hipError_tT1_T2_T3_T4_jRjT5_jjP12ihipStream_tbEUlT_E_NS1_11comp_targetILNS1_3genE10ELNS1_11target_archE1200ELNS1_3gpuE4ELNS1_3repE0EEENS1_44radix_sort_block_sort_config_static_selectorELNS0_4arch9wavefront6targetE0EEEvSJ_,"axG",@progbits,_ZN7rocprim17ROCPRIM_400000_NS6detail17trampoline_kernelINS0_13kernel_configILj256ELj4ELj4294967295EEENS1_37radix_sort_block_sort_config_selectorIiNS0_10empty_typeEEEZNS1_21radix_sort_block_sortIS4_Lb0EN6thrust23THRUST_200600_302600_NS6detail15normal_iteratorINSA_10device_ptrIiEEEESF_PS6_SG_NS0_19identity_decomposerEEE10hipError_tT1_T2_T3_T4_jRjT5_jjP12ihipStream_tbEUlT_E_NS1_11comp_targetILNS1_3genE10ELNS1_11target_archE1200ELNS1_3gpuE4ELNS1_3repE0EEENS1_44radix_sort_block_sort_config_static_selectorELNS0_4arch9wavefront6targetE0EEEvSJ_,comdat
	.protected	_ZN7rocprim17ROCPRIM_400000_NS6detail17trampoline_kernelINS0_13kernel_configILj256ELj4ELj4294967295EEENS1_37radix_sort_block_sort_config_selectorIiNS0_10empty_typeEEEZNS1_21radix_sort_block_sortIS4_Lb0EN6thrust23THRUST_200600_302600_NS6detail15normal_iteratorINSA_10device_ptrIiEEEESF_PS6_SG_NS0_19identity_decomposerEEE10hipError_tT1_T2_T3_T4_jRjT5_jjP12ihipStream_tbEUlT_E_NS1_11comp_targetILNS1_3genE10ELNS1_11target_archE1200ELNS1_3gpuE4ELNS1_3repE0EEENS1_44radix_sort_block_sort_config_static_selectorELNS0_4arch9wavefront6targetE0EEEvSJ_ ; -- Begin function _ZN7rocprim17ROCPRIM_400000_NS6detail17trampoline_kernelINS0_13kernel_configILj256ELj4ELj4294967295EEENS1_37radix_sort_block_sort_config_selectorIiNS0_10empty_typeEEEZNS1_21radix_sort_block_sortIS4_Lb0EN6thrust23THRUST_200600_302600_NS6detail15normal_iteratorINSA_10device_ptrIiEEEESF_PS6_SG_NS0_19identity_decomposerEEE10hipError_tT1_T2_T3_T4_jRjT5_jjP12ihipStream_tbEUlT_E_NS1_11comp_targetILNS1_3genE10ELNS1_11target_archE1200ELNS1_3gpuE4ELNS1_3repE0EEENS1_44radix_sort_block_sort_config_static_selectorELNS0_4arch9wavefront6targetE0EEEvSJ_
	.globl	_ZN7rocprim17ROCPRIM_400000_NS6detail17trampoline_kernelINS0_13kernel_configILj256ELj4ELj4294967295EEENS1_37radix_sort_block_sort_config_selectorIiNS0_10empty_typeEEEZNS1_21radix_sort_block_sortIS4_Lb0EN6thrust23THRUST_200600_302600_NS6detail15normal_iteratorINSA_10device_ptrIiEEEESF_PS6_SG_NS0_19identity_decomposerEEE10hipError_tT1_T2_T3_T4_jRjT5_jjP12ihipStream_tbEUlT_E_NS1_11comp_targetILNS1_3genE10ELNS1_11target_archE1200ELNS1_3gpuE4ELNS1_3repE0EEENS1_44radix_sort_block_sort_config_static_selectorELNS0_4arch9wavefront6targetE0EEEvSJ_
	.p2align	8
	.type	_ZN7rocprim17ROCPRIM_400000_NS6detail17trampoline_kernelINS0_13kernel_configILj256ELj4ELj4294967295EEENS1_37radix_sort_block_sort_config_selectorIiNS0_10empty_typeEEEZNS1_21radix_sort_block_sortIS4_Lb0EN6thrust23THRUST_200600_302600_NS6detail15normal_iteratorINSA_10device_ptrIiEEEESF_PS6_SG_NS0_19identity_decomposerEEE10hipError_tT1_T2_T3_T4_jRjT5_jjP12ihipStream_tbEUlT_E_NS1_11comp_targetILNS1_3genE10ELNS1_11target_archE1200ELNS1_3gpuE4ELNS1_3repE0EEENS1_44radix_sort_block_sort_config_static_selectorELNS0_4arch9wavefront6targetE0EEEvSJ_,@function
_ZN7rocprim17ROCPRIM_400000_NS6detail17trampoline_kernelINS0_13kernel_configILj256ELj4ELj4294967295EEENS1_37radix_sort_block_sort_config_selectorIiNS0_10empty_typeEEEZNS1_21radix_sort_block_sortIS4_Lb0EN6thrust23THRUST_200600_302600_NS6detail15normal_iteratorINSA_10device_ptrIiEEEESF_PS6_SG_NS0_19identity_decomposerEEE10hipError_tT1_T2_T3_T4_jRjT5_jjP12ihipStream_tbEUlT_E_NS1_11comp_targetILNS1_3genE10ELNS1_11target_archE1200ELNS1_3gpuE4ELNS1_3repE0EEENS1_44radix_sort_block_sort_config_static_selectorELNS0_4arch9wavefront6targetE0EEEvSJ_: ; @_ZN7rocprim17ROCPRIM_400000_NS6detail17trampoline_kernelINS0_13kernel_configILj256ELj4ELj4294967295EEENS1_37radix_sort_block_sort_config_selectorIiNS0_10empty_typeEEEZNS1_21radix_sort_block_sortIS4_Lb0EN6thrust23THRUST_200600_302600_NS6detail15normal_iteratorINSA_10device_ptrIiEEEESF_PS6_SG_NS0_19identity_decomposerEEE10hipError_tT1_T2_T3_T4_jRjT5_jjP12ihipStream_tbEUlT_E_NS1_11comp_targetILNS1_3genE10ELNS1_11target_archE1200ELNS1_3gpuE4ELNS1_3repE0EEENS1_44radix_sort_block_sort_config_static_selectorELNS0_4arch9wavefront6targetE0EEEvSJ_
; %bb.0:
	.section	.rodata,"a",@progbits
	.p2align	6, 0x0
	.amdhsa_kernel _ZN7rocprim17ROCPRIM_400000_NS6detail17trampoline_kernelINS0_13kernel_configILj256ELj4ELj4294967295EEENS1_37radix_sort_block_sort_config_selectorIiNS0_10empty_typeEEEZNS1_21radix_sort_block_sortIS4_Lb0EN6thrust23THRUST_200600_302600_NS6detail15normal_iteratorINSA_10device_ptrIiEEEESF_PS6_SG_NS0_19identity_decomposerEEE10hipError_tT1_T2_T3_T4_jRjT5_jjP12ihipStream_tbEUlT_E_NS1_11comp_targetILNS1_3genE10ELNS1_11target_archE1200ELNS1_3gpuE4ELNS1_3repE0EEENS1_44radix_sort_block_sort_config_static_selectorELNS0_4arch9wavefront6targetE0EEEvSJ_
		.amdhsa_group_segment_fixed_size 0
		.amdhsa_private_segment_fixed_size 0
		.amdhsa_kernarg_size 48
		.amdhsa_user_sgpr_count 6
		.amdhsa_user_sgpr_private_segment_buffer 1
		.amdhsa_user_sgpr_dispatch_ptr 0
		.amdhsa_user_sgpr_queue_ptr 0
		.amdhsa_user_sgpr_kernarg_segment_ptr 1
		.amdhsa_user_sgpr_dispatch_id 0
		.amdhsa_user_sgpr_flat_scratch_init 0
		.amdhsa_user_sgpr_private_segment_size 0
		.amdhsa_wavefront_size32 1
		.amdhsa_uses_dynamic_stack 0
		.amdhsa_system_sgpr_private_segment_wavefront_offset 0
		.amdhsa_system_sgpr_workgroup_id_x 1
		.amdhsa_system_sgpr_workgroup_id_y 0
		.amdhsa_system_sgpr_workgroup_id_z 0
		.amdhsa_system_sgpr_workgroup_info 0
		.amdhsa_system_vgpr_workitem_id 0
		.amdhsa_next_free_vgpr 1
		.amdhsa_next_free_sgpr 1
		.amdhsa_reserve_vcc 0
		.amdhsa_reserve_flat_scratch 0
		.amdhsa_float_round_mode_32 0
		.amdhsa_float_round_mode_16_64 0
		.amdhsa_float_denorm_mode_32 3
		.amdhsa_float_denorm_mode_16_64 3
		.amdhsa_dx10_clamp 1
		.amdhsa_ieee_mode 1
		.amdhsa_fp16_overflow 0
		.amdhsa_workgroup_processor_mode 1
		.amdhsa_memory_ordered 1
		.amdhsa_forward_progress 1
		.amdhsa_shared_vgpr_count 0
		.amdhsa_exception_fp_ieee_invalid_op 0
		.amdhsa_exception_fp_denorm_src 0
		.amdhsa_exception_fp_ieee_div_zero 0
		.amdhsa_exception_fp_ieee_overflow 0
		.amdhsa_exception_fp_ieee_underflow 0
		.amdhsa_exception_fp_ieee_inexact 0
		.amdhsa_exception_int_div_zero 0
	.end_amdhsa_kernel
	.section	.text._ZN7rocprim17ROCPRIM_400000_NS6detail17trampoline_kernelINS0_13kernel_configILj256ELj4ELj4294967295EEENS1_37radix_sort_block_sort_config_selectorIiNS0_10empty_typeEEEZNS1_21radix_sort_block_sortIS4_Lb0EN6thrust23THRUST_200600_302600_NS6detail15normal_iteratorINSA_10device_ptrIiEEEESF_PS6_SG_NS0_19identity_decomposerEEE10hipError_tT1_T2_T3_T4_jRjT5_jjP12ihipStream_tbEUlT_E_NS1_11comp_targetILNS1_3genE10ELNS1_11target_archE1200ELNS1_3gpuE4ELNS1_3repE0EEENS1_44radix_sort_block_sort_config_static_selectorELNS0_4arch9wavefront6targetE0EEEvSJ_,"axG",@progbits,_ZN7rocprim17ROCPRIM_400000_NS6detail17trampoline_kernelINS0_13kernel_configILj256ELj4ELj4294967295EEENS1_37radix_sort_block_sort_config_selectorIiNS0_10empty_typeEEEZNS1_21radix_sort_block_sortIS4_Lb0EN6thrust23THRUST_200600_302600_NS6detail15normal_iteratorINSA_10device_ptrIiEEEESF_PS6_SG_NS0_19identity_decomposerEEE10hipError_tT1_T2_T3_T4_jRjT5_jjP12ihipStream_tbEUlT_E_NS1_11comp_targetILNS1_3genE10ELNS1_11target_archE1200ELNS1_3gpuE4ELNS1_3repE0EEENS1_44radix_sort_block_sort_config_static_selectorELNS0_4arch9wavefront6targetE0EEEvSJ_,comdat
.Lfunc_end7:
	.size	_ZN7rocprim17ROCPRIM_400000_NS6detail17trampoline_kernelINS0_13kernel_configILj256ELj4ELj4294967295EEENS1_37radix_sort_block_sort_config_selectorIiNS0_10empty_typeEEEZNS1_21radix_sort_block_sortIS4_Lb0EN6thrust23THRUST_200600_302600_NS6detail15normal_iteratorINSA_10device_ptrIiEEEESF_PS6_SG_NS0_19identity_decomposerEEE10hipError_tT1_T2_T3_T4_jRjT5_jjP12ihipStream_tbEUlT_E_NS1_11comp_targetILNS1_3genE10ELNS1_11target_archE1200ELNS1_3gpuE4ELNS1_3repE0EEENS1_44radix_sort_block_sort_config_static_selectorELNS0_4arch9wavefront6targetE0EEEvSJ_, .Lfunc_end7-_ZN7rocprim17ROCPRIM_400000_NS6detail17trampoline_kernelINS0_13kernel_configILj256ELj4ELj4294967295EEENS1_37radix_sort_block_sort_config_selectorIiNS0_10empty_typeEEEZNS1_21radix_sort_block_sortIS4_Lb0EN6thrust23THRUST_200600_302600_NS6detail15normal_iteratorINSA_10device_ptrIiEEEESF_PS6_SG_NS0_19identity_decomposerEEE10hipError_tT1_T2_T3_T4_jRjT5_jjP12ihipStream_tbEUlT_E_NS1_11comp_targetILNS1_3genE10ELNS1_11target_archE1200ELNS1_3gpuE4ELNS1_3repE0EEENS1_44radix_sort_block_sort_config_static_selectorELNS0_4arch9wavefront6targetE0EEEvSJ_
                                        ; -- End function
	.set _ZN7rocprim17ROCPRIM_400000_NS6detail17trampoline_kernelINS0_13kernel_configILj256ELj4ELj4294967295EEENS1_37radix_sort_block_sort_config_selectorIiNS0_10empty_typeEEEZNS1_21radix_sort_block_sortIS4_Lb0EN6thrust23THRUST_200600_302600_NS6detail15normal_iteratorINSA_10device_ptrIiEEEESF_PS6_SG_NS0_19identity_decomposerEEE10hipError_tT1_T2_T3_T4_jRjT5_jjP12ihipStream_tbEUlT_E_NS1_11comp_targetILNS1_3genE10ELNS1_11target_archE1200ELNS1_3gpuE4ELNS1_3repE0EEENS1_44radix_sort_block_sort_config_static_selectorELNS0_4arch9wavefront6targetE0EEEvSJ_.num_vgpr, 0
	.set _ZN7rocprim17ROCPRIM_400000_NS6detail17trampoline_kernelINS0_13kernel_configILj256ELj4ELj4294967295EEENS1_37radix_sort_block_sort_config_selectorIiNS0_10empty_typeEEEZNS1_21radix_sort_block_sortIS4_Lb0EN6thrust23THRUST_200600_302600_NS6detail15normal_iteratorINSA_10device_ptrIiEEEESF_PS6_SG_NS0_19identity_decomposerEEE10hipError_tT1_T2_T3_T4_jRjT5_jjP12ihipStream_tbEUlT_E_NS1_11comp_targetILNS1_3genE10ELNS1_11target_archE1200ELNS1_3gpuE4ELNS1_3repE0EEENS1_44radix_sort_block_sort_config_static_selectorELNS0_4arch9wavefront6targetE0EEEvSJ_.num_agpr, 0
	.set _ZN7rocprim17ROCPRIM_400000_NS6detail17trampoline_kernelINS0_13kernel_configILj256ELj4ELj4294967295EEENS1_37radix_sort_block_sort_config_selectorIiNS0_10empty_typeEEEZNS1_21radix_sort_block_sortIS4_Lb0EN6thrust23THRUST_200600_302600_NS6detail15normal_iteratorINSA_10device_ptrIiEEEESF_PS6_SG_NS0_19identity_decomposerEEE10hipError_tT1_T2_T3_T4_jRjT5_jjP12ihipStream_tbEUlT_E_NS1_11comp_targetILNS1_3genE10ELNS1_11target_archE1200ELNS1_3gpuE4ELNS1_3repE0EEENS1_44radix_sort_block_sort_config_static_selectorELNS0_4arch9wavefront6targetE0EEEvSJ_.numbered_sgpr, 0
	.set _ZN7rocprim17ROCPRIM_400000_NS6detail17trampoline_kernelINS0_13kernel_configILj256ELj4ELj4294967295EEENS1_37radix_sort_block_sort_config_selectorIiNS0_10empty_typeEEEZNS1_21radix_sort_block_sortIS4_Lb0EN6thrust23THRUST_200600_302600_NS6detail15normal_iteratorINSA_10device_ptrIiEEEESF_PS6_SG_NS0_19identity_decomposerEEE10hipError_tT1_T2_T3_T4_jRjT5_jjP12ihipStream_tbEUlT_E_NS1_11comp_targetILNS1_3genE10ELNS1_11target_archE1200ELNS1_3gpuE4ELNS1_3repE0EEENS1_44radix_sort_block_sort_config_static_selectorELNS0_4arch9wavefront6targetE0EEEvSJ_.num_named_barrier, 0
	.set _ZN7rocprim17ROCPRIM_400000_NS6detail17trampoline_kernelINS0_13kernel_configILj256ELj4ELj4294967295EEENS1_37radix_sort_block_sort_config_selectorIiNS0_10empty_typeEEEZNS1_21radix_sort_block_sortIS4_Lb0EN6thrust23THRUST_200600_302600_NS6detail15normal_iteratorINSA_10device_ptrIiEEEESF_PS6_SG_NS0_19identity_decomposerEEE10hipError_tT1_T2_T3_T4_jRjT5_jjP12ihipStream_tbEUlT_E_NS1_11comp_targetILNS1_3genE10ELNS1_11target_archE1200ELNS1_3gpuE4ELNS1_3repE0EEENS1_44radix_sort_block_sort_config_static_selectorELNS0_4arch9wavefront6targetE0EEEvSJ_.private_seg_size, 0
	.set _ZN7rocprim17ROCPRIM_400000_NS6detail17trampoline_kernelINS0_13kernel_configILj256ELj4ELj4294967295EEENS1_37radix_sort_block_sort_config_selectorIiNS0_10empty_typeEEEZNS1_21radix_sort_block_sortIS4_Lb0EN6thrust23THRUST_200600_302600_NS6detail15normal_iteratorINSA_10device_ptrIiEEEESF_PS6_SG_NS0_19identity_decomposerEEE10hipError_tT1_T2_T3_T4_jRjT5_jjP12ihipStream_tbEUlT_E_NS1_11comp_targetILNS1_3genE10ELNS1_11target_archE1200ELNS1_3gpuE4ELNS1_3repE0EEENS1_44radix_sort_block_sort_config_static_selectorELNS0_4arch9wavefront6targetE0EEEvSJ_.uses_vcc, 0
	.set _ZN7rocprim17ROCPRIM_400000_NS6detail17trampoline_kernelINS0_13kernel_configILj256ELj4ELj4294967295EEENS1_37radix_sort_block_sort_config_selectorIiNS0_10empty_typeEEEZNS1_21radix_sort_block_sortIS4_Lb0EN6thrust23THRUST_200600_302600_NS6detail15normal_iteratorINSA_10device_ptrIiEEEESF_PS6_SG_NS0_19identity_decomposerEEE10hipError_tT1_T2_T3_T4_jRjT5_jjP12ihipStream_tbEUlT_E_NS1_11comp_targetILNS1_3genE10ELNS1_11target_archE1200ELNS1_3gpuE4ELNS1_3repE0EEENS1_44radix_sort_block_sort_config_static_selectorELNS0_4arch9wavefront6targetE0EEEvSJ_.uses_flat_scratch, 0
	.set _ZN7rocprim17ROCPRIM_400000_NS6detail17trampoline_kernelINS0_13kernel_configILj256ELj4ELj4294967295EEENS1_37radix_sort_block_sort_config_selectorIiNS0_10empty_typeEEEZNS1_21radix_sort_block_sortIS4_Lb0EN6thrust23THRUST_200600_302600_NS6detail15normal_iteratorINSA_10device_ptrIiEEEESF_PS6_SG_NS0_19identity_decomposerEEE10hipError_tT1_T2_T3_T4_jRjT5_jjP12ihipStream_tbEUlT_E_NS1_11comp_targetILNS1_3genE10ELNS1_11target_archE1200ELNS1_3gpuE4ELNS1_3repE0EEENS1_44radix_sort_block_sort_config_static_selectorELNS0_4arch9wavefront6targetE0EEEvSJ_.has_dyn_sized_stack, 0
	.set _ZN7rocprim17ROCPRIM_400000_NS6detail17trampoline_kernelINS0_13kernel_configILj256ELj4ELj4294967295EEENS1_37radix_sort_block_sort_config_selectorIiNS0_10empty_typeEEEZNS1_21radix_sort_block_sortIS4_Lb0EN6thrust23THRUST_200600_302600_NS6detail15normal_iteratorINSA_10device_ptrIiEEEESF_PS6_SG_NS0_19identity_decomposerEEE10hipError_tT1_T2_T3_T4_jRjT5_jjP12ihipStream_tbEUlT_E_NS1_11comp_targetILNS1_3genE10ELNS1_11target_archE1200ELNS1_3gpuE4ELNS1_3repE0EEENS1_44radix_sort_block_sort_config_static_selectorELNS0_4arch9wavefront6targetE0EEEvSJ_.has_recursion, 0
	.set _ZN7rocprim17ROCPRIM_400000_NS6detail17trampoline_kernelINS0_13kernel_configILj256ELj4ELj4294967295EEENS1_37radix_sort_block_sort_config_selectorIiNS0_10empty_typeEEEZNS1_21radix_sort_block_sortIS4_Lb0EN6thrust23THRUST_200600_302600_NS6detail15normal_iteratorINSA_10device_ptrIiEEEESF_PS6_SG_NS0_19identity_decomposerEEE10hipError_tT1_T2_T3_T4_jRjT5_jjP12ihipStream_tbEUlT_E_NS1_11comp_targetILNS1_3genE10ELNS1_11target_archE1200ELNS1_3gpuE4ELNS1_3repE0EEENS1_44radix_sort_block_sort_config_static_selectorELNS0_4arch9wavefront6targetE0EEEvSJ_.has_indirect_call, 0
	.section	.AMDGPU.csdata,"",@progbits
; Kernel info:
; codeLenInByte = 0
; TotalNumSgprs: 0
; NumVgprs: 0
; ScratchSize: 0
; MemoryBound: 0
; FloatMode: 240
; IeeeMode: 1
; LDSByteSize: 0 bytes/workgroup (compile time only)
; SGPRBlocks: 0
; VGPRBlocks: 0
; NumSGPRsForWavesPerEU: 1
; NumVGPRsForWavesPerEU: 1
; Occupancy: 16
; WaveLimiterHint : 0
; COMPUTE_PGM_RSRC2:SCRATCH_EN: 0
; COMPUTE_PGM_RSRC2:USER_SGPR: 6
; COMPUTE_PGM_RSRC2:TRAP_HANDLER: 0
; COMPUTE_PGM_RSRC2:TGID_X_EN: 1
; COMPUTE_PGM_RSRC2:TGID_Y_EN: 0
; COMPUTE_PGM_RSRC2:TGID_Z_EN: 0
; COMPUTE_PGM_RSRC2:TIDIG_COMP_CNT: 0
	.section	.text._ZN7rocprim17ROCPRIM_400000_NS6detail17trampoline_kernelINS0_13kernel_configILj256ELj4ELj4294967295EEENS1_37radix_sort_block_sort_config_selectorIiNS0_10empty_typeEEEZNS1_21radix_sort_block_sortIS4_Lb0EN6thrust23THRUST_200600_302600_NS6detail15normal_iteratorINSA_10device_ptrIiEEEESF_PS6_SG_NS0_19identity_decomposerEEE10hipError_tT1_T2_T3_T4_jRjT5_jjP12ihipStream_tbEUlT_E_NS1_11comp_targetILNS1_3genE9ELNS1_11target_archE1100ELNS1_3gpuE3ELNS1_3repE0EEENS1_44radix_sort_block_sort_config_static_selectorELNS0_4arch9wavefront6targetE0EEEvSJ_,"axG",@progbits,_ZN7rocprim17ROCPRIM_400000_NS6detail17trampoline_kernelINS0_13kernel_configILj256ELj4ELj4294967295EEENS1_37radix_sort_block_sort_config_selectorIiNS0_10empty_typeEEEZNS1_21radix_sort_block_sortIS4_Lb0EN6thrust23THRUST_200600_302600_NS6detail15normal_iteratorINSA_10device_ptrIiEEEESF_PS6_SG_NS0_19identity_decomposerEEE10hipError_tT1_T2_T3_T4_jRjT5_jjP12ihipStream_tbEUlT_E_NS1_11comp_targetILNS1_3genE9ELNS1_11target_archE1100ELNS1_3gpuE3ELNS1_3repE0EEENS1_44radix_sort_block_sort_config_static_selectorELNS0_4arch9wavefront6targetE0EEEvSJ_,comdat
	.protected	_ZN7rocprim17ROCPRIM_400000_NS6detail17trampoline_kernelINS0_13kernel_configILj256ELj4ELj4294967295EEENS1_37radix_sort_block_sort_config_selectorIiNS0_10empty_typeEEEZNS1_21radix_sort_block_sortIS4_Lb0EN6thrust23THRUST_200600_302600_NS6detail15normal_iteratorINSA_10device_ptrIiEEEESF_PS6_SG_NS0_19identity_decomposerEEE10hipError_tT1_T2_T3_T4_jRjT5_jjP12ihipStream_tbEUlT_E_NS1_11comp_targetILNS1_3genE9ELNS1_11target_archE1100ELNS1_3gpuE3ELNS1_3repE0EEENS1_44radix_sort_block_sort_config_static_selectorELNS0_4arch9wavefront6targetE0EEEvSJ_ ; -- Begin function _ZN7rocprim17ROCPRIM_400000_NS6detail17trampoline_kernelINS0_13kernel_configILj256ELj4ELj4294967295EEENS1_37radix_sort_block_sort_config_selectorIiNS0_10empty_typeEEEZNS1_21radix_sort_block_sortIS4_Lb0EN6thrust23THRUST_200600_302600_NS6detail15normal_iteratorINSA_10device_ptrIiEEEESF_PS6_SG_NS0_19identity_decomposerEEE10hipError_tT1_T2_T3_T4_jRjT5_jjP12ihipStream_tbEUlT_E_NS1_11comp_targetILNS1_3genE9ELNS1_11target_archE1100ELNS1_3gpuE3ELNS1_3repE0EEENS1_44radix_sort_block_sort_config_static_selectorELNS0_4arch9wavefront6targetE0EEEvSJ_
	.globl	_ZN7rocprim17ROCPRIM_400000_NS6detail17trampoline_kernelINS0_13kernel_configILj256ELj4ELj4294967295EEENS1_37radix_sort_block_sort_config_selectorIiNS0_10empty_typeEEEZNS1_21radix_sort_block_sortIS4_Lb0EN6thrust23THRUST_200600_302600_NS6detail15normal_iteratorINSA_10device_ptrIiEEEESF_PS6_SG_NS0_19identity_decomposerEEE10hipError_tT1_T2_T3_T4_jRjT5_jjP12ihipStream_tbEUlT_E_NS1_11comp_targetILNS1_3genE9ELNS1_11target_archE1100ELNS1_3gpuE3ELNS1_3repE0EEENS1_44radix_sort_block_sort_config_static_selectorELNS0_4arch9wavefront6targetE0EEEvSJ_
	.p2align	8
	.type	_ZN7rocprim17ROCPRIM_400000_NS6detail17trampoline_kernelINS0_13kernel_configILj256ELj4ELj4294967295EEENS1_37radix_sort_block_sort_config_selectorIiNS0_10empty_typeEEEZNS1_21radix_sort_block_sortIS4_Lb0EN6thrust23THRUST_200600_302600_NS6detail15normal_iteratorINSA_10device_ptrIiEEEESF_PS6_SG_NS0_19identity_decomposerEEE10hipError_tT1_T2_T3_T4_jRjT5_jjP12ihipStream_tbEUlT_E_NS1_11comp_targetILNS1_3genE9ELNS1_11target_archE1100ELNS1_3gpuE3ELNS1_3repE0EEENS1_44radix_sort_block_sort_config_static_selectorELNS0_4arch9wavefront6targetE0EEEvSJ_,@function
_ZN7rocprim17ROCPRIM_400000_NS6detail17trampoline_kernelINS0_13kernel_configILj256ELj4ELj4294967295EEENS1_37radix_sort_block_sort_config_selectorIiNS0_10empty_typeEEEZNS1_21radix_sort_block_sortIS4_Lb0EN6thrust23THRUST_200600_302600_NS6detail15normal_iteratorINSA_10device_ptrIiEEEESF_PS6_SG_NS0_19identity_decomposerEEE10hipError_tT1_T2_T3_T4_jRjT5_jjP12ihipStream_tbEUlT_E_NS1_11comp_targetILNS1_3genE9ELNS1_11target_archE1100ELNS1_3gpuE3ELNS1_3repE0EEENS1_44radix_sort_block_sort_config_static_selectorELNS0_4arch9wavefront6targetE0EEEvSJ_: ; @_ZN7rocprim17ROCPRIM_400000_NS6detail17trampoline_kernelINS0_13kernel_configILj256ELj4ELj4294967295EEENS1_37radix_sort_block_sort_config_selectorIiNS0_10empty_typeEEEZNS1_21radix_sort_block_sortIS4_Lb0EN6thrust23THRUST_200600_302600_NS6detail15normal_iteratorINSA_10device_ptrIiEEEESF_PS6_SG_NS0_19identity_decomposerEEE10hipError_tT1_T2_T3_T4_jRjT5_jjP12ihipStream_tbEUlT_E_NS1_11comp_targetILNS1_3genE9ELNS1_11target_archE1100ELNS1_3gpuE3ELNS1_3repE0EEENS1_44radix_sort_block_sort_config_static_selectorELNS0_4arch9wavefront6targetE0EEEvSJ_
; %bb.0:
	.section	.rodata,"a",@progbits
	.p2align	6, 0x0
	.amdhsa_kernel _ZN7rocprim17ROCPRIM_400000_NS6detail17trampoline_kernelINS0_13kernel_configILj256ELj4ELj4294967295EEENS1_37radix_sort_block_sort_config_selectorIiNS0_10empty_typeEEEZNS1_21radix_sort_block_sortIS4_Lb0EN6thrust23THRUST_200600_302600_NS6detail15normal_iteratorINSA_10device_ptrIiEEEESF_PS6_SG_NS0_19identity_decomposerEEE10hipError_tT1_T2_T3_T4_jRjT5_jjP12ihipStream_tbEUlT_E_NS1_11comp_targetILNS1_3genE9ELNS1_11target_archE1100ELNS1_3gpuE3ELNS1_3repE0EEENS1_44radix_sort_block_sort_config_static_selectorELNS0_4arch9wavefront6targetE0EEEvSJ_
		.amdhsa_group_segment_fixed_size 0
		.amdhsa_private_segment_fixed_size 0
		.amdhsa_kernarg_size 48
		.amdhsa_user_sgpr_count 6
		.amdhsa_user_sgpr_private_segment_buffer 1
		.amdhsa_user_sgpr_dispatch_ptr 0
		.amdhsa_user_sgpr_queue_ptr 0
		.amdhsa_user_sgpr_kernarg_segment_ptr 1
		.amdhsa_user_sgpr_dispatch_id 0
		.amdhsa_user_sgpr_flat_scratch_init 0
		.amdhsa_user_sgpr_private_segment_size 0
		.amdhsa_wavefront_size32 1
		.amdhsa_uses_dynamic_stack 0
		.amdhsa_system_sgpr_private_segment_wavefront_offset 0
		.amdhsa_system_sgpr_workgroup_id_x 1
		.amdhsa_system_sgpr_workgroup_id_y 0
		.amdhsa_system_sgpr_workgroup_id_z 0
		.amdhsa_system_sgpr_workgroup_info 0
		.amdhsa_system_vgpr_workitem_id 0
		.amdhsa_next_free_vgpr 1
		.amdhsa_next_free_sgpr 1
		.amdhsa_reserve_vcc 0
		.amdhsa_reserve_flat_scratch 0
		.amdhsa_float_round_mode_32 0
		.amdhsa_float_round_mode_16_64 0
		.amdhsa_float_denorm_mode_32 3
		.amdhsa_float_denorm_mode_16_64 3
		.amdhsa_dx10_clamp 1
		.amdhsa_ieee_mode 1
		.amdhsa_fp16_overflow 0
		.amdhsa_workgroup_processor_mode 1
		.amdhsa_memory_ordered 1
		.amdhsa_forward_progress 1
		.amdhsa_shared_vgpr_count 0
		.amdhsa_exception_fp_ieee_invalid_op 0
		.amdhsa_exception_fp_denorm_src 0
		.amdhsa_exception_fp_ieee_div_zero 0
		.amdhsa_exception_fp_ieee_overflow 0
		.amdhsa_exception_fp_ieee_underflow 0
		.amdhsa_exception_fp_ieee_inexact 0
		.amdhsa_exception_int_div_zero 0
	.end_amdhsa_kernel
	.section	.text._ZN7rocprim17ROCPRIM_400000_NS6detail17trampoline_kernelINS0_13kernel_configILj256ELj4ELj4294967295EEENS1_37radix_sort_block_sort_config_selectorIiNS0_10empty_typeEEEZNS1_21radix_sort_block_sortIS4_Lb0EN6thrust23THRUST_200600_302600_NS6detail15normal_iteratorINSA_10device_ptrIiEEEESF_PS6_SG_NS0_19identity_decomposerEEE10hipError_tT1_T2_T3_T4_jRjT5_jjP12ihipStream_tbEUlT_E_NS1_11comp_targetILNS1_3genE9ELNS1_11target_archE1100ELNS1_3gpuE3ELNS1_3repE0EEENS1_44radix_sort_block_sort_config_static_selectorELNS0_4arch9wavefront6targetE0EEEvSJ_,"axG",@progbits,_ZN7rocprim17ROCPRIM_400000_NS6detail17trampoline_kernelINS0_13kernel_configILj256ELj4ELj4294967295EEENS1_37radix_sort_block_sort_config_selectorIiNS0_10empty_typeEEEZNS1_21radix_sort_block_sortIS4_Lb0EN6thrust23THRUST_200600_302600_NS6detail15normal_iteratorINSA_10device_ptrIiEEEESF_PS6_SG_NS0_19identity_decomposerEEE10hipError_tT1_T2_T3_T4_jRjT5_jjP12ihipStream_tbEUlT_E_NS1_11comp_targetILNS1_3genE9ELNS1_11target_archE1100ELNS1_3gpuE3ELNS1_3repE0EEENS1_44radix_sort_block_sort_config_static_selectorELNS0_4arch9wavefront6targetE0EEEvSJ_,comdat
.Lfunc_end8:
	.size	_ZN7rocprim17ROCPRIM_400000_NS6detail17trampoline_kernelINS0_13kernel_configILj256ELj4ELj4294967295EEENS1_37radix_sort_block_sort_config_selectorIiNS0_10empty_typeEEEZNS1_21radix_sort_block_sortIS4_Lb0EN6thrust23THRUST_200600_302600_NS6detail15normal_iteratorINSA_10device_ptrIiEEEESF_PS6_SG_NS0_19identity_decomposerEEE10hipError_tT1_T2_T3_T4_jRjT5_jjP12ihipStream_tbEUlT_E_NS1_11comp_targetILNS1_3genE9ELNS1_11target_archE1100ELNS1_3gpuE3ELNS1_3repE0EEENS1_44radix_sort_block_sort_config_static_selectorELNS0_4arch9wavefront6targetE0EEEvSJ_, .Lfunc_end8-_ZN7rocprim17ROCPRIM_400000_NS6detail17trampoline_kernelINS0_13kernel_configILj256ELj4ELj4294967295EEENS1_37radix_sort_block_sort_config_selectorIiNS0_10empty_typeEEEZNS1_21radix_sort_block_sortIS4_Lb0EN6thrust23THRUST_200600_302600_NS6detail15normal_iteratorINSA_10device_ptrIiEEEESF_PS6_SG_NS0_19identity_decomposerEEE10hipError_tT1_T2_T3_T4_jRjT5_jjP12ihipStream_tbEUlT_E_NS1_11comp_targetILNS1_3genE9ELNS1_11target_archE1100ELNS1_3gpuE3ELNS1_3repE0EEENS1_44radix_sort_block_sort_config_static_selectorELNS0_4arch9wavefront6targetE0EEEvSJ_
                                        ; -- End function
	.set _ZN7rocprim17ROCPRIM_400000_NS6detail17trampoline_kernelINS0_13kernel_configILj256ELj4ELj4294967295EEENS1_37radix_sort_block_sort_config_selectorIiNS0_10empty_typeEEEZNS1_21radix_sort_block_sortIS4_Lb0EN6thrust23THRUST_200600_302600_NS6detail15normal_iteratorINSA_10device_ptrIiEEEESF_PS6_SG_NS0_19identity_decomposerEEE10hipError_tT1_T2_T3_T4_jRjT5_jjP12ihipStream_tbEUlT_E_NS1_11comp_targetILNS1_3genE9ELNS1_11target_archE1100ELNS1_3gpuE3ELNS1_3repE0EEENS1_44radix_sort_block_sort_config_static_selectorELNS0_4arch9wavefront6targetE0EEEvSJ_.num_vgpr, 0
	.set _ZN7rocprim17ROCPRIM_400000_NS6detail17trampoline_kernelINS0_13kernel_configILj256ELj4ELj4294967295EEENS1_37radix_sort_block_sort_config_selectorIiNS0_10empty_typeEEEZNS1_21radix_sort_block_sortIS4_Lb0EN6thrust23THRUST_200600_302600_NS6detail15normal_iteratorINSA_10device_ptrIiEEEESF_PS6_SG_NS0_19identity_decomposerEEE10hipError_tT1_T2_T3_T4_jRjT5_jjP12ihipStream_tbEUlT_E_NS1_11comp_targetILNS1_3genE9ELNS1_11target_archE1100ELNS1_3gpuE3ELNS1_3repE0EEENS1_44radix_sort_block_sort_config_static_selectorELNS0_4arch9wavefront6targetE0EEEvSJ_.num_agpr, 0
	.set _ZN7rocprim17ROCPRIM_400000_NS6detail17trampoline_kernelINS0_13kernel_configILj256ELj4ELj4294967295EEENS1_37radix_sort_block_sort_config_selectorIiNS0_10empty_typeEEEZNS1_21radix_sort_block_sortIS4_Lb0EN6thrust23THRUST_200600_302600_NS6detail15normal_iteratorINSA_10device_ptrIiEEEESF_PS6_SG_NS0_19identity_decomposerEEE10hipError_tT1_T2_T3_T4_jRjT5_jjP12ihipStream_tbEUlT_E_NS1_11comp_targetILNS1_3genE9ELNS1_11target_archE1100ELNS1_3gpuE3ELNS1_3repE0EEENS1_44radix_sort_block_sort_config_static_selectorELNS0_4arch9wavefront6targetE0EEEvSJ_.numbered_sgpr, 0
	.set _ZN7rocprim17ROCPRIM_400000_NS6detail17trampoline_kernelINS0_13kernel_configILj256ELj4ELj4294967295EEENS1_37radix_sort_block_sort_config_selectorIiNS0_10empty_typeEEEZNS1_21radix_sort_block_sortIS4_Lb0EN6thrust23THRUST_200600_302600_NS6detail15normal_iteratorINSA_10device_ptrIiEEEESF_PS6_SG_NS0_19identity_decomposerEEE10hipError_tT1_T2_T3_T4_jRjT5_jjP12ihipStream_tbEUlT_E_NS1_11comp_targetILNS1_3genE9ELNS1_11target_archE1100ELNS1_3gpuE3ELNS1_3repE0EEENS1_44radix_sort_block_sort_config_static_selectorELNS0_4arch9wavefront6targetE0EEEvSJ_.num_named_barrier, 0
	.set _ZN7rocprim17ROCPRIM_400000_NS6detail17trampoline_kernelINS0_13kernel_configILj256ELj4ELj4294967295EEENS1_37radix_sort_block_sort_config_selectorIiNS0_10empty_typeEEEZNS1_21radix_sort_block_sortIS4_Lb0EN6thrust23THRUST_200600_302600_NS6detail15normal_iteratorINSA_10device_ptrIiEEEESF_PS6_SG_NS0_19identity_decomposerEEE10hipError_tT1_T2_T3_T4_jRjT5_jjP12ihipStream_tbEUlT_E_NS1_11comp_targetILNS1_3genE9ELNS1_11target_archE1100ELNS1_3gpuE3ELNS1_3repE0EEENS1_44radix_sort_block_sort_config_static_selectorELNS0_4arch9wavefront6targetE0EEEvSJ_.private_seg_size, 0
	.set _ZN7rocprim17ROCPRIM_400000_NS6detail17trampoline_kernelINS0_13kernel_configILj256ELj4ELj4294967295EEENS1_37radix_sort_block_sort_config_selectorIiNS0_10empty_typeEEEZNS1_21radix_sort_block_sortIS4_Lb0EN6thrust23THRUST_200600_302600_NS6detail15normal_iteratorINSA_10device_ptrIiEEEESF_PS6_SG_NS0_19identity_decomposerEEE10hipError_tT1_T2_T3_T4_jRjT5_jjP12ihipStream_tbEUlT_E_NS1_11comp_targetILNS1_3genE9ELNS1_11target_archE1100ELNS1_3gpuE3ELNS1_3repE0EEENS1_44radix_sort_block_sort_config_static_selectorELNS0_4arch9wavefront6targetE0EEEvSJ_.uses_vcc, 0
	.set _ZN7rocprim17ROCPRIM_400000_NS6detail17trampoline_kernelINS0_13kernel_configILj256ELj4ELj4294967295EEENS1_37radix_sort_block_sort_config_selectorIiNS0_10empty_typeEEEZNS1_21radix_sort_block_sortIS4_Lb0EN6thrust23THRUST_200600_302600_NS6detail15normal_iteratorINSA_10device_ptrIiEEEESF_PS6_SG_NS0_19identity_decomposerEEE10hipError_tT1_T2_T3_T4_jRjT5_jjP12ihipStream_tbEUlT_E_NS1_11comp_targetILNS1_3genE9ELNS1_11target_archE1100ELNS1_3gpuE3ELNS1_3repE0EEENS1_44radix_sort_block_sort_config_static_selectorELNS0_4arch9wavefront6targetE0EEEvSJ_.uses_flat_scratch, 0
	.set _ZN7rocprim17ROCPRIM_400000_NS6detail17trampoline_kernelINS0_13kernel_configILj256ELj4ELj4294967295EEENS1_37radix_sort_block_sort_config_selectorIiNS0_10empty_typeEEEZNS1_21radix_sort_block_sortIS4_Lb0EN6thrust23THRUST_200600_302600_NS6detail15normal_iteratorINSA_10device_ptrIiEEEESF_PS6_SG_NS0_19identity_decomposerEEE10hipError_tT1_T2_T3_T4_jRjT5_jjP12ihipStream_tbEUlT_E_NS1_11comp_targetILNS1_3genE9ELNS1_11target_archE1100ELNS1_3gpuE3ELNS1_3repE0EEENS1_44radix_sort_block_sort_config_static_selectorELNS0_4arch9wavefront6targetE0EEEvSJ_.has_dyn_sized_stack, 0
	.set _ZN7rocprim17ROCPRIM_400000_NS6detail17trampoline_kernelINS0_13kernel_configILj256ELj4ELj4294967295EEENS1_37radix_sort_block_sort_config_selectorIiNS0_10empty_typeEEEZNS1_21radix_sort_block_sortIS4_Lb0EN6thrust23THRUST_200600_302600_NS6detail15normal_iteratorINSA_10device_ptrIiEEEESF_PS6_SG_NS0_19identity_decomposerEEE10hipError_tT1_T2_T3_T4_jRjT5_jjP12ihipStream_tbEUlT_E_NS1_11comp_targetILNS1_3genE9ELNS1_11target_archE1100ELNS1_3gpuE3ELNS1_3repE0EEENS1_44radix_sort_block_sort_config_static_selectorELNS0_4arch9wavefront6targetE0EEEvSJ_.has_recursion, 0
	.set _ZN7rocprim17ROCPRIM_400000_NS6detail17trampoline_kernelINS0_13kernel_configILj256ELj4ELj4294967295EEENS1_37radix_sort_block_sort_config_selectorIiNS0_10empty_typeEEEZNS1_21radix_sort_block_sortIS4_Lb0EN6thrust23THRUST_200600_302600_NS6detail15normal_iteratorINSA_10device_ptrIiEEEESF_PS6_SG_NS0_19identity_decomposerEEE10hipError_tT1_T2_T3_T4_jRjT5_jjP12ihipStream_tbEUlT_E_NS1_11comp_targetILNS1_3genE9ELNS1_11target_archE1100ELNS1_3gpuE3ELNS1_3repE0EEENS1_44radix_sort_block_sort_config_static_selectorELNS0_4arch9wavefront6targetE0EEEvSJ_.has_indirect_call, 0
	.section	.AMDGPU.csdata,"",@progbits
; Kernel info:
; codeLenInByte = 0
; TotalNumSgprs: 0
; NumVgprs: 0
; ScratchSize: 0
; MemoryBound: 0
; FloatMode: 240
; IeeeMode: 1
; LDSByteSize: 0 bytes/workgroup (compile time only)
; SGPRBlocks: 0
; VGPRBlocks: 0
; NumSGPRsForWavesPerEU: 1
; NumVGPRsForWavesPerEU: 1
; Occupancy: 16
; WaveLimiterHint : 0
; COMPUTE_PGM_RSRC2:SCRATCH_EN: 0
; COMPUTE_PGM_RSRC2:USER_SGPR: 6
; COMPUTE_PGM_RSRC2:TRAP_HANDLER: 0
; COMPUTE_PGM_RSRC2:TGID_X_EN: 1
; COMPUTE_PGM_RSRC2:TGID_Y_EN: 0
; COMPUTE_PGM_RSRC2:TGID_Z_EN: 0
; COMPUTE_PGM_RSRC2:TIDIG_COMP_CNT: 0
	.section	.text._ZN7rocprim17ROCPRIM_400000_NS6detail17trampoline_kernelINS0_13kernel_configILj256ELj4ELj4294967295EEENS1_37radix_sort_block_sort_config_selectorIiNS0_10empty_typeEEEZNS1_21radix_sort_block_sortIS4_Lb0EN6thrust23THRUST_200600_302600_NS6detail15normal_iteratorINSA_10device_ptrIiEEEESF_PS6_SG_NS0_19identity_decomposerEEE10hipError_tT1_T2_T3_T4_jRjT5_jjP12ihipStream_tbEUlT_E_NS1_11comp_targetILNS1_3genE8ELNS1_11target_archE1030ELNS1_3gpuE2ELNS1_3repE0EEENS1_44radix_sort_block_sort_config_static_selectorELNS0_4arch9wavefront6targetE0EEEvSJ_,"axG",@progbits,_ZN7rocprim17ROCPRIM_400000_NS6detail17trampoline_kernelINS0_13kernel_configILj256ELj4ELj4294967295EEENS1_37radix_sort_block_sort_config_selectorIiNS0_10empty_typeEEEZNS1_21radix_sort_block_sortIS4_Lb0EN6thrust23THRUST_200600_302600_NS6detail15normal_iteratorINSA_10device_ptrIiEEEESF_PS6_SG_NS0_19identity_decomposerEEE10hipError_tT1_T2_T3_T4_jRjT5_jjP12ihipStream_tbEUlT_E_NS1_11comp_targetILNS1_3genE8ELNS1_11target_archE1030ELNS1_3gpuE2ELNS1_3repE0EEENS1_44radix_sort_block_sort_config_static_selectorELNS0_4arch9wavefront6targetE0EEEvSJ_,comdat
	.protected	_ZN7rocprim17ROCPRIM_400000_NS6detail17trampoline_kernelINS0_13kernel_configILj256ELj4ELj4294967295EEENS1_37radix_sort_block_sort_config_selectorIiNS0_10empty_typeEEEZNS1_21radix_sort_block_sortIS4_Lb0EN6thrust23THRUST_200600_302600_NS6detail15normal_iteratorINSA_10device_ptrIiEEEESF_PS6_SG_NS0_19identity_decomposerEEE10hipError_tT1_T2_T3_T4_jRjT5_jjP12ihipStream_tbEUlT_E_NS1_11comp_targetILNS1_3genE8ELNS1_11target_archE1030ELNS1_3gpuE2ELNS1_3repE0EEENS1_44radix_sort_block_sort_config_static_selectorELNS0_4arch9wavefront6targetE0EEEvSJ_ ; -- Begin function _ZN7rocprim17ROCPRIM_400000_NS6detail17trampoline_kernelINS0_13kernel_configILj256ELj4ELj4294967295EEENS1_37radix_sort_block_sort_config_selectorIiNS0_10empty_typeEEEZNS1_21radix_sort_block_sortIS4_Lb0EN6thrust23THRUST_200600_302600_NS6detail15normal_iteratorINSA_10device_ptrIiEEEESF_PS6_SG_NS0_19identity_decomposerEEE10hipError_tT1_T2_T3_T4_jRjT5_jjP12ihipStream_tbEUlT_E_NS1_11comp_targetILNS1_3genE8ELNS1_11target_archE1030ELNS1_3gpuE2ELNS1_3repE0EEENS1_44radix_sort_block_sort_config_static_selectorELNS0_4arch9wavefront6targetE0EEEvSJ_
	.globl	_ZN7rocprim17ROCPRIM_400000_NS6detail17trampoline_kernelINS0_13kernel_configILj256ELj4ELj4294967295EEENS1_37radix_sort_block_sort_config_selectorIiNS0_10empty_typeEEEZNS1_21radix_sort_block_sortIS4_Lb0EN6thrust23THRUST_200600_302600_NS6detail15normal_iteratorINSA_10device_ptrIiEEEESF_PS6_SG_NS0_19identity_decomposerEEE10hipError_tT1_T2_T3_T4_jRjT5_jjP12ihipStream_tbEUlT_E_NS1_11comp_targetILNS1_3genE8ELNS1_11target_archE1030ELNS1_3gpuE2ELNS1_3repE0EEENS1_44radix_sort_block_sort_config_static_selectorELNS0_4arch9wavefront6targetE0EEEvSJ_
	.p2align	8
	.type	_ZN7rocprim17ROCPRIM_400000_NS6detail17trampoline_kernelINS0_13kernel_configILj256ELj4ELj4294967295EEENS1_37radix_sort_block_sort_config_selectorIiNS0_10empty_typeEEEZNS1_21radix_sort_block_sortIS4_Lb0EN6thrust23THRUST_200600_302600_NS6detail15normal_iteratorINSA_10device_ptrIiEEEESF_PS6_SG_NS0_19identity_decomposerEEE10hipError_tT1_T2_T3_T4_jRjT5_jjP12ihipStream_tbEUlT_E_NS1_11comp_targetILNS1_3genE8ELNS1_11target_archE1030ELNS1_3gpuE2ELNS1_3repE0EEENS1_44radix_sort_block_sort_config_static_selectorELNS0_4arch9wavefront6targetE0EEEvSJ_,@function
_ZN7rocprim17ROCPRIM_400000_NS6detail17trampoline_kernelINS0_13kernel_configILj256ELj4ELj4294967295EEENS1_37radix_sort_block_sort_config_selectorIiNS0_10empty_typeEEEZNS1_21radix_sort_block_sortIS4_Lb0EN6thrust23THRUST_200600_302600_NS6detail15normal_iteratorINSA_10device_ptrIiEEEESF_PS6_SG_NS0_19identity_decomposerEEE10hipError_tT1_T2_T3_T4_jRjT5_jjP12ihipStream_tbEUlT_E_NS1_11comp_targetILNS1_3genE8ELNS1_11target_archE1030ELNS1_3gpuE2ELNS1_3repE0EEENS1_44radix_sort_block_sort_config_static_selectorELNS0_4arch9wavefront6targetE0EEEvSJ_: ; @_ZN7rocprim17ROCPRIM_400000_NS6detail17trampoline_kernelINS0_13kernel_configILj256ELj4ELj4294967295EEENS1_37radix_sort_block_sort_config_selectorIiNS0_10empty_typeEEEZNS1_21radix_sort_block_sortIS4_Lb0EN6thrust23THRUST_200600_302600_NS6detail15normal_iteratorINSA_10device_ptrIiEEEESF_PS6_SG_NS0_19identity_decomposerEEE10hipError_tT1_T2_T3_T4_jRjT5_jjP12ihipStream_tbEUlT_E_NS1_11comp_targetILNS1_3genE8ELNS1_11target_archE1030ELNS1_3gpuE2ELNS1_3repE0EEENS1_44radix_sort_block_sort_config_static_selectorELNS0_4arch9wavefront6targetE0EEEvSJ_
; %bb.0:
	s_clause 0x1
	s_load_dword s2, s[4:5], 0x20
	s_load_dwordx4 s[12:15], s[4:5], 0x0
	v_lshlrev_b32_e32 v13, 2, v0
	v_mbcnt_lo_u32_b32 v9, -1, 0
	s_lshl_b32 s0, s6, 10
	s_mov_b32 s1, 0
	v_and_b32_e32 v11, 0x380, v13
	v_lshlrev_b32_e32 v3, 2, v9
	v_lshlrev_b32_e32 v10, 2, v11
	s_waitcnt lgkmcnt(0)
	s_lshr_b32 s3, s2, 10
	s_cmp_lg_u32 s6, s3
	s_cselect_b32 s21, -1, 0
	s_lshl_b64 s[16:17], s[0:1], 2
	s_add_u32 s7, s12, s16
	s_addc_u32 s8, s13, s17
	v_add_co_u32 v3, s7, s7, v3
	v_add_co_ci_u32_e64 v4, null, s8, 0, s7
	s_cmp_eq_u32 s6, s3
	v_add_co_u32 v7, vcc_lo, v3, v10
	v_add_co_ci_u32_e64 v8, null, 0, v4, vcc_lo
	s_mov_b32 s3, -1
                                        ; implicit-def: $vgpr3_vgpr4_vgpr5_vgpr6
	s_cbranch_scc0 .LBB9_24
; %bb.1:
	s_load_dwordx2 s[18:19], s[4:5], 0x28
	s_andn2_b32 vcc_lo, exec_lo, s3
	s_sub_i32 s20, s2, s0
	s_cbranch_vccz .LBB9_25
.LBB9_2:
	s_and_saveexec_b32 s0, s1
	s_cbranch_execz .LBB9_4
.LBB9_3:
	global_load_dword v6, v[7:8], off offset:384
.LBB9_4:
	s_or_b32 exec_lo, exec_lo, s0
	s_load_dword s7, s[4:5], 0x3c
	s_getpc_b64 s[4:5]
	s_add_u32 s4, s4, _ZN7rocprim17ROCPRIM_400000_NS16block_radix_sortIiLj256ELj4ENS0_10empty_typeELj1ELj1ELj0ELNS0_26block_radix_rank_algorithmE1ELNS0_18block_padding_hintE2ELNS0_4arch9wavefront6targetE0EE19radix_bits_per_passE@rel32@lo+4
	s_addc_u32 s5, s5, _ZN7rocprim17ROCPRIM_400000_NS16block_radix_sortIiLj256ELj4ENS0_10empty_typeELj1ELj1ELj0ELNS0_26block_radix_rank_algorithmE1ELNS0_18block_padding_hintE2ELNS0_4arch9wavefront6targetE0EE19radix_bits_per_passE@rel32@hi+12
	v_sub_co_u32 v12, s2, v9, 1
	s_load_dword s22, s[4:5], 0x0
	v_lshrrev_b32_e32 v15, 3, v0
	v_or_b32_e32 v11, 31, v0
	v_cmp_gt_i32_e32 vcc_lo, 0, v12
	v_lshlrev_b32_e32 v14, 5, v0
	v_and_b32_e32 v7, 15, v9
	s_mov_b32 s24, 0
	v_and_b32_e32 v8, 16, v9
	v_mul_i32_i24_e32 v16, 0xffffffe4, v0
	v_and_b32_e32 v17, 7, v9
	v_and_b32_e32 v15, 28, v15
	s_mov_b32 s26, s24
	s_mov_b32 s25, s24
	s_mov_b32 s27, s24
	v_cmp_eq_u32_e64 s9, v0, v11
	v_lshl_add_u32 v20, v9, 2, v10
	s_waitcnt lgkmcnt(0)
	s_lshr_b32 s5, s7, 16
	s_and_b32 s7, s7, 0xffff
	v_mad_u32_u24 v1, v2, s5, v1
	s_waitcnt vmcnt(2)
	v_xor_b32_e32 v3, 0x80000000, v3
	s_waitcnt vmcnt(0)
	v_xor_b32_e32 v4, 0x80000000, v4
	v_xor_b32_e32 v5, 0x80000000, v5
	;; [unrolled: 1-line block ×3, first 2 shown]
	v_mad_u64_u32 v[1:2], null, v1, s7, v[0:1]
	v_cndmask_b32_e32 v2, v12, v9, vcc_lo
	v_mov_b32_e32 v9, s24
	v_mov_b32_e32 v11, s26
	v_cmp_gt_u32_e64 s0, 8, v0
	v_cmp_lt_u32_e64 s1, 31, v0
	v_cmp_eq_u32_e64 s3, 0, v0
	v_lshrrev_b32_e32 v1, 3, v1
	v_cmp_eq_u32_e64 s4, 0, v7
	v_cmp_lt_u32_e64 s5, 1, v7
	v_cmp_lt_u32_e64 s6, 3, v7
	;; [unrolled: 1-line block ×3, first 2 shown]
	v_cmp_eq_u32_e64 s8, 0, v8
	v_cmp_eq_u32_e64 s10, 0, v17
	v_cmp_lt_u32_e64 s11, 1, v17
	v_cmp_lt_u32_e64 s12, 3, v17
	v_lshlrev_b32_e32 v17, 2, v2
	v_add_nc_u32_e32 v18, -4, v15
	v_and_b32_e32 v19, 0x1ffffffc, v1
	v_mov_b32_e32 v10, s25
	v_mov_b32_e32 v12, s27
	v_add_nc_u32_e32 v16, v14, v16
	s_add_i32 s23, s19, s18
	s_branch .LBB9_6
.LBB9_5:                                ;   in Loop: Header=BB9_6 Depth=1
	s_andn2_b32 vcc_lo, exec_lo, s24
	s_mov_b32 s19, s13
	s_cbranch_vccz .LBB9_22
.LBB9_6:                                ; =>This Inner Loop Header: Depth=1
	v_mov_b32_e32 v21, v3
	s_min_u32 s13, s22, s19
	ds_write2_b64 v14, v[9:10], v[11:12] offset0:4 offset1:5
	ds_write2_b64 v14, v[9:10], v[11:12] offset0:6 offset1:7
	s_lshl_b32 s13, -1, s13
	s_waitcnt lgkmcnt(0)
	v_lshrrev_b32_e32 v1, s18, v21
	s_not_b32 s24, s13
	s_barrier
	buffer_gl0_inv
	v_and_b32_e32 v2, s24, v1
	; wave barrier
	v_and_b32_e32 v1, 1, v2
	v_lshlrev_b32_e32 v3, 30, v2
	v_lshlrev_b32_e32 v7, 29, v2
	;; [unrolled: 1-line block ×4, first 2 shown]
	v_add_co_u32 v1, s13, v1, -1
	v_cndmask_b32_e64 v22, 0, 1, s13
	v_not_b32_e32 v26, v3
	v_cmp_gt_i32_e64 s13, 0, v3
	v_not_b32_e32 v3, v7
	v_lshlrev_b32_e32 v24, 26, v2
	v_cmp_ne_u32_e32 vcc_lo, 0, v22
	v_ashrrev_i32_e32 v26, 31, v26
	v_lshlrev_b32_e32 v25, 25, v2
	v_ashrrev_i32_e32 v3, 31, v3
	v_lshlrev_b32_e32 v22, 24, v2
	v_xor_b32_e32 v1, vcc_lo, v1
	v_cmp_gt_i32_e32 vcc_lo, 0, v7
	v_not_b32_e32 v7, v8
	v_xor_b32_e32 v26, s13, v26
	v_cmp_gt_i32_e64 s13, 0, v8
	v_and_b32_e32 v1, exec_lo, v1
	v_not_b32_e32 v8, v23
	v_ashrrev_i32_e32 v7, 31, v7
	v_xor_b32_e32 v3, vcc_lo, v3
	v_cmp_gt_i32_e32 vcc_lo, 0, v23
	v_and_b32_e32 v1, v1, v26
	v_not_b32_e32 v23, v24
	v_ashrrev_i32_e32 v8, 31, v8
	v_xor_b32_e32 v7, s13, v7
	v_cmp_gt_i32_e64 s13, 0, v24
	v_and_b32_e32 v1, v1, v3
	v_not_b32_e32 v3, v25
	v_ashrrev_i32_e32 v23, 31, v23
	v_xor_b32_e32 v8, vcc_lo, v8
	v_cmp_gt_i32_e32 vcc_lo, 0, v25
	v_and_b32_e32 v1, v1, v7
	v_not_b32_e32 v7, v22
	v_ashrrev_i32_e32 v3, 31, v3
	v_xor_b32_e32 v23, s13, v23
	v_cmp_gt_i32_e64 s13, 0, v22
	v_and_b32_e32 v1, v1, v8
	v_ashrrev_i32_e32 v7, 31, v7
	v_xor_b32_e32 v3, vcc_lo, v3
	v_lshlrev_b32_e32 v2, 5, v2
	v_mov_b32_e32 v22, v6
	v_and_b32_e32 v1, v1, v23
	v_xor_b32_e32 v7, s13, v7
	v_mov_b32_e32 v23, v5
	v_mov_b32_e32 v24, v4
	v_add_nc_u32_e32 v26, v19, v2
	v_and_b32_e32 v1, v1, v3
	v_and_b32_e32 v1, v1, v7
	v_mbcnt_lo_u32_b32 v25, v1, 0
	v_cmp_ne_u32_e64 s13, 0, v1
	v_cmp_eq_u32_e32 vcc_lo, 0, v25
	s_and_b32 s25, s13, vcc_lo
	s_and_saveexec_b32 s13, s25
; %bb.7:                                ;   in Loop: Header=BB9_6 Depth=1
	v_bcnt_u32_b32 v1, v1, 0
	ds_write_b32 v26, v1 offset:32
; %bb.8:                                ;   in Loop: Header=BB9_6 Depth=1
	s_or_b32 exec_lo, exec_lo, s13
	v_lshrrev_b32_e32 v1, s18, v24
	; wave barrier
	v_and_b32_e32 v1, s24, v1
	v_and_b32_e32 v2, 1, v1
	v_lshlrev_b32_e32 v3, 30, v1
	v_lshlrev_b32_e32 v4, 29, v1
	;; [unrolled: 1-line block ×4, first 2 shown]
	v_add_co_u32 v2, s13, v2, -1
	v_cndmask_b32_e64 v6, 0, 1, s13
	v_not_b32_e32 v28, v3
	v_cmp_gt_i32_e64 s13, 0, v3
	v_not_b32_e32 v3, v4
	v_lshlrev_b32_e32 v8, 26, v1
	v_cmp_ne_u32_e32 vcc_lo, 0, v6
	v_ashrrev_i32_e32 v28, 31, v28
	v_lshlrev_b32_e32 v27, 25, v1
	v_ashrrev_i32_e32 v3, 31, v3
	v_lshlrev_b32_e32 v6, 24, v1
	v_xor_b32_e32 v2, vcc_lo, v2
	v_cmp_gt_i32_e32 vcc_lo, 0, v4
	v_not_b32_e32 v4, v5
	v_xor_b32_e32 v28, s13, v28
	v_cmp_gt_i32_e64 s13, 0, v5
	v_and_b32_e32 v2, exec_lo, v2
	v_not_b32_e32 v5, v7
	v_ashrrev_i32_e32 v4, 31, v4
	v_xor_b32_e32 v3, vcc_lo, v3
	v_cmp_gt_i32_e32 vcc_lo, 0, v7
	v_and_b32_e32 v2, v2, v28
	v_not_b32_e32 v7, v8
	v_ashrrev_i32_e32 v5, 31, v5
	v_xor_b32_e32 v4, s13, v4
	v_cmp_gt_i32_e64 s13, 0, v8
	v_and_b32_e32 v2, v2, v3
	v_not_b32_e32 v3, v27
	v_ashrrev_i32_e32 v7, 31, v7
	v_xor_b32_e32 v5, vcc_lo, v5
	v_cmp_gt_i32_e32 vcc_lo, 0, v27
	v_and_b32_e32 v2, v2, v4
	v_not_b32_e32 v4, v6
	v_ashrrev_i32_e32 v3, 31, v3
	v_xor_b32_e32 v7, s13, v7
	v_lshlrev_b32_e32 v1, 5, v1
	v_and_b32_e32 v2, v2, v5
	v_cmp_gt_i32_e64 s13, 0, v6
	v_ashrrev_i32_e32 v4, 31, v4
	v_xor_b32_e32 v3, vcc_lo, v3
	v_add_nc_u32_e32 v28, v19, v1
	v_and_b32_e32 v2, v2, v7
	v_xor_b32_e32 v1, s13, v4
	ds_read_b32 v27, v28 offset:32
	v_and_b32_e32 v2, v2, v3
	; wave barrier
	v_and_b32_e32 v1, v2, v1
	v_mbcnt_lo_u32_b32 v29, v1, 0
	v_cmp_ne_u32_e64 s13, 0, v1
	v_cmp_eq_u32_e32 vcc_lo, 0, v29
	s_and_b32 s25, s13, vcc_lo
	s_and_saveexec_b32 s13, s25
	s_cbranch_execz .LBB9_10
; %bb.9:                                ;   in Loop: Header=BB9_6 Depth=1
	s_waitcnt lgkmcnt(0)
	v_bcnt_u32_b32 v1, v1, v27
	ds_write_b32 v28, v1 offset:32
.LBB9_10:                               ;   in Loop: Header=BB9_6 Depth=1
	s_or_b32 exec_lo, exec_lo, s13
	v_lshrrev_b32_e32 v1, s18, v23
	; wave barrier
	v_and_b32_e32 v1, s24, v1
	v_and_b32_e32 v2, 1, v1
	v_lshlrev_b32_e32 v3, 30, v1
	v_lshlrev_b32_e32 v4, 29, v1
	;; [unrolled: 1-line block ×4, first 2 shown]
	v_add_co_u32 v2, s13, v2, -1
	v_cndmask_b32_e64 v6, 0, 1, s13
	v_not_b32_e32 v31, v3
	v_cmp_gt_i32_e64 s13, 0, v3
	v_not_b32_e32 v3, v4
	v_lshlrev_b32_e32 v8, 26, v1
	v_cmp_ne_u32_e32 vcc_lo, 0, v6
	v_ashrrev_i32_e32 v31, 31, v31
	v_lshlrev_b32_e32 v30, 25, v1
	v_ashrrev_i32_e32 v3, 31, v3
	v_lshlrev_b32_e32 v6, 24, v1
	v_xor_b32_e32 v2, vcc_lo, v2
	v_cmp_gt_i32_e32 vcc_lo, 0, v4
	v_not_b32_e32 v4, v5
	v_xor_b32_e32 v31, s13, v31
	v_cmp_gt_i32_e64 s13, 0, v5
	v_and_b32_e32 v2, exec_lo, v2
	v_not_b32_e32 v5, v7
	v_ashrrev_i32_e32 v4, 31, v4
	v_xor_b32_e32 v3, vcc_lo, v3
	v_cmp_gt_i32_e32 vcc_lo, 0, v7
	v_and_b32_e32 v2, v2, v31
	v_not_b32_e32 v7, v8
	v_ashrrev_i32_e32 v5, 31, v5
	v_xor_b32_e32 v4, s13, v4
	v_cmp_gt_i32_e64 s13, 0, v8
	v_and_b32_e32 v2, v2, v3
	v_not_b32_e32 v3, v30
	v_ashrrev_i32_e32 v7, 31, v7
	v_xor_b32_e32 v5, vcc_lo, v5
	v_cmp_gt_i32_e32 vcc_lo, 0, v30
	v_and_b32_e32 v2, v2, v4
	v_not_b32_e32 v4, v6
	v_ashrrev_i32_e32 v3, 31, v3
	v_xor_b32_e32 v7, s13, v7
	v_lshlrev_b32_e32 v1, 5, v1
	v_and_b32_e32 v2, v2, v5
	v_cmp_gt_i32_e64 s13, 0, v6
	v_ashrrev_i32_e32 v4, 31, v4
	v_xor_b32_e32 v3, vcc_lo, v3
	v_add_nc_u32_e32 v32, v19, v1
	v_and_b32_e32 v2, v2, v7
	v_xor_b32_e32 v1, s13, v4
	ds_read_b32 v30, v32 offset:32
	v_and_b32_e32 v2, v2, v3
	; wave barrier
	v_and_b32_e32 v1, v2, v1
	v_mbcnt_lo_u32_b32 v31, v1, 0
	v_cmp_ne_u32_e64 s13, 0, v1
	v_cmp_eq_u32_e32 vcc_lo, 0, v31
	s_and_b32 s25, s13, vcc_lo
	s_and_saveexec_b32 s13, s25
	s_cbranch_execz .LBB9_12
; %bb.11:                               ;   in Loop: Header=BB9_6 Depth=1
	s_waitcnt lgkmcnt(0)
	v_bcnt_u32_b32 v1, v1, v30
	ds_write_b32 v32, v1 offset:32
.LBB9_12:                               ;   in Loop: Header=BB9_6 Depth=1
	s_or_b32 exec_lo, exec_lo, s13
	v_lshrrev_b32_e32 v1, s18, v22
	; wave barrier
	v_and_b32_e32 v1, s24, v1
	v_and_b32_e32 v2, 1, v1
	v_lshlrev_b32_e32 v3, 30, v1
	v_lshlrev_b32_e32 v4, 29, v1
	;; [unrolled: 1-line block ×4, first 2 shown]
	v_add_co_u32 v2, s13, v2, -1
	v_cndmask_b32_e64 v6, 0, 1, s13
	v_not_b32_e32 v34, v3
	v_cmp_gt_i32_e64 s13, 0, v3
	v_not_b32_e32 v3, v4
	v_lshlrev_b32_e32 v8, 26, v1
	v_cmp_ne_u32_e32 vcc_lo, 0, v6
	v_ashrrev_i32_e32 v34, 31, v34
	v_lshlrev_b32_e32 v33, 25, v1
	v_ashrrev_i32_e32 v3, 31, v3
	v_lshlrev_b32_e32 v6, 24, v1
	v_xor_b32_e32 v2, vcc_lo, v2
	v_cmp_gt_i32_e32 vcc_lo, 0, v4
	v_not_b32_e32 v4, v5
	v_xor_b32_e32 v34, s13, v34
	v_cmp_gt_i32_e64 s13, 0, v5
	v_and_b32_e32 v2, exec_lo, v2
	v_not_b32_e32 v5, v7
	v_ashrrev_i32_e32 v4, 31, v4
	v_xor_b32_e32 v3, vcc_lo, v3
	v_cmp_gt_i32_e32 vcc_lo, 0, v7
	v_and_b32_e32 v2, v2, v34
	v_not_b32_e32 v7, v8
	v_ashrrev_i32_e32 v5, 31, v5
	v_xor_b32_e32 v4, s13, v4
	v_cmp_gt_i32_e64 s13, 0, v8
	v_and_b32_e32 v2, v2, v3
	v_not_b32_e32 v3, v33
	v_ashrrev_i32_e32 v7, 31, v7
	v_xor_b32_e32 v5, vcc_lo, v5
	v_cmp_gt_i32_e32 vcc_lo, 0, v33
	v_and_b32_e32 v2, v2, v4
	v_not_b32_e32 v4, v6
	v_ashrrev_i32_e32 v3, 31, v3
	v_xor_b32_e32 v7, s13, v7
	v_lshlrev_b32_e32 v1, 5, v1
	v_and_b32_e32 v2, v2, v5
	v_cmp_gt_i32_e64 s13, 0, v6
	v_ashrrev_i32_e32 v4, 31, v4
	v_xor_b32_e32 v3, vcc_lo, v3
	v_add_nc_u32_e32 v35, v19, v1
	v_and_b32_e32 v2, v2, v7
	v_xor_b32_e32 v1, s13, v4
	ds_read_b32 v33, v35 offset:32
	v_and_b32_e32 v2, v2, v3
	; wave barrier
	v_and_b32_e32 v1, v2, v1
	v_mbcnt_lo_u32_b32 v34, v1, 0
	v_cmp_ne_u32_e64 s13, 0, v1
	v_cmp_eq_u32_e32 vcc_lo, 0, v34
	s_and_b32 s24, s13, vcc_lo
	s_and_saveexec_b32 s13, s24
	s_cbranch_execz .LBB9_14
; %bb.13:                               ;   in Loop: Header=BB9_6 Depth=1
	s_waitcnt lgkmcnt(0)
	v_bcnt_u32_b32 v1, v1, v33
	ds_write_b32 v35, v1 offset:32
.LBB9_14:                               ;   in Loop: Header=BB9_6 Depth=1
	s_or_b32 exec_lo, exec_lo, s13
	; wave barrier
	s_waitcnt lgkmcnt(0)
	s_barrier
	buffer_gl0_inv
	ds_read2_b64 v[5:8], v14 offset0:4 offset1:5
	ds_read2_b64 v[1:4], v14 offset0:6 offset1:7
	s_waitcnt lgkmcnt(1)
	v_add_nc_u32_e32 v36, v6, v5
	v_add3_u32 v36, v36, v7, v8
	s_waitcnt lgkmcnt(0)
	v_add3_u32 v36, v36, v1, v2
	v_add3_u32 v4, v36, v3, v4
	v_mov_b32_dpp v36, v4 row_shr:1 row_mask:0xf bank_mask:0xf
	v_cndmask_b32_e64 v36, v36, 0, s4
	v_add_nc_u32_e32 v4, v36, v4
	v_mov_b32_dpp v36, v4 row_shr:2 row_mask:0xf bank_mask:0xf
	v_cndmask_b32_e64 v36, 0, v36, s5
	v_add_nc_u32_e32 v4, v4, v36
	v_mov_b32_dpp v36, v4 row_shr:4 row_mask:0xf bank_mask:0xf
	v_cndmask_b32_e64 v36, 0, v36, s6
	v_add_nc_u32_e32 v4, v4, v36
	v_mov_b32_dpp v36, v4 row_shr:8 row_mask:0xf bank_mask:0xf
	v_cndmask_b32_e64 v36, 0, v36, s7
	v_add_nc_u32_e32 v4, v4, v36
	ds_swizzle_b32 v36, v4 offset:swizzle(BROADCAST,32,15)
	s_waitcnt lgkmcnt(0)
	v_cndmask_b32_e64 v36, v36, 0, s8
	v_add_nc_u32_e32 v4, v4, v36
	s_and_saveexec_b32 s13, s9
; %bb.15:                               ;   in Loop: Header=BB9_6 Depth=1
	ds_write_b32 v15, v4
; %bb.16:                               ;   in Loop: Header=BB9_6 Depth=1
	s_or_b32 exec_lo, exec_lo, s13
	s_waitcnt lgkmcnt(0)
	s_barrier
	buffer_gl0_inv
	s_and_saveexec_b32 s13, s0
	s_cbranch_execz .LBB9_18
; %bb.17:                               ;   in Loop: Header=BB9_6 Depth=1
	ds_read_b32 v36, v16
	s_waitcnt lgkmcnt(0)
	v_mov_b32_dpp v37, v36 row_shr:1 row_mask:0xf bank_mask:0xf
	v_cndmask_b32_e64 v37, v37, 0, s10
	v_add_nc_u32_e32 v36, v37, v36
	v_mov_b32_dpp v37, v36 row_shr:2 row_mask:0xf bank_mask:0xf
	v_cndmask_b32_e64 v37, 0, v37, s11
	v_add_nc_u32_e32 v36, v36, v37
	;; [unrolled: 3-line block ×3, first 2 shown]
	ds_write_b32 v16, v36
.LBB9_18:                               ;   in Loop: Header=BB9_6 Depth=1
	s_or_b32 exec_lo, exec_lo, s13
	v_mov_b32_e32 v36, 0
	s_waitcnt lgkmcnt(0)
	s_barrier
	buffer_gl0_inv
	s_and_saveexec_b32 s13, s1
; %bb.19:                               ;   in Loop: Header=BB9_6 Depth=1
	ds_read_b32 v36, v18
; %bb.20:                               ;   in Loop: Header=BB9_6 Depth=1
	s_or_b32 exec_lo, exec_lo, s13
	s_waitcnt lgkmcnt(0)
	v_add_nc_u32_e32 v4, v36, v4
	v_readfirstlane_b32 s13, v0
	s_add_i32 s18, s18, 8
	s_mov_b32 s24, -1
	s_cmp_ge_u32 s18, s23
	ds_bpermute_b32 v4, v17, v4
	s_waitcnt lgkmcnt(0)
	v_cndmask_b32_e64 v4, v4, v36, s2
	v_cndmask_b32_e64 v4, v4, 0, s3
	v_add_nc_u32_e32 v5, v4, v5
	v_add_nc_u32_e32 v6, v5, v6
	;; [unrolled: 1-line block ×4, first 2 shown]
	v_lshlrev_b32_e32 v8, 2, v31
	v_add_nc_u32_e32 v37, v36, v1
	v_add_nc_u32_e32 v1, v37, v2
	;; [unrolled: 1-line block ×3, first 2 shown]
	ds_write2_b64 v14, v[4:5], v[6:7] offset0:4 offset1:5
	ds_write2_b64 v14, v[36:37], v[1:2] offset0:6 offset1:7
	s_waitcnt lgkmcnt(0)
	s_barrier
	buffer_gl0_inv
	ds_read_b32 v1, v28 offset:32
	ds_read_b32 v2, v32 offset:32
	;; [unrolled: 1-line block ×4, first 2 shown]
	v_lshlrev_b32_e32 v5, 2, v25
	v_lshlrev_b32_e32 v6, 2, v29
	;; [unrolled: 1-line block ×6, first 2 shown]
	s_waitcnt lgkmcnt(0)
	v_lshlrev_b32_e32 v28, 2, v1
	v_lshlrev_b32_e32 v29, 2, v2
	;; [unrolled: 1-line block ×3, first 2 shown]
	v_lshl_add_u32 v1, v4, 2, v5
	v_add3_u32 v2, v6, v7, v28
	v_add3_u32 v7, v8, v25, v29
	v_add3_u32 v8, v26, v27, v3
                                        ; implicit-def: $vgpr6
                                        ; implicit-def: $vgpr4
	s_cbranch_scc1 .LBB9_5
; %bb.21:                               ;   in Loop: Header=BB9_6 Depth=1
	s_barrier
	buffer_gl0_inv
	ds_write_b32 v1, v21
	ds_write_b32 v2, v24
	;; [unrolled: 1-line block ×4, first 2 shown]
	s_waitcnt lgkmcnt(0)
	s_barrier
	buffer_gl0_inv
	ds_read2_b32 v[3:4], v20 offset1:32
	ds_read2_b32 v[5:6], v20 offset0:64 offset1:96
	s_add_i32 s13, s19, -8
	s_mov_b32 s24, 0
	s_waitcnt lgkmcnt(0)
	s_barrier
	buffer_gl0_inv
	s_branch .LBB9_5
.LBB9_22:
	s_barrier
	buffer_gl0_inv
	ds_write_b32 v1, v21
	ds_write_b32 v2, v24
	;; [unrolled: 1-line block ×4, first 2 shown]
	s_waitcnt lgkmcnt(0)
	s_barrier
	buffer_gl0_inv
	ds_read2st64_b32 v[3:4], v16 offset1:4
	ds_read2st64_b32 v[1:2], v16 offset0:8 offset1:12
	s_add_u32 s0, s14, s16
	s_addc_u32 s1, s15, s17
	s_andn2_b32 vcc_lo, exec_lo, s21
	s_waitcnt lgkmcnt(1)
	v_xor_b32_e32 v6, 0x80000000, v3
	v_add_co_u32 v3, s0, s0, v13
	v_xor_b32_e32 v5, 0x80000000, v4
	s_waitcnt lgkmcnt(0)
	v_xor_b32_e32 v1, 0x80000000, v1
	v_add_co_ci_u32_e64 v4, null, s1, 0, s0
	s_cbranch_vccnz .LBB9_32
; %bb.23:
	v_add_co_u32 v7, vcc_lo, 0x800, v3
	v_add_co_ci_u32_e64 v8, null, 0, v4, vcc_lo
	s_mov_b32 s0, -1
	global_store_dword v[3:4], v6, off
	global_store_dword v[3:4], v5, off offset:1024
	global_store_dword v[7:8], v1, off
	s_cbranch_execz .LBB9_33
	s_branch .LBB9_40
.LBB9_24:
	s_clause 0x2
	global_load_dword v3, v[7:8], off
	global_load_dword v4, v[7:8], off offset:128
	global_load_dword v5, v[7:8], off offset:256
	s_mov_b32 s1, -1
	s_load_dwordx2 s[18:19], s[4:5], 0x28
	s_sub_i32 s20, s2, s0
	s_cbranch_execnz .LBB9_2
.LBB9_25:
	s_waitcnt vmcnt(2)
	v_bfrev_b32_e32 v3, -2
	v_or_b32_e32 v11, v9, v11
	s_mov_b32 s0, exec_lo
	s_waitcnt vmcnt(1)
	v_mov_b32_e32 v4, v3
	s_waitcnt vmcnt(0)
	v_mov_b32_e32 v5, v3
	v_mov_b32_e32 v6, v3
	v_cmpx_gt_u32_e64 s20, v11
	s_cbranch_execz .LBB9_27
; %bb.26:
	global_load_dword v14, v[7:8], off
	v_mov_b32_e32 v15, v3
	v_mov_b32_e32 v16, v3
	;; [unrolled: 1-line block ×3, first 2 shown]
	s_waitcnt vmcnt(0)
	v_mov_b32_e32 v3, v14
	v_mov_b32_e32 v4, v15
	;; [unrolled: 1-line block ×4, first 2 shown]
.LBB9_27:
	s_or_b32 exec_lo, exec_lo, s0
	v_or_b32_e32 v12, 32, v11
	s_mov_b32 s0, exec_lo
	v_cmpx_gt_u32_e64 s20, v12
	s_cbranch_execz .LBB9_29
; %bb.28:
	global_load_dword v4, v[7:8], off offset:128
.LBB9_29:
	s_or_b32 exec_lo, exec_lo, s0
	v_or_b32_e32 v12, 64, v11
	s_mov_b32 s0, exec_lo
	v_cmpx_gt_u32_e64 s20, v12
	s_cbranch_execz .LBB9_31
; %bb.30:
	global_load_dword v5, v[7:8], off offset:256
.LBB9_31:
	s_or_b32 exec_lo, exec_lo, s0
	v_or_b32_e32 v11, 0x60, v11
	v_cmp_gt_u32_e64 s1, s20, v11
	s_and_saveexec_b32 s0, s1
	s_cbranch_execnz .LBB9_3
	s_branch .LBB9_4
.LBB9_32:
	s_mov_b32 s0, 0
.LBB9_33:
	s_mov_b32 s0, exec_lo
	v_cmpx_gt_u32_e64 s20, v0
	s_cbranch_execz .LBB9_35
; %bb.34:
	global_store_dword v[3:4], v6, off
.LBB9_35:
	s_or_b32 exec_lo, exec_lo, s0
	v_or_b32_e32 v6, 0x100, v0
	s_mov_b32 s0, exec_lo
	v_cmpx_gt_u32_e64 s20, v6
	s_cbranch_execz .LBB9_37
; %bb.36:
	global_store_dword v[3:4], v5, off offset:1024
.LBB9_37:
	s_or_b32 exec_lo, exec_lo, s0
	v_or_b32_e32 v5, 0x200, v0
	s_mov_b32 s0, exec_lo
	v_cmpx_gt_u32_e64 s20, v5
	s_cbranch_execz .LBB9_39
; %bb.38:
	v_add_co_u32 v5, vcc_lo, 0x800, v3
	v_add_co_ci_u32_e64 v6, null, 0, v4, vcc_lo
	global_store_dword v[5:6], v1, off
.LBB9_39:
	s_or_b32 exec_lo, exec_lo, s0
	v_or_b32_e32 v0, 0x300, v0
	v_cmp_gt_u32_e64 s0, s20, v0
.LBB9_40:
	s_and_saveexec_b32 s1, s0
	s_cbranch_execnz .LBB9_42
; %bb.41:
	s_endpgm
.LBB9_42:
	v_add_co_u32 v0, vcc_lo, 0x800, v3
	v_xor_b32_e32 v2, 0x80000000, v2
	v_add_co_ci_u32_e64 v1, null, 0, v4, vcc_lo
	global_store_dword v[0:1], v2, off offset:1024
	s_endpgm
	.section	.rodata,"a",@progbits
	.p2align	6, 0x0
	.amdhsa_kernel _ZN7rocprim17ROCPRIM_400000_NS6detail17trampoline_kernelINS0_13kernel_configILj256ELj4ELj4294967295EEENS1_37radix_sort_block_sort_config_selectorIiNS0_10empty_typeEEEZNS1_21radix_sort_block_sortIS4_Lb0EN6thrust23THRUST_200600_302600_NS6detail15normal_iteratorINSA_10device_ptrIiEEEESF_PS6_SG_NS0_19identity_decomposerEEE10hipError_tT1_T2_T3_T4_jRjT5_jjP12ihipStream_tbEUlT_E_NS1_11comp_targetILNS1_3genE8ELNS1_11target_archE1030ELNS1_3gpuE2ELNS1_3repE0EEENS1_44radix_sort_block_sort_config_static_selectorELNS0_4arch9wavefront6targetE0EEEvSJ_
		.amdhsa_group_segment_fixed_size 8224
		.amdhsa_private_segment_fixed_size 0
		.amdhsa_kernarg_size 304
		.amdhsa_user_sgpr_count 6
		.amdhsa_user_sgpr_private_segment_buffer 1
		.amdhsa_user_sgpr_dispatch_ptr 0
		.amdhsa_user_sgpr_queue_ptr 0
		.amdhsa_user_sgpr_kernarg_segment_ptr 1
		.amdhsa_user_sgpr_dispatch_id 0
		.amdhsa_user_sgpr_flat_scratch_init 0
		.amdhsa_user_sgpr_private_segment_size 0
		.amdhsa_wavefront_size32 1
		.amdhsa_uses_dynamic_stack 0
		.amdhsa_system_sgpr_private_segment_wavefront_offset 0
		.amdhsa_system_sgpr_workgroup_id_x 1
		.amdhsa_system_sgpr_workgroup_id_y 0
		.amdhsa_system_sgpr_workgroup_id_z 0
		.amdhsa_system_sgpr_workgroup_info 0
		.amdhsa_system_vgpr_workitem_id 2
		.amdhsa_next_free_vgpr 38
		.amdhsa_next_free_sgpr 28
		.amdhsa_reserve_vcc 1
		.amdhsa_reserve_flat_scratch 0
		.amdhsa_float_round_mode_32 0
		.amdhsa_float_round_mode_16_64 0
		.amdhsa_float_denorm_mode_32 3
		.amdhsa_float_denorm_mode_16_64 3
		.amdhsa_dx10_clamp 1
		.amdhsa_ieee_mode 1
		.amdhsa_fp16_overflow 0
		.amdhsa_workgroup_processor_mode 1
		.amdhsa_memory_ordered 1
		.amdhsa_forward_progress 1
		.amdhsa_shared_vgpr_count 0
		.amdhsa_exception_fp_ieee_invalid_op 0
		.amdhsa_exception_fp_denorm_src 0
		.amdhsa_exception_fp_ieee_div_zero 0
		.amdhsa_exception_fp_ieee_overflow 0
		.amdhsa_exception_fp_ieee_underflow 0
		.amdhsa_exception_fp_ieee_inexact 0
		.amdhsa_exception_int_div_zero 0
	.end_amdhsa_kernel
	.section	.text._ZN7rocprim17ROCPRIM_400000_NS6detail17trampoline_kernelINS0_13kernel_configILj256ELj4ELj4294967295EEENS1_37radix_sort_block_sort_config_selectorIiNS0_10empty_typeEEEZNS1_21radix_sort_block_sortIS4_Lb0EN6thrust23THRUST_200600_302600_NS6detail15normal_iteratorINSA_10device_ptrIiEEEESF_PS6_SG_NS0_19identity_decomposerEEE10hipError_tT1_T2_T3_T4_jRjT5_jjP12ihipStream_tbEUlT_E_NS1_11comp_targetILNS1_3genE8ELNS1_11target_archE1030ELNS1_3gpuE2ELNS1_3repE0EEENS1_44radix_sort_block_sort_config_static_selectorELNS0_4arch9wavefront6targetE0EEEvSJ_,"axG",@progbits,_ZN7rocprim17ROCPRIM_400000_NS6detail17trampoline_kernelINS0_13kernel_configILj256ELj4ELj4294967295EEENS1_37radix_sort_block_sort_config_selectorIiNS0_10empty_typeEEEZNS1_21radix_sort_block_sortIS4_Lb0EN6thrust23THRUST_200600_302600_NS6detail15normal_iteratorINSA_10device_ptrIiEEEESF_PS6_SG_NS0_19identity_decomposerEEE10hipError_tT1_T2_T3_T4_jRjT5_jjP12ihipStream_tbEUlT_E_NS1_11comp_targetILNS1_3genE8ELNS1_11target_archE1030ELNS1_3gpuE2ELNS1_3repE0EEENS1_44radix_sort_block_sort_config_static_selectorELNS0_4arch9wavefront6targetE0EEEvSJ_,comdat
.Lfunc_end9:
	.size	_ZN7rocprim17ROCPRIM_400000_NS6detail17trampoline_kernelINS0_13kernel_configILj256ELj4ELj4294967295EEENS1_37radix_sort_block_sort_config_selectorIiNS0_10empty_typeEEEZNS1_21radix_sort_block_sortIS4_Lb0EN6thrust23THRUST_200600_302600_NS6detail15normal_iteratorINSA_10device_ptrIiEEEESF_PS6_SG_NS0_19identity_decomposerEEE10hipError_tT1_T2_T3_T4_jRjT5_jjP12ihipStream_tbEUlT_E_NS1_11comp_targetILNS1_3genE8ELNS1_11target_archE1030ELNS1_3gpuE2ELNS1_3repE0EEENS1_44radix_sort_block_sort_config_static_selectorELNS0_4arch9wavefront6targetE0EEEvSJ_, .Lfunc_end9-_ZN7rocprim17ROCPRIM_400000_NS6detail17trampoline_kernelINS0_13kernel_configILj256ELj4ELj4294967295EEENS1_37radix_sort_block_sort_config_selectorIiNS0_10empty_typeEEEZNS1_21radix_sort_block_sortIS4_Lb0EN6thrust23THRUST_200600_302600_NS6detail15normal_iteratorINSA_10device_ptrIiEEEESF_PS6_SG_NS0_19identity_decomposerEEE10hipError_tT1_T2_T3_T4_jRjT5_jjP12ihipStream_tbEUlT_E_NS1_11comp_targetILNS1_3genE8ELNS1_11target_archE1030ELNS1_3gpuE2ELNS1_3repE0EEENS1_44radix_sort_block_sort_config_static_selectorELNS0_4arch9wavefront6targetE0EEEvSJ_
                                        ; -- End function
	.set _ZN7rocprim17ROCPRIM_400000_NS6detail17trampoline_kernelINS0_13kernel_configILj256ELj4ELj4294967295EEENS1_37radix_sort_block_sort_config_selectorIiNS0_10empty_typeEEEZNS1_21radix_sort_block_sortIS4_Lb0EN6thrust23THRUST_200600_302600_NS6detail15normal_iteratorINSA_10device_ptrIiEEEESF_PS6_SG_NS0_19identity_decomposerEEE10hipError_tT1_T2_T3_T4_jRjT5_jjP12ihipStream_tbEUlT_E_NS1_11comp_targetILNS1_3genE8ELNS1_11target_archE1030ELNS1_3gpuE2ELNS1_3repE0EEENS1_44radix_sort_block_sort_config_static_selectorELNS0_4arch9wavefront6targetE0EEEvSJ_.num_vgpr, 38
	.set _ZN7rocprim17ROCPRIM_400000_NS6detail17trampoline_kernelINS0_13kernel_configILj256ELj4ELj4294967295EEENS1_37radix_sort_block_sort_config_selectorIiNS0_10empty_typeEEEZNS1_21radix_sort_block_sortIS4_Lb0EN6thrust23THRUST_200600_302600_NS6detail15normal_iteratorINSA_10device_ptrIiEEEESF_PS6_SG_NS0_19identity_decomposerEEE10hipError_tT1_T2_T3_T4_jRjT5_jjP12ihipStream_tbEUlT_E_NS1_11comp_targetILNS1_3genE8ELNS1_11target_archE1030ELNS1_3gpuE2ELNS1_3repE0EEENS1_44radix_sort_block_sort_config_static_selectorELNS0_4arch9wavefront6targetE0EEEvSJ_.num_agpr, 0
	.set _ZN7rocprim17ROCPRIM_400000_NS6detail17trampoline_kernelINS0_13kernel_configILj256ELj4ELj4294967295EEENS1_37radix_sort_block_sort_config_selectorIiNS0_10empty_typeEEEZNS1_21radix_sort_block_sortIS4_Lb0EN6thrust23THRUST_200600_302600_NS6detail15normal_iteratorINSA_10device_ptrIiEEEESF_PS6_SG_NS0_19identity_decomposerEEE10hipError_tT1_T2_T3_T4_jRjT5_jjP12ihipStream_tbEUlT_E_NS1_11comp_targetILNS1_3genE8ELNS1_11target_archE1030ELNS1_3gpuE2ELNS1_3repE0EEENS1_44radix_sort_block_sort_config_static_selectorELNS0_4arch9wavefront6targetE0EEEvSJ_.numbered_sgpr, 28
	.set _ZN7rocprim17ROCPRIM_400000_NS6detail17trampoline_kernelINS0_13kernel_configILj256ELj4ELj4294967295EEENS1_37radix_sort_block_sort_config_selectorIiNS0_10empty_typeEEEZNS1_21radix_sort_block_sortIS4_Lb0EN6thrust23THRUST_200600_302600_NS6detail15normal_iteratorINSA_10device_ptrIiEEEESF_PS6_SG_NS0_19identity_decomposerEEE10hipError_tT1_T2_T3_T4_jRjT5_jjP12ihipStream_tbEUlT_E_NS1_11comp_targetILNS1_3genE8ELNS1_11target_archE1030ELNS1_3gpuE2ELNS1_3repE0EEENS1_44radix_sort_block_sort_config_static_selectorELNS0_4arch9wavefront6targetE0EEEvSJ_.num_named_barrier, 0
	.set _ZN7rocprim17ROCPRIM_400000_NS6detail17trampoline_kernelINS0_13kernel_configILj256ELj4ELj4294967295EEENS1_37radix_sort_block_sort_config_selectorIiNS0_10empty_typeEEEZNS1_21radix_sort_block_sortIS4_Lb0EN6thrust23THRUST_200600_302600_NS6detail15normal_iteratorINSA_10device_ptrIiEEEESF_PS6_SG_NS0_19identity_decomposerEEE10hipError_tT1_T2_T3_T4_jRjT5_jjP12ihipStream_tbEUlT_E_NS1_11comp_targetILNS1_3genE8ELNS1_11target_archE1030ELNS1_3gpuE2ELNS1_3repE0EEENS1_44radix_sort_block_sort_config_static_selectorELNS0_4arch9wavefront6targetE0EEEvSJ_.private_seg_size, 0
	.set _ZN7rocprim17ROCPRIM_400000_NS6detail17trampoline_kernelINS0_13kernel_configILj256ELj4ELj4294967295EEENS1_37radix_sort_block_sort_config_selectorIiNS0_10empty_typeEEEZNS1_21radix_sort_block_sortIS4_Lb0EN6thrust23THRUST_200600_302600_NS6detail15normal_iteratorINSA_10device_ptrIiEEEESF_PS6_SG_NS0_19identity_decomposerEEE10hipError_tT1_T2_T3_T4_jRjT5_jjP12ihipStream_tbEUlT_E_NS1_11comp_targetILNS1_3genE8ELNS1_11target_archE1030ELNS1_3gpuE2ELNS1_3repE0EEENS1_44radix_sort_block_sort_config_static_selectorELNS0_4arch9wavefront6targetE0EEEvSJ_.uses_vcc, 1
	.set _ZN7rocprim17ROCPRIM_400000_NS6detail17trampoline_kernelINS0_13kernel_configILj256ELj4ELj4294967295EEENS1_37radix_sort_block_sort_config_selectorIiNS0_10empty_typeEEEZNS1_21radix_sort_block_sortIS4_Lb0EN6thrust23THRUST_200600_302600_NS6detail15normal_iteratorINSA_10device_ptrIiEEEESF_PS6_SG_NS0_19identity_decomposerEEE10hipError_tT1_T2_T3_T4_jRjT5_jjP12ihipStream_tbEUlT_E_NS1_11comp_targetILNS1_3genE8ELNS1_11target_archE1030ELNS1_3gpuE2ELNS1_3repE0EEENS1_44radix_sort_block_sort_config_static_selectorELNS0_4arch9wavefront6targetE0EEEvSJ_.uses_flat_scratch, 0
	.set _ZN7rocprim17ROCPRIM_400000_NS6detail17trampoline_kernelINS0_13kernel_configILj256ELj4ELj4294967295EEENS1_37radix_sort_block_sort_config_selectorIiNS0_10empty_typeEEEZNS1_21radix_sort_block_sortIS4_Lb0EN6thrust23THRUST_200600_302600_NS6detail15normal_iteratorINSA_10device_ptrIiEEEESF_PS6_SG_NS0_19identity_decomposerEEE10hipError_tT1_T2_T3_T4_jRjT5_jjP12ihipStream_tbEUlT_E_NS1_11comp_targetILNS1_3genE8ELNS1_11target_archE1030ELNS1_3gpuE2ELNS1_3repE0EEENS1_44radix_sort_block_sort_config_static_selectorELNS0_4arch9wavefront6targetE0EEEvSJ_.has_dyn_sized_stack, 0
	.set _ZN7rocprim17ROCPRIM_400000_NS6detail17trampoline_kernelINS0_13kernel_configILj256ELj4ELj4294967295EEENS1_37radix_sort_block_sort_config_selectorIiNS0_10empty_typeEEEZNS1_21radix_sort_block_sortIS4_Lb0EN6thrust23THRUST_200600_302600_NS6detail15normal_iteratorINSA_10device_ptrIiEEEESF_PS6_SG_NS0_19identity_decomposerEEE10hipError_tT1_T2_T3_T4_jRjT5_jjP12ihipStream_tbEUlT_E_NS1_11comp_targetILNS1_3genE8ELNS1_11target_archE1030ELNS1_3gpuE2ELNS1_3repE0EEENS1_44radix_sort_block_sort_config_static_selectorELNS0_4arch9wavefront6targetE0EEEvSJ_.has_recursion, 0
	.set _ZN7rocprim17ROCPRIM_400000_NS6detail17trampoline_kernelINS0_13kernel_configILj256ELj4ELj4294967295EEENS1_37radix_sort_block_sort_config_selectorIiNS0_10empty_typeEEEZNS1_21radix_sort_block_sortIS4_Lb0EN6thrust23THRUST_200600_302600_NS6detail15normal_iteratorINSA_10device_ptrIiEEEESF_PS6_SG_NS0_19identity_decomposerEEE10hipError_tT1_T2_T3_T4_jRjT5_jjP12ihipStream_tbEUlT_E_NS1_11comp_targetILNS1_3genE8ELNS1_11target_archE1030ELNS1_3gpuE2ELNS1_3repE0EEENS1_44radix_sort_block_sort_config_static_selectorELNS0_4arch9wavefront6targetE0EEEvSJ_.has_indirect_call, 0
	.section	.AMDGPU.csdata,"",@progbits
; Kernel info:
; codeLenInByte = 3016
; TotalNumSgprs: 30
; NumVgprs: 38
; ScratchSize: 0
; MemoryBound: 0
; FloatMode: 240
; IeeeMode: 1
; LDSByteSize: 8224 bytes/workgroup (compile time only)
; SGPRBlocks: 0
; VGPRBlocks: 4
; NumSGPRsForWavesPerEU: 30
; NumVGPRsForWavesPerEU: 38
; Occupancy: 16
; WaveLimiterHint : 1
; COMPUTE_PGM_RSRC2:SCRATCH_EN: 0
; COMPUTE_PGM_RSRC2:USER_SGPR: 6
; COMPUTE_PGM_RSRC2:TRAP_HANDLER: 0
; COMPUTE_PGM_RSRC2:TGID_X_EN: 1
; COMPUTE_PGM_RSRC2:TGID_Y_EN: 0
; COMPUTE_PGM_RSRC2:TGID_Z_EN: 0
; COMPUTE_PGM_RSRC2:TIDIG_COMP_CNT: 2
	.section	.text._ZN7rocprim17ROCPRIM_400000_NS6detail44device_merge_sort_compile_time_verifier_archINS1_11comp_targetILNS1_3genE0ELNS1_11target_archE4294967295ELNS1_3gpuE0ELNS1_3repE0EEES8_NS1_28merge_sort_block_sort_configILj256ELj4ELNS0_20block_sort_algorithmE0EEENS0_14default_configENS1_37merge_sort_block_sort_config_selectorIiNS0_10empty_typeEEENS1_38merge_sort_block_merge_config_selectorIiSE_EEEEvv,"axG",@progbits,_ZN7rocprim17ROCPRIM_400000_NS6detail44device_merge_sort_compile_time_verifier_archINS1_11comp_targetILNS1_3genE0ELNS1_11target_archE4294967295ELNS1_3gpuE0ELNS1_3repE0EEES8_NS1_28merge_sort_block_sort_configILj256ELj4ELNS0_20block_sort_algorithmE0EEENS0_14default_configENS1_37merge_sort_block_sort_config_selectorIiNS0_10empty_typeEEENS1_38merge_sort_block_merge_config_selectorIiSE_EEEEvv,comdat
	.protected	_ZN7rocprim17ROCPRIM_400000_NS6detail44device_merge_sort_compile_time_verifier_archINS1_11comp_targetILNS1_3genE0ELNS1_11target_archE4294967295ELNS1_3gpuE0ELNS1_3repE0EEES8_NS1_28merge_sort_block_sort_configILj256ELj4ELNS0_20block_sort_algorithmE0EEENS0_14default_configENS1_37merge_sort_block_sort_config_selectorIiNS0_10empty_typeEEENS1_38merge_sort_block_merge_config_selectorIiSE_EEEEvv ; -- Begin function _ZN7rocprim17ROCPRIM_400000_NS6detail44device_merge_sort_compile_time_verifier_archINS1_11comp_targetILNS1_3genE0ELNS1_11target_archE4294967295ELNS1_3gpuE0ELNS1_3repE0EEES8_NS1_28merge_sort_block_sort_configILj256ELj4ELNS0_20block_sort_algorithmE0EEENS0_14default_configENS1_37merge_sort_block_sort_config_selectorIiNS0_10empty_typeEEENS1_38merge_sort_block_merge_config_selectorIiSE_EEEEvv
	.globl	_ZN7rocprim17ROCPRIM_400000_NS6detail44device_merge_sort_compile_time_verifier_archINS1_11comp_targetILNS1_3genE0ELNS1_11target_archE4294967295ELNS1_3gpuE0ELNS1_3repE0EEES8_NS1_28merge_sort_block_sort_configILj256ELj4ELNS0_20block_sort_algorithmE0EEENS0_14default_configENS1_37merge_sort_block_sort_config_selectorIiNS0_10empty_typeEEENS1_38merge_sort_block_merge_config_selectorIiSE_EEEEvv
	.p2align	8
	.type	_ZN7rocprim17ROCPRIM_400000_NS6detail44device_merge_sort_compile_time_verifier_archINS1_11comp_targetILNS1_3genE0ELNS1_11target_archE4294967295ELNS1_3gpuE0ELNS1_3repE0EEES8_NS1_28merge_sort_block_sort_configILj256ELj4ELNS0_20block_sort_algorithmE0EEENS0_14default_configENS1_37merge_sort_block_sort_config_selectorIiNS0_10empty_typeEEENS1_38merge_sort_block_merge_config_selectorIiSE_EEEEvv,@function
_ZN7rocprim17ROCPRIM_400000_NS6detail44device_merge_sort_compile_time_verifier_archINS1_11comp_targetILNS1_3genE0ELNS1_11target_archE4294967295ELNS1_3gpuE0ELNS1_3repE0EEES8_NS1_28merge_sort_block_sort_configILj256ELj4ELNS0_20block_sort_algorithmE0EEENS0_14default_configENS1_37merge_sort_block_sort_config_selectorIiNS0_10empty_typeEEENS1_38merge_sort_block_merge_config_selectorIiSE_EEEEvv: ; @_ZN7rocprim17ROCPRIM_400000_NS6detail44device_merge_sort_compile_time_verifier_archINS1_11comp_targetILNS1_3genE0ELNS1_11target_archE4294967295ELNS1_3gpuE0ELNS1_3repE0EEES8_NS1_28merge_sort_block_sort_configILj256ELj4ELNS0_20block_sort_algorithmE0EEENS0_14default_configENS1_37merge_sort_block_sort_config_selectorIiNS0_10empty_typeEEENS1_38merge_sort_block_merge_config_selectorIiSE_EEEEvv
; %bb.0:
	s_endpgm
	.section	.rodata,"a",@progbits
	.p2align	6, 0x0
	.amdhsa_kernel _ZN7rocprim17ROCPRIM_400000_NS6detail44device_merge_sort_compile_time_verifier_archINS1_11comp_targetILNS1_3genE0ELNS1_11target_archE4294967295ELNS1_3gpuE0ELNS1_3repE0EEES8_NS1_28merge_sort_block_sort_configILj256ELj4ELNS0_20block_sort_algorithmE0EEENS0_14default_configENS1_37merge_sort_block_sort_config_selectorIiNS0_10empty_typeEEENS1_38merge_sort_block_merge_config_selectorIiSE_EEEEvv
		.amdhsa_group_segment_fixed_size 0
		.amdhsa_private_segment_fixed_size 0
		.amdhsa_kernarg_size 0
		.amdhsa_user_sgpr_count 4
		.amdhsa_user_sgpr_private_segment_buffer 1
		.amdhsa_user_sgpr_dispatch_ptr 0
		.amdhsa_user_sgpr_queue_ptr 0
		.amdhsa_user_sgpr_kernarg_segment_ptr 0
		.amdhsa_user_sgpr_dispatch_id 0
		.amdhsa_user_sgpr_flat_scratch_init 0
		.amdhsa_user_sgpr_private_segment_size 0
		.amdhsa_wavefront_size32 1
		.amdhsa_uses_dynamic_stack 0
		.amdhsa_system_sgpr_private_segment_wavefront_offset 0
		.amdhsa_system_sgpr_workgroup_id_x 1
		.amdhsa_system_sgpr_workgroup_id_y 0
		.amdhsa_system_sgpr_workgroup_id_z 0
		.amdhsa_system_sgpr_workgroup_info 0
		.amdhsa_system_vgpr_workitem_id 0
		.amdhsa_next_free_vgpr 1
		.amdhsa_next_free_sgpr 1
		.amdhsa_reserve_vcc 0
		.amdhsa_reserve_flat_scratch 0
		.amdhsa_float_round_mode_32 0
		.amdhsa_float_round_mode_16_64 0
		.amdhsa_float_denorm_mode_32 3
		.amdhsa_float_denorm_mode_16_64 3
		.amdhsa_dx10_clamp 1
		.amdhsa_ieee_mode 1
		.amdhsa_fp16_overflow 0
		.amdhsa_workgroup_processor_mode 1
		.amdhsa_memory_ordered 1
		.amdhsa_forward_progress 1
		.amdhsa_shared_vgpr_count 0
		.amdhsa_exception_fp_ieee_invalid_op 0
		.amdhsa_exception_fp_denorm_src 0
		.amdhsa_exception_fp_ieee_div_zero 0
		.amdhsa_exception_fp_ieee_overflow 0
		.amdhsa_exception_fp_ieee_underflow 0
		.amdhsa_exception_fp_ieee_inexact 0
		.amdhsa_exception_int_div_zero 0
	.end_amdhsa_kernel
	.section	.text._ZN7rocprim17ROCPRIM_400000_NS6detail44device_merge_sort_compile_time_verifier_archINS1_11comp_targetILNS1_3genE0ELNS1_11target_archE4294967295ELNS1_3gpuE0ELNS1_3repE0EEES8_NS1_28merge_sort_block_sort_configILj256ELj4ELNS0_20block_sort_algorithmE0EEENS0_14default_configENS1_37merge_sort_block_sort_config_selectorIiNS0_10empty_typeEEENS1_38merge_sort_block_merge_config_selectorIiSE_EEEEvv,"axG",@progbits,_ZN7rocprim17ROCPRIM_400000_NS6detail44device_merge_sort_compile_time_verifier_archINS1_11comp_targetILNS1_3genE0ELNS1_11target_archE4294967295ELNS1_3gpuE0ELNS1_3repE0EEES8_NS1_28merge_sort_block_sort_configILj256ELj4ELNS0_20block_sort_algorithmE0EEENS0_14default_configENS1_37merge_sort_block_sort_config_selectorIiNS0_10empty_typeEEENS1_38merge_sort_block_merge_config_selectorIiSE_EEEEvv,comdat
.Lfunc_end10:
	.size	_ZN7rocprim17ROCPRIM_400000_NS6detail44device_merge_sort_compile_time_verifier_archINS1_11comp_targetILNS1_3genE0ELNS1_11target_archE4294967295ELNS1_3gpuE0ELNS1_3repE0EEES8_NS1_28merge_sort_block_sort_configILj256ELj4ELNS0_20block_sort_algorithmE0EEENS0_14default_configENS1_37merge_sort_block_sort_config_selectorIiNS0_10empty_typeEEENS1_38merge_sort_block_merge_config_selectorIiSE_EEEEvv, .Lfunc_end10-_ZN7rocprim17ROCPRIM_400000_NS6detail44device_merge_sort_compile_time_verifier_archINS1_11comp_targetILNS1_3genE0ELNS1_11target_archE4294967295ELNS1_3gpuE0ELNS1_3repE0EEES8_NS1_28merge_sort_block_sort_configILj256ELj4ELNS0_20block_sort_algorithmE0EEENS0_14default_configENS1_37merge_sort_block_sort_config_selectorIiNS0_10empty_typeEEENS1_38merge_sort_block_merge_config_selectorIiSE_EEEEvv
                                        ; -- End function
	.set _ZN7rocprim17ROCPRIM_400000_NS6detail44device_merge_sort_compile_time_verifier_archINS1_11comp_targetILNS1_3genE0ELNS1_11target_archE4294967295ELNS1_3gpuE0ELNS1_3repE0EEES8_NS1_28merge_sort_block_sort_configILj256ELj4ELNS0_20block_sort_algorithmE0EEENS0_14default_configENS1_37merge_sort_block_sort_config_selectorIiNS0_10empty_typeEEENS1_38merge_sort_block_merge_config_selectorIiSE_EEEEvv.num_vgpr, 0
	.set _ZN7rocprim17ROCPRIM_400000_NS6detail44device_merge_sort_compile_time_verifier_archINS1_11comp_targetILNS1_3genE0ELNS1_11target_archE4294967295ELNS1_3gpuE0ELNS1_3repE0EEES8_NS1_28merge_sort_block_sort_configILj256ELj4ELNS0_20block_sort_algorithmE0EEENS0_14default_configENS1_37merge_sort_block_sort_config_selectorIiNS0_10empty_typeEEENS1_38merge_sort_block_merge_config_selectorIiSE_EEEEvv.num_agpr, 0
	.set _ZN7rocprim17ROCPRIM_400000_NS6detail44device_merge_sort_compile_time_verifier_archINS1_11comp_targetILNS1_3genE0ELNS1_11target_archE4294967295ELNS1_3gpuE0ELNS1_3repE0EEES8_NS1_28merge_sort_block_sort_configILj256ELj4ELNS0_20block_sort_algorithmE0EEENS0_14default_configENS1_37merge_sort_block_sort_config_selectorIiNS0_10empty_typeEEENS1_38merge_sort_block_merge_config_selectorIiSE_EEEEvv.numbered_sgpr, 0
	.set _ZN7rocprim17ROCPRIM_400000_NS6detail44device_merge_sort_compile_time_verifier_archINS1_11comp_targetILNS1_3genE0ELNS1_11target_archE4294967295ELNS1_3gpuE0ELNS1_3repE0EEES8_NS1_28merge_sort_block_sort_configILj256ELj4ELNS0_20block_sort_algorithmE0EEENS0_14default_configENS1_37merge_sort_block_sort_config_selectorIiNS0_10empty_typeEEENS1_38merge_sort_block_merge_config_selectorIiSE_EEEEvv.num_named_barrier, 0
	.set _ZN7rocprim17ROCPRIM_400000_NS6detail44device_merge_sort_compile_time_verifier_archINS1_11comp_targetILNS1_3genE0ELNS1_11target_archE4294967295ELNS1_3gpuE0ELNS1_3repE0EEES8_NS1_28merge_sort_block_sort_configILj256ELj4ELNS0_20block_sort_algorithmE0EEENS0_14default_configENS1_37merge_sort_block_sort_config_selectorIiNS0_10empty_typeEEENS1_38merge_sort_block_merge_config_selectorIiSE_EEEEvv.private_seg_size, 0
	.set _ZN7rocprim17ROCPRIM_400000_NS6detail44device_merge_sort_compile_time_verifier_archINS1_11comp_targetILNS1_3genE0ELNS1_11target_archE4294967295ELNS1_3gpuE0ELNS1_3repE0EEES8_NS1_28merge_sort_block_sort_configILj256ELj4ELNS0_20block_sort_algorithmE0EEENS0_14default_configENS1_37merge_sort_block_sort_config_selectorIiNS0_10empty_typeEEENS1_38merge_sort_block_merge_config_selectorIiSE_EEEEvv.uses_vcc, 0
	.set _ZN7rocprim17ROCPRIM_400000_NS6detail44device_merge_sort_compile_time_verifier_archINS1_11comp_targetILNS1_3genE0ELNS1_11target_archE4294967295ELNS1_3gpuE0ELNS1_3repE0EEES8_NS1_28merge_sort_block_sort_configILj256ELj4ELNS0_20block_sort_algorithmE0EEENS0_14default_configENS1_37merge_sort_block_sort_config_selectorIiNS0_10empty_typeEEENS1_38merge_sort_block_merge_config_selectorIiSE_EEEEvv.uses_flat_scratch, 0
	.set _ZN7rocprim17ROCPRIM_400000_NS6detail44device_merge_sort_compile_time_verifier_archINS1_11comp_targetILNS1_3genE0ELNS1_11target_archE4294967295ELNS1_3gpuE0ELNS1_3repE0EEES8_NS1_28merge_sort_block_sort_configILj256ELj4ELNS0_20block_sort_algorithmE0EEENS0_14default_configENS1_37merge_sort_block_sort_config_selectorIiNS0_10empty_typeEEENS1_38merge_sort_block_merge_config_selectorIiSE_EEEEvv.has_dyn_sized_stack, 0
	.set _ZN7rocprim17ROCPRIM_400000_NS6detail44device_merge_sort_compile_time_verifier_archINS1_11comp_targetILNS1_3genE0ELNS1_11target_archE4294967295ELNS1_3gpuE0ELNS1_3repE0EEES8_NS1_28merge_sort_block_sort_configILj256ELj4ELNS0_20block_sort_algorithmE0EEENS0_14default_configENS1_37merge_sort_block_sort_config_selectorIiNS0_10empty_typeEEENS1_38merge_sort_block_merge_config_selectorIiSE_EEEEvv.has_recursion, 0
	.set _ZN7rocprim17ROCPRIM_400000_NS6detail44device_merge_sort_compile_time_verifier_archINS1_11comp_targetILNS1_3genE0ELNS1_11target_archE4294967295ELNS1_3gpuE0ELNS1_3repE0EEES8_NS1_28merge_sort_block_sort_configILj256ELj4ELNS0_20block_sort_algorithmE0EEENS0_14default_configENS1_37merge_sort_block_sort_config_selectorIiNS0_10empty_typeEEENS1_38merge_sort_block_merge_config_selectorIiSE_EEEEvv.has_indirect_call, 0
	.section	.AMDGPU.csdata,"",@progbits
; Kernel info:
; codeLenInByte = 4
; TotalNumSgprs: 0
; NumVgprs: 0
; ScratchSize: 0
; MemoryBound: 0
; FloatMode: 240
; IeeeMode: 1
; LDSByteSize: 0 bytes/workgroup (compile time only)
; SGPRBlocks: 0
; VGPRBlocks: 0
; NumSGPRsForWavesPerEU: 1
; NumVGPRsForWavesPerEU: 1
; Occupancy: 16
; WaveLimiterHint : 0
; COMPUTE_PGM_RSRC2:SCRATCH_EN: 0
; COMPUTE_PGM_RSRC2:USER_SGPR: 4
; COMPUTE_PGM_RSRC2:TRAP_HANDLER: 0
; COMPUTE_PGM_RSRC2:TGID_X_EN: 1
; COMPUTE_PGM_RSRC2:TGID_Y_EN: 0
; COMPUTE_PGM_RSRC2:TGID_Z_EN: 0
; COMPUTE_PGM_RSRC2:TIDIG_COMP_CNT: 0
	.section	.text._ZN7rocprim17ROCPRIM_400000_NS6detail44device_merge_sort_compile_time_verifier_archINS1_11comp_targetILNS1_3genE5ELNS1_11target_archE942ELNS1_3gpuE9ELNS1_3repE0EEES8_NS1_28merge_sort_block_sort_configILj256ELj4ELNS0_20block_sort_algorithmE0EEENS0_14default_configENS1_37merge_sort_block_sort_config_selectorIiNS0_10empty_typeEEENS1_38merge_sort_block_merge_config_selectorIiSE_EEEEvv,"axG",@progbits,_ZN7rocprim17ROCPRIM_400000_NS6detail44device_merge_sort_compile_time_verifier_archINS1_11comp_targetILNS1_3genE5ELNS1_11target_archE942ELNS1_3gpuE9ELNS1_3repE0EEES8_NS1_28merge_sort_block_sort_configILj256ELj4ELNS0_20block_sort_algorithmE0EEENS0_14default_configENS1_37merge_sort_block_sort_config_selectorIiNS0_10empty_typeEEENS1_38merge_sort_block_merge_config_selectorIiSE_EEEEvv,comdat
	.protected	_ZN7rocprim17ROCPRIM_400000_NS6detail44device_merge_sort_compile_time_verifier_archINS1_11comp_targetILNS1_3genE5ELNS1_11target_archE942ELNS1_3gpuE9ELNS1_3repE0EEES8_NS1_28merge_sort_block_sort_configILj256ELj4ELNS0_20block_sort_algorithmE0EEENS0_14default_configENS1_37merge_sort_block_sort_config_selectorIiNS0_10empty_typeEEENS1_38merge_sort_block_merge_config_selectorIiSE_EEEEvv ; -- Begin function _ZN7rocprim17ROCPRIM_400000_NS6detail44device_merge_sort_compile_time_verifier_archINS1_11comp_targetILNS1_3genE5ELNS1_11target_archE942ELNS1_3gpuE9ELNS1_3repE0EEES8_NS1_28merge_sort_block_sort_configILj256ELj4ELNS0_20block_sort_algorithmE0EEENS0_14default_configENS1_37merge_sort_block_sort_config_selectorIiNS0_10empty_typeEEENS1_38merge_sort_block_merge_config_selectorIiSE_EEEEvv
	.globl	_ZN7rocprim17ROCPRIM_400000_NS6detail44device_merge_sort_compile_time_verifier_archINS1_11comp_targetILNS1_3genE5ELNS1_11target_archE942ELNS1_3gpuE9ELNS1_3repE0EEES8_NS1_28merge_sort_block_sort_configILj256ELj4ELNS0_20block_sort_algorithmE0EEENS0_14default_configENS1_37merge_sort_block_sort_config_selectorIiNS0_10empty_typeEEENS1_38merge_sort_block_merge_config_selectorIiSE_EEEEvv
	.p2align	8
	.type	_ZN7rocprim17ROCPRIM_400000_NS6detail44device_merge_sort_compile_time_verifier_archINS1_11comp_targetILNS1_3genE5ELNS1_11target_archE942ELNS1_3gpuE9ELNS1_3repE0EEES8_NS1_28merge_sort_block_sort_configILj256ELj4ELNS0_20block_sort_algorithmE0EEENS0_14default_configENS1_37merge_sort_block_sort_config_selectorIiNS0_10empty_typeEEENS1_38merge_sort_block_merge_config_selectorIiSE_EEEEvv,@function
_ZN7rocprim17ROCPRIM_400000_NS6detail44device_merge_sort_compile_time_verifier_archINS1_11comp_targetILNS1_3genE5ELNS1_11target_archE942ELNS1_3gpuE9ELNS1_3repE0EEES8_NS1_28merge_sort_block_sort_configILj256ELj4ELNS0_20block_sort_algorithmE0EEENS0_14default_configENS1_37merge_sort_block_sort_config_selectorIiNS0_10empty_typeEEENS1_38merge_sort_block_merge_config_selectorIiSE_EEEEvv: ; @_ZN7rocprim17ROCPRIM_400000_NS6detail44device_merge_sort_compile_time_verifier_archINS1_11comp_targetILNS1_3genE5ELNS1_11target_archE942ELNS1_3gpuE9ELNS1_3repE0EEES8_NS1_28merge_sort_block_sort_configILj256ELj4ELNS0_20block_sort_algorithmE0EEENS0_14default_configENS1_37merge_sort_block_sort_config_selectorIiNS0_10empty_typeEEENS1_38merge_sort_block_merge_config_selectorIiSE_EEEEvv
; %bb.0:
	s_endpgm
	.section	.rodata,"a",@progbits
	.p2align	6, 0x0
	.amdhsa_kernel _ZN7rocprim17ROCPRIM_400000_NS6detail44device_merge_sort_compile_time_verifier_archINS1_11comp_targetILNS1_3genE5ELNS1_11target_archE942ELNS1_3gpuE9ELNS1_3repE0EEES8_NS1_28merge_sort_block_sort_configILj256ELj4ELNS0_20block_sort_algorithmE0EEENS0_14default_configENS1_37merge_sort_block_sort_config_selectorIiNS0_10empty_typeEEENS1_38merge_sort_block_merge_config_selectorIiSE_EEEEvv
		.amdhsa_group_segment_fixed_size 0
		.amdhsa_private_segment_fixed_size 0
		.amdhsa_kernarg_size 0
		.amdhsa_user_sgpr_count 4
		.amdhsa_user_sgpr_private_segment_buffer 1
		.amdhsa_user_sgpr_dispatch_ptr 0
		.amdhsa_user_sgpr_queue_ptr 0
		.amdhsa_user_sgpr_kernarg_segment_ptr 0
		.amdhsa_user_sgpr_dispatch_id 0
		.amdhsa_user_sgpr_flat_scratch_init 0
		.amdhsa_user_sgpr_private_segment_size 0
		.amdhsa_wavefront_size32 1
		.amdhsa_uses_dynamic_stack 0
		.amdhsa_system_sgpr_private_segment_wavefront_offset 0
		.amdhsa_system_sgpr_workgroup_id_x 1
		.amdhsa_system_sgpr_workgroup_id_y 0
		.amdhsa_system_sgpr_workgroup_id_z 0
		.amdhsa_system_sgpr_workgroup_info 0
		.amdhsa_system_vgpr_workitem_id 0
		.amdhsa_next_free_vgpr 1
		.amdhsa_next_free_sgpr 1
		.amdhsa_reserve_vcc 0
		.amdhsa_reserve_flat_scratch 0
		.amdhsa_float_round_mode_32 0
		.amdhsa_float_round_mode_16_64 0
		.amdhsa_float_denorm_mode_32 3
		.amdhsa_float_denorm_mode_16_64 3
		.amdhsa_dx10_clamp 1
		.amdhsa_ieee_mode 1
		.amdhsa_fp16_overflow 0
		.amdhsa_workgroup_processor_mode 1
		.amdhsa_memory_ordered 1
		.amdhsa_forward_progress 1
		.amdhsa_shared_vgpr_count 0
		.amdhsa_exception_fp_ieee_invalid_op 0
		.amdhsa_exception_fp_denorm_src 0
		.amdhsa_exception_fp_ieee_div_zero 0
		.amdhsa_exception_fp_ieee_overflow 0
		.amdhsa_exception_fp_ieee_underflow 0
		.amdhsa_exception_fp_ieee_inexact 0
		.amdhsa_exception_int_div_zero 0
	.end_amdhsa_kernel
	.section	.text._ZN7rocprim17ROCPRIM_400000_NS6detail44device_merge_sort_compile_time_verifier_archINS1_11comp_targetILNS1_3genE5ELNS1_11target_archE942ELNS1_3gpuE9ELNS1_3repE0EEES8_NS1_28merge_sort_block_sort_configILj256ELj4ELNS0_20block_sort_algorithmE0EEENS0_14default_configENS1_37merge_sort_block_sort_config_selectorIiNS0_10empty_typeEEENS1_38merge_sort_block_merge_config_selectorIiSE_EEEEvv,"axG",@progbits,_ZN7rocprim17ROCPRIM_400000_NS6detail44device_merge_sort_compile_time_verifier_archINS1_11comp_targetILNS1_3genE5ELNS1_11target_archE942ELNS1_3gpuE9ELNS1_3repE0EEES8_NS1_28merge_sort_block_sort_configILj256ELj4ELNS0_20block_sort_algorithmE0EEENS0_14default_configENS1_37merge_sort_block_sort_config_selectorIiNS0_10empty_typeEEENS1_38merge_sort_block_merge_config_selectorIiSE_EEEEvv,comdat
.Lfunc_end11:
	.size	_ZN7rocprim17ROCPRIM_400000_NS6detail44device_merge_sort_compile_time_verifier_archINS1_11comp_targetILNS1_3genE5ELNS1_11target_archE942ELNS1_3gpuE9ELNS1_3repE0EEES8_NS1_28merge_sort_block_sort_configILj256ELj4ELNS0_20block_sort_algorithmE0EEENS0_14default_configENS1_37merge_sort_block_sort_config_selectorIiNS0_10empty_typeEEENS1_38merge_sort_block_merge_config_selectorIiSE_EEEEvv, .Lfunc_end11-_ZN7rocprim17ROCPRIM_400000_NS6detail44device_merge_sort_compile_time_verifier_archINS1_11comp_targetILNS1_3genE5ELNS1_11target_archE942ELNS1_3gpuE9ELNS1_3repE0EEES8_NS1_28merge_sort_block_sort_configILj256ELj4ELNS0_20block_sort_algorithmE0EEENS0_14default_configENS1_37merge_sort_block_sort_config_selectorIiNS0_10empty_typeEEENS1_38merge_sort_block_merge_config_selectorIiSE_EEEEvv
                                        ; -- End function
	.set _ZN7rocprim17ROCPRIM_400000_NS6detail44device_merge_sort_compile_time_verifier_archINS1_11comp_targetILNS1_3genE5ELNS1_11target_archE942ELNS1_3gpuE9ELNS1_3repE0EEES8_NS1_28merge_sort_block_sort_configILj256ELj4ELNS0_20block_sort_algorithmE0EEENS0_14default_configENS1_37merge_sort_block_sort_config_selectorIiNS0_10empty_typeEEENS1_38merge_sort_block_merge_config_selectorIiSE_EEEEvv.num_vgpr, 0
	.set _ZN7rocprim17ROCPRIM_400000_NS6detail44device_merge_sort_compile_time_verifier_archINS1_11comp_targetILNS1_3genE5ELNS1_11target_archE942ELNS1_3gpuE9ELNS1_3repE0EEES8_NS1_28merge_sort_block_sort_configILj256ELj4ELNS0_20block_sort_algorithmE0EEENS0_14default_configENS1_37merge_sort_block_sort_config_selectorIiNS0_10empty_typeEEENS1_38merge_sort_block_merge_config_selectorIiSE_EEEEvv.num_agpr, 0
	.set _ZN7rocprim17ROCPRIM_400000_NS6detail44device_merge_sort_compile_time_verifier_archINS1_11comp_targetILNS1_3genE5ELNS1_11target_archE942ELNS1_3gpuE9ELNS1_3repE0EEES8_NS1_28merge_sort_block_sort_configILj256ELj4ELNS0_20block_sort_algorithmE0EEENS0_14default_configENS1_37merge_sort_block_sort_config_selectorIiNS0_10empty_typeEEENS1_38merge_sort_block_merge_config_selectorIiSE_EEEEvv.numbered_sgpr, 0
	.set _ZN7rocprim17ROCPRIM_400000_NS6detail44device_merge_sort_compile_time_verifier_archINS1_11comp_targetILNS1_3genE5ELNS1_11target_archE942ELNS1_3gpuE9ELNS1_3repE0EEES8_NS1_28merge_sort_block_sort_configILj256ELj4ELNS0_20block_sort_algorithmE0EEENS0_14default_configENS1_37merge_sort_block_sort_config_selectorIiNS0_10empty_typeEEENS1_38merge_sort_block_merge_config_selectorIiSE_EEEEvv.num_named_barrier, 0
	.set _ZN7rocprim17ROCPRIM_400000_NS6detail44device_merge_sort_compile_time_verifier_archINS1_11comp_targetILNS1_3genE5ELNS1_11target_archE942ELNS1_3gpuE9ELNS1_3repE0EEES8_NS1_28merge_sort_block_sort_configILj256ELj4ELNS0_20block_sort_algorithmE0EEENS0_14default_configENS1_37merge_sort_block_sort_config_selectorIiNS0_10empty_typeEEENS1_38merge_sort_block_merge_config_selectorIiSE_EEEEvv.private_seg_size, 0
	.set _ZN7rocprim17ROCPRIM_400000_NS6detail44device_merge_sort_compile_time_verifier_archINS1_11comp_targetILNS1_3genE5ELNS1_11target_archE942ELNS1_3gpuE9ELNS1_3repE0EEES8_NS1_28merge_sort_block_sort_configILj256ELj4ELNS0_20block_sort_algorithmE0EEENS0_14default_configENS1_37merge_sort_block_sort_config_selectorIiNS0_10empty_typeEEENS1_38merge_sort_block_merge_config_selectorIiSE_EEEEvv.uses_vcc, 0
	.set _ZN7rocprim17ROCPRIM_400000_NS6detail44device_merge_sort_compile_time_verifier_archINS1_11comp_targetILNS1_3genE5ELNS1_11target_archE942ELNS1_3gpuE9ELNS1_3repE0EEES8_NS1_28merge_sort_block_sort_configILj256ELj4ELNS0_20block_sort_algorithmE0EEENS0_14default_configENS1_37merge_sort_block_sort_config_selectorIiNS0_10empty_typeEEENS1_38merge_sort_block_merge_config_selectorIiSE_EEEEvv.uses_flat_scratch, 0
	.set _ZN7rocprim17ROCPRIM_400000_NS6detail44device_merge_sort_compile_time_verifier_archINS1_11comp_targetILNS1_3genE5ELNS1_11target_archE942ELNS1_3gpuE9ELNS1_3repE0EEES8_NS1_28merge_sort_block_sort_configILj256ELj4ELNS0_20block_sort_algorithmE0EEENS0_14default_configENS1_37merge_sort_block_sort_config_selectorIiNS0_10empty_typeEEENS1_38merge_sort_block_merge_config_selectorIiSE_EEEEvv.has_dyn_sized_stack, 0
	.set _ZN7rocprim17ROCPRIM_400000_NS6detail44device_merge_sort_compile_time_verifier_archINS1_11comp_targetILNS1_3genE5ELNS1_11target_archE942ELNS1_3gpuE9ELNS1_3repE0EEES8_NS1_28merge_sort_block_sort_configILj256ELj4ELNS0_20block_sort_algorithmE0EEENS0_14default_configENS1_37merge_sort_block_sort_config_selectorIiNS0_10empty_typeEEENS1_38merge_sort_block_merge_config_selectorIiSE_EEEEvv.has_recursion, 0
	.set _ZN7rocprim17ROCPRIM_400000_NS6detail44device_merge_sort_compile_time_verifier_archINS1_11comp_targetILNS1_3genE5ELNS1_11target_archE942ELNS1_3gpuE9ELNS1_3repE0EEES8_NS1_28merge_sort_block_sort_configILj256ELj4ELNS0_20block_sort_algorithmE0EEENS0_14default_configENS1_37merge_sort_block_sort_config_selectorIiNS0_10empty_typeEEENS1_38merge_sort_block_merge_config_selectorIiSE_EEEEvv.has_indirect_call, 0
	.section	.AMDGPU.csdata,"",@progbits
; Kernel info:
; codeLenInByte = 4
; TotalNumSgprs: 0
; NumVgprs: 0
; ScratchSize: 0
; MemoryBound: 0
; FloatMode: 240
; IeeeMode: 1
; LDSByteSize: 0 bytes/workgroup (compile time only)
; SGPRBlocks: 0
; VGPRBlocks: 0
; NumSGPRsForWavesPerEU: 1
; NumVGPRsForWavesPerEU: 1
; Occupancy: 16
; WaveLimiterHint : 0
; COMPUTE_PGM_RSRC2:SCRATCH_EN: 0
; COMPUTE_PGM_RSRC2:USER_SGPR: 4
; COMPUTE_PGM_RSRC2:TRAP_HANDLER: 0
; COMPUTE_PGM_RSRC2:TGID_X_EN: 1
; COMPUTE_PGM_RSRC2:TGID_Y_EN: 0
; COMPUTE_PGM_RSRC2:TGID_Z_EN: 0
; COMPUTE_PGM_RSRC2:TIDIG_COMP_CNT: 0
	.section	.text._ZN7rocprim17ROCPRIM_400000_NS6detail44device_merge_sort_compile_time_verifier_archINS1_11comp_targetILNS1_3genE4ELNS1_11target_archE910ELNS1_3gpuE8ELNS1_3repE0EEES8_NS1_28merge_sort_block_sort_configILj256ELj4ELNS0_20block_sort_algorithmE0EEENS0_14default_configENS1_37merge_sort_block_sort_config_selectorIiNS0_10empty_typeEEENS1_38merge_sort_block_merge_config_selectorIiSE_EEEEvv,"axG",@progbits,_ZN7rocprim17ROCPRIM_400000_NS6detail44device_merge_sort_compile_time_verifier_archINS1_11comp_targetILNS1_3genE4ELNS1_11target_archE910ELNS1_3gpuE8ELNS1_3repE0EEES8_NS1_28merge_sort_block_sort_configILj256ELj4ELNS0_20block_sort_algorithmE0EEENS0_14default_configENS1_37merge_sort_block_sort_config_selectorIiNS0_10empty_typeEEENS1_38merge_sort_block_merge_config_selectorIiSE_EEEEvv,comdat
	.protected	_ZN7rocprim17ROCPRIM_400000_NS6detail44device_merge_sort_compile_time_verifier_archINS1_11comp_targetILNS1_3genE4ELNS1_11target_archE910ELNS1_3gpuE8ELNS1_3repE0EEES8_NS1_28merge_sort_block_sort_configILj256ELj4ELNS0_20block_sort_algorithmE0EEENS0_14default_configENS1_37merge_sort_block_sort_config_selectorIiNS0_10empty_typeEEENS1_38merge_sort_block_merge_config_selectorIiSE_EEEEvv ; -- Begin function _ZN7rocprim17ROCPRIM_400000_NS6detail44device_merge_sort_compile_time_verifier_archINS1_11comp_targetILNS1_3genE4ELNS1_11target_archE910ELNS1_3gpuE8ELNS1_3repE0EEES8_NS1_28merge_sort_block_sort_configILj256ELj4ELNS0_20block_sort_algorithmE0EEENS0_14default_configENS1_37merge_sort_block_sort_config_selectorIiNS0_10empty_typeEEENS1_38merge_sort_block_merge_config_selectorIiSE_EEEEvv
	.globl	_ZN7rocprim17ROCPRIM_400000_NS6detail44device_merge_sort_compile_time_verifier_archINS1_11comp_targetILNS1_3genE4ELNS1_11target_archE910ELNS1_3gpuE8ELNS1_3repE0EEES8_NS1_28merge_sort_block_sort_configILj256ELj4ELNS0_20block_sort_algorithmE0EEENS0_14default_configENS1_37merge_sort_block_sort_config_selectorIiNS0_10empty_typeEEENS1_38merge_sort_block_merge_config_selectorIiSE_EEEEvv
	.p2align	8
	.type	_ZN7rocprim17ROCPRIM_400000_NS6detail44device_merge_sort_compile_time_verifier_archINS1_11comp_targetILNS1_3genE4ELNS1_11target_archE910ELNS1_3gpuE8ELNS1_3repE0EEES8_NS1_28merge_sort_block_sort_configILj256ELj4ELNS0_20block_sort_algorithmE0EEENS0_14default_configENS1_37merge_sort_block_sort_config_selectorIiNS0_10empty_typeEEENS1_38merge_sort_block_merge_config_selectorIiSE_EEEEvv,@function
_ZN7rocprim17ROCPRIM_400000_NS6detail44device_merge_sort_compile_time_verifier_archINS1_11comp_targetILNS1_3genE4ELNS1_11target_archE910ELNS1_3gpuE8ELNS1_3repE0EEES8_NS1_28merge_sort_block_sort_configILj256ELj4ELNS0_20block_sort_algorithmE0EEENS0_14default_configENS1_37merge_sort_block_sort_config_selectorIiNS0_10empty_typeEEENS1_38merge_sort_block_merge_config_selectorIiSE_EEEEvv: ; @_ZN7rocprim17ROCPRIM_400000_NS6detail44device_merge_sort_compile_time_verifier_archINS1_11comp_targetILNS1_3genE4ELNS1_11target_archE910ELNS1_3gpuE8ELNS1_3repE0EEES8_NS1_28merge_sort_block_sort_configILj256ELj4ELNS0_20block_sort_algorithmE0EEENS0_14default_configENS1_37merge_sort_block_sort_config_selectorIiNS0_10empty_typeEEENS1_38merge_sort_block_merge_config_selectorIiSE_EEEEvv
; %bb.0:
	s_endpgm
	.section	.rodata,"a",@progbits
	.p2align	6, 0x0
	.amdhsa_kernel _ZN7rocprim17ROCPRIM_400000_NS6detail44device_merge_sort_compile_time_verifier_archINS1_11comp_targetILNS1_3genE4ELNS1_11target_archE910ELNS1_3gpuE8ELNS1_3repE0EEES8_NS1_28merge_sort_block_sort_configILj256ELj4ELNS0_20block_sort_algorithmE0EEENS0_14default_configENS1_37merge_sort_block_sort_config_selectorIiNS0_10empty_typeEEENS1_38merge_sort_block_merge_config_selectorIiSE_EEEEvv
		.amdhsa_group_segment_fixed_size 0
		.amdhsa_private_segment_fixed_size 0
		.amdhsa_kernarg_size 0
		.amdhsa_user_sgpr_count 4
		.amdhsa_user_sgpr_private_segment_buffer 1
		.amdhsa_user_sgpr_dispatch_ptr 0
		.amdhsa_user_sgpr_queue_ptr 0
		.amdhsa_user_sgpr_kernarg_segment_ptr 0
		.amdhsa_user_sgpr_dispatch_id 0
		.amdhsa_user_sgpr_flat_scratch_init 0
		.amdhsa_user_sgpr_private_segment_size 0
		.amdhsa_wavefront_size32 1
		.amdhsa_uses_dynamic_stack 0
		.amdhsa_system_sgpr_private_segment_wavefront_offset 0
		.amdhsa_system_sgpr_workgroup_id_x 1
		.amdhsa_system_sgpr_workgroup_id_y 0
		.amdhsa_system_sgpr_workgroup_id_z 0
		.amdhsa_system_sgpr_workgroup_info 0
		.amdhsa_system_vgpr_workitem_id 0
		.amdhsa_next_free_vgpr 1
		.amdhsa_next_free_sgpr 1
		.amdhsa_reserve_vcc 0
		.amdhsa_reserve_flat_scratch 0
		.amdhsa_float_round_mode_32 0
		.amdhsa_float_round_mode_16_64 0
		.amdhsa_float_denorm_mode_32 3
		.amdhsa_float_denorm_mode_16_64 3
		.amdhsa_dx10_clamp 1
		.amdhsa_ieee_mode 1
		.amdhsa_fp16_overflow 0
		.amdhsa_workgroup_processor_mode 1
		.amdhsa_memory_ordered 1
		.amdhsa_forward_progress 1
		.amdhsa_shared_vgpr_count 0
		.amdhsa_exception_fp_ieee_invalid_op 0
		.amdhsa_exception_fp_denorm_src 0
		.amdhsa_exception_fp_ieee_div_zero 0
		.amdhsa_exception_fp_ieee_overflow 0
		.amdhsa_exception_fp_ieee_underflow 0
		.amdhsa_exception_fp_ieee_inexact 0
		.amdhsa_exception_int_div_zero 0
	.end_amdhsa_kernel
	.section	.text._ZN7rocprim17ROCPRIM_400000_NS6detail44device_merge_sort_compile_time_verifier_archINS1_11comp_targetILNS1_3genE4ELNS1_11target_archE910ELNS1_3gpuE8ELNS1_3repE0EEES8_NS1_28merge_sort_block_sort_configILj256ELj4ELNS0_20block_sort_algorithmE0EEENS0_14default_configENS1_37merge_sort_block_sort_config_selectorIiNS0_10empty_typeEEENS1_38merge_sort_block_merge_config_selectorIiSE_EEEEvv,"axG",@progbits,_ZN7rocprim17ROCPRIM_400000_NS6detail44device_merge_sort_compile_time_verifier_archINS1_11comp_targetILNS1_3genE4ELNS1_11target_archE910ELNS1_3gpuE8ELNS1_3repE0EEES8_NS1_28merge_sort_block_sort_configILj256ELj4ELNS0_20block_sort_algorithmE0EEENS0_14default_configENS1_37merge_sort_block_sort_config_selectorIiNS0_10empty_typeEEENS1_38merge_sort_block_merge_config_selectorIiSE_EEEEvv,comdat
.Lfunc_end12:
	.size	_ZN7rocprim17ROCPRIM_400000_NS6detail44device_merge_sort_compile_time_verifier_archINS1_11comp_targetILNS1_3genE4ELNS1_11target_archE910ELNS1_3gpuE8ELNS1_3repE0EEES8_NS1_28merge_sort_block_sort_configILj256ELj4ELNS0_20block_sort_algorithmE0EEENS0_14default_configENS1_37merge_sort_block_sort_config_selectorIiNS0_10empty_typeEEENS1_38merge_sort_block_merge_config_selectorIiSE_EEEEvv, .Lfunc_end12-_ZN7rocprim17ROCPRIM_400000_NS6detail44device_merge_sort_compile_time_verifier_archINS1_11comp_targetILNS1_3genE4ELNS1_11target_archE910ELNS1_3gpuE8ELNS1_3repE0EEES8_NS1_28merge_sort_block_sort_configILj256ELj4ELNS0_20block_sort_algorithmE0EEENS0_14default_configENS1_37merge_sort_block_sort_config_selectorIiNS0_10empty_typeEEENS1_38merge_sort_block_merge_config_selectorIiSE_EEEEvv
                                        ; -- End function
	.set _ZN7rocprim17ROCPRIM_400000_NS6detail44device_merge_sort_compile_time_verifier_archINS1_11comp_targetILNS1_3genE4ELNS1_11target_archE910ELNS1_3gpuE8ELNS1_3repE0EEES8_NS1_28merge_sort_block_sort_configILj256ELj4ELNS0_20block_sort_algorithmE0EEENS0_14default_configENS1_37merge_sort_block_sort_config_selectorIiNS0_10empty_typeEEENS1_38merge_sort_block_merge_config_selectorIiSE_EEEEvv.num_vgpr, 0
	.set _ZN7rocprim17ROCPRIM_400000_NS6detail44device_merge_sort_compile_time_verifier_archINS1_11comp_targetILNS1_3genE4ELNS1_11target_archE910ELNS1_3gpuE8ELNS1_3repE0EEES8_NS1_28merge_sort_block_sort_configILj256ELj4ELNS0_20block_sort_algorithmE0EEENS0_14default_configENS1_37merge_sort_block_sort_config_selectorIiNS0_10empty_typeEEENS1_38merge_sort_block_merge_config_selectorIiSE_EEEEvv.num_agpr, 0
	.set _ZN7rocprim17ROCPRIM_400000_NS6detail44device_merge_sort_compile_time_verifier_archINS1_11comp_targetILNS1_3genE4ELNS1_11target_archE910ELNS1_3gpuE8ELNS1_3repE0EEES8_NS1_28merge_sort_block_sort_configILj256ELj4ELNS0_20block_sort_algorithmE0EEENS0_14default_configENS1_37merge_sort_block_sort_config_selectorIiNS0_10empty_typeEEENS1_38merge_sort_block_merge_config_selectorIiSE_EEEEvv.numbered_sgpr, 0
	.set _ZN7rocprim17ROCPRIM_400000_NS6detail44device_merge_sort_compile_time_verifier_archINS1_11comp_targetILNS1_3genE4ELNS1_11target_archE910ELNS1_3gpuE8ELNS1_3repE0EEES8_NS1_28merge_sort_block_sort_configILj256ELj4ELNS0_20block_sort_algorithmE0EEENS0_14default_configENS1_37merge_sort_block_sort_config_selectorIiNS0_10empty_typeEEENS1_38merge_sort_block_merge_config_selectorIiSE_EEEEvv.num_named_barrier, 0
	.set _ZN7rocprim17ROCPRIM_400000_NS6detail44device_merge_sort_compile_time_verifier_archINS1_11comp_targetILNS1_3genE4ELNS1_11target_archE910ELNS1_3gpuE8ELNS1_3repE0EEES8_NS1_28merge_sort_block_sort_configILj256ELj4ELNS0_20block_sort_algorithmE0EEENS0_14default_configENS1_37merge_sort_block_sort_config_selectorIiNS0_10empty_typeEEENS1_38merge_sort_block_merge_config_selectorIiSE_EEEEvv.private_seg_size, 0
	.set _ZN7rocprim17ROCPRIM_400000_NS6detail44device_merge_sort_compile_time_verifier_archINS1_11comp_targetILNS1_3genE4ELNS1_11target_archE910ELNS1_3gpuE8ELNS1_3repE0EEES8_NS1_28merge_sort_block_sort_configILj256ELj4ELNS0_20block_sort_algorithmE0EEENS0_14default_configENS1_37merge_sort_block_sort_config_selectorIiNS0_10empty_typeEEENS1_38merge_sort_block_merge_config_selectorIiSE_EEEEvv.uses_vcc, 0
	.set _ZN7rocprim17ROCPRIM_400000_NS6detail44device_merge_sort_compile_time_verifier_archINS1_11comp_targetILNS1_3genE4ELNS1_11target_archE910ELNS1_3gpuE8ELNS1_3repE0EEES8_NS1_28merge_sort_block_sort_configILj256ELj4ELNS0_20block_sort_algorithmE0EEENS0_14default_configENS1_37merge_sort_block_sort_config_selectorIiNS0_10empty_typeEEENS1_38merge_sort_block_merge_config_selectorIiSE_EEEEvv.uses_flat_scratch, 0
	.set _ZN7rocprim17ROCPRIM_400000_NS6detail44device_merge_sort_compile_time_verifier_archINS1_11comp_targetILNS1_3genE4ELNS1_11target_archE910ELNS1_3gpuE8ELNS1_3repE0EEES8_NS1_28merge_sort_block_sort_configILj256ELj4ELNS0_20block_sort_algorithmE0EEENS0_14default_configENS1_37merge_sort_block_sort_config_selectorIiNS0_10empty_typeEEENS1_38merge_sort_block_merge_config_selectorIiSE_EEEEvv.has_dyn_sized_stack, 0
	.set _ZN7rocprim17ROCPRIM_400000_NS6detail44device_merge_sort_compile_time_verifier_archINS1_11comp_targetILNS1_3genE4ELNS1_11target_archE910ELNS1_3gpuE8ELNS1_3repE0EEES8_NS1_28merge_sort_block_sort_configILj256ELj4ELNS0_20block_sort_algorithmE0EEENS0_14default_configENS1_37merge_sort_block_sort_config_selectorIiNS0_10empty_typeEEENS1_38merge_sort_block_merge_config_selectorIiSE_EEEEvv.has_recursion, 0
	.set _ZN7rocprim17ROCPRIM_400000_NS6detail44device_merge_sort_compile_time_verifier_archINS1_11comp_targetILNS1_3genE4ELNS1_11target_archE910ELNS1_3gpuE8ELNS1_3repE0EEES8_NS1_28merge_sort_block_sort_configILj256ELj4ELNS0_20block_sort_algorithmE0EEENS0_14default_configENS1_37merge_sort_block_sort_config_selectorIiNS0_10empty_typeEEENS1_38merge_sort_block_merge_config_selectorIiSE_EEEEvv.has_indirect_call, 0
	.section	.AMDGPU.csdata,"",@progbits
; Kernel info:
; codeLenInByte = 4
; TotalNumSgprs: 0
; NumVgprs: 0
; ScratchSize: 0
; MemoryBound: 0
; FloatMode: 240
; IeeeMode: 1
; LDSByteSize: 0 bytes/workgroup (compile time only)
; SGPRBlocks: 0
; VGPRBlocks: 0
; NumSGPRsForWavesPerEU: 1
; NumVGPRsForWavesPerEU: 1
; Occupancy: 16
; WaveLimiterHint : 0
; COMPUTE_PGM_RSRC2:SCRATCH_EN: 0
; COMPUTE_PGM_RSRC2:USER_SGPR: 4
; COMPUTE_PGM_RSRC2:TRAP_HANDLER: 0
; COMPUTE_PGM_RSRC2:TGID_X_EN: 1
; COMPUTE_PGM_RSRC2:TGID_Y_EN: 0
; COMPUTE_PGM_RSRC2:TGID_Z_EN: 0
; COMPUTE_PGM_RSRC2:TIDIG_COMP_CNT: 0
	.section	.text._ZN7rocprim17ROCPRIM_400000_NS6detail44device_merge_sort_compile_time_verifier_archINS1_11comp_targetILNS1_3genE3ELNS1_11target_archE908ELNS1_3gpuE7ELNS1_3repE0EEES8_NS1_28merge_sort_block_sort_configILj256ELj4ELNS0_20block_sort_algorithmE0EEENS0_14default_configENS1_37merge_sort_block_sort_config_selectorIiNS0_10empty_typeEEENS1_38merge_sort_block_merge_config_selectorIiSE_EEEEvv,"axG",@progbits,_ZN7rocprim17ROCPRIM_400000_NS6detail44device_merge_sort_compile_time_verifier_archINS1_11comp_targetILNS1_3genE3ELNS1_11target_archE908ELNS1_3gpuE7ELNS1_3repE0EEES8_NS1_28merge_sort_block_sort_configILj256ELj4ELNS0_20block_sort_algorithmE0EEENS0_14default_configENS1_37merge_sort_block_sort_config_selectorIiNS0_10empty_typeEEENS1_38merge_sort_block_merge_config_selectorIiSE_EEEEvv,comdat
	.protected	_ZN7rocprim17ROCPRIM_400000_NS6detail44device_merge_sort_compile_time_verifier_archINS1_11comp_targetILNS1_3genE3ELNS1_11target_archE908ELNS1_3gpuE7ELNS1_3repE0EEES8_NS1_28merge_sort_block_sort_configILj256ELj4ELNS0_20block_sort_algorithmE0EEENS0_14default_configENS1_37merge_sort_block_sort_config_selectorIiNS0_10empty_typeEEENS1_38merge_sort_block_merge_config_selectorIiSE_EEEEvv ; -- Begin function _ZN7rocprim17ROCPRIM_400000_NS6detail44device_merge_sort_compile_time_verifier_archINS1_11comp_targetILNS1_3genE3ELNS1_11target_archE908ELNS1_3gpuE7ELNS1_3repE0EEES8_NS1_28merge_sort_block_sort_configILj256ELj4ELNS0_20block_sort_algorithmE0EEENS0_14default_configENS1_37merge_sort_block_sort_config_selectorIiNS0_10empty_typeEEENS1_38merge_sort_block_merge_config_selectorIiSE_EEEEvv
	.globl	_ZN7rocprim17ROCPRIM_400000_NS6detail44device_merge_sort_compile_time_verifier_archINS1_11comp_targetILNS1_3genE3ELNS1_11target_archE908ELNS1_3gpuE7ELNS1_3repE0EEES8_NS1_28merge_sort_block_sort_configILj256ELj4ELNS0_20block_sort_algorithmE0EEENS0_14default_configENS1_37merge_sort_block_sort_config_selectorIiNS0_10empty_typeEEENS1_38merge_sort_block_merge_config_selectorIiSE_EEEEvv
	.p2align	8
	.type	_ZN7rocprim17ROCPRIM_400000_NS6detail44device_merge_sort_compile_time_verifier_archINS1_11comp_targetILNS1_3genE3ELNS1_11target_archE908ELNS1_3gpuE7ELNS1_3repE0EEES8_NS1_28merge_sort_block_sort_configILj256ELj4ELNS0_20block_sort_algorithmE0EEENS0_14default_configENS1_37merge_sort_block_sort_config_selectorIiNS0_10empty_typeEEENS1_38merge_sort_block_merge_config_selectorIiSE_EEEEvv,@function
_ZN7rocprim17ROCPRIM_400000_NS6detail44device_merge_sort_compile_time_verifier_archINS1_11comp_targetILNS1_3genE3ELNS1_11target_archE908ELNS1_3gpuE7ELNS1_3repE0EEES8_NS1_28merge_sort_block_sort_configILj256ELj4ELNS0_20block_sort_algorithmE0EEENS0_14default_configENS1_37merge_sort_block_sort_config_selectorIiNS0_10empty_typeEEENS1_38merge_sort_block_merge_config_selectorIiSE_EEEEvv: ; @_ZN7rocprim17ROCPRIM_400000_NS6detail44device_merge_sort_compile_time_verifier_archINS1_11comp_targetILNS1_3genE3ELNS1_11target_archE908ELNS1_3gpuE7ELNS1_3repE0EEES8_NS1_28merge_sort_block_sort_configILj256ELj4ELNS0_20block_sort_algorithmE0EEENS0_14default_configENS1_37merge_sort_block_sort_config_selectorIiNS0_10empty_typeEEENS1_38merge_sort_block_merge_config_selectorIiSE_EEEEvv
; %bb.0:
	s_endpgm
	.section	.rodata,"a",@progbits
	.p2align	6, 0x0
	.amdhsa_kernel _ZN7rocprim17ROCPRIM_400000_NS6detail44device_merge_sort_compile_time_verifier_archINS1_11comp_targetILNS1_3genE3ELNS1_11target_archE908ELNS1_3gpuE7ELNS1_3repE0EEES8_NS1_28merge_sort_block_sort_configILj256ELj4ELNS0_20block_sort_algorithmE0EEENS0_14default_configENS1_37merge_sort_block_sort_config_selectorIiNS0_10empty_typeEEENS1_38merge_sort_block_merge_config_selectorIiSE_EEEEvv
		.amdhsa_group_segment_fixed_size 0
		.amdhsa_private_segment_fixed_size 0
		.amdhsa_kernarg_size 0
		.amdhsa_user_sgpr_count 4
		.amdhsa_user_sgpr_private_segment_buffer 1
		.amdhsa_user_sgpr_dispatch_ptr 0
		.amdhsa_user_sgpr_queue_ptr 0
		.amdhsa_user_sgpr_kernarg_segment_ptr 0
		.amdhsa_user_sgpr_dispatch_id 0
		.amdhsa_user_sgpr_flat_scratch_init 0
		.amdhsa_user_sgpr_private_segment_size 0
		.amdhsa_wavefront_size32 1
		.amdhsa_uses_dynamic_stack 0
		.amdhsa_system_sgpr_private_segment_wavefront_offset 0
		.amdhsa_system_sgpr_workgroup_id_x 1
		.amdhsa_system_sgpr_workgroup_id_y 0
		.amdhsa_system_sgpr_workgroup_id_z 0
		.amdhsa_system_sgpr_workgroup_info 0
		.amdhsa_system_vgpr_workitem_id 0
		.amdhsa_next_free_vgpr 1
		.amdhsa_next_free_sgpr 1
		.amdhsa_reserve_vcc 0
		.amdhsa_reserve_flat_scratch 0
		.amdhsa_float_round_mode_32 0
		.amdhsa_float_round_mode_16_64 0
		.amdhsa_float_denorm_mode_32 3
		.amdhsa_float_denorm_mode_16_64 3
		.amdhsa_dx10_clamp 1
		.amdhsa_ieee_mode 1
		.amdhsa_fp16_overflow 0
		.amdhsa_workgroup_processor_mode 1
		.amdhsa_memory_ordered 1
		.amdhsa_forward_progress 1
		.amdhsa_shared_vgpr_count 0
		.amdhsa_exception_fp_ieee_invalid_op 0
		.amdhsa_exception_fp_denorm_src 0
		.amdhsa_exception_fp_ieee_div_zero 0
		.amdhsa_exception_fp_ieee_overflow 0
		.amdhsa_exception_fp_ieee_underflow 0
		.amdhsa_exception_fp_ieee_inexact 0
		.amdhsa_exception_int_div_zero 0
	.end_amdhsa_kernel
	.section	.text._ZN7rocprim17ROCPRIM_400000_NS6detail44device_merge_sort_compile_time_verifier_archINS1_11comp_targetILNS1_3genE3ELNS1_11target_archE908ELNS1_3gpuE7ELNS1_3repE0EEES8_NS1_28merge_sort_block_sort_configILj256ELj4ELNS0_20block_sort_algorithmE0EEENS0_14default_configENS1_37merge_sort_block_sort_config_selectorIiNS0_10empty_typeEEENS1_38merge_sort_block_merge_config_selectorIiSE_EEEEvv,"axG",@progbits,_ZN7rocprim17ROCPRIM_400000_NS6detail44device_merge_sort_compile_time_verifier_archINS1_11comp_targetILNS1_3genE3ELNS1_11target_archE908ELNS1_3gpuE7ELNS1_3repE0EEES8_NS1_28merge_sort_block_sort_configILj256ELj4ELNS0_20block_sort_algorithmE0EEENS0_14default_configENS1_37merge_sort_block_sort_config_selectorIiNS0_10empty_typeEEENS1_38merge_sort_block_merge_config_selectorIiSE_EEEEvv,comdat
.Lfunc_end13:
	.size	_ZN7rocprim17ROCPRIM_400000_NS6detail44device_merge_sort_compile_time_verifier_archINS1_11comp_targetILNS1_3genE3ELNS1_11target_archE908ELNS1_3gpuE7ELNS1_3repE0EEES8_NS1_28merge_sort_block_sort_configILj256ELj4ELNS0_20block_sort_algorithmE0EEENS0_14default_configENS1_37merge_sort_block_sort_config_selectorIiNS0_10empty_typeEEENS1_38merge_sort_block_merge_config_selectorIiSE_EEEEvv, .Lfunc_end13-_ZN7rocprim17ROCPRIM_400000_NS6detail44device_merge_sort_compile_time_verifier_archINS1_11comp_targetILNS1_3genE3ELNS1_11target_archE908ELNS1_3gpuE7ELNS1_3repE0EEES8_NS1_28merge_sort_block_sort_configILj256ELj4ELNS0_20block_sort_algorithmE0EEENS0_14default_configENS1_37merge_sort_block_sort_config_selectorIiNS0_10empty_typeEEENS1_38merge_sort_block_merge_config_selectorIiSE_EEEEvv
                                        ; -- End function
	.set _ZN7rocprim17ROCPRIM_400000_NS6detail44device_merge_sort_compile_time_verifier_archINS1_11comp_targetILNS1_3genE3ELNS1_11target_archE908ELNS1_3gpuE7ELNS1_3repE0EEES8_NS1_28merge_sort_block_sort_configILj256ELj4ELNS0_20block_sort_algorithmE0EEENS0_14default_configENS1_37merge_sort_block_sort_config_selectorIiNS0_10empty_typeEEENS1_38merge_sort_block_merge_config_selectorIiSE_EEEEvv.num_vgpr, 0
	.set _ZN7rocprim17ROCPRIM_400000_NS6detail44device_merge_sort_compile_time_verifier_archINS1_11comp_targetILNS1_3genE3ELNS1_11target_archE908ELNS1_3gpuE7ELNS1_3repE0EEES8_NS1_28merge_sort_block_sort_configILj256ELj4ELNS0_20block_sort_algorithmE0EEENS0_14default_configENS1_37merge_sort_block_sort_config_selectorIiNS0_10empty_typeEEENS1_38merge_sort_block_merge_config_selectorIiSE_EEEEvv.num_agpr, 0
	.set _ZN7rocprim17ROCPRIM_400000_NS6detail44device_merge_sort_compile_time_verifier_archINS1_11comp_targetILNS1_3genE3ELNS1_11target_archE908ELNS1_3gpuE7ELNS1_3repE0EEES8_NS1_28merge_sort_block_sort_configILj256ELj4ELNS0_20block_sort_algorithmE0EEENS0_14default_configENS1_37merge_sort_block_sort_config_selectorIiNS0_10empty_typeEEENS1_38merge_sort_block_merge_config_selectorIiSE_EEEEvv.numbered_sgpr, 0
	.set _ZN7rocprim17ROCPRIM_400000_NS6detail44device_merge_sort_compile_time_verifier_archINS1_11comp_targetILNS1_3genE3ELNS1_11target_archE908ELNS1_3gpuE7ELNS1_3repE0EEES8_NS1_28merge_sort_block_sort_configILj256ELj4ELNS0_20block_sort_algorithmE0EEENS0_14default_configENS1_37merge_sort_block_sort_config_selectorIiNS0_10empty_typeEEENS1_38merge_sort_block_merge_config_selectorIiSE_EEEEvv.num_named_barrier, 0
	.set _ZN7rocprim17ROCPRIM_400000_NS6detail44device_merge_sort_compile_time_verifier_archINS1_11comp_targetILNS1_3genE3ELNS1_11target_archE908ELNS1_3gpuE7ELNS1_3repE0EEES8_NS1_28merge_sort_block_sort_configILj256ELj4ELNS0_20block_sort_algorithmE0EEENS0_14default_configENS1_37merge_sort_block_sort_config_selectorIiNS0_10empty_typeEEENS1_38merge_sort_block_merge_config_selectorIiSE_EEEEvv.private_seg_size, 0
	.set _ZN7rocprim17ROCPRIM_400000_NS6detail44device_merge_sort_compile_time_verifier_archINS1_11comp_targetILNS1_3genE3ELNS1_11target_archE908ELNS1_3gpuE7ELNS1_3repE0EEES8_NS1_28merge_sort_block_sort_configILj256ELj4ELNS0_20block_sort_algorithmE0EEENS0_14default_configENS1_37merge_sort_block_sort_config_selectorIiNS0_10empty_typeEEENS1_38merge_sort_block_merge_config_selectorIiSE_EEEEvv.uses_vcc, 0
	.set _ZN7rocprim17ROCPRIM_400000_NS6detail44device_merge_sort_compile_time_verifier_archINS1_11comp_targetILNS1_3genE3ELNS1_11target_archE908ELNS1_3gpuE7ELNS1_3repE0EEES8_NS1_28merge_sort_block_sort_configILj256ELj4ELNS0_20block_sort_algorithmE0EEENS0_14default_configENS1_37merge_sort_block_sort_config_selectorIiNS0_10empty_typeEEENS1_38merge_sort_block_merge_config_selectorIiSE_EEEEvv.uses_flat_scratch, 0
	.set _ZN7rocprim17ROCPRIM_400000_NS6detail44device_merge_sort_compile_time_verifier_archINS1_11comp_targetILNS1_3genE3ELNS1_11target_archE908ELNS1_3gpuE7ELNS1_3repE0EEES8_NS1_28merge_sort_block_sort_configILj256ELj4ELNS0_20block_sort_algorithmE0EEENS0_14default_configENS1_37merge_sort_block_sort_config_selectorIiNS0_10empty_typeEEENS1_38merge_sort_block_merge_config_selectorIiSE_EEEEvv.has_dyn_sized_stack, 0
	.set _ZN7rocprim17ROCPRIM_400000_NS6detail44device_merge_sort_compile_time_verifier_archINS1_11comp_targetILNS1_3genE3ELNS1_11target_archE908ELNS1_3gpuE7ELNS1_3repE0EEES8_NS1_28merge_sort_block_sort_configILj256ELj4ELNS0_20block_sort_algorithmE0EEENS0_14default_configENS1_37merge_sort_block_sort_config_selectorIiNS0_10empty_typeEEENS1_38merge_sort_block_merge_config_selectorIiSE_EEEEvv.has_recursion, 0
	.set _ZN7rocprim17ROCPRIM_400000_NS6detail44device_merge_sort_compile_time_verifier_archINS1_11comp_targetILNS1_3genE3ELNS1_11target_archE908ELNS1_3gpuE7ELNS1_3repE0EEES8_NS1_28merge_sort_block_sort_configILj256ELj4ELNS0_20block_sort_algorithmE0EEENS0_14default_configENS1_37merge_sort_block_sort_config_selectorIiNS0_10empty_typeEEENS1_38merge_sort_block_merge_config_selectorIiSE_EEEEvv.has_indirect_call, 0
	.section	.AMDGPU.csdata,"",@progbits
; Kernel info:
; codeLenInByte = 4
; TotalNumSgprs: 0
; NumVgprs: 0
; ScratchSize: 0
; MemoryBound: 0
; FloatMode: 240
; IeeeMode: 1
; LDSByteSize: 0 bytes/workgroup (compile time only)
; SGPRBlocks: 0
; VGPRBlocks: 0
; NumSGPRsForWavesPerEU: 1
; NumVGPRsForWavesPerEU: 1
; Occupancy: 16
; WaveLimiterHint : 0
; COMPUTE_PGM_RSRC2:SCRATCH_EN: 0
; COMPUTE_PGM_RSRC2:USER_SGPR: 4
; COMPUTE_PGM_RSRC2:TRAP_HANDLER: 0
; COMPUTE_PGM_RSRC2:TGID_X_EN: 1
; COMPUTE_PGM_RSRC2:TGID_Y_EN: 0
; COMPUTE_PGM_RSRC2:TGID_Z_EN: 0
; COMPUTE_PGM_RSRC2:TIDIG_COMP_CNT: 0
	.section	.text._ZN7rocprim17ROCPRIM_400000_NS6detail44device_merge_sort_compile_time_verifier_archINS1_11comp_targetILNS1_3genE2ELNS1_11target_archE906ELNS1_3gpuE6ELNS1_3repE0EEES8_NS1_28merge_sort_block_sort_configILj256ELj4ELNS0_20block_sort_algorithmE0EEENS0_14default_configENS1_37merge_sort_block_sort_config_selectorIiNS0_10empty_typeEEENS1_38merge_sort_block_merge_config_selectorIiSE_EEEEvv,"axG",@progbits,_ZN7rocprim17ROCPRIM_400000_NS6detail44device_merge_sort_compile_time_verifier_archINS1_11comp_targetILNS1_3genE2ELNS1_11target_archE906ELNS1_3gpuE6ELNS1_3repE0EEES8_NS1_28merge_sort_block_sort_configILj256ELj4ELNS0_20block_sort_algorithmE0EEENS0_14default_configENS1_37merge_sort_block_sort_config_selectorIiNS0_10empty_typeEEENS1_38merge_sort_block_merge_config_selectorIiSE_EEEEvv,comdat
	.protected	_ZN7rocprim17ROCPRIM_400000_NS6detail44device_merge_sort_compile_time_verifier_archINS1_11comp_targetILNS1_3genE2ELNS1_11target_archE906ELNS1_3gpuE6ELNS1_3repE0EEES8_NS1_28merge_sort_block_sort_configILj256ELj4ELNS0_20block_sort_algorithmE0EEENS0_14default_configENS1_37merge_sort_block_sort_config_selectorIiNS0_10empty_typeEEENS1_38merge_sort_block_merge_config_selectorIiSE_EEEEvv ; -- Begin function _ZN7rocprim17ROCPRIM_400000_NS6detail44device_merge_sort_compile_time_verifier_archINS1_11comp_targetILNS1_3genE2ELNS1_11target_archE906ELNS1_3gpuE6ELNS1_3repE0EEES8_NS1_28merge_sort_block_sort_configILj256ELj4ELNS0_20block_sort_algorithmE0EEENS0_14default_configENS1_37merge_sort_block_sort_config_selectorIiNS0_10empty_typeEEENS1_38merge_sort_block_merge_config_selectorIiSE_EEEEvv
	.globl	_ZN7rocprim17ROCPRIM_400000_NS6detail44device_merge_sort_compile_time_verifier_archINS1_11comp_targetILNS1_3genE2ELNS1_11target_archE906ELNS1_3gpuE6ELNS1_3repE0EEES8_NS1_28merge_sort_block_sort_configILj256ELj4ELNS0_20block_sort_algorithmE0EEENS0_14default_configENS1_37merge_sort_block_sort_config_selectorIiNS0_10empty_typeEEENS1_38merge_sort_block_merge_config_selectorIiSE_EEEEvv
	.p2align	8
	.type	_ZN7rocprim17ROCPRIM_400000_NS6detail44device_merge_sort_compile_time_verifier_archINS1_11comp_targetILNS1_3genE2ELNS1_11target_archE906ELNS1_3gpuE6ELNS1_3repE0EEES8_NS1_28merge_sort_block_sort_configILj256ELj4ELNS0_20block_sort_algorithmE0EEENS0_14default_configENS1_37merge_sort_block_sort_config_selectorIiNS0_10empty_typeEEENS1_38merge_sort_block_merge_config_selectorIiSE_EEEEvv,@function
_ZN7rocprim17ROCPRIM_400000_NS6detail44device_merge_sort_compile_time_verifier_archINS1_11comp_targetILNS1_3genE2ELNS1_11target_archE906ELNS1_3gpuE6ELNS1_3repE0EEES8_NS1_28merge_sort_block_sort_configILj256ELj4ELNS0_20block_sort_algorithmE0EEENS0_14default_configENS1_37merge_sort_block_sort_config_selectorIiNS0_10empty_typeEEENS1_38merge_sort_block_merge_config_selectorIiSE_EEEEvv: ; @_ZN7rocprim17ROCPRIM_400000_NS6detail44device_merge_sort_compile_time_verifier_archINS1_11comp_targetILNS1_3genE2ELNS1_11target_archE906ELNS1_3gpuE6ELNS1_3repE0EEES8_NS1_28merge_sort_block_sort_configILj256ELj4ELNS0_20block_sort_algorithmE0EEENS0_14default_configENS1_37merge_sort_block_sort_config_selectorIiNS0_10empty_typeEEENS1_38merge_sort_block_merge_config_selectorIiSE_EEEEvv
; %bb.0:
	s_endpgm
	.section	.rodata,"a",@progbits
	.p2align	6, 0x0
	.amdhsa_kernel _ZN7rocprim17ROCPRIM_400000_NS6detail44device_merge_sort_compile_time_verifier_archINS1_11comp_targetILNS1_3genE2ELNS1_11target_archE906ELNS1_3gpuE6ELNS1_3repE0EEES8_NS1_28merge_sort_block_sort_configILj256ELj4ELNS0_20block_sort_algorithmE0EEENS0_14default_configENS1_37merge_sort_block_sort_config_selectorIiNS0_10empty_typeEEENS1_38merge_sort_block_merge_config_selectorIiSE_EEEEvv
		.amdhsa_group_segment_fixed_size 0
		.amdhsa_private_segment_fixed_size 0
		.amdhsa_kernarg_size 0
		.amdhsa_user_sgpr_count 4
		.amdhsa_user_sgpr_private_segment_buffer 1
		.amdhsa_user_sgpr_dispatch_ptr 0
		.amdhsa_user_sgpr_queue_ptr 0
		.amdhsa_user_sgpr_kernarg_segment_ptr 0
		.amdhsa_user_sgpr_dispatch_id 0
		.amdhsa_user_sgpr_flat_scratch_init 0
		.amdhsa_user_sgpr_private_segment_size 0
		.amdhsa_wavefront_size32 1
		.amdhsa_uses_dynamic_stack 0
		.amdhsa_system_sgpr_private_segment_wavefront_offset 0
		.amdhsa_system_sgpr_workgroup_id_x 1
		.amdhsa_system_sgpr_workgroup_id_y 0
		.amdhsa_system_sgpr_workgroup_id_z 0
		.amdhsa_system_sgpr_workgroup_info 0
		.amdhsa_system_vgpr_workitem_id 0
		.amdhsa_next_free_vgpr 1
		.amdhsa_next_free_sgpr 1
		.amdhsa_reserve_vcc 0
		.amdhsa_reserve_flat_scratch 0
		.amdhsa_float_round_mode_32 0
		.amdhsa_float_round_mode_16_64 0
		.amdhsa_float_denorm_mode_32 3
		.amdhsa_float_denorm_mode_16_64 3
		.amdhsa_dx10_clamp 1
		.amdhsa_ieee_mode 1
		.amdhsa_fp16_overflow 0
		.amdhsa_workgroup_processor_mode 1
		.amdhsa_memory_ordered 1
		.amdhsa_forward_progress 1
		.amdhsa_shared_vgpr_count 0
		.amdhsa_exception_fp_ieee_invalid_op 0
		.amdhsa_exception_fp_denorm_src 0
		.amdhsa_exception_fp_ieee_div_zero 0
		.amdhsa_exception_fp_ieee_overflow 0
		.amdhsa_exception_fp_ieee_underflow 0
		.amdhsa_exception_fp_ieee_inexact 0
		.amdhsa_exception_int_div_zero 0
	.end_amdhsa_kernel
	.section	.text._ZN7rocprim17ROCPRIM_400000_NS6detail44device_merge_sort_compile_time_verifier_archINS1_11comp_targetILNS1_3genE2ELNS1_11target_archE906ELNS1_3gpuE6ELNS1_3repE0EEES8_NS1_28merge_sort_block_sort_configILj256ELj4ELNS0_20block_sort_algorithmE0EEENS0_14default_configENS1_37merge_sort_block_sort_config_selectorIiNS0_10empty_typeEEENS1_38merge_sort_block_merge_config_selectorIiSE_EEEEvv,"axG",@progbits,_ZN7rocprim17ROCPRIM_400000_NS6detail44device_merge_sort_compile_time_verifier_archINS1_11comp_targetILNS1_3genE2ELNS1_11target_archE906ELNS1_3gpuE6ELNS1_3repE0EEES8_NS1_28merge_sort_block_sort_configILj256ELj4ELNS0_20block_sort_algorithmE0EEENS0_14default_configENS1_37merge_sort_block_sort_config_selectorIiNS0_10empty_typeEEENS1_38merge_sort_block_merge_config_selectorIiSE_EEEEvv,comdat
.Lfunc_end14:
	.size	_ZN7rocprim17ROCPRIM_400000_NS6detail44device_merge_sort_compile_time_verifier_archINS1_11comp_targetILNS1_3genE2ELNS1_11target_archE906ELNS1_3gpuE6ELNS1_3repE0EEES8_NS1_28merge_sort_block_sort_configILj256ELj4ELNS0_20block_sort_algorithmE0EEENS0_14default_configENS1_37merge_sort_block_sort_config_selectorIiNS0_10empty_typeEEENS1_38merge_sort_block_merge_config_selectorIiSE_EEEEvv, .Lfunc_end14-_ZN7rocprim17ROCPRIM_400000_NS6detail44device_merge_sort_compile_time_verifier_archINS1_11comp_targetILNS1_3genE2ELNS1_11target_archE906ELNS1_3gpuE6ELNS1_3repE0EEES8_NS1_28merge_sort_block_sort_configILj256ELj4ELNS0_20block_sort_algorithmE0EEENS0_14default_configENS1_37merge_sort_block_sort_config_selectorIiNS0_10empty_typeEEENS1_38merge_sort_block_merge_config_selectorIiSE_EEEEvv
                                        ; -- End function
	.set _ZN7rocprim17ROCPRIM_400000_NS6detail44device_merge_sort_compile_time_verifier_archINS1_11comp_targetILNS1_3genE2ELNS1_11target_archE906ELNS1_3gpuE6ELNS1_3repE0EEES8_NS1_28merge_sort_block_sort_configILj256ELj4ELNS0_20block_sort_algorithmE0EEENS0_14default_configENS1_37merge_sort_block_sort_config_selectorIiNS0_10empty_typeEEENS1_38merge_sort_block_merge_config_selectorIiSE_EEEEvv.num_vgpr, 0
	.set _ZN7rocprim17ROCPRIM_400000_NS6detail44device_merge_sort_compile_time_verifier_archINS1_11comp_targetILNS1_3genE2ELNS1_11target_archE906ELNS1_3gpuE6ELNS1_3repE0EEES8_NS1_28merge_sort_block_sort_configILj256ELj4ELNS0_20block_sort_algorithmE0EEENS0_14default_configENS1_37merge_sort_block_sort_config_selectorIiNS0_10empty_typeEEENS1_38merge_sort_block_merge_config_selectorIiSE_EEEEvv.num_agpr, 0
	.set _ZN7rocprim17ROCPRIM_400000_NS6detail44device_merge_sort_compile_time_verifier_archINS1_11comp_targetILNS1_3genE2ELNS1_11target_archE906ELNS1_3gpuE6ELNS1_3repE0EEES8_NS1_28merge_sort_block_sort_configILj256ELj4ELNS0_20block_sort_algorithmE0EEENS0_14default_configENS1_37merge_sort_block_sort_config_selectorIiNS0_10empty_typeEEENS1_38merge_sort_block_merge_config_selectorIiSE_EEEEvv.numbered_sgpr, 0
	.set _ZN7rocprim17ROCPRIM_400000_NS6detail44device_merge_sort_compile_time_verifier_archINS1_11comp_targetILNS1_3genE2ELNS1_11target_archE906ELNS1_3gpuE6ELNS1_3repE0EEES8_NS1_28merge_sort_block_sort_configILj256ELj4ELNS0_20block_sort_algorithmE0EEENS0_14default_configENS1_37merge_sort_block_sort_config_selectorIiNS0_10empty_typeEEENS1_38merge_sort_block_merge_config_selectorIiSE_EEEEvv.num_named_barrier, 0
	.set _ZN7rocprim17ROCPRIM_400000_NS6detail44device_merge_sort_compile_time_verifier_archINS1_11comp_targetILNS1_3genE2ELNS1_11target_archE906ELNS1_3gpuE6ELNS1_3repE0EEES8_NS1_28merge_sort_block_sort_configILj256ELj4ELNS0_20block_sort_algorithmE0EEENS0_14default_configENS1_37merge_sort_block_sort_config_selectorIiNS0_10empty_typeEEENS1_38merge_sort_block_merge_config_selectorIiSE_EEEEvv.private_seg_size, 0
	.set _ZN7rocprim17ROCPRIM_400000_NS6detail44device_merge_sort_compile_time_verifier_archINS1_11comp_targetILNS1_3genE2ELNS1_11target_archE906ELNS1_3gpuE6ELNS1_3repE0EEES8_NS1_28merge_sort_block_sort_configILj256ELj4ELNS0_20block_sort_algorithmE0EEENS0_14default_configENS1_37merge_sort_block_sort_config_selectorIiNS0_10empty_typeEEENS1_38merge_sort_block_merge_config_selectorIiSE_EEEEvv.uses_vcc, 0
	.set _ZN7rocprim17ROCPRIM_400000_NS6detail44device_merge_sort_compile_time_verifier_archINS1_11comp_targetILNS1_3genE2ELNS1_11target_archE906ELNS1_3gpuE6ELNS1_3repE0EEES8_NS1_28merge_sort_block_sort_configILj256ELj4ELNS0_20block_sort_algorithmE0EEENS0_14default_configENS1_37merge_sort_block_sort_config_selectorIiNS0_10empty_typeEEENS1_38merge_sort_block_merge_config_selectorIiSE_EEEEvv.uses_flat_scratch, 0
	.set _ZN7rocprim17ROCPRIM_400000_NS6detail44device_merge_sort_compile_time_verifier_archINS1_11comp_targetILNS1_3genE2ELNS1_11target_archE906ELNS1_3gpuE6ELNS1_3repE0EEES8_NS1_28merge_sort_block_sort_configILj256ELj4ELNS0_20block_sort_algorithmE0EEENS0_14default_configENS1_37merge_sort_block_sort_config_selectorIiNS0_10empty_typeEEENS1_38merge_sort_block_merge_config_selectorIiSE_EEEEvv.has_dyn_sized_stack, 0
	.set _ZN7rocprim17ROCPRIM_400000_NS6detail44device_merge_sort_compile_time_verifier_archINS1_11comp_targetILNS1_3genE2ELNS1_11target_archE906ELNS1_3gpuE6ELNS1_3repE0EEES8_NS1_28merge_sort_block_sort_configILj256ELj4ELNS0_20block_sort_algorithmE0EEENS0_14default_configENS1_37merge_sort_block_sort_config_selectorIiNS0_10empty_typeEEENS1_38merge_sort_block_merge_config_selectorIiSE_EEEEvv.has_recursion, 0
	.set _ZN7rocprim17ROCPRIM_400000_NS6detail44device_merge_sort_compile_time_verifier_archINS1_11comp_targetILNS1_3genE2ELNS1_11target_archE906ELNS1_3gpuE6ELNS1_3repE0EEES8_NS1_28merge_sort_block_sort_configILj256ELj4ELNS0_20block_sort_algorithmE0EEENS0_14default_configENS1_37merge_sort_block_sort_config_selectorIiNS0_10empty_typeEEENS1_38merge_sort_block_merge_config_selectorIiSE_EEEEvv.has_indirect_call, 0
	.section	.AMDGPU.csdata,"",@progbits
; Kernel info:
; codeLenInByte = 4
; TotalNumSgprs: 0
; NumVgprs: 0
; ScratchSize: 0
; MemoryBound: 0
; FloatMode: 240
; IeeeMode: 1
; LDSByteSize: 0 bytes/workgroup (compile time only)
; SGPRBlocks: 0
; VGPRBlocks: 0
; NumSGPRsForWavesPerEU: 1
; NumVGPRsForWavesPerEU: 1
; Occupancy: 16
; WaveLimiterHint : 0
; COMPUTE_PGM_RSRC2:SCRATCH_EN: 0
; COMPUTE_PGM_RSRC2:USER_SGPR: 4
; COMPUTE_PGM_RSRC2:TRAP_HANDLER: 0
; COMPUTE_PGM_RSRC2:TGID_X_EN: 1
; COMPUTE_PGM_RSRC2:TGID_Y_EN: 0
; COMPUTE_PGM_RSRC2:TGID_Z_EN: 0
; COMPUTE_PGM_RSRC2:TIDIG_COMP_CNT: 0
	.section	.text._ZN7rocprim17ROCPRIM_400000_NS6detail44device_merge_sort_compile_time_verifier_archINS1_11comp_targetILNS1_3genE10ELNS1_11target_archE1201ELNS1_3gpuE5ELNS1_3repE0EEES8_NS1_28merge_sort_block_sort_configILj256ELj4ELNS0_20block_sort_algorithmE0EEENS0_14default_configENS1_37merge_sort_block_sort_config_selectorIiNS0_10empty_typeEEENS1_38merge_sort_block_merge_config_selectorIiSE_EEEEvv,"axG",@progbits,_ZN7rocprim17ROCPRIM_400000_NS6detail44device_merge_sort_compile_time_verifier_archINS1_11comp_targetILNS1_3genE10ELNS1_11target_archE1201ELNS1_3gpuE5ELNS1_3repE0EEES8_NS1_28merge_sort_block_sort_configILj256ELj4ELNS0_20block_sort_algorithmE0EEENS0_14default_configENS1_37merge_sort_block_sort_config_selectorIiNS0_10empty_typeEEENS1_38merge_sort_block_merge_config_selectorIiSE_EEEEvv,comdat
	.protected	_ZN7rocprim17ROCPRIM_400000_NS6detail44device_merge_sort_compile_time_verifier_archINS1_11comp_targetILNS1_3genE10ELNS1_11target_archE1201ELNS1_3gpuE5ELNS1_3repE0EEES8_NS1_28merge_sort_block_sort_configILj256ELj4ELNS0_20block_sort_algorithmE0EEENS0_14default_configENS1_37merge_sort_block_sort_config_selectorIiNS0_10empty_typeEEENS1_38merge_sort_block_merge_config_selectorIiSE_EEEEvv ; -- Begin function _ZN7rocprim17ROCPRIM_400000_NS6detail44device_merge_sort_compile_time_verifier_archINS1_11comp_targetILNS1_3genE10ELNS1_11target_archE1201ELNS1_3gpuE5ELNS1_3repE0EEES8_NS1_28merge_sort_block_sort_configILj256ELj4ELNS0_20block_sort_algorithmE0EEENS0_14default_configENS1_37merge_sort_block_sort_config_selectorIiNS0_10empty_typeEEENS1_38merge_sort_block_merge_config_selectorIiSE_EEEEvv
	.globl	_ZN7rocprim17ROCPRIM_400000_NS6detail44device_merge_sort_compile_time_verifier_archINS1_11comp_targetILNS1_3genE10ELNS1_11target_archE1201ELNS1_3gpuE5ELNS1_3repE0EEES8_NS1_28merge_sort_block_sort_configILj256ELj4ELNS0_20block_sort_algorithmE0EEENS0_14default_configENS1_37merge_sort_block_sort_config_selectorIiNS0_10empty_typeEEENS1_38merge_sort_block_merge_config_selectorIiSE_EEEEvv
	.p2align	8
	.type	_ZN7rocprim17ROCPRIM_400000_NS6detail44device_merge_sort_compile_time_verifier_archINS1_11comp_targetILNS1_3genE10ELNS1_11target_archE1201ELNS1_3gpuE5ELNS1_3repE0EEES8_NS1_28merge_sort_block_sort_configILj256ELj4ELNS0_20block_sort_algorithmE0EEENS0_14default_configENS1_37merge_sort_block_sort_config_selectorIiNS0_10empty_typeEEENS1_38merge_sort_block_merge_config_selectorIiSE_EEEEvv,@function
_ZN7rocprim17ROCPRIM_400000_NS6detail44device_merge_sort_compile_time_verifier_archINS1_11comp_targetILNS1_3genE10ELNS1_11target_archE1201ELNS1_3gpuE5ELNS1_3repE0EEES8_NS1_28merge_sort_block_sort_configILj256ELj4ELNS0_20block_sort_algorithmE0EEENS0_14default_configENS1_37merge_sort_block_sort_config_selectorIiNS0_10empty_typeEEENS1_38merge_sort_block_merge_config_selectorIiSE_EEEEvv: ; @_ZN7rocprim17ROCPRIM_400000_NS6detail44device_merge_sort_compile_time_verifier_archINS1_11comp_targetILNS1_3genE10ELNS1_11target_archE1201ELNS1_3gpuE5ELNS1_3repE0EEES8_NS1_28merge_sort_block_sort_configILj256ELj4ELNS0_20block_sort_algorithmE0EEENS0_14default_configENS1_37merge_sort_block_sort_config_selectorIiNS0_10empty_typeEEENS1_38merge_sort_block_merge_config_selectorIiSE_EEEEvv
; %bb.0:
	s_endpgm
	.section	.rodata,"a",@progbits
	.p2align	6, 0x0
	.amdhsa_kernel _ZN7rocprim17ROCPRIM_400000_NS6detail44device_merge_sort_compile_time_verifier_archINS1_11comp_targetILNS1_3genE10ELNS1_11target_archE1201ELNS1_3gpuE5ELNS1_3repE0EEES8_NS1_28merge_sort_block_sort_configILj256ELj4ELNS0_20block_sort_algorithmE0EEENS0_14default_configENS1_37merge_sort_block_sort_config_selectorIiNS0_10empty_typeEEENS1_38merge_sort_block_merge_config_selectorIiSE_EEEEvv
		.amdhsa_group_segment_fixed_size 0
		.amdhsa_private_segment_fixed_size 0
		.amdhsa_kernarg_size 0
		.amdhsa_user_sgpr_count 4
		.amdhsa_user_sgpr_private_segment_buffer 1
		.amdhsa_user_sgpr_dispatch_ptr 0
		.amdhsa_user_sgpr_queue_ptr 0
		.amdhsa_user_sgpr_kernarg_segment_ptr 0
		.amdhsa_user_sgpr_dispatch_id 0
		.amdhsa_user_sgpr_flat_scratch_init 0
		.amdhsa_user_sgpr_private_segment_size 0
		.amdhsa_wavefront_size32 1
		.amdhsa_uses_dynamic_stack 0
		.amdhsa_system_sgpr_private_segment_wavefront_offset 0
		.amdhsa_system_sgpr_workgroup_id_x 1
		.amdhsa_system_sgpr_workgroup_id_y 0
		.amdhsa_system_sgpr_workgroup_id_z 0
		.amdhsa_system_sgpr_workgroup_info 0
		.amdhsa_system_vgpr_workitem_id 0
		.amdhsa_next_free_vgpr 1
		.amdhsa_next_free_sgpr 1
		.amdhsa_reserve_vcc 0
		.amdhsa_reserve_flat_scratch 0
		.amdhsa_float_round_mode_32 0
		.amdhsa_float_round_mode_16_64 0
		.amdhsa_float_denorm_mode_32 3
		.amdhsa_float_denorm_mode_16_64 3
		.amdhsa_dx10_clamp 1
		.amdhsa_ieee_mode 1
		.amdhsa_fp16_overflow 0
		.amdhsa_workgroup_processor_mode 1
		.amdhsa_memory_ordered 1
		.amdhsa_forward_progress 1
		.amdhsa_shared_vgpr_count 0
		.amdhsa_exception_fp_ieee_invalid_op 0
		.amdhsa_exception_fp_denorm_src 0
		.amdhsa_exception_fp_ieee_div_zero 0
		.amdhsa_exception_fp_ieee_overflow 0
		.amdhsa_exception_fp_ieee_underflow 0
		.amdhsa_exception_fp_ieee_inexact 0
		.amdhsa_exception_int_div_zero 0
	.end_amdhsa_kernel
	.section	.text._ZN7rocprim17ROCPRIM_400000_NS6detail44device_merge_sort_compile_time_verifier_archINS1_11comp_targetILNS1_3genE10ELNS1_11target_archE1201ELNS1_3gpuE5ELNS1_3repE0EEES8_NS1_28merge_sort_block_sort_configILj256ELj4ELNS0_20block_sort_algorithmE0EEENS0_14default_configENS1_37merge_sort_block_sort_config_selectorIiNS0_10empty_typeEEENS1_38merge_sort_block_merge_config_selectorIiSE_EEEEvv,"axG",@progbits,_ZN7rocprim17ROCPRIM_400000_NS6detail44device_merge_sort_compile_time_verifier_archINS1_11comp_targetILNS1_3genE10ELNS1_11target_archE1201ELNS1_3gpuE5ELNS1_3repE0EEES8_NS1_28merge_sort_block_sort_configILj256ELj4ELNS0_20block_sort_algorithmE0EEENS0_14default_configENS1_37merge_sort_block_sort_config_selectorIiNS0_10empty_typeEEENS1_38merge_sort_block_merge_config_selectorIiSE_EEEEvv,comdat
.Lfunc_end15:
	.size	_ZN7rocprim17ROCPRIM_400000_NS6detail44device_merge_sort_compile_time_verifier_archINS1_11comp_targetILNS1_3genE10ELNS1_11target_archE1201ELNS1_3gpuE5ELNS1_3repE0EEES8_NS1_28merge_sort_block_sort_configILj256ELj4ELNS0_20block_sort_algorithmE0EEENS0_14default_configENS1_37merge_sort_block_sort_config_selectorIiNS0_10empty_typeEEENS1_38merge_sort_block_merge_config_selectorIiSE_EEEEvv, .Lfunc_end15-_ZN7rocprim17ROCPRIM_400000_NS6detail44device_merge_sort_compile_time_verifier_archINS1_11comp_targetILNS1_3genE10ELNS1_11target_archE1201ELNS1_3gpuE5ELNS1_3repE0EEES8_NS1_28merge_sort_block_sort_configILj256ELj4ELNS0_20block_sort_algorithmE0EEENS0_14default_configENS1_37merge_sort_block_sort_config_selectorIiNS0_10empty_typeEEENS1_38merge_sort_block_merge_config_selectorIiSE_EEEEvv
                                        ; -- End function
	.set _ZN7rocprim17ROCPRIM_400000_NS6detail44device_merge_sort_compile_time_verifier_archINS1_11comp_targetILNS1_3genE10ELNS1_11target_archE1201ELNS1_3gpuE5ELNS1_3repE0EEES8_NS1_28merge_sort_block_sort_configILj256ELj4ELNS0_20block_sort_algorithmE0EEENS0_14default_configENS1_37merge_sort_block_sort_config_selectorIiNS0_10empty_typeEEENS1_38merge_sort_block_merge_config_selectorIiSE_EEEEvv.num_vgpr, 0
	.set _ZN7rocprim17ROCPRIM_400000_NS6detail44device_merge_sort_compile_time_verifier_archINS1_11comp_targetILNS1_3genE10ELNS1_11target_archE1201ELNS1_3gpuE5ELNS1_3repE0EEES8_NS1_28merge_sort_block_sort_configILj256ELj4ELNS0_20block_sort_algorithmE0EEENS0_14default_configENS1_37merge_sort_block_sort_config_selectorIiNS0_10empty_typeEEENS1_38merge_sort_block_merge_config_selectorIiSE_EEEEvv.num_agpr, 0
	.set _ZN7rocprim17ROCPRIM_400000_NS6detail44device_merge_sort_compile_time_verifier_archINS1_11comp_targetILNS1_3genE10ELNS1_11target_archE1201ELNS1_3gpuE5ELNS1_3repE0EEES8_NS1_28merge_sort_block_sort_configILj256ELj4ELNS0_20block_sort_algorithmE0EEENS0_14default_configENS1_37merge_sort_block_sort_config_selectorIiNS0_10empty_typeEEENS1_38merge_sort_block_merge_config_selectorIiSE_EEEEvv.numbered_sgpr, 0
	.set _ZN7rocprim17ROCPRIM_400000_NS6detail44device_merge_sort_compile_time_verifier_archINS1_11comp_targetILNS1_3genE10ELNS1_11target_archE1201ELNS1_3gpuE5ELNS1_3repE0EEES8_NS1_28merge_sort_block_sort_configILj256ELj4ELNS0_20block_sort_algorithmE0EEENS0_14default_configENS1_37merge_sort_block_sort_config_selectorIiNS0_10empty_typeEEENS1_38merge_sort_block_merge_config_selectorIiSE_EEEEvv.num_named_barrier, 0
	.set _ZN7rocprim17ROCPRIM_400000_NS6detail44device_merge_sort_compile_time_verifier_archINS1_11comp_targetILNS1_3genE10ELNS1_11target_archE1201ELNS1_3gpuE5ELNS1_3repE0EEES8_NS1_28merge_sort_block_sort_configILj256ELj4ELNS0_20block_sort_algorithmE0EEENS0_14default_configENS1_37merge_sort_block_sort_config_selectorIiNS0_10empty_typeEEENS1_38merge_sort_block_merge_config_selectorIiSE_EEEEvv.private_seg_size, 0
	.set _ZN7rocprim17ROCPRIM_400000_NS6detail44device_merge_sort_compile_time_verifier_archINS1_11comp_targetILNS1_3genE10ELNS1_11target_archE1201ELNS1_3gpuE5ELNS1_3repE0EEES8_NS1_28merge_sort_block_sort_configILj256ELj4ELNS0_20block_sort_algorithmE0EEENS0_14default_configENS1_37merge_sort_block_sort_config_selectorIiNS0_10empty_typeEEENS1_38merge_sort_block_merge_config_selectorIiSE_EEEEvv.uses_vcc, 0
	.set _ZN7rocprim17ROCPRIM_400000_NS6detail44device_merge_sort_compile_time_verifier_archINS1_11comp_targetILNS1_3genE10ELNS1_11target_archE1201ELNS1_3gpuE5ELNS1_3repE0EEES8_NS1_28merge_sort_block_sort_configILj256ELj4ELNS0_20block_sort_algorithmE0EEENS0_14default_configENS1_37merge_sort_block_sort_config_selectorIiNS0_10empty_typeEEENS1_38merge_sort_block_merge_config_selectorIiSE_EEEEvv.uses_flat_scratch, 0
	.set _ZN7rocprim17ROCPRIM_400000_NS6detail44device_merge_sort_compile_time_verifier_archINS1_11comp_targetILNS1_3genE10ELNS1_11target_archE1201ELNS1_3gpuE5ELNS1_3repE0EEES8_NS1_28merge_sort_block_sort_configILj256ELj4ELNS0_20block_sort_algorithmE0EEENS0_14default_configENS1_37merge_sort_block_sort_config_selectorIiNS0_10empty_typeEEENS1_38merge_sort_block_merge_config_selectorIiSE_EEEEvv.has_dyn_sized_stack, 0
	.set _ZN7rocprim17ROCPRIM_400000_NS6detail44device_merge_sort_compile_time_verifier_archINS1_11comp_targetILNS1_3genE10ELNS1_11target_archE1201ELNS1_3gpuE5ELNS1_3repE0EEES8_NS1_28merge_sort_block_sort_configILj256ELj4ELNS0_20block_sort_algorithmE0EEENS0_14default_configENS1_37merge_sort_block_sort_config_selectorIiNS0_10empty_typeEEENS1_38merge_sort_block_merge_config_selectorIiSE_EEEEvv.has_recursion, 0
	.set _ZN7rocprim17ROCPRIM_400000_NS6detail44device_merge_sort_compile_time_verifier_archINS1_11comp_targetILNS1_3genE10ELNS1_11target_archE1201ELNS1_3gpuE5ELNS1_3repE0EEES8_NS1_28merge_sort_block_sort_configILj256ELj4ELNS0_20block_sort_algorithmE0EEENS0_14default_configENS1_37merge_sort_block_sort_config_selectorIiNS0_10empty_typeEEENS1_38merge_sort_block_merge_config_selectorIiSE_EEEEvv.has_indirect_call, 0
	.section	.AMDGPU.csdata,"",@progbits
; Kernel info:
; codeLenInByte = 4
; TotalNumSgprs: 0
; NumVgprs: 0
; ScratchSize: 0
; MemoryBound: 0
; FloatMode: 240
; IeeeMode: 1
; LDSByteSize: 0 bytes/workgroup (compile time only)
; SGPRBlocks: 0
; VGPRBlocks: 0
; NumSGPRsForWavesPerEU: 1
; NumVGPRsForWavesPerEU: 1
; Occupancy: 16
; WaveLimiterHint : 0
; COMPUTE_PGM_RSRC2:SCRATCH_EN: 0
; COMPUTE_PGM_RSRC2:USER_SGPR: 4
; COMPUTE_PGM_RSRC2:TRAP_HANDLER: 0
; COMPUTE_PGM_RSRC2:TGID_X_EN: 1
; COMPUTE_PGM_RSRC2:TGID_Y_EN: 0
; COMPUTE_PGM_RSRC2:TGID_Z_EN: 0
; COMPUTE_PGM_RSRC2:TIDIG_COMP_CNT: 0
	.section	.text._ZN7rocprim17ROCPRIM_400000_NS6detail44device_merge_sort_compile_time_verifier_archINS1_11comp_targetILNS1_3genE10ELNS1_11target_archE1200ELNS1_3gpuE4ELNS1_3repE0EEENS3_ILS4_10ELS5_1201ELS6_5ELS7_0EEENS1_28merge_sort_block_sort_configILj256ELj4ELNS0_20block_sort_algorithmE0EEENS0_14default_configENS1_37merge_sort_block_sort_config_selectorIiNS0_10empty_typeEEENS1_38merge_sort_block_merge_config_selectorIiSF_EEEEvv,"axG",@progbits,_ZN7rocprim17ROCPRIM_400000_NS6detail44device_merge_sort_compile_time_verifier_archINS1_11comp_targetILNS1_3genE10ELNS1_11target_archE1200ELNS1_3gpuE4ELNS1_3repE0EEENS3_ILS4_10ELS5_1201ELS6_5ELS7_0EEENS1_28merge_sort_block_sort_configILj256ELj4ELNS0_20block_sort_algorithmE0EEENS0_14default_configENS1_37merge_sort_block_sort_config_selectorIiNS0_10empty_typeEEENS1_38merge_sort_block_merge_config_selectorIiSF_EEEEvv,comdat
	.protected	_ZN7rocprim17ROCPRIM_400000_NS6detail44device_merge_sort_compile_time_verifier_archINS1_11comp_targetILNS1_3genE10ELNS1_11target_archE1200ELNS1_3gpuE4ELNS1_3repE0EEENS3_ILS4_10ELS5_1201ELS6_5ELS7_0EEENS1_28merge_sort_block_sort_configILj256ELj4ELNS0_20block_sort_algorithmE0EEENS0_14default_configENS1_37merge_sort_block_sort_config_selectorIiNS0_10empty_typeEEENS1_38merge_sort_block_merge_config_selectorIiSF_EEEEvv ; -- Begin function _ZN7rocprim17ROCPRIM_400000_NS6detail44device_merge_sort_compile_time_verifier_archINS1_11comp_targetILNS1_3genE10ELNS1_11target_archE1200ELNS1_3gpuE4ELNS1_3repE0EEENS3_ILS4_10ELS5_1201ELS6_5ELS7_0EEENS1_28merge_sort_block_sort_configILj256ELj4ELNS0_20block_sort_algorithmE0EEENS0_14default_configENS1_37merge_sort_block_sort_config_selectorIiNS0_10empty_typeEEENS1_38merge_sort_block_merge_config_selectorIiSF_EEEEvv
	.globl	_ZN7rocprim17ROCPRIM_400000_NS6detail44device_merge_sort_compile_time_verifier_archINS1_11comp_targetILNS1_3genE10ELNS1_11target_archE1200ELNS1_3gpuE4ELNS1_3repE0EEENS3_ILS4_10ELS5_1201ELS6_5ELS7_0EEENS1_28merge_sort_block_sort_configILj256ELj4ELNS0_20block_sort_algorithmE0EEENS0_14default_configENS1_37merge_sort_block_sort_config_selectorIiNS0_10empty_typeEEENS1_38merge_sort_block_merge_config_selectorIiSF_EEEEvv
	.p2align	8
	.type	_ZN7rocprim17ROCPRIM_400000_NS6detail44device_merge_sort_compile_time_verifier_archINS1_11comp_targetILNS1_3genE10ELNS1_11target_archE1200ELNS1_3gpuE4ELNS1_3repE0EEENS3_ILS4_10ELS5_1201ELS6_5ELS7_0EEENS1_28merge_sort_block_sort_configILj256ELj4ELNS0_20block_sort_algorithmE0EEENS0_14default_configENS1_37merge_sort_block_sort_config_selectorIiNS0_10empty_typeEEENS1_38merge_sort_block_merge_config_selectorIiSF_EEEEvv,@function
_ZN7rocprim17ROCPRIM_400000_NS6detail44device_merge_sort_compile_time_verifier_archINS1_11comp_targetILNS1_3genE10ELNS1_11target_archE1200ELNS1_3gpuE4ELNS1_3repE0EEENS3_ILS4_10ELS5_1201ELS6_5ELS7_0EEENS1_28merge_sort_block_sort_configILj256ELj4ELNS0_20block_sort_algorithmE0EEENS0_14default_configENS1_37merge_sort_block_sort_config_selectorIiNS0_10empty_typeEEENS1_38merge_sort_block_merge_config_selectorIiSF_EEEEvv: ; @_ZN7rocprim17ROCPRIM_400000_NS6detail44device_merge_sort_compile_time_verifier_archINS1_11comp_targetILNS1_3genE10ELNS1_11target_archE1200ELNS1_3gpuE4ELNS1_3repE0EEENS3_ILS4_10ELS5_1201ELS6_5ELS7_0EEENS1_28merge_sort_block_sort_configILj256ELj4ELNS0_20block_sort_algorithmE0EEENS0_14default_configENS1_37merge_sort_block_sort_config_selectorIiNS0_10empty_typeEEENS1_38merge_sort_block_merge_config_selectorIiSF_EEEEvv
; %bb.0:
	s_endpgm
	.section	.rodata,"a",@progbits
	.p2align	6, 0x0
	.amdhsa_kernel _ZN7rocprim17ROCPRIM_400000_NS6detail44device_merge_sort_compile_time_verifier_archINS1_11comp_targetILNS1_3genE10ELNS1_11target_archE1200ELNS1_3gpuE4ELNS1_3repE0EEENS3_ILS4_10ELS5_1201ELS6_5ELS7_0EEENS1_28merge_sort_block_sort_configILj256ELj4ELNS0_20block_sort_algorithmE0EEENS0_14default_configENS1_37merge_sort_block_sort_config_selectorIiNS0_10empty_typeEEENS1_38merge_sort_block_merge_config_selectorIiSF_EEEEvv
		.amdhsa_group_segment_fixed_size 0
		.amdhsa_private_segment_fixed_size 0
		.amdhsa_kernarg_size 0
		.amdhsa_user_sgpr_count 4
		.amdhsa_user_sgpr_private_segment_buffer 1
		.amdhsa_user_sgpr_dispatch_ptr 0
		.amdhsa_user_sgpr_queue_ptr 0
		.amdhsa_user_sgpr_kernarg_segment_ptr 0
		.amdhsa_user_sgpr_dispatch_id 0
		.amdhsa_user_sgpr_flat_scratch_init 0
		.amdhsa_user_sgpr_private_segment_size 0
		.amdhsa_wavefront_size32 1
		.amdhsa_uses_dynamic_stack 0
		.amdhsa_system_sgpr_private_segment_wavefront_offset 0
		.amdhsa_system_sgpr_workgroup_id_x 1
		.amdhsa_system_sgpr_workgroup_id_y 0
		.amdhsa_system_sgpr_workgroup_id_z 0
		.amdhsa_system_sgpr_workgroup_info 0
		.amdhsa_system_vgpr_workitem_id 0
		.amdhsa_next_free_vgpr 1
		.amdhsa_next_free_sgpr 1
		.amdhsa_reserve_vcc 0
		.amdhsa_reserve_flat_scratch 0
		.amdhsa_float_round_mode_32 0
		.amdhsa_float_round_mode_16_64 0
		.amdhsa_float_denorm_mode_32 3
		.amdhsa_float_denorm_mode_16_64 3
		.amdhsa_dx10_clamp 1
		.amdhsa_ieee_mode 1
		.amdhsa_fp16_overflow 0
		.amdhsa_workgroup_processor_mode 1
		.amdhsa_memory_ordered 1
		.amdhsa_forward_progress 1
		.amdhsa_shared_vgpr_count 0
		.amdhsa_exception_fp_ieee_invalid_op 0
		.amdhsa_exception_fp_denorm_src 0
		.amdhsa_exception_fp_ieee_div_zero 0
		.amdhsa_exception_fp_ieee_overflow 0
		.amdhsa_exception_fp_ieee_underflow 0
		.amdhsa_exception_fp_ieee_inexact 0
		.amdhsa_exception_int_div_zero 0
	.end_amdhsa_kernel
	.section	.text._ZN7rocprim17ROCPRIM_400000_NS6detail44device_merge_sort_compile_time_verifier_archINS1_11comp_targetILNS1_3genE10ELNS1_11target_archE1200ELNS1_3gpuE4ELNS1_3repE0EEENS3_ILS4_10ELS5_1201ELS6_5ELS7_0EEENS1_28merge_sort_block_sort_configILj256ELj4ELNS0_20block_sort_algorithmE0EEENS0_14default_configENS1_37merge_sort_block_sort_config_selectorIiNS0_10empty_typeEEENS1_38merge_sort_block_merge_config_selectorIiSF_EEEEvv,"axG",@progbits,_ZN7rocprim17ROCPRIM_400000_NS6detail44device_merge_sort_compile_time_verifier_archINS1_11comp_targetILNS1_3genE10ELNS1_11target_archE1200ELNS1_3gpuE4ELNS1_3repE0EEENS3_ILS4_10ELS5_1201ELS6_5ELS7_0EEENS1_28merge_sort_block_sort_configILj256ELj4ELNS0_20block_sort_algorithmE0EEENS0_14default_configENS1_37merge_sort_block_sort_config_selectorIiNS0_10empty_typeEEENS1_38merge_sort_block_merge_config_selectorIiSF_EEEEvv,comdat
.Lfunc_end16:
	.size	_ZN7rocprim17ROCPRIM_400000_NS6detail44device_merge_sort_compile_time_verifier_archINS1_11comp_targetILNS1_3genE10ELNS1_11target_archE1200ELNS1_3gpuE4ELNS1_3repE0EEENS3_ILS4_10ELS5_1201ELS6_5ELS7_0EEENS1_28merge_sort_block_sort_configILj256ELj4ELNS0_20block_sort_algorithmE0EEENS0_14default_configENS1_37merge_sort_block_sort_config_selectorIiNS0_10empty_typeEEENS1_38merge_sort_block_merge_config_selectorIiSF_EEEEvv, .Lfunc_end16-_ZN7rocprim17ROCPRIM_400000_NS6detail44device_merge_sort_compile_time_verifier_archINS1_11comp_targetILNS1_3genE10ELNS1_11target_archE1200ELNS1_3gpuE4ELNS1_3repE0EEENS3_ILS4_10ELS5_1201ELS6_5ELS7_0EEENS1_28merge_sort_block_sort_configILj256ELj4ELNS0_20block_sort_algorithmE0EEENS0_14default_configENS1_37merge_sort_block_sort_config_selectorIiNS0_10empty_typeEEENS1_38merge_sort_block_merge_config_selectorIiSF_EEEEvv
                                        ; -- End function
	.set _ZN7rocprim17ROCPRIM_400000_NS6detail44device_merge_sort_compile_time_verifier_archINS1_11comp_targetILNS1_3genE10ELNS1_11target_archE1200ELNS1_3gpuE4ELNS1_3repE0EEENS3_ILS4_10ELS5_1201ELS6_5ELS7_0EEENS1_28merge_sort_block_sort_configILj256ELj4ELNS0_20block_sort_algorithmE0EEENS0_14default_configENS1_37merge_sort_block_sort_config_selectorIiNS0_10empty_typeEEENS1_38merge_sort_block_merge_config_selectorIiSF_EEEEvv.num_vgpr, 0
	.set _ZN7rocprim17ROCPRIM_400000_NS6detail44device_merge_sort_compile_time_verifier_archINS1_11comp_targetILNS1_3genE10ELNS1_11target_archE1200ELNS1_3gpuE4ELNS1_3repE0EEENS3_ILS4_10ELS5_1201ELS6_5ELS7_0EEENS1_28merge_sort_block_sort_configILj256ELj4ELNS0_20block_sort_algorithmE0EEENS0_14default_configENS1_37merge_sort_block_sort_config_selectorIiNS0_10empty_typeEEENS1_38merge_sort_block_merge_config_selectorIiSF_EEEEvv.num_agpr, 0
	.set _ZN7rocprim17ROCPRIM_400000_NS6detail44device_merge_sort_compile_time_verifier_archINS1_11comp_targetILNS1_3genE10ELNS1_11target_archE1200ELNS1_3gpuE4ELNS1_3repE0EEENS3_ILS4_10ELS5_1201ELS6_5ELS7_0EEENS1_28merge_sort_block_sort_configILj256ELj4ELNS0_20block_sort_algorithmE0EEENS0_14default_configENS1_37merge_sort_block_sort_config_selectorIiNS0_10empty_typeEEENS1_38merge_sort_block_merge_config_selectorIiSF_EEEEvv.numbered_sgpr, 0
	.set _ZN7rocprim17ROCPRIM_400000_NS6detail44device_merge_sort_compile_time_verifier_archINS1_11comp_targetILNS1_3genE10ELNS1_11target_archE1200ELNS1_3gpuE4ELNS1_3repE0EEENS3_ILS4_10ELS5_1201ELS6_5ELS7_0EEENS1_28merge_sort_block_sort_configILj256ELj4ELNS0_20block_sort_algorithmE0EEENS0_14default_configENS1_37merge_sort_block_sort_config_selectorIiNS0_10empty_typeEEENS1_38merge_sort_block_merge_config_selectorIiSF_EEEEvv.num_named_barrier, 0
	.set _ZN7rocprim17ROCPRIM_400000_NS6detail44device_merge_sort_compile_time_verifier_archINS1_11comp_targetILNS1_3genE10ELNS1_11target_archE1200ELNS1_3gpuE4ELNS1_3repE0EEENS3_ILS4_10ELS5_1201ELS6_5ELS7_0EEENS1_28merge_sort_block_sort_configILj256ELj4ELNS0_20block_sort_algorithmE0EEENS0_14default_configENS1_37merge_sort_block_sort_config_selectorIiNS0_10empty_typeEEENS1_38merge_sort_block_merge_config_selectorIiSF_EEEEvv.private_seg_size, 0
	.set _ZN7rocprim17ROCPRIM_400000_NS6detail44device_merge_sort_compile_time_verifier_archINS1_11comp_targetILNS1_3genE10ELNS1_11target_archE1200ELNS1_3gpuE4ELNS1_3repE0EEENS3_ILS4_10ELS5_1201ELS6_5ELS7_0EEENS1_28merge_sort_block_sort_configILj256ELj4ELNS0_20block_sort_algorithmE0EEENS0_14default_configENS1_37merge_sort_block_sort_config_selectorIiNS0_10empty_typeEEENS1_38merge_sort_block_merge_config_selectorIiSF_EEEEvv.uses_vcc, 0
	.set _ZN7rocprim17ROCPRIM_400000_NS6detail44device_merge_sort_compile_time_verifier_archINS1_11comp_targetILNS1_3genE10ELNS1_11target_archE1200ELNS1_3gpuE4ELNS1_3repE0EEENS3_ILS4_10ELS5_1201ELS6_5ELS7_0EEENS1_28merge_sort_block_sort_configILj256ELj4ELNS0_20block_sort_algorithmE0EEENS0_14default_configENS1_37merge_sort_block_sort_config_selectorIiNS0_10empty_typeEEENS1_38merge_sort_block_merge_config_selectorIiSF_EEEEvv.uses_flat_scratch, 0
	.set _ZN7rocprim17ROCPRIM_400000_NS6detail44device_merge_sort_compile_time_verifier_archINS1_11comp_targetILNS1_3genE10ELNS1_11target_archE1200ELNS1_3gpuE4ELNS1_3repE0EEENS3_ILS4_10ELS5_1201ELS6_5ELS7_0EEENS1_28merge_sort_block_sort_configILj256ELj4ELNS0_20block_sort_algorithmE0EEENS0_14default_configENS1_37merge_sort_block_sort_config_selectorIiNS0_10empty_typeEEENS1_38merge_sort_block_merge_config_selectorIiSF_EEEEvv.has_dyn_sized_stack, 0
	.set _ZN7rocprim17ROCPRIM_400000_NS6detail44device_merge_sort_compile_time_verifier_archINS1_11comp_targetILNS1_3genE10ELNS1_11target_archE1200ELNS1_3gpuE4ELNS1_3repE0EEENS3_ILS4_10ELS5_1201ELS6_5ELS7_0EEENS1_28merge_sort_block_sort_configILj256ELj4ELNS0_20block_sort_algorithmE0EEENS0_14default_configENS1_37merge_sort_block_sort_config_selectorIiNS0_10empty_typeEEENS1_38merge_sort_block_merge_config_selectorIiSF_EEEEvv.has_recursion, 0
	.set _ZN7rocprim17ROCPRIM_400000_NS6detail44device_merge_sort_compile_time_verifier_archINS1_11comp_targetILNS1_3genE10ELNS1_11target_archE1200ELNS1_3gpuE4ELNS1_3repE0EEENS3_ILS4_10ELS5_1201ELS6_5ELS7_0EEENS1_28merge_sort_block_sort_configILj256ELj4ELNS0_20block_sort_algorithmE0EEENS0_14default_configENS1_37merge_sort_block_sort_config_selectorIiNS0_10empty_typeEEENS1_38merge_sort_block_merge_config_selectorIiSF_EEEEvv.has_indirect_call, 0
	.section	.AMDGPU.csdata,"",@progbits
; Kernel info:
; codeLenInByte = 4
; TotalNumSgprs: 0
; NumVgprs: 0
; ScratchSize: 0
; MemoryBound: 0
; FloatMode: 240
; IeeeMode: 1
; LDSByteSize: 0 bytes/workgroup (compile time only)
; SGPRBlocks: 0
; VGPRBlocks: 0
; NumSGPRsForWavesPerEU: 1
; NumVGPRsForWavesPerEU: 1
; Occupancy: 16
; WaveLimiterHint : 0
; COMPUTE_PGM_RSRC2:SCRATCH_EN: 0
; COMPUTE_PGM_RSRC2:USER_SGPR: 4
; COMPUTE_PGM_RSRC2:TRAP_HANDLER: 0
; COMPUTE_PGM_RSRC2:TGID_X_EN: 1
; COMPUTE_PGM_RSRC2:TGID_Y_EN: 0
; COMPUTE_PGM_RSRC2:TGID_Z_EN: 0
; COMPUTE_PGM_RSRC2:TIDIG_COMP_CNT: 0
	.section	.text._ZN7rocprim17ROCPRIM_400000_NS6detail44device_merge_sort_compile_time_verifier_archINS1_11comp_targetILNS1_3genE9ELNS1_11target_archE1100ELNS1_3gpuE3ELNS1_3repE0EEES8_NS1_28merge_sort_block_sort_configILj256ELj4ELNS0_20block_sort_algorithmE0EEENS0_14default_configENS1_37merge_sort_block_sort_config_selectorIiNS0_10empty_typeEEENS1_38merge_sort_block_merge_config_selectorIiSE_EEEEvv,"axG",@progbits,_ZN7rocprim17ROCPRIM_400000_NS6detail44device_merge_sort_compile_time_verifier_archINS1_11comp_targetILNS1_3genE9ELNS1_11target_archE1100ELNS1_3gpuE3ELNS1_3repE0EEES8_NS1_28merge_sort_block_sort_configILj256ELj4ELNS0_20block_sort_algorithmE0EEENS0_14default_configENS1_37merge_sort_block_sort_config_selectorIiNS0_10empty_typeEEENS1_38merge_sort_block_merge_config_selectorIiSE_EEEEvv,comdat
	.protected	_ZN7rocprim17ROCPRIM_400000_NS6detail44device_merge_sort_compile_time_verifier_archINS1_11comp_targetILNS1_3genE9ELNS1_11target_archE1100ELNS1_3gpuE3ELNS1_3repE0EEES8_NS1_28merge_sort_block_sort_configILj256ELj4ELNS0_20block_sort_algorithmE0EEENS0_14default_configENS1_37merge_sort_block_sort_config_selectorIiNS0_10empty_typeEEENS1_38merge_sort_block_merge_config_selectorIiSE_EEEEvv ; -- Begin function _ZN7rocprim17ROCPRIM_400000_NS6detail44device_merge_sort_compile_time_verifier_archINS1_11comp_targetILNS1_3genE9ELNS1_11target_archE1100ELNS1_3gpuE3ELNS1_3repE0EEES8_NS1_28merge_sort_block_sort_configILj256ELj4ELNS0_20block_sort_algorithmE0EEENS0_14default_configENS1_37merge_sort_block_sort_config_selectorIiNS0_10empty_typeEEENS1_38merge_sort_block_merge_config_selectorIiSE_EEEEvv
	.globl	_ZN7rocprim17ROCPRIM_400000_NS6detail44device_merge_sort_compile_time_verifier_archINS1_11comp_targetILNS1_3genE9ELNS1_11target_archE1100ELNS1_3gpuE3ELNS1_3repE0EEES8_NS1_28merge_sort_block_sort_configILj256ELj4ELNS0_20block_sort_algorithmE0EEENS0_14default_configENS1_37merge_sort_block_sort_config_selectorIiNS0_10empty_typeEEENS1_38merge_sort_block_merge_config_selectorIiSE_EEEEvv
	.p2align	8
	.type	_ZN7rocprim17ROCPRIM_400000_NS6detail44device_merge_sort_compile_time_verifier_archINS1_11comp_targetILNS1_3genE9ELNS1_11target_archE1100ELNS1_3gpuE3ELNS1_3repE0EEES8_NS1_28merge_sort_block_sort_configILj256ELj4ELNS0_20block_sort_algorithmE0EEENS0_14default_configENS1_37merge_sort_block_sort_config_selectorIiNS0_10empty_typeEEENS1_38merge_sort_block_merge_config_selectorIiSE_EEEEvv,@function
_ZN7rocprim17ROCPRIM_400000_NS6detail44device_merge_sort_compile_time_verifier_archINS1_11comp_targetILNS1_3genE9ELNS1_11target_archE1100ELNS1_3gpuE3ELNS1_3repE0EEES8_NS1_28merge_sort_block_sort_configILj256ELj4ELNS0_20block_sort_algorithmE0EEENS0_14default_configENS1_37merge_sort_block_sort_config_selectorIiNS0_10empty_typeEEENS1_38merge_sort_block_merge_config_selectorIiSE_EEEEvv: ; @_ZN7rocprim17ROCPRIM_400000_NS6detail44device_merge_sort_compile_time_verifier_archINS1_11comp_targetILNS1_3genE9ELNS1_11target_archE1100ELNS1_3gpuE3ELNS1_3repE0EEES8_NS1_28merge_sort_block_sort_configILj256ELj4ELNS0_20block_sort_algorithmE0EEENS0_14default_configENS1_37merge_sort_block_sort_config_selectorIiNS0_10empty_typeEEENS1_38merge_sort_block_merge_config_selectorIiSE_EEEEvv
; %bb.0:
	s_endpgm
	.section	.rodata,"a",@progbits
	.p2align	6, 0x0
	.amdhsa_kernel _ZN7rocprim17ROCPRIM_400000_NS6detail44device_merge_sort_compile_time_verifier_archINS1_11comp_targetILNS1_3genE9ELNS1_11target_archE1100ELNS1_3gpuE3ELNS1_3repE0EEES8_NS1_28merge_sort_block_sort_configILj256ELj4ELNS0_20block_sort_algorithmE0EEENS0_14default_configENS1_37merge_sort_block_sort_config_selectorIiNS0_10empty_typeEEENS1_38merge_sort_block_merge_config_selectorIiSE_EEEEvv
		.amdhsa_group_segment_fixed_size 0
		.amdhsa_private_segment_fixed_size 0
		.amdhsa_kernarg_size 0
		.amdhsa_user_sgpr_count 4
		.amdhsa_user_sgpr_private_segment_buffer 1
		.amdhsa_user_sgpr_dispatch_ptr 0
		.amdhsa_user_sgpr_queue_ptr 0
		.amdhsa_user_sgpr_kernarg_segment_ptr 0
		.amdhsa_user_sgpr_dispatch_id 0
		.amdhsa_user_sgpr_flat_scratch_init 0
		.amdhsa_user_sgpr_private_segment_size 0
		.amdhsa_wavefront_size32 1
		.amdhsa_uses_dynamic_stack 0
		.amdhsa_system_sgpr_private_segment_wavefront_offset 0
		.amdhsa_system_sgpr_workgroup_id_x 1
		.amdhsa_system_sgpr_workgroup_id_y 0
		.amdhsa_system_sgpr_workgroup_id_z 0
		.amdhsa_system_sgpr_workgroup_info 0
		.amdhsa_system_vgpr_workitem_id 0
		.amdhsa_next_free_vgpr 1
		.amdhsa_next_free_sgpr 1
		.amdhsa_reserve_vcc 0
		.amdhsa_reserve_flat_scratch 0
		.amdhsa_float_round_mode_32 0
		.amdhsa_float_round_mode_16_64 0
		.amdhsa_float_denorm_mode_32 3
		.amdhsa_float_denorm_mode_16_64 3
		.amdhsa_dx10_clamp 1
		.amdhsa_ieee_mode 1
		.amdhsa_fp16_overflow 0
		.amdhsa_workgroup_processor_mode 1
		.amdhsa_memory_ordered 1
		.amdhsa_forward_progress 1
		.amdhsa_shared_vgpr_count 0
		.amdhsa_exception_fp_ieee_invalid_op 0
		.amdhsa_exception_fp_denorm_src 0
		.amdhsa_exception_fp_ieee_div_zero 0
		.amdhsa_exception_fp_ieee_overflow 0
		.amdhsa_exception_fp_ieee_underflow 0
		.amdhsa_exception_fp_ieee_inexact 0
		.amdhsa_exception_int_div_zero 0
	.end_amdhsa_kernel
	.section	.text._ZN7rocprim17ROCPRIM_400000_NS6detail44device_merge_sort_compile_time_verifier_archINS1_11comp_targetILNS1_3genE9ELNS1_11target_archE1100ELNS1_3gpuE3ELNS1_3repE0EEES8_NS1_28merge_sort_block_sort_configILj256ELj4ELNS0_20block_sort_algorithmE0EEENS0_14default_configENS1_37merge_sort_block_sort_config_selectorIiNS0_10empty_typeEEENS1_38merge_sort_block_merge_config_selectorIiSE_EEEEvv,"axG",@progbits,_ZN7rocprim17ROCPRIM_400000_NS6detail44device_merge_sort_compile_time_verifier_archINS1_11comp_targetILNS1_3genE9ELNS1_11target_archE1100ELNS1_3gpuE3ELNS1_3repE0EEES8_NS1_28merge_sort_block_sort_configILj256ELj4ELNS0_20block_sort_algorithmE0EEENS0_14default_configENS1_37merge_sort_block_sort_config_selectorIiNS0_10empty_typeEEENS1_38merge_sort_block_merge_config_selectorIiSE_EEEEvv,comdat
.Lfunc_end17:
	.size	_ZN7rocprim17ROCPRIM_400000_NS6detail44device_merge_sort_compile_time_verifier_archINS1_11comp_targetILNS1_3genE9ELNS1_11target_archE1100ELNS1_3gpuE3ELNS1_3repE0EEES8_NS1_28merge_sort_block_sort_configILj256ELj4ELNS0_20block_sort_algorithmE0EEENS0_14default_configENS1_37merge_sort_block_sort_config_selectorIiNS0_10empty_typeEEENS1_38merge_sort_block_merge_config_selectorIiSE_EEEEvv, .Lfunc_end17-_ZN7rocprim17ROCPRIM_400000_NS6detail44device_merge_sort_compile_time_verifier_archINS1_11comp_targetILNS1_3genE9ELNS1_11target_archE1100ELNS1_3gpuE3ELNS1_3repE0EEES8_NS1_28merge_sort_block_sort_configILj256ELj4ELNS0_20block_sort_algorithmE0EEENS0_14default_configENS1_37merge_sort_block_sort_config_selectorIiNS0_10empty_typeEEENS1_38merge_sort_block_merge_config_selectorIiSE_EEEEvv
                                        ; -- End function
	.set _ZN7rocprim17ROCPRIM_400000_NS6detail44device_merge_sort_compile_time_verifier_archINS1_11comp_targetILNS1_3genE9ELNS1_11target_archE1100ELNS1_3gpuE3ELNS1_3repE0EEES8_NS1_28merge_sort_block_sort_configILj256ELj4ELNS0_20block_sort_algorithmE0EEENS0_14default_configENS1_37merge_sort_block_sort_config_selectorIiNS0_10empty_typeEEENS1_38merge_sort_block_merge_config_selectorIiSE_EEEEvv.num_vgpr, 0
	.set _ZN7rocprim17ROCPRIM_400000_NS6detail44device_merge_sort_compile_time_verifier_archINS1_11comp_targetILNS1_3genE9ELNS1_11target_archE1100ELNS1_3gpuE3ELNS1_3repE0EEES8_NS1_28merge_sort_block_sort_configILj256ELj4ELNS0_20block_sort_algorithmE0EEENS0_14default_configENS1_37merge_sort_block_sort_config_selectorIiNS0_10empty_typeEEENS1_38merge_sort_block_merge_config_selectorIiSE_EEEEvv.num_agpr, 0
	.set _ZN7rocprim17ROCPRIM_400000_NS6detail44device_merge_sort_compile_time_verifier_archINS1_11comp_targetILNS1_3genE9ELNS1_11target_archE1100ELNS1_3gpuE3ELNS1_3repE0EEES8_NS1_28merge_sort_block_sort_configILj256ELj4ELNS0_20block_sort_algorithmE0EEENS0_14default_configENS1_37merge_sort_block_sort_config_selectorIiNS0_10empty_typeEEENS1_38merge_sort_block_merge_config_selectorIiSE_EEEEvv.numbered_sgpr, 0
	.set _ZN7rocprim17ROCPRIM_400000_NS6detail44device_merge_sort_compile_time_verifier_archINS1_11comp_targetILNS1_3genE9ELNS1_11target_archE1100ELNS1_3gpuE3ELNS1_3repE0EEES8_NS1_28merge_sort_block_sort_configILj256ELj4ELNS0_20block_sort_algorithmE0EEENS0_14default_configENS1_37merge_sort_block_sort_config_selectorIiNS0_10empty_typeEEENS1_38merge_sort_block_merge_config_selectorIiSE_EEEEvv.num_named_barrier, 0
	.set _ZN7rocprim17ROCPRIM_400000_NS6detail44device_merge_sort_compile_time_verifier_archINS1_11comp_targetILNS1_3genE9ELNS1_11target_archE1100ELNS1_3gpuE3ELNS1_3repE0EEES8_NS1_28merge_sort_block_sort_configILj256ELj4ELNS0_20block_sort_algorithmE0EEENS0_14default_configENS1_37merge_sort_block_sort_config_selectorIiNS0_10empty_typeEEENS1_38merge_sort_block_merge_config_selectorIiSE_EEEEvv.private_seg_size, 0
	.set _ZN7rocprim17ROCPRIM_400000_NS6detail44device_merge_sort_compile_time_verifier_archINS1_11comp_targetILNS1_3genE9ELNS1_11target_archE1100ELNS1_3gpuE3ELNS1_3repE0EEES8_NS1_28merge_sort_block_sort_configILj256ELj4ELNS0_20block_sort_algorithmE0EEENS0_14default_configENS1_37merge_sort_block_sort_config_selectorIiNS0_10empty_typeEEENS1_38merge_sort_block_merge_config_selectorIiSE_EEEEvv.uses_vcc, 0
	.set _ZN7rocprim17ROCPRIM_400000_NS6detail44device_merge_sort_compile_time_verifier_archINS1_11comp_targetILNS1_3genE9ELNS1_11target_archE1100ELNS1_3gpuE3ELNS1_3repE0EEES8_NS1_28merge_sort_block_sort_configILj256ELj4ELNS0_20block_sort_algorithmE0EEENS0_14default_configENS1_37merge_sort_block_sort_config_selectorIiNS0_10empty_typeEEENS1_38merge_sort_block_merge_config_selectorIiSE_EEEEvv.uses_flat_scratch, 0
	.set _ZN7rocprim17ROCPRIM_400000_NS6detail44device_merge_sort_compile_time_verifier_archINS1_11comp_targetILNS1_3genE9ELNS1_11target_archE1100ELNS1_3gpuE3ELNS1_3repE0EEES8_NS1_28merge_sort_block_sort_configILj256ELj4ELNS0_20block_sort_algorithmE0EEENS0_14default_configENS1_37merge_sort_block_sort_config_selectorIiNS0_10empty_typeEEENS1_38merge_sort_block_merge_config_selectorIiSE_EEEEvv.has_dyn_sized_stack, 0
	.set _ZN7rocprim17ROCPRIM_400000_NS6detail44device_merge_sort_compile_time_verifier_archINS1_11comp_targetILNS1_3genE9ELNS1_11target_archE1100ELNS1_3gpuE3ELNS1_3repE0EEES8_NS1_28merge_sort_block_sort_configILj256ELj4ELNS0_20block_sort_algorithmE0EEENS0_14default_configENS1_37merge_sort_block_sort_config_selectorIiNS0_10empty_typeEEENS1_38merge_sort_block_merge_config_selectorIiSE_EEEEvv.has_recursion, 0
	.set _ZN7rocprim17ROCPRIM_400000_NS6detail44device_merge_sort_compile_time_verifier_archINS1_11comp_targetILNS1_3genE9ELNS1_11target_archE1100ELNS1_3gpuE3ELNS1_3repE0EEES8_NS1_28merge_sort_block_sort_configILj256ELj4ELNS0_20block_sort_algorithmE0EEENS0_14default_configENS1_37merge_sort_block_sort_config_selectorIiNS0_10empty_typeEEENS1_38merge_sort_block_merge_config_selectorIiSE_EEEEvv.has_indirect_call, 0
	.section	.AMDGPU.csdata,"",@progbits
; Kernel info:
; codeLenInByte = 4
; TotalNumSgprs: 0
; NumVgprs: 0
; ScratchSize: 0
; MemoryBound: 0
; FloatMode: 240
; IeeeMode: 1
; LDSByteSize: 0 bytes/workgroup (compile time only)
; SGPRBlocks: 0
; VGPRBlocks: 0
; NumSGPRsForWavesPerEU: 1
; NumVGPRsForWavesPerEU: 1
; Occupancy: 16
; WaveLimiterHint : 0
; COMPUTE_PGM_RSRC2:SCRATCH_EN: 0
; COMPUTE_PGM_RSRC2:USER_SGPR: 4
; COMPUTE_PGM_RSRC2:TRAP_HANDLER: 0
; COMPUTE_PGM_RSRC2:TGID_X_EN: 1
; COMPUTE_PGM_RSRC2:TGID_Y_EN: 0
; COMPUTE_PGM_RSRC2:TGID_Z_EN: 0
; COMPUTE_PGM_RSRC2:TIDIG_COMP_CNT: 0
	.section	.text._ZN7rocprim17ROCPRIM_400000_NS6detail44device_merge_sort_compile_time_verifier_archINS1_11comp_targetILNS1_3genE8ELNS1_11target_archE1030ELNS1_3gpuE2ELNS1_3repE0EEES8_NS1_28merge_sort_block_sort_configILj256ELj4ELNS0_20block_sort_algorithmE0EEENS0_14default_configENS1_37merge_sort_block_sort_config_selectorIiNS0_10empty_typeEEENS1_38merge_sort_block_merge_config_selectorIiSE_EEEEvv,"axG",@progbits,_ZN7rocprim17ROCPRIM_400000_NS6detail44device_merge_sort_compile_time_verifier_archINS1_11comp_targetILNS1_3genE8ELNS1_11target_archE1030ELNS1_3gpuE2ELNS1_3repE0EEES8_NS1_28merge_sort_block_sort_configILj256ELj4ELNS0_20block_sort_algorithmE0EEENS0_14default_configENS1_37merge_sort_block_sort_config_selectorIiNS0_10empty_typeEEENS1_38merge_sort_block_merge_config_selectorIiSE_EEEEvv,comdat
	.protected	_ZN7rocprim17ROCPRIM_400000_NS6detail44device_merge_sort_compile_time_verifier_archINS1_11comp_targetILNS1_3genE8ELNS1_11target_archE1030ELNS1_3gpuE2ELNS1_3repE0EEES8_NS1_28merge_sort_block_sort_configILj256ELj4ELNS0_20block_sort_algorithmE0EEENS0_14default_configENS1_37merge_sort_block_sort_config_selectorIiNS0_10empty_typeEEENS1_38merge_sort_block_merge_config_selectorIiSE_EEEEvv ; -- Begin function _ZN7rocprim17ROCPRIM_400000_NS6detail44device_merge_sort_compile_time_verifier_archINS1_11comp_targetILNS1_3genE8ELNS1_11target_archE1030ELNS1_3gpuE2ELNS1_3repE0EEES8_NS1_28merge_sort_block_sort_configILj256ELj4ELNS0_20block_sort_algorithmE0EEENS0_14default_configENS1_37merge_sort_block_sort_config_selectorIiNS0_10empty_typeEEENS1_38merge_sort_block_merge_config_selectorIiSE_EEEEvv
	.globl	_ZN7rocprim17ROCPRIM_400000_NS6detail44device_merge_sort_compile_time_verifier_archINS1_11comp_targetILNS1_3genE8ELNS1_11target_archE1030ELNS1_3gpuE2ELNS1_3repE0EEES8_NS1_28merge_sort_block_sort_configILj256ELj4ELNS0_20block_sort_algorithmE0EEENS0_14default_configENS1_37merge_sort_block_sort_config_selectorIiNS0_10empty_typeEEENS1_38merge_sort_block_merge_config_selectorIiSE_EEEEvv
	.p2align	8
	.type	_ZN7rocprim17ROCPRIM_400000_NS6detail44device_merge_sort_compile_time_verifier_archINS1_11comp_targetILNS1_3genE8ELNS1_11target_archE1030ELNS1_3gpuE2ELNS1_3repE0EEES8_NS1_28merge_sort_block_sort_configILj256ELj4ELNS0_20block_sort_algorithmE0EEENS0_14default_configENS1_37merge_sort_block_sort_config_selectorIiNS0_10empty_typeEEENS1_38merge_sort_block_merge_config_selectorIiSE_EEEEvv,@function
_ZN7rocprim17ROCPRIM_400000_NS6detail44device_merge_sort_compile_time_verifier_archINS1_11comp_targetILNS1_3genE8ELNS1_11target_archE1030ELNS1_3gpuE2ELNS1_3repE0EEES8_NS1_28merge_sort_block_sort_configILj256ELj4ELNS0_20block_sort_algorithmE0EEENS0_14default_configENS1_37merge_sort_block_sort_config_selectorIiNS0_10empty_typeEEENS1_38merge_sort_block_merge_config_selectorIiSE_EEEEvv: ; @_ZN7rocprim17ROCPRIM_400000_NS6detail44device_merge_sort_compile_time_verifier_archINS1_11comp_targetILNS1_3genE8ELNS1_11target_archE1030ELNS1_3gpuE2ELNS1_3repE0EEES8_NS1_28merge_sort_block_sort_configILj256ELj4ELNS0_20block_sort_algorithmE0EEENS0_14default_configENS1_37merge_sort_block_sort_config_selectorIiNS0_10empty_typeEEENS1_38merge_sort_block_merge_config_selectorIiSE_EEEEvv
; %bb.0:
	s_endpgm
	.section	.rodata,"a",@progbits
	.p2align	6, 0x0
	.amdhsa_kernel _ZN7rocprim17ROCPRIM_400000_NS6detail44device_merge_sort_compile_time_verifier_archINS1_11comp_targetILNS1_3genE8ELNS1_11target_archE1030ELNS1_3gpuE2ELNS1_3repE0EEES8_NS1_28merge_sort_block_sort_configILj256ELj4ELNS0_20block_sort_algorithmE0EEENS0_14default_configENS1_37merge_sort_block_sort_config_selectorIiNS0_10empty_typeEEENS1_38merge_sort_block_merge_config_selectorIiSE_EEEEvv
		.amdhsa_group_segment_fixed_size 0
		.amdhsa_private_segment_fixed_size 0
		.amdhsa_kernarg_size 0
		.amdhsa_user_sgpr_count 4
		.amdhsa_user_sgpr_private_segment_buffer 1
		.amdhsa_user_sgpr_dispatch_ptr 0
		.amdhsa_user_sgpr_queue_ptr 0
		.amdhsa_user_sgpr_kernarg_segment_ptr 0
		.amdhsa_user_sgpr_dispatch_id 0
		.amdhsa_user_sgpr_flat_scratch_init 0
		.amdhsa_user_sgpr_private_segment_size 0
		.amdhsa_wavefront_size32 1
		.amdhsa_uses_dynamic_stack 0
		.amdhsa_system_sgpr_private_segment_wavefront_offset 0
		.amdhsa_system_sgpr_workgroup_id_x 1
		.amdhsa_system_sgpr_workgroup_id_y 0
		.amdhsa_system_sgpr_workgroup_id_z 0
		.amdhsa_system_sgpr_workgroup_info 0
		.amdhsa_system_vgpr_workitem_id 0
		.amdhsa_next_free_vgpr 1
		.amdhsa_next_free_sgpr 1
		.amdhsa_reserve_vcc 0
		.amdhsa_reserve_flat_scratch 0
		.amdhsa_float_round_mode_32 0
		.amdhsa_float_round_mode_16_64 0
		.amdhsa_float_denorm_mode_32 3
		.amdhsa_float_denorm_mode_16_64 3
		.amdhsa_dx10_clamp 1
		.amdhsa_ieee_mode 1
		.amdhsa_fp16_overflow 0
		.amdhsa_workgroup_processor_mode 1
		.amdhsa_memory_ordered 1
		.amdhsa_forward_progress 1
		.amdhsa_shared_vgpr_count 0
		.amdhsa_exception_fp_ieee_invalid_op 0
		.amdhsa_exception_fp_denorm_src 0
		.amdhsa_exception_fp_ieee_div_zero 0
		.amdhsa_exception_fp_ieee_overflow 0
		.amdhsa_exception_fp_ieee_underflow 0
		.amdhsa_exception_fp_ieee_inexact 0
		.amdhsa_exception_int_div_zero 0
	.end_amdhsa_kernel
	.section	.text._ZN7rocprim17ROCPRIM_400000_NS6detail44device_merge_sort_compile_time_verifier_archINS1_11comp_targetILNS1_3genE8ELNS1_11target_archE1030ELNS1_3gpuE2ELNS1_3repE0EEES8_NS1_28merge_sort_block_sort_configILj256ELj4ELNS0_20block_sort_algorithmE0EEENS0_14default_configENS1_37merge_sort_block_sort_config_selectorIiNS0_10empty_typeEEENS1_38merge_sort_block_merge_config_selectorIiSE_EEEEvv,"axG",@progbits,_ZN7rocprim17ROCPRIM_400000_NS6detail44device_merge_sort_compile_time_verifier_archINS1_11comp_targetILNS1_3genE8ELNS1_11target_archE1030ELNS1_3gpuE2ELNS1_3repE0EEES8_NS1_28merge_sort_block_sort_configILj256ELj4ELNS0_20block_sort_algorithmE0EEENS0_14default_configENS1_37merge_sort_block_sort_config_selectorIiNS0_10empty_typeEEENS1_38merge_sort_block_merge_config_selectorIiSE_EEEEvv,comdat
.Lfunc_end18:
	.size	_ZN7rocprim17ROCPRIM_400000_NS6detail44device_merge_sort_compile_time_verifier_archINS1_11comp_targetILNS1_3genE8ELNS1_11target_archE1030ELNS1_3gpuE2ELNS1_3repE0EEES8_NS1_28merge_sort_block_sort_configILj256ELj4ELNS0_20block_sort_algorithmE0EEENS0_14default_configENS1_37merge_sort_block_sort_config_selectorIiNS0_10empty_typeEEENS1_38merge_sort_block_merge_config_selectorIiSE_EEEEvv, .Lfunc_end18-_ZN7rocprim17ROCPRIM_400000_NS6detail44device_merge_sort_compile_time_verifier_archINS1_11comp_targetILNS1_3genE8ELNS1_11target_archE1030ELNS1_3gpuE2ELNS1_3repE0EEES8_NS1_28merge_sort_block_sort_configILj256ELj4ELNS0_20block_sort_algorithmE0EEENS0_14default_configENS1_37merge_sort_block_sort_config_selectorIiNS0_10empty_typeEEENS1_38merge_sort_block_merge_config_selectorIiSE_EEEEvv
                                        ; -- End function
	.set _ZN7rocprim17ROCPRIM_400000_NS6detail44device_merge_sort_compile_time_verifier_archINS1_11comp_targetILNS1_3genE8ELNS1_11target_archE1030ELNS1_3gpuE2ELNS1_3repE0EEES8_NS1_28merge_sort_block_sort_configILj256ELj4ELNS0_20block_sort_algorithmE0EEENS0_14default_configENS1_37merge_sort_block_sort_config_selectorIiNS0_10empty_typeEEENS1_38merge_sort_block_merge_config_selectorIiSE_EEEEvv.num_vgpr, 0
	.set _ZN7rocprim17ROCPRIM_400000_NS6detail44device_merge_sort_compile_time_verifier_archINS1_11comp_targetILNS1_3genE8ELNS1_11target_archE1030ELNS1_3gpuE2ELNS1_3repE0EEES8_NS1_28merge_sort_block_sort_configILj256ELj4ELNS0_20block_sort_algorithmE0EEENS0_14default_configENS1_37merge_sort_block_sort_config_selectorIiNS0_10empty_typeEEENS1_38merge_sort_block_merge_config_selectorIiSE_EEEEvv.num_agpr, 0
	.set _ZN7rocprim17ROCPRIM_400000_NS6detail44device_merge_sort_compile_time_verifier_archINS1_11comp_targetILNS1_3genE8ELNS1_11target_archE1030ELNS1_3gpuE2ELNS1_3repE0EEES8_NS1_28merge_sort_block_sort_configILj256ELj4ELNS0_20block_sort_algorithmE0EEENS0_14default_configENS1_37merge_sort_block_sort_config_selectorIiNS0_10empty_typeEEENS1_38merge_sort_block_merge_config_selectorIiSE_EEEEvv.numbered_sgpr, 0
	.set _ZN7rocprim17ROCPRIM_400000_NS6detail44device_merge_sort_compile_time_verifier_archINS1_11comp_targetILNS1_3genE8ELNS1_11target_archE1030ELNS1_3gpuE2ELNS1_3repE0EEES8_NS1_28merge_sort_block_sort_configILj256ELj4ELNS0_20block_sort_algorithmE0EEENS0_14default_configENS1_37merge_sort_block_sort_config_selectorIiNS0_10empty_typeEEENS1_38merge_sort_block_merge_config_selectorIiSE_EEEEvv.num_named_barrier, 0
	.set _ZN7rocprim17ROCPRIM_400000_NS6detail44device_merge_sort_compile_time_verifier_archINS1_11comp_targetILNS1_3genE8ELNS1_11target_archE1030ELNS1_3gpuE2ELNS1_3repE0EEES8_NS1_28merge_sort_block_sort_configILj256ELj4ELNS0_20block_sort_algorithmE0EEENS0_14default_configENS1_37merge_sort_block_sort_config_selectorIiNS0_10empty_typeEEENS1_38merge_sort_block_merge_config_selectorIiSE_EEEEvv.private_seg_size, 0
	.set _ZN7rocprim17ROCPRIM_400000_NS6detail44device_merge_sort_compile_time_verifier_archINS1_11comp_targetILNS1_3genE8ELNS1_11target_archE1030ELNS1_3gpuE2ELNS1_3repE0EEES8_NS1_28merge_sort_block_sort_configILj256ELj4ELNS0_20block_sort_algorithmE0EEENS0_14default_configENS1_37merge_sort_block_sort_config_selectorIiNS0_10empty_typeEEENS1_38merge_sort_block_merge_config_selectorIiSE_EEEEvv.uses_vcc, 0
	.set _ZN7rocprim17ROCPRIM_400000_NS6detail44device_merge_sort_compile_time_verifier_archINS1_11comp_targetILNS1_3genE8ELNS1_11target_archE1030ELNS1_3gpuE2ELNS1_3repE0EEES8_NS1_28merge_sort_block_sort_configILj256ELj4ELNS0_20block_sort_algorithmE0EEENS0_14default_configENS1_37merge_sort_block_sort_config_selectorIiNS0_10empty_typeEEENS1_38merge_sort_block_merge_config_selectorIiSE_EEEEvv.uses_flat_scratch, 0
	.set _ZN7rocprim17ROCPRIM_400000_NS6detail44device_merge_sort_compile_time_verifier_archINS1_11comp_targetILNS1_3genE8ELNS1_11target_archE1030ELNS1_3gpuE2ELNS1_3repE0EEES8_NS1_28merge_sort_block_sort_configILj256ELj4ELNS0_20block_sort_algorithmE0EEENS0_14default_configENS1_37merge_sort_block_sort_config_selectorIiNS0_10empty_typeEEENS1_38merge_sort_block_merge_config_selectorIiSE_EEEEvv.has_dyn_sized_stack, 0
	.set _ZN7rocprim17ROCPRIM_400000_NS6detail44device_merge_sort_compile_time_verifier_archINS1_11comp_targetILNS1_3genE8ELNS1_11target_archE1030ELNS1_3gpuE2ELNS1_3repE0EEES8_NS1_28merge_sort_block_sort_configILj256ELj4ELNS0_20block_sort_algorithmE0EEENS0_14default_configENS1_37merge_sort_block_sort_config_selectorIiNS0_10empty_typeEEENS1_38merge_sort_block_merge_config_selectorIiSE_EEEEvv.has_recursion, 0
	.set _ZN7rocprim17ROCPRIM_400000_NS6detail44device_merge_sort_compile_time_verifier_archINS1_11comp_targetILNS1_3genE8ELNS1_11target_archE1030ELNS1_3gpuE2ELNS1_3repE0EEES8_NS1_28merge_sort_block_sort_configILj256ELj4ELNS0_20block_sort_algorithmE0EEENS0_14default_configENS1_37merge_sort_block_sort_config_selectorIiNS0_10empty_typeEEENS1_38merge_sort_block_merge_config_selectorIiSE_EEEEvv.has_indirect_call, 0
	.section	.AMDGPU.csdata,"",@progbits
; Kernel info:
; codeLenInByte = 4
; TotalNumSgprs: 0
; NumVgprs: 0
; ScratchSize: 0
; MemoryBound: 0
; FloatMode: 240
; IeeeMode: 1
; LDSByteSize: 0 bytes/workgroup (compile time only)
; SGPRBlocks: 0
; VGPRBlocks: 0
; NumSGPRsForWavesPerEU: 1
; NumVGPRsForWavesPerEU: 1
; Occupancy: 16
; WaveLimiterHint : 0
; COMPUTE_PGM_RSRC2:SCRATCH_EN: 0
; COMPUTE_PGM_RSRC2:USER_SGPR: 4
; COMPUTE_PGM_RSRC2:TRAP_HANDLER: 0
; COMPUTE_PGM_RSRC2:TGID_X_EN: 1
; COMPUTE_PGM_RSRC2:TGID_Y_EN: 0
; COMPUTE_PGM_RSRC2:TGID_Z_EN: 0
; COMPUTE_PGM_RSRC2:TIDIG_COMP_CNT: 0
	.section	.text._ZN7rocprim17ROCPRIM_400000_NS6detail17trampoline_kernelINS0_14default_configENS1_38merge_sort_block_merge_config_selectorIiNS0_10empty_typeEEEZZNS1_27merge_sort_block_merge_implIS3_N6thrust23THRUST_200600_302600_NS6detail15normal_iteratorINS9_10device_ptrIiEEEEPS5_jNS1_19radix_merge_compareILb0ELb0EiNS0_19identity_decomposerEEEEE10hipError_tT0_T1_T2_jT3_P12ihipStream_tbPNSt15iterator_traitsISK_E10value_typeEPNSQ_ISL_E10value_typeEPSM_NS1_7vsmem_tEENKUlT_SK_SL_SM_E_clIPiSE_SF_SF_EESJ_SZ_SK_SL_SM_EUlSZ_E_NS1_11comp_targetILNS1_3genE0ELNS1_11target_archE4294967295ELNS1_3gpuE0ELNS1_3repE0EEENS1_48merge_mergepath_partition_config_static_selectorELNS0_4arch9wavefront6targetE0EEEvSL_,"axG",@progbits,_ZN7rocprim17ROCPRIM_400000_NS6detail17trampoline_kernelINS0_14default_configENS1_38merge_sort_block_merge_config_selectorIiNS0_10empty_typeEEEZZNS1_27merge_sort_block_merge_implIS3_N6thrust23THRUST_200600_302600_NS6detail15normal_iteratorINS9_10device_ptrIiEEEEPS5_jNS1_19radix_merge_compareILb0ELb0EiNS0_19identity_decomposerEEEEE10hipError_tT0_T1_T2_jT3_P12ihipStream_tbPNSt15iterator_traitsISK_E10value_typeEPNSQ_ISL_E10value_typeEPSM_NS1_7vsmem_tEENKUlT_SK_SL_SM_E_clIPiSE_SF_SF_EESJ_SZ_SK_SL_SM_EUlSZ_E_NS1_11comp_targetILNS1_3genE0ELNS1_11target_archE4294967295ELNS1_3gpuE0ELNS1_3repE0EEENS1_48merge_mergepath_partition_config_static_selectorELNS0_4arch9wavefront6targetE0EEEvSL_,comdat
	.protected	_ZN7rocprim17ROCPRIM_400000_NS6detail17trampoline_kernelINS0_14default_configENS1_38merge_sort_block_merge_config_selectorIiNS0_10empty_typeEEEZZNS1_27merge_sort_block_merge_implIS3_N6thrust23THRUST_200600_302600_NS6detail15normal_iteratorINS9_10device_ptrIiEEEEPS5_jNS1_19radix_merge_compareILb0ELb0EiNS0_19identity_decomposerEEEEE10hipError_tT0_T1_T2_jT3_P12ihipStream_tbPNSt15iterator_traitsISK_E10value_typeEPNSQ_ISL_E10value_typeEPSM_NS1_7vsmem_tEENKUlT_SK_SL_SM_E_clIPiSE_SF_SF_EESJ_SZ_SK_SL_SM_EUlSZ_E_NS1_11comp_targetILNS1_3genE0ELNS1_11target_archE4294967295ELNS1_3gpuE0ELNS1_3repE0EEENS1_48merge_mergepath_partition_config_static_selectorELNS0_4arch9wavefront6targetE0EEEvSL_ ; -- Begin function _ZN7rocprim17ROCPRIM_400000_NS6detail17trampoline_kernelINS0_14default_configENS1_38merge_sort_block_merge_config_selectorIiNS0_10empty_typeEEEZZNS1_27merge_sort_block_merge_implIS3_N6thrust23THRUST_200600_302600_NS6detail15normal_iteratorINS9_10device_ptrIiEEEEPS5_jNS1_19radix_merge_compareILb0ELb0EiNS0_19identity_decomposerEEEEE10hipError_tT0_T1_T2_jT3_P12ihipStream_tbPNSt15iterator_traitsISK_E10value_typeEPNSQ_ISL_E10value_typeEPSM_NS1_7vsmem_tEENKUlT_SK_SL_SM_E_clIPiSE_SF_SF_EESJ_SZ_SK_SL_SM_EUlSZ_E_NS1_11comp_targetILNS1_3genE0ELNS1_11target_archE4294967295ELNS1_3gpuE0ELNS1_3repE0EEENS1_48merge_mergepath_partition_config_static_selectorELNS0_4arch9wavefront6targetE0EEEvSL_
	.globl	_ZN7rocprim17ROCPRIM_400000_NS6detail17trampoline_kernelINS0_14default_configENS1_38merge_sort_block_merge_config_selectorIiNS0_10empty_typeEEEZZNS1_27merge_sort_block_merge_implIS3_N6thrust23THRUST_200600_302600_NS6detail15normal_iteratorINS9_10device_ptrIiEEEEPS5_jNS1_19radix_merge_compareILb0ELb0EiNS0_19identity_decomposerEEEEE10hipError_tT0_T1_T2_jT3_P12ihipStream_tbPNSt15iterator_traitsISK_E10value_typeEPNSQ_ISL_E10value_typeEPSM_NS1_7vsmem_tEENKUlT_SK_SL_SM_E_clIPiSE_SF_SF_EESJ_SZ_SK_SL_SM_EUlSZ_E_NS1_11comp_targetILNS1_3genE0ELNS1_11target_archE4294967295ELNS1_3gpuE0ELNS1_3repE0EEENS1_48merge_mergepath_partition_config_static_selectorELNS0_4arch9wavefront6targetE0EEEvSL_
	.p2align	8
	.type	_ZN7rocprim17ROCPRIM_400000_NS6detail17trampoline_kernelINS0_14default_configENS1_38merge_sort_block_merge_config_selectorIiNS0_10empty_typeEEEZZNS1_27merge_sort_block_merge_implIS3_N6thrust23THRUST_200600_302600_NS6detail15normal_iteratorINS9_10device_ptrIiEEEEPS5_jNS1_19radix_merge_compareILb0ELb0EiNS0_19identity_decomposerEEEEE10hipError_tT0_T1_T2_jT3_P12ihipStream_tbPNSt15iterator_traitsISK_E10value_typeEPNSQ_ISL_E10value_typeEPSM_NS1_7vsmem_tEENKUlT_SK_SL_SM_E_clIPiSE_SF_SF_EESJ_SZ_SK_SL_SM_EUlSZ_E_NS1_11comp_targetILNS1_3genE0ELNS1_11target_archE4294967295ELNS1_3gpuE0ELNS1_3repE0EEENS1_48merge_mergepath_partition_config_static_selectorELNS0_4arch9wavefront6targetE0EEEvSL_,@function
_ZN7rocprim17ROCPRIM_400000_NS6detail17trampoline_kernelINS0_14default_configENS1_38merge_sort_block_merge_config_selectorIiNS0_10empty_typeEEEZZNS1_27merge_sort_block_merge_implIS3_N6thrust23THRUST_200600_302600_NS6detail15normal_iteratorINS9_10device_ptrIiEEEEPS5_jNS1_19radix_merge_compareILb0ELb0EiNS0_19identity_decomposerEEEEE10hipError_tT0_T1_T2_jT3_P12ihipStream_tbPNSt15iterator_traitsISK_E10value_typeEPNSQ_ISL_E10value_typeEPSM_NS1_7vsmem_tEENKUlT_SK_SL_SM_E_clIPiSE_SF_SF_EESJ_SZ_SK_SL_SM_EUlSZ_E_NS1_11comp_targetILNS1_3genE0ELNS1_11target_archE4294967295ELNS1_3gpuE0ELNS1_3repE0EEENS1_48merge_mergepath_partition_config_static_selectorELNS0_4arch9wavefront6targetE0EEEvSL_: ; @_ZN7rocprim17ROCPRIM_400000_NS6detail17trampoline_kernelINS0_14default_configENS1_38merge_sort_block_merge_config_selectorIiNS0_10empty_typeEEEZZNS1_27merge_sort_block_merge_implIS3_N6thrust23THRUST_200600_302600_NS6detail15normal_iteratorINS9_10device_ptrIiEEEEPS5_jNS1_19radix_merge_compareILb0ELb0EiNS0_19identity_decomposerEEEEE10hipError_tT0_T1_T2_jT3_P12ihipStream_tbPNSt15iterator_traitsISK_E10value_typeEPNSQ_ISL_E10value_typeEPSM_NS1_7vsmem_tEENKUlT_SK_SL_SM_E_clIPiSE_SF_SF_EESJ_SZ_SK_SL_SM_EUlSZ_E_NS1_11comp_targetILNS1_3genE0ELNS1_11target_archE4294967295ELNS1_3gpuE0ELNS1_3repE0EEENS1_48merge_mergepath_partition_config_static_selectorELNS0_4arch9wavefront6targetE0EEEvSL_
; %bb.0:
	.section	.rodata,"a",@progbits
	.p2align	6, 0x0
	.amdhsa_kernel _ZN7rocprim17ROCPRIM_400000_NS6detail17trampoline_kernelINS0_14default_configENS1_38merge_sort_block_merge_config_selectorIiNS0_10empty_typeEEEZZNS1_27merge_sort_block_merge_implIS3_N6thrust23THRUST_200600_302600_NS6detail15normal_iteratorINS9_10device_ptrIiEEEEPS5_jNS1_19radix_merge_compareILb0ELb0EiNS0_19identity_decomposerEEEEE10hipError_tT0_T1_T2_jT3_P12ihipStream_tbPNSt15iterator_traitsISK_E10value_typeEPNSQ_ISL_E10value_typeEPSM_NS1_7vsmem_tEENKUlT_SK_SL_SM_E_clIPiSE_SF_SF_EESJ_SZ_SK_SL_SM_EUlSZ_E_NS1_11comp_targetILNS1_3genE0ELNS1_11target_archE4294967295ELNS1_3gpuE0ELNS1_3repE0EEENS1_48merge_mergepath_partition_config_static_selectorELNS0_4arch9wavefront6targetE0EEEvSL_
		.amdhsa_group_segment_fixed_size 0
		.amdhsa_private_segment_fixed_size 0
		.amdhsa_kernarg_size 40
		.amdhsa_user_sgpr_count 6
		.amdhsa_user_sgpr_private_segment_buffer 1
		.amdhsa_user_sgpr_dispatch_ptr 0
		.amdhsa_user_sgpr_queue_ptr 0
		.amdhsa_user_sgpr_kernarg_segment_ptr 1
		.amdhsa_user_sgpr_dispatch_id 0
		.amdhsa_user_sgpr_flat_scratch_init 0
		.amdhsa_user_sgpr_private_segment_size 0
		.amdhsa_wavefront_size32 1
		.amdhsa_uses_dynamic_stack 0
		.amdhsa_system_sgpr_private_segment_wavefront_offset 0
		.amdhsa_system_sgpr_workgroup_id_x 1
		.amdhsa_system_sgpr_workgroup_id_y 0
		.amdhsa_system_sgpr_workgroup_id_z 0
		.amdhsa_system_sgpr_workgroup_info 0
		.amdhsa_system_vgpr_workitem_id 0
		.amdhsa_next_free_vgpr 1
		.amdhsa_next_free_sgpr 1
		.amdhsa_reserve_vcc 0
		.amdhsa_reserve_flat_scratch 0
		.amdhsa_float_round_mode_32 0
		.amdhsa_float_round_mode_16_64 0
		.amdhsa_float_denorm_mode_32 3
		.amdhsa_float_denorm_mode_16_64 3
		.amdhsa_dx10_clamp 1
		.amdhsa_ieee_mode 1
		.amdhsa_fp16_overflow 0
		.amdhsa_workgroup_processor_mode 1
		.amdhsa_memory_ordered 1
		.amdhsa_forward_progress 1
		.amdhsa_shared_vgpr_count 0
		.amdhsa_exception_fp_ieee_invalid_op 0
		.amdhsa_exception_fp_denorm_src 0
		.amdhsa_exception_fp_ieee_div_zero 0
		.amdhsa_exception_fp_ieee_overflow 0
		.amdhsa_exception_fp_ieee_underflow 0
		.amdhsa_exception_fp_ieee_inexact 0
		.amdhsa_exception_int_div_zero 0
	.end_amdhsa_kernel
	.section	.text._ZN7rocprim17ROCPRIM_400000_NS6detail17trampoline_kernelINS0_14default_configENS1_38merge_sort_block_merge_config_selectorIiNS0_10empty_typeEEEZZNS1_27merge_sort_block_merge_implIS3_N6thrust23THRUST_200600_302600_NS6detail15normal_iteratorINS9_10device_ptrIiEEEEPS5_jNS1_19radix_merge_compareILb0ELb0EiNS0_19identity_decomposerEEEEE10hipError_tT0_T1_T2_jT3_P12ihipStream_tbPNSt15iterator_traitsISK_E10value_typeEPNSQ_ISL_E10value_typeEPSM_NS1_7vsmem_tEENKUlT_SK_SL_SM_E_clIPiSE_SF_SF_EESJ_SZ_SK_SL_SM_EUlSZ_E_NS1_11comp_targetILNS1_3genE0ELNS1_11target_archE4294967295ELNS1_3gpuE0ELNS1_3repE0EEENS1_48merge_mergepath_partition_config_static_selectorELNS0_4arch9wavefront6targetE0EEEvSL_,"axG",@progbits,_ZN7rocprim17ROCPRIM_400000_NS6detail17trampoline_kernelINS0_14default_configENS1_38merge_sort_block_merge_config_selectorIiNS0_10empty_typeEEEZZNS1_27merge_sort_block_merge_implIS3_N6thrust23THRUST_200600_302600_NS6detail15normal_iteratorINS9_10device_ptrIiEEEEPS5_jNS1_19radix_merge_compareILb0ELb0EiNS0_19identity_decomposerEEEEE10hipError_tT0_T1_T2_jT3_P12ihipStream_tbPNSt15iterator_traitsISK_E10value_typeEPNSQ_ISL_E10value_typeEPSM_NS1_7vsmem_tEENKUlT_SK_SL_SM_E_clIPiSE_SF_SF_EESJ_SZ_SK_SL_SM_EUlSZ_E_NS1_11comp_targetILNS1_3genE0ELNS1_11target_archE4294967295ELNS1_3gpuE0ELNS1_3repE0EEENS1_48merge_mergepath_partition_config_static_selectorELNS0_4arch9wavefront6targetE0EEEvSL_,comdat
.Lfunc_end19:
	.size	_ZN7rocprim17ROCPRIM_400000_NS6detail17trampoline_kernelINS0_14default_configENS1_38merge_sort_block_merge_config_selectorIiNS0_10empty_typeEEEZZNS1_27merge_sort_block_merge_implIS3_N6thrust23THRUST_200600_302600_NS6detail15normal_iteratorINS9_10device_ptrIiEEEEPS5_jNS1_19radix_merge_compareILb0ELb0EiNS0_19identity_decomposerEEEEE10hipError_tT0_T1_T2_jT3_P12ihipStream_tbPNSt15iterator_traitsISK_E10value_typeEPNSQ_ISL_E10value_typeEPSM_NS1_7vsmem_tEENKUlT_SK_SL_SM_E_clIPiSE_SF_SF_EESJ_SZ_SK_SL_SM_EUlSZ_E_NS1_11comp_targetILNS1_3genE0ELNS1_11target_archE4294967295ELNS1_3gpuE0ELNS1_3repE0EEENS1_48merge_mergepath_partition_config_static_selectorELNS0_4arch9wavefront6targetE0EEEvSL_, .Lfunc_end19-_ZN7rocprim17ROCPRIM_400000_NS6detail17trampoline_kernelINS0_14default_configENS1_38merge_sort_block_merge_config_selectorIiNS0_10empty_typeEEEZZNS1_27merge_sort_block_merge_implIS3_N6thrust23THRUST_200600_302600_NS6detail15normal_iteratorINS9_10device_ptrIiEEEEPS5_jNS1_19radix_merge_compareILb0ELb0EiNS0_19identity_decomposerEEEEE10hipError_tT0_T1_T2_jT3_P12ihipStream_tbPNSt15iterator_traitsISK_E10value_typeEPNSQ_ISL_E10value_typeEPSM_NS1_7vsmem_tEENKUlT_SK_SL_SM_E_clIPiSE_SF_SF_EESJ_SZ_SK_SL_SM_EUlSZ_E_NS1_11comp_targetILNS1_3genE0ELNS1_11target_archE4294967295ELNS1_3gpuE0ELNS1_3repE0EEENS1_48merge_mergepath_partition_config_static_selectorELNS0_4arch9wavefront6targetE0EEEvSL_
                                        ; -- End function
	.set _ZN7rocprim17ROCPRIM_400000_NS6detail17trampoline_kernelINS0_14default_configENS1_38merge_sort_block_merge_config_selectorIiNS0_10empty_typeEEEZZNS1_27merge_sort_block_merge_implIS3_N6thrust23THRUST_200600_302600_NS6detail15normal_iteratorINS9_10device_ptrIiEEEEPS5_jNS1_19radix_merge_compareILb0ELb0EiNS0_19identity_decomposerEEEEE10hipError_tT0_T1_T2_jT3_P12ihipStream_tbPNSt15iterator_traitsISK_E10value_typeEPNSQ_ISL_E10value_typeEPSM_NS1_7vsmem_tEENKUlT_SK_SL_SM_E_clIPiSE_SF_SF_EESJ_SZ_SK_SL_SM_EUlSZ_E_NS1_11comp_targetILNS1_3genE0ELNS1_11target_archE4294967295ELNS1_3gpuE0ELNS1_3repE0EEENS1_48merge_mergepath_partition_config_static_selectorELNS0_4arch9wavefront6targetE0EEEvSL_.num_vgpr, 0
	.set _ZN7rocprim17ROCPRIM_400000_NS6detail17trampoline_kernelINS0_14default_configENS1_38merge_sort_block_merge_config_selectorIiNS0_10empty_typeEEEZZNS1_27merge_sort_block_merge_implIS3_N6thrust23THRUST_200600_302600_NS6detail15normal_iteratorINS9_10device_ptrIiEEEEPS5_jNS1_19radix_merge_compareILb0ELb0EiNS0_19identity_decomposerEEEEE10hipError_tT0_T1_T2_jT3_P12ihipStream_tbPNSt15iterator_traitsISK_E10value_typeEPNSQ_ISL_E10value_typeEPSM_NS1_7vsmem_tEENKUlT_SK_SL_SM_E_clIPiSE_SF_SF_EESJ_SZ_SK_SL_SM_EUlSZ_E_NS1_11comp_targetILNS1_3genE0ELNS1_11target_archE4294967295ELNS1_3gpuE0ELNS1_3repE0EEENS1_48merge_mergepath_partition_config_static_selectorELNS0_4arch9wavefront6targetE0EEEvSL_.num_agpr, 0
	.set _ZN7rocprim17ROCPRIM_400000_NS6detail17trampoline_kernelINS0_14default_configENS1_38merge_sort_block_merge_config_selectorIiNS0_10empty_typeEEEZZNS1_27merge_sort_block_merge_implIS3_N6thrust23THRUST_200600_302600_NS6detail15normal_iteratorINS9_10device_ptrIiEEEEPS5_jNS1_19radix_merge_compareILb0ELb0EiNS0_19identity_decomposerEEEEE10hipError_tT0_T1_T2_jT3_P12ihipStream_tbPNSt15iterator_traitsISK_E10value_typeEPNSQ_ISL_E10value_typeEPSM_NS1_7vsmem_tEENKUlT_SK_SL_SM_E_clIPiSE_SF_SF_EESJ_SZ_SK_SL_SM_EUlSZ_E_NS1_11comp_targetILNS1_3genE0ELNS1_11target_archE4294967295ELNS1_3gpuE0ELNS1_3repE0EEENS1_48merge_mergepath_partition_config_static_selectorELNS0_4arch9wavefront6targetE0EEEvSL_.numbered_sgpr, 0
	.set _ZN7rocprim17ROCPRIM_400000_NS6detail17trampoline_kernelINS0_14default_configENS1_38merge_sort_block_merge_config_selectorIiNS0_10empty_typeEEEZZNS1_27merge_sort_block_merge_implIS3_N6thrust23THRUST_200600_302600_NS6detail15normal_iteratorINS9_10device_ptrIiEEEEPS5_jNS1_19radix_merge_compareILb0ELb0EiNS0_19identity_decomposerEEEEE10hipError_tT0_T1_T2_jT3_P12ihipStream_tbPNSt15iterator_traitsISK_E10value_typeEPNSQ_ISL_E10value_typeEPSM_NS1_7vsmem_tEENKUlT_SK_SL_SM_E_clIPiSE_SF_SF_EESJ_SZ_SK_SL_SM_EUlSZ_E_NS1_11comp_targetILNS1_3genE0ELNS1_11target_archE4294967295ELNS1_3gpuE0ELNS1_3repE0EEENS1_48merge_mergepath_partition_config_static_selectorELNS0_4arch9wavefront6targetE0EEEvSL_.num_named_barrier, 0
	.set _ZN7rocprim17ROCPRIM_400000_NS6detail17trampoline_kernelINS0_14default_configENS1_38merge_sort_block_merge_config_selectorIiNS0_10empty_typeEEEZZNS1_27merge_sort_block_merge_implIS3_N6thrust23THRUST_200600_302600_NS6detail15normal_iteratorINS9_10device_ptrIiEEEEPS5_jNS1_19radix_merge_compareILb0ELb0EiNS0_19identity_decomposerEEEEE10hipError_tT0_T1_T2_jT3_P12ihipStream_tbPNSt15iterator_traitsISK_E10value_typeEPNSQ_ISL_E10value_typeEPSM_NS1_7vsmem_tEENKUlT_SK_SL_SM_E_clIPiSE_SF_SF_EESJ_SZ_SK_SL_SM_EUlSZ_E_NS1_11comp_targetILNS1_3genE0ELNS1_11target_archE4294967295ELNS1_3gpuE0ELNS1_3repE0EEENS1_48merge_mergepath_partition_config_static_selectorELNS0_4arch9wavefront6targetE0EEEvSL_.private_seg_size, 0
	.set _ZN7rocprim17ROCPRIM_400000_NS6detail17trampoline_kernelINS0_14default_configENS1_38merge_sort_block_merge_config_selectorIiNS0_10empty_typeEEEZZNS1_27merge_sort_block_merge_implIS3_N6thrust23THRUST_200600_302600_NS6detail15normal_iteratorINS9_10device_ptrIiEEEEPS5_jNS1_19radix_merge_compareILb0ELb0EiNS0_19identity_decomposerEEEEE10hipError_tT0_T1_T2_jT3_P12ihipStream_tbPNSt15iterator_traitsISK_E10value_typeEPNSQ_ISL_E10value_typeEPSM_NS1_7vsmem_tEENKUlT_SK_SL_SM_E_clIPiSE_SF_SF_EESJ_SZ_SK_SL_SM_EUlSZ_E_NS1_11comp_targetILNS1_3genE0ELNS1_11target_archE4294967295ELNS1_3gpuE0ELNS1_3repE0EEENS1_48merge_mergepath_partition_config_static_selectorELNS0_4arch9wavefront6targetE0EEEvSL_.uses_vcc, 0
	.set _ZN7rocprim17ROCPRIM_400000_NS6detail17trampoline_kernelINS0_14default_configENS1_38merge_sort_block_merge_config_selectorIiNS0_10empty_typeEEEZZNS1_27merge_sort_block_merge_implIS3_N6thrust23THRUST_200600_302600_NS6detail15normal_iteratorINS9_10device_ptrIiEEEEPS5_jNS1_19radix_merge_compareILb0ELb0EiNS0_19identity_decomposerEEEEE10hipError_tT0_T1_T2_jT3_P12ihipStream_tbPNSt15iterator_traitsISK_E10value_typeEPNSQ_ISL_E10value_typeEPSM_NS1_7vsmem_tEENKUlT_SK_SL_SM_E_clIPiSE_SF_SF_EESJ_SZ_SK_SL_SM_EUlSZ_E_NS1_11comp_targetILNS1_3genE0ELNS1_11target_archE4294967295ELNS1_3gpuE0ELNS1_3repE0EEENS1_48merge_mergepath_partition_config_static_selectorELNS0_4arch9wavefront6targetE0EEEvSL_.uses_flat_scratch, 0
	.set _ZN7rocprim17ROCPRIM_400000_NS6detail17trampoline_kernelINS0_14default_configENS1_38merge_sort_block_merge_config_selectorIiNS0_10empty_typeEEEZZNS1_27merge_sort_block_merge_implIS3_N6thrust23THRUST_200600_302600_NS6detail15normal_iteratorINS9_10device_ptrIiEEEEPS5_jNS1_19radix_merge_compareILb0ELb0EiNS0_19identity_decomposerEEEEE10hipError_tT0_T1_T2_jT3_P12ihipStream_tbPNSt15iterator_traitsISK_E10value_typeEPNSQ_ISL_E10value_typeEPSM_NS1_7vsmem_tEENKUlT_SK_SL_SM_E_clIPiSE_SF_SF_EESJ_SZ_SK_SL_SM_EUlSZ_E_NS1_11comp_targetILNS1_3genE0ELNS1_11target_archE4294967295ELNS1_3gpuE0ELNS1_3repE0EEENS1_48merge_mergepath_partition_config_static_selectorELNS0_4arch9wavefront6targetE0EEEvSL_.has_dyn_sized_stack, 0
	.set _ZN7rocprim17ROCPRIM_400000_NS6detail17trampoline_kernelINS0_14default_configENS1_38merge_sort_block_merge_config_selectorIiNS0_10empty_typeEEEZZNS1_27merge_sort_block_merge_implIS3_N6thrust23THRUST_200600_302600_NS6detail15normal_iteratorINS9_10device_ptrIiEEEEPS5_jNS1_19radix_merge_compareILb0ELb0EiNS0_19identity_decomposerEEEEE10hipError_tT0_T1_T2_jT3_P12ihipStream_tbPNSt15iterator_traitsISK_E10value_typeEPNSQ_ISL_E10value_typeEPSM_NS1_7vsmem_tEENKUlT_SK_SL_SM_E_clIPiSE_SF_SF_EESJ_SZ_SK_SL_SM_EUlSZ_E_NS1_11comp_targetILNS1_3genE0ELNS1_11target_archE4294967295ELNS1_3gpuE0ELNS1_3repE0EEENS1_48merge_mergepath_partition_config_static_selectorELNS0_4arch9wavefront6targetE0EEEvSL_.has_recursion, 0
	.set _ZN7rocprim17ROCPRIM_400000_NS6detail17trampoline_kernelINS0_14default_configENS1_38merge_sort_block_merge_config_selectorIiNS0_10empty_typeEEEZZNS1_27merge_sort_block_merge_implIS3_N6thrust23THRUST_200600_302600_NS6detail15normal_iteratorINS9_10device_ptrIiEEEEPS5_jNS1_19radix_merge_compareILb0ELb0EiNS0_19identity_decomposerEEEEE10hipError_tT0_T1_T2_jT3_P12ihipStream_tbPNSt15iterator_traitsISK_E10value_typeEPNSQ_ISL_E10value_typeEPSM_NS1_7vsmem_tEENKUlT_SK_SL_SM_E_clIPiSE_SF_SF_EESJ_SZ_SK_SL_SM_EUlSZ_E_NS1_11comp_targetILNS1_3genE0ELNS1_11target_archE4294967295ELNS1_3gpuE0ELNS1_3repE0EEENS1_48merge_mergepath_partition_config_static_selectorELNS0_4arch9wavefront6targetE0EEEvSL_.has_indirect_call, 0
	.section	.AMDGPU.csdata,"",@progbits
; Kernel info:
; codeLenInByte = 0
; TotalNumSgprs: 0
; NumVgprs: 0
; ScratchSize: 0
; MemoryBound: 0
; FloatMode: 240
; IeeeMode: 1
; LDSByteSize: 0 bytes/workgroup (compile time only)
; SGPRBlocks: 0
; VGPRBlocks: 0
; NumSGPRsForWavesPerEU: 1
; NumVGPRsForWavesPerEU: 1
; Occupancy: 16
; WaveLimiterHint : 0
; COMPUTE_PGM_RSRC2:SCRATCH_EN: 0
; COMPUTE_PGM_RSRC2:USER_SGPR: 6
; COMPUTE_PGM_RSRC2:TRAP_HANDLER: 0
; COMPUTE_PGM_RSRC2:TGID_X_EN: 1
; COMPUTE_PGM_RSRC2:TGID_Y_EN: 0
; COMPUTE_PGM_RSRC2:TGID_Z_EN: 0
; COMPUTE_PGM_RSRC2:TIDIG_COMP_CNT: 0
	.section	.text._ZN7rocprim17ROCPRIM_400000_NS6detail17trampoline_kernelINS0_14default_configENS1_38merge_sort_block_merge_config_selectorIiNS0_10empty_typeEEEZZNS1_27merge_sort_block_merge_implIS3_N6thrust23THRUST_200600_302600_NS6detail15normal_iteratorINS9_10device_ptrIiEEEEPS5_jNS1_19radix_merge_compareILb0ELb0EiNS0_19identity_decomposerEEEEE10hipError_tT0_T1_T2_jT3_P12ihipStream_tbPNSt15iterator_traitsISK_E10value_typeEPNSQ_ISL_E10value_typeEPSM_NS1_7vsmem_tEENKUlT_SK_SL_SM_E_clIPiSE_SF_SF_EESJ_SZ_SK_SL_SM_EUlSZ_E_NS1_11comp_targetILNS1_3genE10ELNS1_11target_archE1201ELNS1_3gpuE5ELNS1_3repE0EEENS1_48merge_mergepath_partition_config_static_selectorELNS0_4arch9wavefront6targetE0EEEvSL_,"axG",@progbits,_ZN7rocprim17ROCPRIM_400000_NS6detail17trampoline_kernelINS0_14default_configENS1_38merge_sort_block_merge_config_selectorIiNS0_10empty_typeEEEZZNS1_27merge_sort_block_merge_implIS3_N6thrust23THRUST_200600_302600_NS6detail15normal_iteratorINS9_10device_ptrIiEEEEPS5_jNS1_19radix_merge_compareILb0ELb0EiNS0_19identity_decomposerEEEEE10hipError_tT0_T1_T2_jT3_P12ihipStream_tbPNSt15iterator_traitsISK_E10value_typeEPNSQ_ISL_E10value_typeEPSM_NS1_7vsmem_tEENKUlT_SK_SL_SM_E_clIPiSE_SF_SF_EESJ_SZ_SK_SL_SM_EUlSZ_E_NS1_11comp_targetILNS1_3genE10ELNS1_11target_archE1201ELNS1_3gpuE5ELNS1_3repE0EEENS1_48merge_mergepath_partition_config_static_selectorELNS0_4arch9wavefront6targetE0EEEvSL_,comdat
	.protected	_ZN7rocprim17ROCPRIM_400000_NS6detail17trampoline_kernelINS0_14default_configENS1_38merge_sort_block_merge_config_selectorIiNS0_10empty_typeEEEZZNS1_27merge_sort_block_merge_implIS3_N6thrust23THRUST_200600_302600_NS6detail15normal_iteratorINS9_10device_ptrIiEEEEPS5_jNS1_19radix_merge_compareILb0ELb0EiNS0_19identity_decomposerEEEEE10hipError_tT0_T1_T2_jT3_P12ihipStream_tbPNSt15iterator_traitsISK_E10value_typeEPNSQ_ISL_E10value_typeEPSM_NS1_7vsmem_tEENKUlT_SK_SL_SM_E_clIPiSE_SF_SF_EESJ_SZ_SK_SL_SM_EUlSZ_E_NS1_11comp_targetILNS1_3genE10ELNS1_11target_archE1201ELNS1_3gpuE5ELNS1_3repE0EEENS1_48merge_mergepath_partition_config_static_selectorELNS0_4arch9wavefront6targetE0EEEvSL_ ; -- Begin function _ZN7rocprim17ROCPRIM_400000_NS6detail17trampoline_kernelINS0_14default_configENS1_38merge_sort_block_merge_config_selectorIiNS0_10empty_typeEEEZZNS1_27merge_sort_block_merge_implIS3_N6thrust23THRUST_200600_302600_NS6detail15normal_iteratorINS9_10device_ptrIiEEEEPS5_jNS1_19radix_merge_compareILb0ELb0EiNS0_19identity_decomposerEEEEE10hipError_tT0_T1_T2_jT3_P12ihipStream_tbPNSt15iterator_traitsISK_E10value_typeEPNSQ_ISL_E10value_typeEPSM_NS1_7vsmem_tEENKUlT_SK_SL_SM_E_clIPiSE_SF_SF_EESJ_SZ_SK_SL_SM_EUlSZ_E_NS1_11comp_targetILNS1_3genE10ELNS1_11target_archE1201ELNS1_3gpuE5ELNS1_3repE0EEENS1_48merge_mergepath_partition_config_static_selectorELNS0_4arch9wavefront6targetE0EEEvSL_
	.globl	_ZN7rocprim17ROCPRIM_400000_NS6detail17trampoline_kernelINS0_14default_configENS1_38merge_sort_block_merge_config_selectorIiNS0_10empty_typeEEEZZNS1_27merge_sort_block_merge_implIS3_N6thrust23THRUST_200600_302600_NS6detail15normal_iteratorINS9_10device_ptrIiEEEEPS5_jNS1_19radix_merge_compareILb0ELb0EiNS0_19identity_decomposerEEEEE10hipError_tT0_T1_T2_jT3_P12ihipStream_tbPNSt15iterator_traitsISK_E10value_typeEPNSQ_ISL_E10value_typeEPSM_NS1_7vsmem_tEENKUlT_SK_SL_SM_E_clIPiSE_SF_SF_EESJ_SZ_SK_SL_SM_EUlSZ_E_NS1_11comp_targetILNS1_3genE10ELNS1_11target_archE1201ELNS1_3gpuE5ELNS1_3repE0EEENS1_48merge_mergepath_partition_config_static_selectorELNS0_4arch9wavefront6targetE0EEEvSL_
	.p2align	8
	.type	_ZN7rocprim17ROCPRIM_400000_NS6detail17trampoline_kernelINS0_14default_configENS1_38merge_sort_block_merge_config_selectorIiNS0_10empty_typeEEEZZNS1_27merge_sort_block_merge_implIS3_N6thrust23THRUST_200600_302600_NS6detail15normal_iteratorINS9_10device_ptrIiEEEEPS5_jNS1_19radix_merge_compareILb0ELb0EiNS0_19identity_decomposerEEEEE10hipError_tT0_T1_T2_jT3_P12ihipStream_tbPNSt15iterator_traitsISK_E10value_typeEPNSQ_ISL_E10value_typeEPSM_NS1_7vsmem_tEENKUlT_SK_SL_SM_E_clIPiSE_SF_SF_EESJ_SZ_SK_SL_SM_EUlSZ_E_NS1_11comp_targetILNS1_3genE10ELNS1_11target_archE1201ELNS1_3gpuE5ELNS1_3repE0EEENS1_48merge_mergepath_partition_config_static_selectorELNS0_4arch9wavefront6targetE0EEEvSL_,@function
_ZN7rocprim17ROCPRIM_400000_NS6detail17trampoline_kernelINS0_14default_configENS1_38merge_sort_block_merge_config_selectorIiNS0_10empty_typeEEEZZNS1_27merge_sort_block_merge_implIS3_N6thrust23THRUST_200600_302600_NS6detail15normal_iteratorINS9_10device_ptrIiEEEEPS5_jNS1_19radix_merge_compareILb0ELb0EiNS0_19identity_decomposerEEEEE10hipError_tT0_T1_T2_jT3_P12ihipStream_tbPNSt15iterator_traitsISK_E10value_typeEPNSQ_ISL_E10value_typeEPSM_NS1_7vsmem_tEENKUlT_SK_SL_SM_E_clIPiSE_SF_SF_EESJ_SZ_SK_SL_SM_EUlSZ_E_NS1_11comp_targetILNS1_3genE10ELNS1_11target_archE1201ELNS1_3gpuE5ELNS1_3repE0EEENS1_48merge_mergepath_partition_config_static_selectorELNS0_4arch9wavefront6targetE0EEEvSL_: ; @_ZN7rocprim17ROCPRIM_400000_NS6detail17trampoline_kernelINS0_14default_configENS1_38merge_sort_block_merge_config_selectorIiNS0_10empty_typeEEEZZNS1_27merge_sort_block_merge_implIS3_N6thrust23THRUST_200600_302600_NS6detail15normal_iteratorINS9_10device_ptrIiEEEEPS5_jNS1_19radix_merge_compareILb0ELb0EiNS0_19identity_decomposerEEEEE10hipError_tT0_T1_T2_jT3_P12ihipStream_tbPNSt15iterator_traitsISK_E10value_typeEPNSQ_ISL_E10value_typeEPSM_NS1_7vsmem_tEENKUlT_SK_SL_SM_E_clIPiSE_SF_SF_EESJ_SZ_SK_SL_SM_EUlSZ_E_NS1_11comp_targetILNS1_3genE10ELNS1_11target_archE1201ELNS1_3gpuE5ELNS1_3repE0EEENS1_48merge_mergepath_partition_config_static_selectorELNS0_4arch9wavefront6targetE0EEEvSL_
; %bb.0:
	.section	.rodata,"a",@progbits
	.p2align	6, 0x0
	.amdhsa_kernel _ZN7rocprim17ROCPRIM_400000_NS6detail17trampoline_kernelINS0_14default_configENS1_38merge_sort_block_merge_config_selectorIiNS0_10empty_typeEEEZZNS1_27merge_sort_block_merge_implIS3_N6thrust23THRUST_200600_302600_NS6detail15normal_iteratorINS9_10device_ptrIiEEEEPS5_jNS1_19radix_merge_compareILb0ELb0EiNS0_19identity_decomposerEEEEE10hipError_tT0_T1_T2_jT3_P12ihipStream_tbPNSt15iterator_traitsISK_E10value_typeEPNSQ_ISL_E10value_typeEPSM_NS1_7vsmem_tEENKUlT_SK_SL_SM_E_clIPiSE_SF_SF_EESJ_SZ_SK_SL_SM_EUlSZ_E_NS1_11comp_targetILNS1_3genE10ELNS1_11target_archE1201ELNS1_3gpuE5ELNS1_3repE0EEENS1_48merge_mergepath_partition_config_static_selectorELNS0_4arch9wavefront6targetE0EEEvSL_
		.amdhsa_group_segment_fixed_size 0
		.amdhsa_private_segment_fixed_size 0
		.amdhsa_kernarg_size 40
		.amdhsa_user_sgpr_count 6
		.amdhsa_user_sgpr_private_segment_buffer 1
		.amdhsa_user_sgpr_dispatch_ptr 0
		.amdhsa_user_sgpr_queue_ptr 0
		.amdhsa_user_sgpr_kernarg_segment_ptr 1
		.amdhsa_user_sgpr_dispatch_id 0
		.amdhsa_user_sgpr_flat_scratch_init 0
		.amdhsa_user_sgpr_private_segment_size 0
		.amdhsa_wavefront_size32 1
		.amdhsa_uses_dynamic_stack 0
		.amdhsa_system_sgpr_private_segment_wavefront_offset 0
		.amdhsa_system_sgpr_workgroup_id_x 1
		.amdhsa_system_sgpr_workgroup_id_y 0
		.amdhsa_system_sgpr_workgroup_id_z 0
		.amdhsa_system_sgpr_workgroup_info 0
		.amdhsa_system_vgpr_workitem_id 0
		.amdhsa_next_free_vgpr 1
		.amdhsa_next_free_sgpr 1
		.amdhsa_reserve_vcc 0
		.amdhsa_reserve_flat_scratch 0
		.amdhsa_float_round_mode_32 0
		.amdhsa_float_round_mode_16_64 0
		.amdhsa_float_denorm_mode_32 3
		.amdhsa_float_denorm_mode_16_64 3
		.amdhsa_dx10_clamp 1
		.amdhsa_ieee_mode 1
		.amdhsa_fp16_overflow 0
		.amdhsa_workgroup_processor_mode 1
		.amdhsa_memory_ordered 1
		.amdhsa_forward_progress 1
		.amdhsa_shared_vgpr_count 0
		.amdhsa_exception_fp_ieee_invalid_op 0
		.amdhsa_exception_fp_denorm_src 0
		.amdhsa_exception_fp_ieee_div_zero 0
		.amdhsa_exception_fp_ieee_overflow 0
		.amdhsa_exception_fp_ieee_underflow 0
		.amdhsa_exception_fp_ieee_inexact 0
		.amdhsa_exception_int_div_zero 0
	.end_amdhsa_kernel
	.section	.text._ZN7rocprim17ROCPRIM_400000_NS6detail17trampoline_kernelINS0_14default_configENS1_38merge_sort_block_merge_config_selectorIiNS0_10empty_typeEEEZZNS1_27merge_sort_block_merge_implIS3_N6thrust23THRUST_200600_302600_NS6detail15normal_iteratorINS9_10device_ptrIiEEEEPS5_jNS1_19radix_merge_compareILb0ELb0EiNS0_19identity_decomposerEEEEE10hipError_tT0_T1_T2_jT3_P12ihipStream_tbPNSt15iterator_traitsISK_E10value_typeEPNSQ_ISL_E10value_typeEPSM_NS1_7vsmem_tEENKUlT_SK_SL_SM_E_clIPiSE_SF_SF_EESJ_SZ_SK_SL_SM_EUlSZ_E_NS1_11comp_targetILNS1_3genE10ELNS1_11target_archE1201ELNS1_3gpuE5ELNS1_3repE0EEENS1_48merge_mergepath_partition_config_static_selectorELNS0_4arch9wavefront6targetE0EEEvSL_,"axG",@progbits,_ZN7rocprim17ROCPRIM_400000_NS6detail17trampoline_kernelINS0_14default_configENS1_38merge_sort_block_merge_config_selectorIiNS0_10empty_typeEEEZZNS1_27merge_sort_block_merge_implIS3_N6thrust23THRUST_200600_302600_NS6detail15normal_iteratorINS9_10device_ptrIiEEEEPS5_jNS1_19radix_merge_compareILb0ELb0EiNS0_19identity_decomposerEEEEE10hipError_tT0_T1_T2_jT3_P12ihipStream_tbPNSt15iterator_traitsISK_E10value_typeEPNSQ_ISL_E10value_typeEPSM_NS1_7vsmem_tEENKUlT_SK_SL_SM_E_clIPiSE_SF_SF_EESJ_SZ_SK_SL_SM_EUlSZ_E_NS1_11comp_targetILNS1_3genE10ELNS1_11target_archE1201ELNS1_3gpuE5ELNS1_3repE0EEENS1_48merge_mergepath_partition_config_static_selectorELNS0_4arch9wavefront6targetE0EEEvSL_,comdat
.Lfunc_end20:
	.size	_ZN7rocprim17ROCPRIM_400000_NS6detail17trampoline_kernelINS0_14default_configENS1_38merge_sort_block_merge_config_selectorIiNS0_10empty_typeEEEZZNS1_27merge_sort_block_merge_implIS3_N6thrust23THRUST_200600_302600_NS6detail15normal_iteratorINS9_10device_ptrIiEEEEPS5_jNS1_19radix_merge_compareILb0ELb0EiNS0_19identity_decomposerEEEEE10hipError_tT0_T1_T2_jT3_P12ihipStream_tbPNSt15iterator_traitsISK_E10value_typeEPNSQ_ISL_E10value_typeEPSM_NS1_7vsmem_tEENKUlT_SK_SL_SM_E_clIPiSE_SF_SF_EESJ_SZ_SK_SL_SM_EUlSZ_E_NS1_11comp_targetILNS1_3genE10ELNS1_11target_archE1201ELNS1_3gpuE5ELNS1_3repE0EEENS1_48merge_mergepath_partition_config_static_selectorELNS0_4arch9wavefront6targetE0EEEvSL_, .Lfunc_end20-_ZN7rocprim17ROCPRIM_400000_NS6detail17trampoline_kernelINS0_14default_configENS1_38merge_sort_block_merge_config_selectorIiNS0_10empty_typeEEEZZNS1_27merge_sort_block_merge_implIS3_N6thrust23THRUST_200600_302600_NS6detail15normal_iteratorINS9_10device_ptrIiEEEEPS5_jNS1_19radix_merge_compareILb0ELb0EiNS0_19identity_decomposerEEEEE10hipError_tT0_T1_T2_jT3_P12ihipStream_tbPNSt15iterator_traitsISK_E10value_typeEPNSQ_ISL_E10value_typeEPSM_NS1_7vsmem_tEENKUlT_SK_SL_SM_E_clIPiSE_SF_SF_EESJ_SZ_SK_SL_SM_EUlSZ_E_NS1_11comp_targetILNS1_3genE10ELNS1_11target_archE1201ELNS1_3gpuE5ELNS1_3repE0EEENS1_48merge_mergepath_partition_config_static_selectorELNS0_4arch9wavefront6targetE0EEEvSL_
                                        ; -- End function
	.set _ZN7rocprim17ROCPRIM_400000_NS6detail17trampoline_kernelINS0_14default_configENS1_38merge_sort_block_merge_config_selectorIiNS0_10empty_typeEEEZZNS1_27merge_sort_block_merge_implIS3_N6thrust23THRUST_200600_302600_NS6detail15normal_iteratorINS9_10device_ptrIiEEEEPS5_jNS1_19radix_merge_compareILb0ELb0EiNS0_19identity_decomposerEEEEE10hipError_tT0_T1_T2_jT3_P12ihipStream_tbPNSt15iterator_traitsISK_E10value_typeEPNSQ_ISL_E10value_typeEPSM_NS1_7vsmem_tEENKUlT_SK_SL_SM_E_clIPiSE_SF_SF_EESJ_SZ_SK_SL_SM_EUlSZ_E_NS1_11comp_targetILNS1_3genE10ELNS1_11target_archE1201ELNS1_3gpuE5ELNS1_3repE0EEENS1_48merge_mergepath_partition_config_static_selectorELNS0_4arch9wavefront6targetE0EEEvSL_.num_vgpr, 0
	.set _ZN7rocprim17ROCPRIM_400000_NS6detail17trampoline_kernelINS0_14default_configENS1_38merge_sort_block_merge_config_selectorIiNS0_10empty_typeEEEZZNS1_27merge_sort_block_merge_implIS3_N6thrust23THRUST_200600_302600_NS6detail15normal_iteratorINS9_10device_ptrIiEEEEPS5_jNS1_19radix_merge_compareILb0ELb0EiNS0_19identity_decomposerEEEEE10hipError_tT0_T1_T2_jT3_P12ihipStream_tbPNSt15iterator_traitsISK_E10value_typeEPNSQ_ISL_E10value_typeEPSM_NS1_7vsmem_tEENKUlT_SK_SL_SM_E_clIPiSE_SF_SF_EESJ_SZ_SK_SL_SM_EUlSZ_E_NS1_11comp_targetILNS1_3genE10ELNS1_11target_archE1201ELNS1_3gpuE5ELNS1_3repE0EEENS1_48merge_mergepath_partition_config_static_selectorELNS0_4arch9wavefront6targetE0EEEvSL_.num_agpr, 0
	.set _ZN7rocprim17ROCPRIM_400000_NS6detail17trampoline_kernelINS0_14default_configENS1_38merge_sort_block_merge_config_selectorIiNS0_10empty_typeEEEZZNS1_27merge_sort_block_merge_implIS3_N6thrust23THRUST_200600_302600_NS6detail15normal_iteratorINS9_10device_ptrIiEEEEPS5_jNS1_19radix_merge_compareILb0ELb0EiNS0_19identity_decomposerEEEEE10hipError_tT0_T1_T2_jT3_P12ihipStream_tbPNSt15iterator_traitsISK_E10value_typeEPNSQ_ISL_E10value_typeEPSM_NS1_7vsmem_tEENKUlT_SK_SL_SM_E_clIPiSE_SF_SF_EESJ_SZ_SK_SL_SM_EUlSZ_E_NS1_11comp_targetILNS1_3genE10ELNS1_11target_archE1201ELNS1_3gpuE5ELNS1_3repE0EEENS1_48merge_mergepath_partition_config_static_selectorELNS0_4arch9wavefront6targetE0EEEvSL_.numbered_sgpr, 0
	.set _ZN7rocprim17ROCPRIM_400000_NS6detail17trampoline_kernelINS0_14default_configENS1_38merge_sort_block_merge_config_selectorIiNS0_10empty_typeEEEZZNS1_27merge_sort_block_merge_implIS3_N6thrust23THRUST_200600_302600_NS6detail15normal_iteratorINS9_10device_ptrIiEEEEPS5_jNS1_19radix_merge_compareILb0ELb0EiNS0_19identity_decomposerEEEEE10hipError_tT0_T1_T2_jT3_P12ihipStream_tbPNSt15iterator_traitsISK_E10value_typeEPNSQ_ISL_E10value_typeEPSM_NS1_7vsmem_tEENKUlT_SK_SL_SM_E_clIPiSE_SF_SF_EESJ_SZ_SK_SL_SM_EUlSZ_E_NS1_11comp_targetILNS1_3genE10ELNS1_11target_archE1201ELNS1_3gpuE5ELNS1_3repE0EEENS1_48merge_mergepath_partition_config_static_selectorELNS0_4arch9wavefront6targetE0EEEvSL_.num_named_barrier, 0
	.set _ZN7rocprim17ROCPRIM_400000_NS6detail17trampoline_kernelINS0_14default_configENS1_38merge_sort_block_merge_config_selectorIiNS0_10empty_typeEEEZZNS1_27merge_sort_block_merge_implIS3_N6thrust23THRUST_200600_302600_NS6detail15normal_iteratorINS9_10device_ptrIiEEEEPS5_jNS1_19radix_merge_compareILb0ELb0EiNS0_19identity_decomposerEEEEE10hipError_tT0_T1_T2_jT3_P12ihipStream_tbPNSt15iterator_traitsISK_E10value_typeEPNSQ_ISL_E10value_typeEPSM_NS1_7vsmem_tEENKUlT_SK_SL_SM_E_clIPiSE_SF_SF_EESJ_SZ_SK_SL_SM_EUlSZ_E_NS1_11comp_targetILNS1_3genE10ELNS1_11target_archE1201ELNS1_3gpuE5ELNS1_3repE0EEENS1_48merge_mergepath_partition_config_static_selectorELNS0_4arch9wavefront6targetE0EEEvSL_.private_seg_size, 0
	.set _ZN7rocprim17ROCPRIM_400000_NS6detail17trampoline_kernelINS0_14default_configENS1_38merge_sort_block_merge_config_selectorIiNS0_10empty_typeEEEZZNS1_27merge_sort_block_merge_implIS3_N6thrust23THRUST_200600_302600_NS6detail15normal_iteratorINS9_10device_ptrIiEEEEPS5_jNS1_19radix_merge_compareILb0ELb0EiNS0_19identity_decomposerEEEEE10hipError_tT0_T1_T2_jT3_P12ihipStream_tbPNSt15iterator_traitsISK_E10value_typeEPNSQ_ISL_E10value_typeEPSM_NS1_7vsmem_tEENKUlT_SK_SL_SM_E_clIPiSE_SF_SF_EESJ_SZ_SK_SL_SM_EUlSZ_E_NS1_11comp_targetILNS1_3genE10ELNS1_11target_archE1201ELNS1_3gpuE5ELNS1_3repE0EEENS1_48merge_mergepath_partition_config_static_selectorELNS0_4arch9wavefront6targetE0EEEvSL_.uses_vcc, 0
	.set _ZN7rocprim17ROCPRIM_400000_NS6detail17trampoline_kernelINS0_14default_configENS1_38merge_sort_block_merge_config_selectorIiNS0_10empty_typeEEEZZNS1_27merge_sort_block_merge_implIS3_N6thrust23THRUST_200600_302600_NS6detail15normal_iteratorINS9_10device_ptrIiEEEEPS5_jNS1_19radix_merge_compareILb0ELb0EiNS0_19identity_decomposerEEEEE10hipError_tT0_T1_T2_jT3_P12ihipStream_tbPNSt15iterator_traitsISK_E10value_typeEPNSQ_ISL_E10value_typeEPSM_NS1_7vsmem_tEENKUlT_SK_SL_SM_E_clIPiSE_SF_SF_EESJ_SZ_SK_SL_SM_EUlSZ_E_NS1_11comp_targetILNS1_3genE10ELNS1_11target_archE1201ELNS1_3gpuE5ELNS1_3repE0EEENS1_48merge_mergepath_partition_config_static_selectorELNS0_4arch9wavefront6targetE0EEEvSL_.uses_flat_scratch, 0
	.set _ZN7rocprim17ROCPRIM_400000_NS6detail17trampoline_kernelINS0_14default_configENS1_38merge_sort_block_merge_config_selectorIiNS0_10empty_typeEEEZZNS1_27merge_sort_block_merge_implIS3_N6thrust23THRUST_200600_302600_NS6detail15normal_iteratorINS9_10device_ptrIiEEEEPS5_jNS1_19radix_merge_compareILb0ELb0EiNS0_19identity_decomposerEEEEE10hipError_tT0_T1_T2_jT3_P12ihipStream_tbPNSt15iterator_traitsISK_E10value_typeEPNSQ_ISL_E10value_typeEPSM_NS1_7vsmem_tEENKUlT_SK_SL_SM_E_clIPiSE_SF_SF_EESJ_SZ_SK_SL_SM_EUlSZ_E_NS1_11comp_targetILNS1_3genE10ELNS1_11target_archE1201ELNS1_3gpuE5ELNS1_3repE0EEENS1_48merge_mergepath_partition_config_static_selectorELNS0_4arch9wavefront6targetE0EEEvSL_.has_dyn_sized_stack, 0
	.set _ZN7rocprim17ROCPRIM_400000_NS6detail17trampoline_kernelINS0_14default_configENS1_38merge_sort_block_merge_config_selectorIiNS0_10empty_typeEEEZZNS1_27merge_sort_block_merge_implIS3_N6thrust23THRUST_200600_302600_NS6detail15normal_iteratorINS9_10device_ptrIiEEEEPS5_jNS1_19radix_merge_compareILb0ELb0EiNS0_19identity_decomposerEEEEE10hipError_tT0_T1_T2_jT3_P12ihipStream_tbPNSt15iterator_traitsISK_E10value_typeEPNSQ_ISL_E10value_typeEPSM_NS1_7vsmem_tEENKUlT_SK_SL_SM_E_clIPiSE_SF_SF_EESJ_SZ_SK_SL_SM_EUlSZ_E_NS1_11comp_targetILNS1_3genE10ELNS1_11target_archE1201ELNS1_3gpuE5ELNS1_3repE0EEENS1_48merge_mergepath_partition_config_static_selectorELNS0_4arch9wavefront6targetE0EEEvSL_.has_recursion, 0
	.set _ZN7rocprim17ROCPRIM_400000_NS6detail17trampoline_kernelINS0_14default_configENS1_38merge_sort_block_merge_config_selectorIiNS0_10empty_typeEEEZZNS1_27merge_sort_block_merge_implIS3_N6thrust23THRUST_200600_302600_NS6detail15normal_iteratorINS9_10device_ptrIiEEEEPS5_jNS1_19radix_merge_compareILb0ELb0EiNS0_19identity_decomposerEEEEE10hipError_tT0_T1_T2_jT3_P12ihipStream_tbPNSt15iterator_traitsISK_E10value_typeEPNSQ_ISL_E10value_typeEPSM_NS1_7vsmem_tEENKUlT_SK_SL_SM_E_clIPiSE_SF_SF_EESJ_SZ_SK_SL_SM_EUlSZ_E_NS1_11comp_targetILNS1_3genE10ELNS1_11target_archE1201ELNS1_3gpuE5ELNS1_3repE0EEENS1_48merge_mergepath_partition_config_static_selectorELNS0_4arch9wavefront6targetE0EEEvSL_.has_indirect_call, 0
	.section	.AMDGPU.csdata,"",@progbits
; Kernel info:
; codeLenInByte = 0
; TotalNumSgprs: 0
; NumVgprs: 0
; ScratchSize: 0
; MemoryBound: 0
; FloatMode: 240
; IeeeMode: 1
; LDSByteSize: 0 bytes/workgroup (compile time only)
; SGPRBlocks: 0
; VGPRBlocks: 0
; NumSGPRsForWavesPerEU: 1
; NumVGPRsForWavesPerEU: 1
; Occupancy: 16
; WaveLimiterHint : 0
; COMPUTE_PGM_RSRC2:SCRATCH_EN: 0
; COMPUTE_PGM_RSRC2:USER_SGPR: 6
; COMPUTE_PGM_RSRC2:TRAP_HANDLER: 0
; COMPUTE_PGM_RSRC2:TGID_X_EN: 1
; COMPUTE_PGM_RSRC2:TGID_Y_EN: 0
; COMPUTE_PGM_RSRC2:TGID_Z_EN: 0
; COMPUTE_PGM_RSRC2:TIDIG_COMP_CNT: 0
	.section	.text._ZN7rocprim17ROCPRIM_400000_NS6detail17trampoline_kernelINS0_14default_configENS1_38merge_sort_block_merge_config_selectorIiNS0_10empty_typeEEEZZNS1_27merge_sort_block_merge_implIS3_N6thrust23THRUST_200600_302600_NS6detail15normal_iteratorINS9_10device_ptrIiEEEEPS5_jNS1_19radix_merge_compareILb0ELb0EiNS0_19identity_decomposerEEEEE10hipError_tT0_T1_T2_jT3_P12ihipStream_tbPNSt15iterator_traitsISK_E10value_typeEPNSQ_ISL_E10value_typeEPSM_NS1_7vsmem_tEENKUlT_SK_SL_SM_E_clIPiSE_SF_SF_EESJ_SZ_SK_SL_SM_EUlSZ_E_NS1_11comp_targetILNS1_3genE5ELNS1_11target_archE942ELNS1_3gpuE9ELNS1_3repE0EEENS1_48merge_mergepath_partition_config_static_selectorELNS0_4arch9wavefront6targetE0EEEvSL_,"axG",@progbits,_ZN7rocprim17ROCPRIM_400000_NS6detail17trampoline_kernelINS0_14default_configENS1_38merge_sort_block_merge_config_selectorIiNS0_10empty_typeEEEZZNS1_27merge_sort_block_merge_implIS3_N6thrust23THRUST_200600_302600_NS6detail15normal_iteratorINS9_10device_ptrIiEEEEPS5_jNS1_19radix_merge_compareILb0ELb0EiNS0_19identity_decomposerEEEEE10hipError_tT0_T1_T2_jT3_P12ihipStream_tbPNSt15iterator_traitsISK_E10value_typeEPNSQ_ISL_E10value_typeEPSM_NS1_7vsmem_tEENKUlT_SK_SL_SM_E_clIPiSE_SF_SF_EESJ_SZ_SK_SL_SM_EUlSZ_E_NS1_11comp_targetILNS1_3genE5ELNS1_11target_archE942ELNS1_3gpuE9ELNS1_3repE0EEENS1_48merge_mergepath_partition_config_static_selectorELNS0_4arch9wavefront6targetE0EEEvSL_,comdat
	.protected	_ZN7rocprim17ROCPRIM_400000_NS6detail17trampoline_kernelINS0_14default_configENS1_38merge_sort_block_merge_config_selectorIiNS0_10empty_typeEEEZZNS1_27merge_sort_block_merge_implIS3_N6thrust23THRUST_200600_302600_NS6detail15normal_iteratorINS9_10device_ptrIiEEEEPS5_jNS1_19radix_merge_compareILb0ELb0EiNS0_19identity_decomposerEEEEE10hipError_tT0_T1_T2_jT3_P12ihipStream_tbPNSt15iterator_traitsISK_E10value_typeEPNSQ_ISL_E10value_typeEPSM_NS1_7vsmem_tEENKUlT_SK_SL_SM_E_clIPiSE_SF_SF_EESJ_SZ_SK_SL_SM_EUlSZ_E_NS1_11comp_targetILNS1_3genE5ELNS1_11target_archE942ELNS1_3gpuE9ELNS1_3repE0EEENS1_48merge_mergepath_partition_config_static_selectorELNS0_4arch9wavefront6targetE0EEEvSL_ ; -- Begin function _ZN7rocprim17ROCPRIM_400000_NS6detail17trampoline_kernelINS0_14default_configENS1_38merge_sort_block_merge_config_selectorIiNS0_10empty_typeEEEZZNS1_27merge_sort_block_merge_implIS3_N6thrust23THRUST_200600_302600_NS6detail15normal_iteratorINS9_10device_ptrIiEEEEPS5_jNS1_19radix_merge_compareILb0ELb0EiNS0_19identity_decomposerEEEEE10hipError_tT0_T1_T2_jT3_P12ihipStream_tbPNSt15iterator_traitsISK_E10value_typeEPNSQ_ISL_E10value_typeEPSM_NS1_7vsmem_tEENKUlT_SK_SL_SM_E_clIPiSE_SF_SF_EESJ_SZ_SK_SL_SM_EUlSZ_E_NS1_11comp_targetILNS1_3genE5ELNS1_11target_archE942ELNS1_3gpuE9ELNS1_3repE0EEENS1_48merge_mergepath_partition_config_static_selectorELNS0_4arch9wavefront6targetE0EEEvSL_
	.globl	_ZN7rocprim17ROCPRIM_400000_NS6detail17trampoline_kernelINS0_14default_configENS1_38merge_sort_block_merge_config_selectorIiNS0_10empty_typeEEEZZNS1_27merge_sort_block_merge_implIS3_N6thrust23THRUST_200600_302600_NS6detail15normal_iteratorINS9_10device_ptrIiEEEEPS5_jNS1_19radix_merge_compareILb0ELb0EiNS0_19identity_decomposerEEEEE10hipError_tT0_T1_T2_jT3_P12ihipStream_tbPNSt15iterator_traitsISK_E10value_typeEPNSQ_ISL_E10value_typeEPSM_NS1_7vsmem_tEENKUlT_SK_SL_SM_E_clIPiSE_SF_SF_EESJ_SZ_SK_SL_SM_EUlSZ_E_NS1_11comp_targetILNS1_3genE5ELNS1_11target_archE942ELNS1_3gpuE9ELNS1_3repE0EEENS1_48merge_mergepath_partition_config_static_selectorELNS0_4arch9wavefront6targetE0EEEvSL_
	.p2align	8
	.type	_ZN7rocprim17ROCPRIM_400000_NS6detail17trampoline_kernelINS0_14default_configENS1_38merge_sort_block_merge_config_selectorIiNS0_10empty_typeEEEZZNS1_27merge_sort_block_merge_implIS3_N6thrust23THRUST_200600_302600_NS6detail15normal_iteratorINS9_10device_ptrIiEEEEPS5_jNS1_19radix_merge_compareILb0ELb0EiNS0_19identity_decomposerEEEEE10hipError_tT0_T1_T2_jT3_P12ihipStream_tbPNSt15iterator_traitsISK_E10value_typeEPNSQ_ISL_E10value_typeEPSM_NS1_7vsmem_tEENKUlT_SK_SL_SM_E_clIPiSE_SF_SF_EESJ_SZ_SK_SL_SM_EUlSZ_E_NS1_11comp_targetILNS1_3genE5ELNS1_11target_archE942ELNS1_3gpuE9ELNS1_3repE0EEENS1_48merge_mergepath_partition_config_static_selectorELNS0_4arch9wavefront6targetE0EEEvSL_,@function
_ZN7rocprim17ROCPRIM_400000_NS6detail17trampoline_kernelINS0_14default_configENS1_38merge_sort_block_merge_config_selectorIiNS0_10empty_typeEEEZZNS1_27merge_sort_block_merge_implIS3_N6thrust23THRUST_200600_302600_NS6detail15normal_iteratorINS9_10device_ptrIiEEEEPS5_jNS1_19radix_merge_compareILb0ELb0EiNS0_19identity_decomposerEEEEE10hipError_tT0_T1_T2_jT3_P12ihipStream_tbPNSt15iterator_traitsISK_E10value_typeEPNSQ_ISL_E10value_typeEPSM_NS1_7vsmem_tEENKUlT_SK_SL_SM_E_clIPiSE_SF_SF_EESJ_SZ_SK_SL_SM_EUlSZ_E_NS1_11comp_targetILNS1_3genE5ELNS1_11target_archE942ELNS1_3gpuE9ELNS1_3repE0EEENS1_48merge_mergepath_partition_config_static_selectorELNS0_4arch9wavefront6targetE0EEEvSL_: ; @_ZN7rocprim17ROCPRIM_400000_NS6detail17trampoline_kernelINS0_14default_configENS1_38merge_sort_block_merge_config_selectorIiNS0_10empty_typeEEEZZNS1_27merge_sort_block_merge_implIS3_N6thrust23THRUST_200600_302600_NS6detail15normal_iteratorINS9_10device_ptrIiEEEEPS5_jNS1_19radix_merge_compareILb0ELb0EiNS0_19identity_decomposerEEEEE10hipError_tT0_T1_T2_jT3_P12ihipStream_tbPNSt15iterator_traitsISK_E10value_typeEPNSQ_ISL_E10value_typeEPSM_NS1_7vsmem_tEENKUlT_SK_SL_SM_E_clIPiSE_SF_SF_EESJ_SZ_SK_SL_SM_EUlSZ_E_NS1_11comp_targetILNS1_3genE5ELNS1_11target_archE942ELNS1_3gpuE9ELNS1_3repE0EEENS1_48merge_mergepath_partition_config_static_selectorELNS0_4arch9wavefront6targetE0EEEvSL_
; %bb.0:
	.section	.rodata,"a",@progbits
	.p2align	6, 0x0
	.amdhsa_kernel _ZN7rocprim17ROCPRIM_400000_NS6detail17trampoline_kernelINS0_14default_configENS1_38merge_sort_block_merge_config_selectorIiNS0_10empty_typeEEEZZNS1_27merge_sort_block_merge_implIS3_N6thrust23THRUST_200600_302600_NS6detail15normal_iteratorINS9_10device_ptrIiEEEEPS5_jNS1_19radix_merge_compareILb0ELb0EiNS0_19identity_decomposerEEEEE10hipError_tT0_T1_T2_jT3_P12ihipStream_tbPNSt15iterator_traitsISK_E10value_typeEPNSQ_ISL_E10value_typeEPSM_NS1_7vsmem_tEENKUlT_SK_SL_SM_E_clIPiSE_SF_SF_EESJ_SZ_SK_SL_SM_EUlSZ_E_NS1_11comp_targetILNS1_3genE5ELNS1_11target_archE942ELNS1_3gpuE9ELNS1_3repE0EEENS1_48merge_mergepath_partition_config_static_selectorELNS0_4arch9wavefront6targetE0EEEvSL_
		.amdhsa_group_segment_fixed_size 0
		.amdhsa_private_segment_fixed_size 0
		.amdhsa_kernarg_size 40
		.amdhsa_user_sgpr_count 6
		.amdhsa_user_sgpr_private_segment_buffer 1
		.amdhsa_user_sgpr_dispatch_ptr 0
		.amdhsa_user_sgpr_queue_ptr 0
		.amdhsa_user_sgpr_kernarg_segment_ptr 1
		.amdhsa_user_sgpr_dispatch_id 0
		.amdhsa_user_sgpr_flat_scratch_init 0
		.amdhsa_user_sgpr_private_segment_size 0
		.amdhsa_wavefront_size32 1
		.amdhsa_uses_dynamic_stack 0
		.amdhsa_system_sgpr_private_segment_wavefront_offset 0
		.amdhsa_system_sgpr_workgroup_id_x 1
		.amdhsa_system_sgpr_workgroup_id_y 0
		.amdhsa_system_sgpr_workgroup_id_z 0
		.amdhsa_system_sgpr_workgroup_info 0
		.amdhsa_system_vgpr_workitem_id 0
		.amdhsa_next_free_vgpr 1
		.amdhsa_next_free_sgpr 1
		.amdhsa_reserve_vcc 0
		.amdhsa_reserve_flat_scratch 0
		.amdhsa_float_round_mode_32 0
		.amdhsa_float_round_mode_16_64 0
		.amdhsa_float_denorm_mode_32 3
		.amdhsa_float_denorm_mode_16_64 3
		.amdhsa_dx10_clamp 1
		.amdhsa_ieee_mode 1
		.amdhsa_fp16_overflow 0
		.amdhsa_workgroup_processor_mode 1
		.amdhsa_memory_ordered 1
		.amdhsa_forward_progress 1
		.amdhsa_shared_vgpr_count 0
		.amdhsa_exception_fp_ieee_invalid_op 0
		.amdhsa_exception_fp_denorm_src 0
		.amdhsa_exception_fp_ieee_div_zero 0
		.amdhsa_exception_fp_ieee_overflow 0
		.amdhsa_exception_fp_ieee_underflow 0
		.amdhsa_exception_fp_ieee_inexact 0
		.amdhsa_exception_int_div_zero 0
	.end_amdhsa_kernel
	.section	.text._ZN7rocprim17ROCPRIM_400000_NS6detail17trampoline_kernelINS0_14default_configENS1_38merge_sort_block_merge_config_selectorIiNS0_10empty_typeEEEZZNS1_27merge_sort_block_merge_implIS3_N6thrust23THRUST_200600_302600_NS6detail15normal_iteratorINS9_10device_ptrIiEEEEPS5_jNS1_19radix_merge_compareILb0ELb0EiNS0_19identity_decomposerEEEEE10hipError_tT0_T1_T2_jT3_P12ihipStream_tbPNSt15iterator_traitsISK_E10value_typeEPNSQ_ISL_E10value_typeEPSM_NS1_7vsmem_tEENKUlT_SK_SL_SM_E_clIPiSE_SF_SF_EESJ_SZ_SK_SL_SM_EUlSZ_E_NS1_11comp_targetILNS1_3genE5ELNS1_11target_archE942ELNS1_3gpuE9ELNS1_3repE0EEENS1_48merge_mergepath_partition_config_static_selectorELNS0_4arch9wavefront6targetE0EEEvSL_,"axG",@progbits,_ZN7rocprim17ROCPRIM_400000_NS6detail17trampoline_kernelINS0_14default_configENS1_38merge_sort_block_merge_config_selectorIiNS0_10empty_typeEEEZZNS1_27merge_sort_block_merge_implIS3_N6thrust23THRUST_200600_302600_NS6detail15normal_iteratorINS9_10device_ptrIiEEEEPS5_jNS1_19radix_merge_compareILb0ELb0EiNS0_19identity_decomposerEEEEE10hipError_tT0_T1_T2_jT3_P12ihipStream_tbPNSt15iterator_traitsISK_E10value_typeEPNSQ_ISL_E10value_typeEPSM_NS1_7vsmem_tEENKUlT_SK_SL_SM_E_clIPiSE_SF_SF_EESJ_SZ_SK_SL_SM_EUlSZ_E_NS1_11comp_targetILNS1_3genE5ELNS1_11target_archE942ELNS1_3gpuE9ELNS1_3repE0EEENS1_48merge_mergepath_partition_config_static_selectorELNS0_4arch9wavefront6targetE0EEEvSL_,comdat
.Lfunc_end21:
	.size	_ZN7rocprim17ROCPRIM_400000_NS6detail17trampoline_kernelINS0_14default_configENS1_38merge_sort_block_merge_config_selectorIiNS0_10empty_typeEEEZZNS1_27merge_sort_block_merge_implIS3_N6thrust23THRUST_200600_302600_NS6detail15normal_iteratorINS9_10device_ptrIiEEEEPS5_jNS1_19radix_merge_compareILb0ELb0EiNS0_19identity_decomposerEEEEE10hipError_tT0_T1_T2_jT3_P12ihipStream_tbPNSt15iterator_traitsISK_E10value_typeEPNSQ_ISL_E10value_typeEPSM_NS1_7vsmem_tEENKUlT_SK_SL_SM_E_clIPiSE_SF_SF_EESJ_SZ_SK_SL_SM_EUlSZ_E_NS1_11comp_targetILNS1_3genE5ELNS1_11target_archE942ELNS1_3gpuE9ELNS1_3repE0EEENS1_48merge_mergepath_partition_config_static_selectorELNS0_4arch9wavefront6targetE0EEEvSL_, .Lfunc_end21-_ZN7rocprim17ROCPRIM_400000_NS6detail17trampoline_kernelINS0_14default_configENS1_38merge_sort_block_merge_config_selectorIiNS0_10empty_typeEEEZZNS1_27merge_sort_block_merge_implIS3_N6thrust23THRUST_200600_302600_NS6detail15normal_iteratorINS9_10device_ptrIiEEEEPS5_jNS1_19radix_merge_compareILb0ELb0EiNS0_19identity_decomposerEEEEE10hipError_tT0_T1_T2_jT3_P12ihipStream_tbPNSt15iterator_traitsISK_E10value_typeEPNSQ_ISL_E10value_typeEPSM_NS1_7vsmem_tEENKUlT_SK_SL_SM_E_clIPiSE_SF_SF_EESJ_SZ_SK_SL_SM_EUlSZ_E_NS1_11comp_targetILNS1_3genE5ELNS1_11target_archE942ELNS1_3gpuE9ELNS1_3repE0EEENS1_48merge_mergepath_partition_config_static_selectorELNS0_4arch9wavefront6targetE0EEEvSL_
                                        ; -- End function
	.set _ZN7rocprim17ROCPRIM_400000_NS6detail17trampoline_kernelINS0_14default_configENS1_38merge_sort_block_merge_config_selectorIiNS0_10empty_typeEEEZZNS1_27merge_sort_block_merge_implIS3_N6thrust23THRUST_200600_302600_NS6detail15normal_iteratorINS9_10device_ptrIiEEEEPS5_jNS1_19radix_merge_compareILb0ELb0EiNS0_19identity_decomposerEEEEE10hipError_tT0_T1_T2_jT3_P12ihipStream_tbPNSt15iterator_traitsISK_E10value_typeEPNSQ_ISL_E10value_typeEPSM_NS1_7vsmem_tEENKUlT_SK_SL_SM_E_clIPiSE_SF_SF_EESJ_SZ_SK_SL_SM_EUlSZ_E_NS1_11comp_targetILNS1_3genE5ELNS1_11target_archE942ELNS1_3gpuE9ELNS1_3repE0EEENS1_48merge_mergepath_partition_config_static_selectorELNS0_4arch9wavefront6targetE0EEEvSL_.num_vgpr, 0
	.set _ZN7rocprim17ROCPRIM_400000_NS6detail17trampoline_kernelINS0_14default_configENS1_38merge_sort_block_merge_config_selectorIiNS0_10empty_typeEEEZZNS1_27merge_sort_block_merge_implIS3_N6thrust23THRUST_200600_302600_NS6detail15normal_iteratorINS9_10device_ptrIiEEEEPS5_jNS1_19radix_merge_compareILb0ELb0EiNS0_19identity_decomposerEEEEE10hipError_tT0_T1_T2_jT3_P12ihipStream_tbPNSt15iterator_traitsISK_E10value_typeEPNSQ_ISL_E10value_typeEPSM_NS1_7vsmem_tEENKUlT_SK_SL_SM_E_clIPiSE_SF_SF_EESJ_SZ_SK_SL_SM_EUlSZ_E_NS1_11comp_targetILNS1_3genE5ELNS1_11target_archE942ELNS1_3gpuE9ELNS1_3repE0EEENS1_48merge_mergepath_partition_config_static_selectorELNS0_4arch9wavefront6targetE0EEEvSL_.num_agpr, 0
	.set _ZN7rocprim17ROCPRIM_400000_NS6detail17trampoline_kernelINS0_14default_configENS1_38merge_sort_block_merge_config_selectorIiNS0_10empty_typeEEEZZNS1_27merge_sort_block_merge_implIS3_N6thrust23THRUST_200600_302600_NS6detail15normal_iteratorINS9_10device_ptrIiEEEEPS5_jNS1_19radix_merge_compareILb0ELb0EiNS0_19identity_decomposerEEEEE10hipError_tT0_T1_T2_jT3_P12ihipStream_tbPNSt15iterator_traitsISK_E10value_typeEPNSQ_ISL_E10value_typeEPSM_NS1_7vsmem_tEENKUlT_SK_SL_SM_E_clIPiSE_SF_SF_EESJ_SZ_SK_SL_SM_EUlSZ_E_NS1_11comp_targetILNS1_3genE5ELNS1_11target_archE942ELNS1_3gpuE9ELNS1_3repE0EEENS1_48merge_mergepath_partition_config_static_selectorELNS0_4arch9wavefront6targetE0EEEvSL_.numbered_sgpr, 0
	.set _ZN7rocprim17ROCPRIM_400000_NS6detail17trampoline_kernelINS0_14default_configENS1_38merge_sort_block_merge_config_selectorIiNS0_10empty_typeEEEZZNS1_27merge_sort_block_merge_implIS3_N6thrust23THRUST_200600_302600_NS6detail15normal_iteratorINS9_10device_ptrIiEEEEPS5_jNS1_19radix_merge_compareILb0ELb0EiNS0_19identity_decomposerEEEEE10hipError_tT0_T1_T2_jT3_P12ihipStream_tbPNSt15iterator_traitsISK_E10value_typeEPNSQ_ISL_E10value_typeEPSM_NS1_7vsmem_tEENKUlT_SK_SL_SM_E_clIPiSE_SF_SF_EESJ_SZ_SK_SL_SM_EUlSZ_E_NS1_11comp_targetILNS1_3genE5ELNS1_11target_archE942ELNS1_3gpuE9ELNS1_3repE0EEENS1_48merge_mergepath_partition_config_static_selectorELNS0_4arch9wavefront6targetE0EEEvSL_.num_named_barrier, 0
	.set _ZN7rocprim17ROCPRIM_400000_NS6detail17trampoline_kernelINS0_14default_configENS1_38merge_sort_block_merge_config_selectorIiNS0_10empty_typeEEEZZNS1_27merge_sort_block_merge_implIS3_N6thrust23THRUST_200600_302600_NS6detail15normal_iteratorINS9_10device_ptrIiEEEEPS5_jNS1_19radix_merge_compareILb0ELb0EiNS0_19identity_decomposerEEEEE10hipError_tT0_T1_T2_jT3_P12ihipStream_tbPNSt15iterator_traitsISK_E10value_typeEPNSQ_ISL_E10value_typeEPSM_NS1_7vsmem_tEENKUlT_SK_SL_SM_E_clIPiSE_SF_SF_EESJ_SZ_SK_SL_SM_EUlSZ_E_NS1_11comp_targetILNS1_3genE5ELNS1_11target_archE942ELNS1_3gpuE9ELNS1_3repE0EEENS1_48merge_mergepath_partition_config_static_selectorELNS0_4arch9wavefront6targetE0EEEvSL_.private_seg_size, 0
	.set _ZN7rocprim17ROCPRIM_400000_NS6detail17trampoline_kernelINS0_14default_configENS1_38merge_sort_block_merge_config_selectorIiNS0_10empty_typeEEEZZNS1_27merge_sort_block_merge_implIS3_N6thrust23THRUST_200600_302600_NS6detail15normal_iteratorINS9_10device_ptrIiEEEEPS5_jNS1_19radix_merge_compareILb0ELb0EiNS0_19identity_decomposerEEEEE10hipError_tT0_T1_T2_jT3_P12ihipStream_tbPNSt15iterator_traitsISK_E10value_typeEPNSQ_ISL_E10value_typeEPSM_NS1_7vsmem_tEENKUlT_SK_SL_SM_E_clIPiSE_SF_SF_EESJ_SZ_SK_SL_SM_EUlSZ_E_NS1_11comp_targetILNS1_3genE5ELNS1_11target_archE942ELNS1_3gpuE9ELNS1_3repE0EEENS1_48merge_mergepath_partition_config_static_selectorELNS0_4arch9wavefront6targetE0EEEvSL_.uses_vcc, 0
	.set _ZN7rocprim17ROCPRIM_400000_NS6detail17trampoline_kernelINS0_14default_configENS1_38merge_sort_block_merge_config_selectorIiNS0_10empty_typeEEEZZNS1_27merge_sort_block_merge_implIS3_N6thrust23THRUST_200600_302600_NS6detail15normal_iteratorINS9_10device_ptrIiEEEEPS5_jNS1_19radix_merge_compareILb0ELb0EiNS0_19identity_decomposerEEEEE10hipError_tT0_T1_T2_jT3_P12ihipStream_tbPNSt15iterator_traitsISK_E10value_typeEPNSQ_ISL_E10value_typeEPSM_NS1_7vsmem_tEENKUlT_SK_SL_SM_E_clIPiSE_SF_SF_EESJ_SZ_SK_SL_SM_EUlSZ_E_NS1_11comp_targetILNS1_3genE5ELNS1_11target_archE942ELNS1_3gpuE9ELNS1_3repE0EEENS1_48merge_mergepath_partition_config_static_selectorELNS0_4arch9wavefront6targetE0EEEvSL_.uses_flat_scratch, 0
	.set _ZN7rocprim17ROCPRIM_400000_NS6detail17trampoline_kernelINS0_14default_configENS1_38merge_sort_block_merge_config_selectorIiNS0_10empty_typeEEEZZNS1_27merge_sort_block_merge_implIS3_N6thrust23THRUST_200600_302600_NS6detail15normal_iteratorINS9_10device_ptrIiEEEEPS5_jNS1_19radix_merge_compareILb0ELb0EiNS0_19identity_decomposerEEEEE10hipError_tT0_T1_T2_jT3_P12ihipStream_tbPNSt15iterator_traitsISK_E10value_typeEPNSQ_ISL_E10value_typeEPSM_NS1_7vsmem_tEENKUlT_SK_SL_SM_E_clIPiSE_SF_SF_EESJ_SZ_SK_SL_SM_EUlSZ_E_NS1_11comp_targetILNS1_3genE5ELNS1_11target_archE942ELNS1_3gpuE9ELNS1_3repE0EEENS1_48merge_mergepath_partition_config_static_selectorELNS0_4arch9wavefront6targetE0EEEvSL_.has_dyn_sized_stack, 0
	.set _ZN7rocprim17ROCPRIM_400000_NS6detail17trampoline_kernelINS0_14default_configENS1_38merge_sort_block_merge_config_selectorIiNS0_10empty_typeEEEZZNS1_27merge_sort_block_merge_implIS3_N6thrust23THRUST_200600_302600_NS6detail15normal_iteratorINS9_10device_ptrIiEEEEPS5_jNS1_19radix_merge_compareILb0ELb0EiNS0_19identity_decomposerEEEEE10hipError_tT0_T1_T2_jT3_P12ihipStream_tbPNSt15iterator_traitsISK_E10value_typeEPNSQ_ISL_E10value_typeEPSM_NS1_7vsmem_tEENKUlT_SK_SL_SM_E_clIPiSE_SF_SF_EESJ_SZ_SK_SL_SM_EUlSZ_E_NS1_11comp_targetILNS1_3genE5ELNS1_11target_archE942ELNS1_3gpuE9ELNS1_3repE0EEENS1_48merge_mergepath_partition_config_static_selectorELNS0_4arch9wavefront6targetE0EEEvSL_.has_recursion, 0
	.set _ZN7rocprim17ROCPRIM_400000_NS6detail17trampoline_kernelINS0_14default_configENS1_38merge_sort_block_merge_config_selectorIiNS0_10empty_typeEEEZZNS1_27merge_sort_block_merge_implIS3_N6thrust23THRUST_200600_302600_NS6detail15normal_iteratorINS9_10device_ptrIiEEEEPS5_jNS1_19radix_merge_compareILb0ELb0EiNS0_19identity_decomposerEEEEE10hipError_tT0_T1_T2_jT3_P12ihipStream_tbPNSt15iterator_traitsISK_E10value_typeEPNSQ_ISL_E10value_typeEPSM_NS1_7vsmem_tEENKUlT_SK_SL_SM_E_clIPiSE_SF_SF_EESJ_SZ_SK_SL_SM_EUlSZ_E_NS1_11comp_targetILNS1_3genE5ELNS1_11target_archE942ELNS1_3gpuE9ELNS1_3repE0EEENS1_48merge_mergepath_partition_config_static_selectorELNS0_4arch9wavefront6targetE0EEEvSL_.has_indirect_call, 0
	.section	.AMDGPU.csdata,"",@progbits
; Kernel info:
; codeLenInByte = 0
; TotalNumSgprs: 0
; NumVgprs: 0
; ScratchSize: 0
; MemoryBound: 0
; FloatMode: 240
; IeeeMode: 1
; LDSByteSize: 0 bytes/workgroup (compile time only)
; SGPRBlocks: 0
; VGPRBlocks: 0
; NumSGPRsForWavesPerEU: 1
; NumVGPRsForWavesPerEU: 1
; Occupancy: 16
; WaveLimiterHint : 0
; COMPUTE_PGM_RSRC2:SCRATCH_EN: 0
; COMPUTE_PGM_RSRC2:USER_SGPR: 6
; COMPUTE_PGM_RSRC2:TRAP_HANDLER: 0
; COMPUTE_PGM_RSRC2:TGID_X_EN: 1
; COMPUTE_PGM_RSRC2:TGID_Y_EN: 0
; COMPUTE_PGM_RSRC2:TGID_Z_EN: 0
; COMPUTE_PGM_RSRC2:TIDIG_COMP_CNT: 0
	.section	.text._ZN7rocprim17ROCPRIM_400000_NS6detail17trampoline_kernelINS0_14default_configENS1_38merge_sort_block_merge_config_selectorIiNS0_10empty_typeEEEZZNS1_27merge_sort_block_merge_implIS3_N6thrust23THRUST_200600_302600_NS6detail15normal_iteratorINS9_10device_ptrIiEEEEPS5_jNS1_19radix_merge_compareILb0ELb0EiNS0_19identity_decomposerEEEEE10hipError_tT0_T1_T2_jT3_P12ihipStream_tbPNSt15iterator_traitsISK_E10value_typeEPNSQ_ISL_E10value_typeEPSM_NS1_7vsmem_tEENKUlT_SK_SL_SM_E_clIPiSE_SF_SF_EESJ_SZ_SK_SL_SM_EUlSZ_E_NS1_11comp_targetILNS1_3genE4ELNS1_11target_archE910ELNS1_3gpuE8ELNS1_3repE0EEENS1_48merge_mergepath_partition_config_static_selectorELNS0_4arch9wavefront6targetE0EEEvSL_,"axG",@progbits,_ZN7rocprim17ROCPRIM_400000_NS6detail17trampoline_kernelINS0_14default_configENS1_38merge_sort_block_merge_config_selectorIiNS0_10empty_typeEEEZZNS1_27merge_sort_block_merge_implIS3_N6thrust23THRUST_200600_302600_NS6detail15normal_iteratorINS9_10device_ptrIiEEEEPS5_jNS1_19radix_merge_compareILb0ELb0EiNS0_19identity_decomposerEEEEE10hipError_tT0_T1_T2_jT3_P12ihipStream_tbPNSt15iterator_traitsISK_E10value_typeEPNSQ_ISL_E10value_typeEPSM_NS1_7vsmem_tEENKUlT_SK_SL_SM_E_clIPiSE_SF_SF_EESJ_SZ_SK_SL_SM_EUlSZ_E_NS1_11comp_targetILNS1_3genE4ELNS1_11target_archE910ELNS1_3gpuE8ELNS1_3repE0EEENS1_48merge_mergepath_partition_config_static_selectorELNS0_4arch9wavefront6targetE0EEEvSL_,comdat
	.protected	_ZN7rocprim17ROCPRIM_400000_NS6detail17trampoline_kernelINS0_14default_configENS1_38merge_sort_block_merge_config_selectorIiNS0_10empty_typeEEEZZNS1_27merge_sort_block_merge_implIS3_N6thrust23THRUST_200600_302600_NS6detail15normal_iteratorINS9_10device_ptrIiEEEEPS5_jNS1_19radix_merge_compareILb0ELb0EiNS0_19identity_decomposerEEEEE10hipError_tT0_T1_T2_jT3_P12ihipStream_tbPNSt15iterator_traitsISK_E10value_typeEPNSQ_ISL_E10value_typeEPSM_NS1_7vsmem_tEENKUlT_SK_SL_SM_E_clIPiSE_SF_SF_EESJ_SZ_SK_SL_SM_EUlSZ_E_NS1_11comp_targetILNS1_3genE4ELNS1_11target_archE910ELNS1_3gpuE8ELNS1_3repE0EEENS1_48merge_mergepath_partition_config_static_selectorELNS0_4arch9wavefront6targetE0EEEvSL_ ; -- Begin function _ZN7rocprim17ROCPRIM_400000_NS6detail17trampoline_kernelINS0_14default_configENS1_38merge_sort_block_merge_config_selectorIiNS0_10empty_typeEEEZZNS1_27merge_sort_block_merge_implIS3_N6thrust23THRUST_200600_302600_NS6detail15normal_iteratorINS9_10device_ptrIiEEEEPS5_jNS1_19radix_merge_compareILb0ELb0EiNS0_19identity_decomposerEEEEE10hipError_tT0_T1_T2_jT3_P12ihipStream_tbPNSt15iterator_traitsISK_E10value_typeEPNSQ_ISL_E10value_typeEPSM_NS1_7vsmem_tEENKUlT_SK_SL_SM_E_clIPiSE_SF_SF_EESJ_SZ_SK_SL_SM_EUlSZ_E_NS1_11comp_targetILNS1_3genE4ELNS1_11target_archE910ELNS1_3gpuE8ELNS1_3repE0EEENS1_48merge_mergepath_partition_config_static_selectorELNS0_4arch9wavefront6targetE0EEEvSL_
	.globl	_ZN7rocprim17ROCPRIM_400000_NS6detail17trampoline_kernelINS0_14default_configENS1_38merge_sort_block_merge_config_selectorIiNS0_10empty_typeEEEZZNS1_27merge_sort_block_merge_implIS3_N6thrust23THRUST_200600_302600_NS6detail15normal_iteratorINS9_10device_ptrIiEEEEPS5_jNS1_19radix_merge_compareILb0ELb0EiNS0_19identity_decomposerEEEEE10hipError_tT0_T1_T2_jT3_P12ihipStream_tbPNSt15iterator_traitsISK_E10value_typeEPNSQ_ISL_E10value_typeEPSM_NS1_7vsmem_tEENKUlT_SK_SL_SM_E_clIPiSE_SF_SF_EESJ_SZ_SK_SL_SM_EUlSZ_E_NS1_11comp_targetILNS1_3genE4ELNS1_11target_archE910ELNS1_3gpuE8ELNS1_3repE0EEENS1_48merge_mergepath_partition_config_static_selectorELNS0_4arch9wavefront6targetE0EEEvSL_
	.p2align	8
	.type	_ZN7rocprim17ROCPRIM_400000_NS6detail17trampoline_kernelINS0_14default_configENS1_38merge_sort_block_merge_config_selectorIiNS0_10empty_typeEEEZZNS1_27merge_sort_block_merge_implIS3_N6thrust23THRUST_200600_302600_NS6detail15normal_iteratorINS9_10device_ptrIiEEEEPS5_jNS1_19radix_merge_compareILb0ELb0EiNS0_19identity_decomposerEEEEE10hipError_tT0_T1_T2_jT3_P12ihipStream_tbPNSt15iterator_traitsISK_E10value_typeEPNSQ_ISL_E10value_typeEPSM_NS1_7vsmem_tEENKUlT_SK_SL_SM_E_clIPiSE_SF_SF_EESJ_SZ_SK_SL_SM_EUlSZ_E_NS1_11comp_targetILNS1_3genE4ELNS1_11target_archE910ELNS1_3gpuE8ELNS1_3repE0EEENS1_48merge_mergepath_partition_config_static_selectorELNS0_4arch9wavefront6targetE0EEEvSL_,@function
_ZN7rocprim17ROCPRIM_400000_NS6detail17trampoline_kernelINS0_14default_configENS1_38merge_sort_block_merge_config_selectorIiNS0_10empty_typeEEEZZNS1_27merge_sort_block_merge_implIS3_N6thrust23THRUST_200600_302600_NS6detail15normal_iteratorINS9_10device_ptrIiEEEEPS5_jNS1_19radix_merge_compareILb0ELb0EiNS0_19identity_decomposerEEEEE10hipError_tT0_T1_T2_jT3_P12ihipStream_tbPNSt15iterator_traitsISK_E10value_typeEPNSQ_ISL_E10value_typeEPSM_NS1_7vsmem_tEENKUlT_SK_SL_SM_E_clIPiSE_SF_SF_EESJ_SZ_SK_SL_SM_EUlSZ_E_NS1_11comp_targetILNS1_3genE4ELNS1_11target_archE910ELNS1_3gpuE8ELNS1_3repE0EEENS1_48merge_mergepath_partition_config_static_selectorELNS0_4arch9wavefront6targetE0EEEvSL_: ; @_ZN7rocprim17ROCPRIM_400000_NS6detail17trampoline_kernelINS0_14default_configENS1_38merge_sort_block_merge_config_selectorIiNS0_10empty_typeEEEZZNS1_27merge_sort_block_merge_implIS3_N6thrust23THRUST_200600_302600_NS6detail15normal_iteratorINS9_10device_ptrIiEEEEPS5_jNS1_19radix_merge_compareILb0ELb0EiNS0_19identity_decomposerEEEEE10hipError_tT0_T1_T2_jT3_P12ihipStream_tbPNSt15iterator_traitsISK_E10value_typeEPNSQ_ISL_E10value_typeEPSM_NS1_7vsmem_tEENKUlT_SK_SL_SM_E_clIPiSE_SF_SF_EESJ_SZ_SK_SL_SM_EUlSZ_E_NS1_11comp_targetILNS1_3genE4ELNS1_11target_archE910ELNS1_3gpuE8ELNS1_3repE0EEENS1_48merge_mergepath_partition_config_static_selectorELNS0_4arch9wavefront6targetE0EEEvSL_
; %bb.0:
	.section	.rodata,"a",@progbits
	.p2align	6, 0x0
	.amdhsa_kernel _ZN7rocprim17ROCPRIM_400000_NS6detail17trampoline_kernelINS0_14default_configENS1_38merge_sort_block_merge_config_selectorIiNS0_10empty_typeEEEZZNS1_27merge_sort_block_merge_implIS3_N6thrust23THRUST_200600_302600_NS6detail15normal_iteratorINS9_10device_ptrIiEEEEPS5_jNS1_19radix_merge_compareILb0ELb0EiNS0_19identity_decomposerEEEEE10hipError_tT0_T1_T2_jT3_P12ihipStream_tbPNSt15iterator_traitsISK_E10value_typeEPNSQ_ISL_E10value_typeEPSM_NS1_7vsmem_tEENKUlT_SK_SL_SM_E_clIPiSE_SF_SF_EESJ_SZ_SK_SL_SM_EUlSZ_E_NS1_11comp_targetILNS1_3genE4ELNS1_11target_archE910ELNS1_3gpuE8ELNS1_3repE0EEENS1_48merge_mergepath_partition_config_static_selectorELNS0_4arch9wavefront6targetE0EEEvSL_
		.amdhsa_group_segment_fixed_size 0
		.amdhsa_private_segment_fixed_size 0
		.amdhsa_kernarg_size 40
		.amdhsa_user_sgpr_count 6
		.amdhsa_user_sgpr_private_segment_buffer 1
		.amdhsa_user_sgpr_dispatch_ptr 0
		.amdhsa_user_sgpr_queue_ptr 0
		.amdhsa_user_sgpr_kernarg_segment_ptr 1
		.amdhsa_user_sgpr_dispatch_id 0
		.amdhsa_user_sgpr_flat_scratch_init 0
		.amdhsa_user_sgpr_private_segment_size 0
		.amdhsa_wavefront_size32 1
		.amdhsa_uses_dynamic_stack 0
		.amdhsa_system_sgpr_private_segment_wavefront_offset 0
		.amdhsa_system_sgpr_workgroup_id_x 1
		.amdhsa_system_sgpr_workgroup_id_y 0
		.amdhsa_system_sgpr_workgroup_id_z 0
		.amdhsa_system_sgpr_workgroup_info 0
		.amdhsa_system_vgpr_workitem_id 0
		.amdhsa_next_free_vgpr 1
		.amdhsa_next_free_sgpr 1
		.amdhsa_reserve_vcc 0
		.amdhsa_reserve_flat_scratch 0
		.amdhsa_float_round_mode_32 0
		.amdhsa_float_round_mode_16_64 0
		.amdhsa_float_denorm_mode_32 3
		.amdhsa_float_denorm_mode_16_64 3
		.amdhsa_dx10_clamp 1
		.amdhsa_ieee_mode 1
		.amdhsa_fp16_overflow 0
		.amdhsa_workgroup_processor_mode 1
		.amdhsa_memory_ordered 1
		.amdhsa_forward_progress 1
		.amdhsa_shared_vgpr_count 0
		.amdhsa_exception_fp_ieee_invalid_op 0
		.amdhsa_exception_fp_denorm_src 0
		.amdhsa_exception_fp_ieee_div_zero 0
		.amdhsa_exception_fp_ieee_overflow 0
		.amdhsa_exception_fp_ieee_underflow 0
		.amdhsa_exception_fp_ieee_inexact 0
		.amdhsa_exception_int_div_zero 0
	.end_amdhsa_kernel
	.section	.text._ZN7rocprim17ROCPRIM_400000_NS6detail17trampoline_kernelINS0_14default_configENS1_38merge_sort_block_merge_config_selectorIiNS0_10empty_typeEEEZZNS1_27merge_sort_block_merge_implIS3_N6thrust23THRUST_200600_302600_NS6detail15normal_iteratorINS9_10device_ptrIiEEEEPS5_jNS1_19radix_merge_compareILb0ELb0EiNS0_19identity_decomposerEEEEE10hipError_tT0_T1_T2_jT3_P12ihipStream_tbPNSt15iterator_traitsISK_E10value_typeEPNSQ_ISL_E10value_typeEPSM_NS1_7vsmem_tEENKUlT_SK_SL_SM_E_clIPiSE_SF_SF_EESJ_SZ_SK_SL_SM_EUlSZ_E_NS1_11comp_targetILNS1_3genE4ELNS1_11target_archE910ELNS1_3gpuE8ELNS1_3repE0EEENS1_48merge_mergepath_partition_config_static_selectorELNS0_4arch9wavefront6targetE0EEEvSL_,"axG",@progbits,_ZN7rocprim17ROCPRIM_400000_NS6detail17trampoline_kernelINS0_14default_configENS1_38merge_sort_block_merge_config_selectorIiNS0_10empty_typeEEEZZNS1_27merge_sort_block_merge_implIS3_N6thrust23THRUST_200600_302600_NS6detail15normal_iteratorINS9_10device_ptrIiEEEEPS5_jNS1_19radix_merge_compareILb0ELb0EiNS0_19identity_decomposerEEEEE10hipError_tT0_T1_T2_jT3_P12ihipStream_tbPNSt15iterator_traitsISK_E10value_typeEPNSQ_ISL_E10value_typeEPSM_NS1_7vsmem_tEENKUlT_SK_SL_SM_E_clIPiSE_SF_SF_EESJ_SZ_SK_SL_SM_EUlSZ_E_NS1_11comp_targetILNS1_3genE4ELNS1_11target_archE910ELNS1_3gpuE8ELNS1_3repE0EEENS1_48merge_mergepath_partition_config_static_selectorELNS0_4arch9wavefront6targetE0EEEvSL_,comdat
.Lfunc_end22:
	.size	_ZN7rocprim17ROCPRIM_400000_NS6detail17trampoline_kernelINS0_14default_configENS1_38merge_sort_block_merge_config_selectorIiNS0_10empty_typeEEEZZNS1_27merge_sort_block_merge_implIS3_N6thrust23THRUST_200600_302600_NS6detail15normal_iteratorINS9_10device_ptrIiEEEEPS5_jNS1_19radix_merge_compareILb0ELb0EiNS0_19identity_decomposerEEEEE10hipError_tT0_T1_T2_jT3_P12ihipStream_tbPNSt15iterator_traitsISK_E10value_typeEPNSQ_ISL_E10value_typeEPSM_NS1_7vsmem_tEENKUlT_SK_SL_SM_E_clIPiSE_SF_SF_EESJ_SZ_SK_SL_SM_EUlSZ_E_NS1_11comp_targetILNS1_3genE4ELNS1_11target_archE910ELNS1_3gpuE8ELNS1_3repE0EEENS1_48merge_mergepath_partition_config_static_selectorELNS0_4arch9wavefront6targetE0EEEvSL_, .Lfunc_end22-_ZN7rocprim17ROCPRIM_400000_NS6detail17trampoline_kernelINS0_14default_configENS1_38merge_sort_block_merge_config_selectorIiNS0_10empty_typeEEEZZNS1_27merge_sort_block_merge_implIS3_N6thrust23THRUST_200600_302600_NS6detail15normal_iteratorINS9_10device_ptrIiEEEEPS5_jNS1_19radix_merge_compareILb0ELb0EiNS0_19identity_decomposerEEEEE10hipError_tT0_T1_T2_jT3_P12ihipStream_tbPNSt15iterator_traitsISK_E10value_typeEPNSQ_ISL_E10value_typeEPSM_NS1_7vsmem_tEENKUlT_SK_SL_SM_E_clIPiSE_SF_SF_EESJ_SZ_SK_SL_SM_EUlSZ_E_NS1_11comp_targetILNS1_3genE4ELNS1_11target_archE910ELNS1_3gpuE8ELNS1_3repE0EEENS1_48merge_mergepath_partition_config_static_selectorELNS0_4arch9wavefront6targetE0EEEvSL_
                                        ; -- End function
	.set _ZN7rocprim17ROCPRIM_400000_NS6detail17trampoline_kernelINS0_14default_configENS1_38merge_sort_block_merge_config_selectorIiNS0_10empty_typeEEEZZNS1_27merge_sort_block_merge_implIS3_N6thrust23THRUST_200600_302600_NS6detail15normal_iteratorINS9_10device_ptrIiEEEEPS5_jNS1_19radix_merge_compareILb0ELb0EiNS0_19identity_decomposerEEEEE10hipError_tT0_T1_T2_jT3_P12ihipStream_tbPNSt15iterator_traitsISK_E10value_typeEPNSQ_ISL_E10value_typeEPSM_NS1_7vsmem_tEENKUlT_SK_SL_SM_E_clIPiSE_SF_SF_EESJ_SZ_SK_SL_SM_EUlSZ_E_NS1_11comp_targetILNS1_3genE4ELNS1_11target_archE910ELNS1_3gpuE8ELNS1_3repE0EEENS1_48merge_mergepath_partition_config_static_selectorELNS0_4arch9wavefront6targetE0EEEvSL_.num_vgpr, 0
	.set _ZN7rocprim17ROCPRIM_400000_NS6detail17trampoline_kernelINS0_14default_configENS1_38merge_sort_block_merge_config_selectorIiNS0_10empty_typeEEEZZNS1_27merge_sort_block_merge_implIS3_N6thrust23THRUST_200600_302600_NS6detail15normal_iteratorINS9_10device_ptrIiEEEEPS5_jNS1_19radix_merge_compareILb0ELb0EiNS0_19identity_decomposerEEEEE10hipError_tT0_T1_T2_jT3_P12ihipStream_tbPNSt15iterator_traitsISK_E10value_typeEPNSQ_ISL_E10value_typeEPSM_NS1_7vsmem_tEENKUlT_SK_SL_SM_E_clIPiSE_SF_SF_EESJ_SZ_SK_SL_SM_EUlSZ_E_NS1_11comp_targetILNS1_3genE4ELNS1_11target_archE910ELNS1_3gpuE8ELNS1_3repE0EEENS1_48merge_mergepath_partition_config_static_selectorELNS0_4arch9wavefront6targetE0EEEvSL_.num_agpr, 0
	.set _ZN7rocprim17ROCPRIM_400000_NS6detail17trampoline_kernelINS0_14default_configENS1_38merge_sort_block_merge_config_selectorIiNS0_10empty_typeEEEZZNS1_27merge_sort_block_merge_implIS3_N6thrust23THRUST_200600_302600_NS6detail15normal_iteratorINS9_10device_ptrIiEEEEPS5_jNS1_19radix_merge_compareILb0ELb0EiNS0_19identity_decomposerEEEEE10hipError_tT0_T1_T2_jT3_P12ihipStream_tbPNSt15iterator_traitsISK_E10value_typeEPNSQ_ISL_E10value_typeEPSM_NS1_7vsmem_tEENKUlT_SK_SL_SM_E_clIPiSE_SF_SF_EESJ_SZ_SK_SL_SM_EUlSZ_E_NS1_11comp_targetILNS1_3genE4ELNS1_11target_archE910ELNS1_3gpuE8ELNS1_3repE0EEENS1_48merge_mergepath_partition_config_static_selectorELNS0_4arch9wavefront6targetE0EEEvSL_.numbered_sgpr, 0
	.set _ZN7rocprim17ROCPRIM_400000_NS6detail17trampoline_kernelINS0_14default_configENS1_38merge_sort_block_merge_config_selectorIiNS0_10empty_typeEEEZZNS1_27merge_sort_block_merge_implIS3_N6thrust23THRUST_200600_302600_NS6detail15normal_iteratorINS9_10device_ptrIiEEEEPS5_jNS1_19radix_merge_compareILb0ELb0EiNS0_19identity_decomposerEEEEE10hipError_tT0_T1_T2_jT3_P12ihipStream_tbPNSt15iterator_traitsISK_E10value_typeEPNSQ_ISL_E10value_typeEPSM_NS1_7vsmem_tEENKUlT_SK_SL_SM_E_clIPiSE_SF_SF_EESJ_SZ_SK_SL_SM_EUlSZ_E_NS1_11comp_targetILNS1_3genE4ELNS1_11target_archE910ELNS1_3gpuE8ELNS1_3repE0EEENS1_48merge_mergepath_partition_config_static_selectorELNS0_4arch9wavefront6targetE0EEEvSL_.num_named_barrier, 0
	.set _ZN7rocprim17ROCPRIM_400000_NS6detail17trampoline_kernelINS0_14default_configENS1_38merge_sort_block_merge_config_selectorIiNS0_10empty_typeEEEZZNS1_27merge_sort_block_merge_implIS3_N6thrust23THRUST_200600_302600_NS6detail15normal_iteratorINS9_10device_ptrIiEEEEPS5_jNS1_19radix_merge_compareILb0ELb0EiNS0_19identity_decomposerEEEEE10hipError_tT0_T1_T2_jT3_P12ihipStream_tbPNSt15iterator_traitsISK_E10value_typeEPNSQ_ISL_E10value_typeEPSM_NS1_7vsmem_tEENKUlT_SK_SL_SM_E_clIPiSE_SF_SF_EESJ_SZ_SK_SL_SM_EUlSZ_E_NS1_11comp_targetILNS1_3genE4ELNS1_11target_archE910ELNS1_3gpuE8ELNS1_3repE0EEENS1_48merge_mergepath_partition_config_static_selectorELNS0_4arch9wavefront6targetE0EEEvSL_.private_seg_size, 0
	.set _ZN7rocprim17ROCPRIM_400000_NS6detail17trampoline_kernelINS0_14default_configENS1_38merge_sort_block_merge_config_selectorIiNS0_10empty_typeEEEZZNS1_27merge_sort_block_merge_implIS3_N6thrust23THRUST_200600_302600_NS6detail15normal_iteratorINS9_10device_ptrIiEEEEPS5_jNS1_19radix_merge_compareILb0ELb0EiNS0_19identity_decomposerEEEEE10hipError_tT0_T1_T2_jT3_P12ihipStream_tbPNSt15iterator_traitsISK_E10value_typeEPNSQ_ISL_E10value_typeEPSM_NS1_7vsmem_tEENKUlT_SK_SL_SM_E_clIPiSE_SF_SF_EESJ_SZ_SK_SL_SM_EUlSZ_E_NS1_11comp_targetILNS1_3genE4ELNS1_11target_archE910ELNS1_3gpuE8ELNS1_3repE0EEENS1_48merge_mergepath_partition_config_static_selectorELNS0_4arch9wavefront6targetE0EEEvSL_.uses_vcc, 0
	.set _ZN7rocprim17ROCPRIM_400000_NS6detail17trampoline_kernelINS0_14default_configENS1_38merge_sort_block_merge_config_selectorIiNS0_10empty_typeEEEZZNS1_27merge_sort_block_merge_implIS3_N6thrust23THRUST_200600_302600_NS6detail15normal_iteratorINS9_10device_ptrIiEEEEPS5_jNS1_19radix_merge_compareILb0ELb0EiNS0_19identity_decomposerEEEEE10hipError_tT0_T1_T2_jT3_P12ihipStream_tbPNSt15iterator_traitsISK_E10value_typeEPNSQ_ISL_E10value_typeEPSM_NS1_7vsmem_tEENKUlT_SK_SL_SM_E_clIPiSE_SF_SF_EESJ_SZ_SK_SL_SM_EUlSZ_E_NS1_11comp_targetILNS1_3genE4ELNS1_11target_archE910ELNS1_3gpuE8ELNS1_3repE0EEENS1_48merge_mergepath_partition_config_static_selectorELNS0_4arch9wavefront6targetE0EEEvSL_.uses_flat_scratch, 0
	.set _ZN7rocprim17ROCPRIM_400000_NS6detail17trampoline_kernelINS0_14default_configENS1_38merge_sort_block_merge_config_selectorIiNS0_10empty_typeEEEZZNS1_27merge_sort_block_merge_implIS3_N6thrust23THRUST_200600_302600_NS6detail15normal_iteratorINS9_10device_ptrIiEEEEPS5_jNS1_19radix_merge_compareILb0ELb0EiNS0_19identity_decomposerEEEEE10hipError_tT0_T1_T2_jT3_P12ihipStream_tbPNSt15iterator_traitsISK_E10value_typeEPNSQ_ISL_E10value_typeEPSM_NS1_7vsmem_tEENKUlT_SK_SL_SM_E_clIPiSE_SF_SF_EESJ_SZ_SK_SL_SM_EUlSZ_E_NS1_11comp_targetILNS1_3genE4ELNS1_11target_archE910ELNS1_3gpuE8ELNS1_3repE0EEENS1_48merge_mergepath_partition_config_static_selectorELNS0_4arch9wavefront6targetE0EEEvSL_.has_dyn_sized_stack, 0
	.set _ZN7rocprim17ROCPRIM_400000_NS6detail17trampoline_kernelINS0_14default_configENS1_38merge_sort_block_merge_config_selectorIiNS0_10empty_typeEEEZZNS1_27merge_sort_block_merge_implIS3_N6thrust23THRUST_200600_302600_NS6detail15normal_iteratorINS9_10device_ptrIiEEEEPS5_jNS1_19radix_merge_compareILb0ELb0EiNS0_19identity_decomposerEEEEE10hipError_tT0_T1_T2_jT3_P12ihipStream_tbPNSt15iterator_traitsISK_E10value_typeEPNSQ_ISL_E10value_typeEPSM_NS1_7vsmem_tEENKUlT_SK_SL_SM_E_clIPiSE_SF_SF_EESJ_SZ_SK_SL_SM_EUlSZ_E_NS1_11comp_targetILNS1_3genE4ELNS1_11target_archE910ELNS1_3gpuE8ELNS1_3repE0EEENS1_48merge_mergepath_partition_config_static_selectorELNS0_4arch9wavefront6targetE0EEEvSL_.has_recursion, 0
	.set _ZN7rocprim17ROCPRIM_400000_NS6detail17trampoline_kernelINS0_14default_configENS1_38merge_sort_block_merge_config_selectorIiNS0_10empty_typeEEEZZNS1_27merge_sort_block_merge_implIS3_N6thrust23THRUST_200600_302600_NS6detail15normal_iteratorINS9_10device_ptrIiEEEEPS5_jNS1_19radix_merge_compareILb0ELb0EiNS0_19identity_decomposerEEEEE10hipError_tT0_T1_T2_jT3_P12ihipStream_tbPNSt15iterator_traitsISK_E10value_typeEPNSQ_ISL_E10value_typeEPSM_NS1_7vsmem_tEENKUlT_SK_SL_SM_E_clIPiSE_SF_SF_EESJ_SZ_SK_SL_SM_EUlSZ_E_NS1_11comp_targetILNS1_3genE4ELNS1_11target_archE910ELNS1_3gpuE8ELNS1_3repE0EEENS1_48merge_mergepath_partition_config_static_selectorELNS0_4arch9wavefront6targetE0EEEvSL_.has_indirect_call, 0
	.section	.AMDGPU.csdata,"",@progbits
; Kernel info:
; codeLenInByte = 0
; TotalNumSgprs: 0
; NumVgprs: 0
; ScratchSize: 0
; MemoryBound: 0
; FloatMode: 240
; IeeeMode: 1
; LDSByteSize: 0 bytes/workgroup (compile time only)
; SGPRBlocks: 0
; VGPRBlocks: 0
; NumSGPRsForWavesPerEU: 1
; NumVGPRsForWavesPerEU: 1
; Occupancy: 16
; WaveLimiterHint : 0
; COMPUTE_PGM_RSRC2:SCRATCH_EN: 0
; COMPUTE_PGM_RSRC2:USER_SGPR: 6
; COMPUTE_PGM_RSRC2:TRAP_HANDLER: 0
; COMPUTE_PGM_RSRC2:TGID_X_EN: 1
; COMPUTE_PGM_RSRC2:TGID_Y_EN: 0
; COMPUTE_PGM_RSRC2:TGID_Z_EN: 0
; COMPUTE_PGM_RSRC2:TIDIG_COMP_CNT: 0
	.section	.text._ZN7rocprim17ROCPRIM_400000_NS6detail17trampoline_kernelINS0_14default_configENS1_38merge_sort_block_merge_config_selectorIiNS0_10empty_typeEEEZZNS1_27merge_sort_block_merge_implIS3_N6thrust23THRUST_200600_302600_NS6detail15normal_iteratorINS9_10device_ptrIiEEEEPS5_jNS1_19radix_merge_compareILb0ELb0EiNS0_19identity_decomposerEEEEE10hipError_tT0_T1_T2_jT3_P12ihipStream_tbPNSt15iterator_traitsISK_E10value_typeEPNSQ_ISL_E10value_typeEPSM_NS1_7vsmem_tEENKUlT_SK_SL_SM_E_clIPiSE_SF_SF_EESJ_SZ_SK_SL_SM_EUlSZ_E_NS1_11comp_targetILNS1_3genE3ELNS1_11target_archE908ELNS1_3gpuE7ELNS1_3repE0EEENS1_48merge_mergepath_partition_config_static_selectorELNS0_4arch9wavefront6targetE0EEEvSL_,"axG",@progbits,_ZN7rocprim17ROCPRIM_400000_NS6detail17trampoline_kernelINS0_14default_configENS1_38merge_sort_block_merge_config_selectorIiNS0_10empty_typeEEEZZNS1_27merge_sort_block_merge_implIS3_N6thrust23THRUST_200600_302600_NS6detail15normal_iteratorINS9_10device_ptrIiEEEEPS5_jNS1_19radix_merge_compareILb0ELb0EiNS0_19identity_decomposerEEEEE10hipError_tT0_T1_T2_jT3_P12ihipStream_tbPNSt15iterator_traitsISK_E10value_typeEPNSQ_ISL_E10value_typeEPSM_NS1_7vsmem_tEENKUlT_SK_SL_SM_E_clIPiSE_SF_SF_EESJ_SZ_SK_SL_SM_EUlSZ_E_NS1_11comp_targetILNS1_3genE3ELNS1_11target_archE908ELNS1_3gpuE7ELNS1_3repE0EEENS1_48merge_mergepath_partition_config_static_selectorELNS0_4arch9wavefront6targetE0EEEvSL_,comdat
	.protected	_ZN7rocprim17ROCPRIM_400000_NS6detail17trampoline_kernelINS0_14default_configENS1_38merge_sort_block_merge_config_selectorIiNS0_10empty_typeEEEZZNS1_27merge_sort_block_merge_implIS3_N6thrust23THRUST_200600_302600_NS6detail15normal_iteratorINS9_10device_ptrIiEEEEPS5_jNS1_19radix_merge_compareILb0ELb0EiNS0_19identity_decomposerEEEEE10hipError_tT0_T1_T2_jT3_P12ihipStream_tbPNSt15iterator_traitsISK_E10value_typeEPNSQ_ISL_E10value_typeEPSM_NS1_7vsmem_tEENKUlT_SK_SL_SM_E_clIPiSE_SF_SF_EESJ_SZ_SK_SL_SM_EUlSZ_E_NS1_11comp_targetILNS1_3genE3ELNS1_11target_archE908ELNS1_3gpuE7ELNS1_3repE0EEENS1_48merge_mergepath_partition_config_static_selectorELNS0_4arch9wavefront6targetE0EEEvSL_ ; -- Begin function _ZN7rocprim17ROCPRIM_400000_NS6detail17trampoline_kernelINS0_14default_configENS1_38merge_sort_block_merge_config_selectorIiNS0_10empty_typeEEEZZNS1_27merge_sort_block_merge_implIS3_N6thrust23THRUST_200600_302600_NS6detail15normal_iteratorINS9_10device_ptrIiEEEEPS5_jNS1_19radix_merge_compareILb0ELb0EiNS0_19identity_decomposerEEEEE10hipError_tT0_T1_T2_jT3_P12ihipStream_tbPNSt15iterator_traitsISK_E10value_typeEPNSQ_ISL_E10value_typeEPSM_NS1_7vsmem_tEENKUlT_SK_SL_SM_E_clIPiSE_SF_SF_EESJ_SZ_SK_SL_SM_EUlSZ_E_NS1_11comp_targetILNS1_3genE3ELNS1_11target_archE908ELNS1_3gpuE7ELNS1_3repE0EEENS1_48merge_mergepath_partition_config_static_selectorELNS0_4arch9wavefront6targetE0EEEvSL_
	.globl	_ZN7rocprim17ROCPRIM_400000_NS6detail17trampoline_kernelINS0_14default_configENS1_38merge_sort_block_merge_config_selectorIiNS0_10empty_typeEEEZZNS1_27merge_sort_block_merge_implIS3_N6thrust23THRUST_200600_302600_NS6detail15normal_iteratorINS9_10device_ptrIiEEEEPS5_jNS1_19radix_merge_compareILb0ELb0EiNS0_19identity_decomposerEEEEE10hipError_tT0_T1_T2_jT3_P12ihipStream_tbPNSt15iterator_traitsISK_E10value_typeEPNSQ_ISL_E10value_typeEPSM_NS1_7vsmem_tEENKUlT_SK_SL_SM_E_clIPiSE_SF_SF_EESJ_SZ_SK_SL_SM_EUlSZ_E_NS1_11comp_targetILNS1_3genE3ELNS1_11target_archE908ELNS1_3gpuE7ELNS1_3repE0EEENS1_48merge_mergepath_partition_config_static_selectorELNS0_4arch9wavefront6targetE0EEEvSL_
	.p2align	8
	.type	_ZN7rocprim17ROCPRIM_400000_NS6detail17trampoline_kernelINS0_14default_configENS1_38merge_sort_block_merge_config_selectorIiNS0_10empty_typeEEEZZNS1_27merge_sort_block_merge_implIS3_N6thrust23THRUST_200600_302600_NS6detail15normal_iteratorINS9_10device_ptrIiEEEEPS5_jNS1_19radix_merge_compareILb0ELb0EiNS0_19identity_decomposerEEEEE10hipError_tT0_T1_T2_jT3_P12ihipStream_tbPNSt15iterator_traitsISK_E10value_typeEPNSQ_ISL_E10value_typeEPSM_NS1_7vsmem_tEENKUlT_SK_SL_SM_E_clIPiSE_SF_SF_EESJ_SZ_SK_SL_SM_EUlSZ_E_NS1_11comp_targetILNS1_3genE3ELNS1_11target_archE908ELNS1_3gpuE7ELNS1_3repE0EEENS1_48merge_mergepath_partition_config_static_selectorELNS0_4arch9wavefront6targetE0EEEvSL_,@function
_ZN7rocprim17ROCPRIM_400000_NS6detail17trampoline_kernelINS0_14default_configENS1_38merge_sort_block_merge_config_selectorIiNS0_10empty_typeEEEZZNS1_27merge_sort_block_merge_implIS3_N6thrust23THRUST_200600_302600_NS6detail15normal_iteratorINS9_10device_ptrIiEEEEPS5_jNS1_19radix_merge_compareILb0ELb0EiNS0_19identity_decomposerEEEEE10hipError_tT0_T1_T2_jT3_P12ihipStream_tbPNSt15iterator_traitsISK_E10value_typeEPNSQ_ISL_E10value_typeEPSM_NS1_7vsmem_tEENKUlT_SK_SL_SM_E_clIPiSE_SF_SF_EESJ_SZ_SK_SL_SM_EUlSZ_E_NS1_11comp_targetILNS1_3genE3ELNS1_11target_archE908ELNS1_3gpuE7ELNS1_3repE0EEENS1_48merge_mergepath_partition_config_static_selectorELNS0_4arch9wavefront6targetE0EEEvSL_: ; @_ZN7rocprim17ROCPRIM_400000_NS6detail17trampoline_kernelINS0_14default_configENS1_38merge_sort_block_merge_config_selectorIiNS0_10empty_typeEEEZZNS1_27merge_sort_block_merge_implIS3_N6thrust23THRUST_200600_302600_NS6detail15normal_iteratorINS9_10device_ptrIiEEEEPS5_jNS1_19radix_merge_compareILb0ELb0EiNS0_19identity_decomposerEEEEE10hipError_tT0_T1_T2_jT3_P12ihipStream_tbPNSt15iterator_traitsISK_E10value_typeEPNSQ_ISL_E10value_typeEPSM_NS1_7vsmem_tEENKUlT_SK_SL_SM_E_clIPiSE_SF_SF_EESJ_SZ_SK_SL_SM_EUlSZ_E_NS1_11comp_targetILNS1_3genE3ELNS1_11target_archE908ELNS1_3gpuE7ELNS1_3repE0EEENS1_48merge_mergepath_partition_config_static_selectorELNS0_4arch9wavefront6targetE0EEEvSL_
; %bb.0:
	.section	.rodata,"a",@progbits
	.p2align	6, 0x0
	.amdhsa_kernel _ZN7rocprim17ROCPRIM_400000_NS6detail17trampoline_kernelINS0_14default_configENS1_38merge_sort_block_merge_config_selectorIiNS0_10empty_typeEEEZZNS1_27merge_sort_block_merge_implIS3_N6thrust23THRUST_200600_302600_NS6detail15normal_iteratorINS9_10device_ptrIiEEEEPS5_jNS1_19radix_merge_compareILb0ELb0EiNS0_19identity_decomposerEEEEE10hipError_tT0_T1_T2_jT3_P12ihipStream_tbPNSt15iterator_traitsISK_E10value_typeEPNSQ_ISL_E10value_typeEPSM_NS1_7vsmem_tEENKUlT_SK_SL_SM_E_clIPiSE_SF_SF_EESJ_SZ_SK_SL_SM_EUlSZ_E_NS1_11comp_targetILNS1_3genE3ELNS1_11target_archE908ELNS1_3gpuE7ELNS1_3repE0EEENS1_48merge_mergepath_partition_config_static_selectorELNS0_4arch9wavefront6targetE0EEEvSL_
		.amdhsa_group_segment_fixed_size 0
		.amdhsa_private_segment_fixed_size 0
		.amdhsa_kernarg_size 40
		.amdhsa_user_sgpr_count 6
		.amdhsa_user_sgpr_private_segment_buffer 1
		.amdhsa_user_sgpr_dispatch_ptr 0
		.amdhsa_user_sgpr_queue_ptr 0
		.amdhsa_user_sgpr_kernarg_segment_ptr 1
		.amdhsa_user_sgpr_dispatch_id 0
		.amdhsa_user_sgpr_flat_scratch_init 0
		.amdhsa_user_sgpr_private_segment_size 0
		.amdhsa_wavefront_size32 1
		.amdhsa_uses_dynamic_stack 0
		.amdhsa_system_sgpr_private_segment_wavefront_offset 0
		.amdhsa_system_sgpr_workgroup_id_x 1
		.amdhsa_system_sgpr_workgroup_id_y 0
		.amdhsa_system_sgpr_workgroup_id_z 0
		.amdhsa_system_sgpr_workgroup_info 0
		.amdhsa_system_vgpr_workitem_id 0
		.amdhsa_next_free_vgpr 1
		.amdhsa_next_free_sgpr 1
		.amdhsa_reserve_vcc 0
		.amdhsa_reserve_flat_scratch 0
		.amdhsa_float_round_mode_32 0
		.amdhsa_float_round_mode_16_64 0
		.amdhsa_float_denorm_mode_32 3
		.amdhsa_float_denorm_mode_16_64 3
		.amdhsa_dx10_clamp 1
		.amdhsa_ieee_mode 1
		.amdhsa_fp16_overflow 0
		.amdhsa_workgroup_processor_mode 1
		.amdhsa_memory_ordered 1
		.amdhsa_forward_progress 1
		.amdhsa_shared_vgpr_count 0
		.amdhsa_exception_fp_ieee_invalid_op 0
		.amdhsa_exception_fp_denorm_src 0
		.amdhsa_exception_fp_ieee_div_zero 0
		.amdhsa_exception_fp_ieee_overflow 0
		.amdhsa_exception_fp_ieee_underflow 0
		.amdhsa_exception_fp_ieee_inexact 0
		.amdhsa_exception_int_div_zero 0
	.end_amdhsa_kernel
	.section	.text._ZN7rocprim17ROCPRIM_400000_NS6detail17trampoline_kernelINS0_14default_configENS1_38merge_sort_block_merge_config_selectorIiNS0_10empty_typeEEEZZNS1_27merge_sort_block_merge_implIS3_N6thrust23THRUST_200600_302600_NS6detail15normal_iteratorINS9_10device_ptrIiEEEEPS5_jNS1_19radix_merge_compareILb0ELb0EiNS0_19identity_decomposerEEEEE10hipError_tT0_T1_T2_jT3_P12ihipStream_tbPNSt15iterator_traitsISK_E10value_typeEPNSQ_ISL_E10value_typeEPSM_NS1_7vsmem_tEENKUlT_SK_SL_SM_E_clIPiSE_SF_SF_EESJ_SZ_SK_SL_SM_EUlSZ_E_NS1_11comp_targetILNS1_3genE3ELNS1_11target_archE908ELNS1_3gpuE7ELNS1_3repE0EEENS1_48merge_mergepath_partition_config_static_selectorELNS0_4arch9wavefront6targetE0EEEvSL_,"axG",@progbits,_ZN7rocprim17ROCPRIM_400000_NS6detail17trampoline_kernelINS0_14default_configENS1_38merge_sort_block_merge_config_selectorIiNS0_10empty_typeEEEZZNS1_27merge_sort_block_merge_implIS3_N6thrust23THRUST_200600_302600_NS6detail15normal_iteratorINS9_10device_ptrIiEEEEPS5_jNS1_19radix_merge_compareILb0ELb0EiNS0_19identity_decomposerEEEEE10hipError_tT0_T1_T2_jT3_P12ihipStream_tbPNSt15iterator_traitsISK_E10value_typeEPNSQ_ISL_E10value_typeEPSM_NS1_7vsmem_tEENKUlT_SK_SL_SM_E_clIPiSE_SF_SF_EESJ_SZ_SK_SL_SM_EUlSZ_E_NS1_11comp_targetILNS1_3genE3ELNS1_11target_archE908ELNS1_3gpuE7ELNS1_3repE0EEENS1_48merge_mergepath_partition_config_static_selectorELNS0_4arch9wavefront6targetE0EEEvSL_,comdat
.Lfunc_end23:
	.size	_ZN7rocprim17ROCPRIM_400000_NS6detail17trampoline_kernelINS0_14default_configENS1_38merge_sort_block_merge_config_selectorIiNS0_10empty_typeEEEZZNS1_27merge_sort_block_merge_implIS3_N6thrust23THRUST_200600_302600_NS6detail15normal_iteratorINS9_10device_ptrIiEEEEPS5_jNS1_19radix_merge_compareILb0ELb0EiNS0_19identity_decomposerEEEEE10hipError_tT0_T1_T2_jT3_P12ihipStream_tbPNSt15iterator_traitsISK_E10value_typeEPNSQ_ISL_E10value_typeEPSM_NS1_7vsmem_tEENKUlT_SK_SL_SM_E_clIPiSE_SF_SF_EESJ_SZ_SK_SL_SM_EUlSZ_E_NS1_11comp_targetILNS1_3genE3ELNS1_11target_archE908ELNS1_3gpuE7ELNS1_3repE0EEENS1_48merge_mergepath_partition_config_static_selectorELNS0_4arch9wavefront6targetE0EEEvSL_, .Lfunc_end23-_ZN7rocprim17ROCPRIM_400000_NS6detail17trampoline_kernelINS0_14default_configENS1_38merge_sort_block_merge_config_selectorIiNS0_10empty_typeEEEZZNS1_27merge_sort_block_merge_implIS3_N6thrust23THRUST_200600_302600_NS6detail15normal_iteratorINS9_10device_ptrIiEEEEPS5_jNS1_19radix_merge_compareILb0ELb0EiNS0_19identity_decomposerEEEEE10hipError_tT0_T1_T2_jT3_P12ihipStream_tbPNSt15iterator_traitsISK_E10value_typeEPNSQ_ISL_E10value_typeEPSM_NS1_7vsmem_tEENKUlT_SK_SL_SM_E_clIPiSE_SF_SF_EESJ_SZ_SK_SL_SM_EUlSZ_E_NS1_11comp_targetILNS1_3genE3ELNS1_11target_archE908ELNS1_3gpuE7ELNS1_3repE0EEENS1_48merge_mergepath_partition_config_static_selectorELNS0_4arch9wavefront6targetE0EEEvSL_
                                        ; -- End function
	.set _ZN7rocprim17ROCPRIM_400000_NS6detail17trampoline_kernelINS0_14default_configENS1_38merge_sort_block_merge_config_selectorIiNS0_10empty_typeEEEZZNS1_27merge_sort_block_merge_implIS3_N6thrust23THRUST_200600_302600_NS6detail15normal_iteratorINS9_10device_ptrIiEEEEPS5_jNS1_19radix_merge_compareILb0ELb0EiNS0_19identity_decomposerEEEEE10hipError_tT0_T1_T2_jT3_P12ihipStream_tbPNSt15iterator_traitsISK_E10value_typeEPNSQ_ISL_E10value_typeEPSM_NS1_7vsmem_tEENKUlT_SK_SL_SM_E_clIPiSE_SF_SF_EESJ_SZ_SK_SL_SM_EUlSZ_E_NS1_11comp_targetILNS1_3genE3ELNS1_11target_archE908ELNS1_3gpuE7ELNS1_3repE0EEENS1_48merge_mergepath_partition_config_static_selectorELNS0_4arch9wavefront6targetE0EEEvSL_.num_vgpr, 0
	.set _ZN7rocprim17ROCPRIM_400000_NS6detail17trampoline_kernelINS0_14default_configENS1_38merge_sort_block_merge_config_selectorIiNS0_10empty_typeEEEZZNS1_27merge_sort_block_merge_implIS3_N6thrust23THRUST_200600_302600_NS6detail15normal_iteratorINS9_10device_ptrIiEEEEPS5_jNS1_19radix_merge_compareILb0ELb0EiNS0_19identity_decomposerEEEEE10hipError_tT0_T1_T2_jT3_P12ihipStream_tbPNSt15iterator_traitsISK_E10value_typeEPNSQ_ISL_E10value_typeEPSM_NS1_7vsmem_tEENKUlT_SK_SL_SM_E_clIPiSE_SF_SF_EESJ_SZ_SK_SL_SM_EUlSZ_E_NS1_11comp_targetILNS1_3genE3ELNS1_11target_archE908ELNS1_3gpuE7ELNS1_3repE0EEENS1_48merge_mergepath_partition_config_static_selectorELNS0_4arch9wavefront6targetE0EEEvSL_.num_agpr, 0
	.set _ZN7rocprim17ROCPRIM_400000_NS6detail17trampoline_kernelINS0_14default_configENS1_38merge_sort_block_merge_config_selectorIiNS0_10empty_typeEEEZZNS1_27merge_sort_block_merge_implIS3_N6thrust23THRUST_200600_302600_NS6detail15normal_iteratorINS9_10device_ptrIiEEEEPS5_jNS1_19radix_merge_compareILb0ELb0EiNS0_19identity_decomposerEEEEE10hipError_tT0_T1_T2_jT3_P12ihipStream_tbPNSt15iterator_traitsISK_E10value_typeEPNSQ_ISL_E10value_typeEPSM_NS1_7vsmem_tEENKUlT_SK_SL_SM_E_clIPiSE_SF_SF_EESJ_SZ_SK_SL_SM_EUlSZ_E_NS1_11comp_targetILNS1_3genE3ELNS1_11target_archE908ELNS1_3gpuE7ELNS1_3repE0EEENS1_48merge_mergepath_partition_config_static_selectorELNS0_4arch9wavefront6targetE0EEEvSL_.numbered_sgpr, 0
	.set _ZN7rocprim17ROCPRIM_400000_NS6detail17trampoline_kernelINS0_14default_configENS1_38merge_sort_block_merge_config_selectorIiNS0_10empty_typeEEEZZNS1_27merge_sort_block_merge_implIS3_N6thrust23THRUST_200600_302600_NS6detail15normal_iteratorINS9_10device_ptrIiEEEEPS5_jNS1_19radix_merge_compareILb0ELb0EiNS0_19identity_decomposerEEEEE10hipError_tT0_T1_T2_jT3_P12ihipStream_tbPNSt15iterator_traitsISK_E10value_typeEPNSQ_ISL_E10value_typeEPSM_NS1_7vsmem_tEENKUlT_SK_SL_SM_E_clIPiSE_SF_SF_EESJ_SZ_SK_SL_SM_EUlSZ_E_NS1_11comp_targetILNS1_3genE3ELNS1_11target_archE908ELNS1_3gpuE7ELNS1_3repE0EEENS1_48merge_mergepath_partition_config_static_selectorELNS0_4arch9wavefront6targetE0EEEvSL_.num_named_barrier, 0
	.set _ZN7rocprim17ROCPRIM_400000_NS6detail17trampoline_kernelINS0_14default_configENS1_38merge_sort_block_merge_config_selectorIiNS0_10empty_typeEEEZZNS1_27merge_sort_block_merge_implIS3_N6thrust23THRUST_200600_302600_NS6detail15normal_iteratorINS9_10device_ptrIiEEEEPS5_jNS1_19radix_merge_compareILb0ELb0EiNS0_19identity_decomposerEEEEE10hipError_tT0_T1_T2_jT3_P12ihipStream_tbPNSt15iterator_traitsISK_E10value_typeEPNSQ_ISL_E10value_typeEPSM_NS1_7vsmem_tEENKUlT_SK_SL_SM_E_clIPiSE_SF_SF_EESJ_SZ_SK_SL_SM_EUlSZ_E_NS1_11comp_targetILNS1_3genE3ELNS1_11target_archE908ELNS1_3gpuE7ELNS1_3repE0EEENS1_48merge_mergepath_partition_config_static_selectorELNS0_4arch9wavefront6targetE0EEEvSL_.private_seg_size, 0
	.set _ZN7rocprim17ROCPRIM_400000_NS6detail17trampoline_kernelINS0_14default_configENS1_38merge_sort_block_merge_config_selectorIiNS0_10empty_typeEEEZZNS1_27merge_sort_block_merge_implIS3_N6thrust23THRUST_200600_302600_NS6detail15normal_iteratorINS9_10device_ptrIiEEEEPS5_jNS1_19radix_merge_compareILb0ELb0EiNS0_19identity_decomposerEEEEE10hipError_tT0_T1_T2_jT3_P12ihipStream_tbPNSt15iterator_traitsISK_E10value_typeEPNSQ_ISL_E10value_typeEPSM_NS1_7vsmem_tEENKUlT_SK_SL_SM_E_clIPiSE_SF_SF_EESJ_SZ_SK_SL_SM_EUlSZ_E_NS1_11comp_targetILNS1_3genE3ELNS1_11target_archE908ELNS1_3gpuE7ELNS1_3repE0EEENS1_48merge_mergepath_partition_config_static_selectorELNS0_4arch9wavefront6targetE0EEEvSL_.uses_vcc, 0
	.set _ZN7rocprim17ROCPRIM_400000_NS6detail17trampoline_kernelINS0_14default_configENS1_38merge_sort_block_merge_config_selectorIiNS0_10empty_typeEEEZZNS1_27merge_sort_block_merge_implIS3_N6thrust23THRUST_200600_302600_NS6detail15normal_iteratorINS9_10device_ptrIiEEEEPS5_jNS1_19radix_merge_compareILb0ELb0EiNS0_19identity_decomposerEEEEE10hipError_tT0_T1_T2_jT3_P12ihipStream_tbPNSt15iterator_traitsISK_E10value_typeEPNSQ_ISL_E10value_typeEPSM_NS1_7vsmem_tEENKUlT_SK_SL_SM_E_clIPiSE_SF_SF_EESJ_SZ_SK_SL_SM_EUlSZ_E_NS1_11comp_targetILNS1_3genE3ELNS1_11target_archE908ELNS1_3gpuE7ELNS1_3repE0EEENS1_48merge_mergepath_partition_config_static_selectorELNS0_4arch9wavefront6targetE0EEEvSL_.uses_flat_scratch, 0
	.set _ZN7rocprim17ROCPRIM_400000_NS6detail17trampoline_kernelINS0_14default_configENS1_38merge_sort_block_merge_config_selectorIiNS0_10empty_typeEEEZZNS1_27merge_sort_block_merge_implIS3_N6thrust23THRUST_200600_302600_NS6detail15normal_iteratorINS9_10device_ptrIiEEEEPS5_jNS1_19radix_merge_compareILb0ELb0EiNS0_19identity_decomposerEEEEE10hipError_tT0_T1_T2_jT3_P12ihipStream_tbPNSt15iterator_traitsISK_E10value_typeEPNSQ_ISL_E10value_typeEPSM_NS1_7vsmem_tEENKUlT_SK_SL_SM_E_clIPiSE_SF_SF_EESJ_SZ_SK_SL_SM_EUlSZ_E_NS1_11comp_targetILNS1_3genE3ELNS1_11target_archE908ELNS1_3gpuE7ELNS1_3repE0EEENS1_48merge_mergepath_partition_config_static_selectorELNS0_4arch9wavefront6targetE0EEEvSL_.has_dyn_sized_stack, 0
	.set _ZN7rocprim17ROCPRIM_400000_NS6detail17trampoline_kernelINS0_14default_configENS1_38merge_sort_block_merge_config_selectorIiNS0_10empty_typeEEEZZNS1_27merge_sort_block_merge_implIS3_N6thrust23THRUST_200600_302600_NS6detail15normal_iteratorINS9_10device_ptrIiEEEEPS5_jNS1_19radix_merge_compareILb0ELb0EiNS0_19identity_decomposerEEEEE10hipError_tT0_T1_T2_jT3_P12ihipStream_tbPNSt15iterator_traitsISK_E10value_typeEPNSQ_ISL_E10value_typeEPSM_NS1_7vsmem_tEENKUlT_SK_SL_SM_E_clIPiSE_SF_SF_EESJ_SZ_SK_SL_SM_EUlSZ_E_NS1_11comp_targetILNS1_3genE3ELNS1_11target_archE908ELNS1_3gpuE7ELNS1_3repE0EEENS1_48merge_mergepath_partition_config_static_selectorELNS0_4arch9wavefront6targetE0EEEvSL_.has_recursion, 0
	.set _ZN7rocprim17ROCPRIM_400000_NS6detail17trampoline_kernelINS0_14default_configENS1_38merge_sort_block_merge_config_selectorIiNS0_10empty_typeEEEZZNS1_27merge_sort_block_merge_implIS3_N6thrust23THRUST_200600_302600_NS6detail15normal_iteratorINS9_10device_ptrIiEEEEPS5_jNS1_19radix_merge_compareILb0ELb0EiNS0_19identity_decomposerEEEEE10hipError_tT0_T1_T2_jT3_P12ihipStream_tbPNSt15iterator_traitsISK_E10value_typeEPNSQ_ISL_E10value_typeEPSM_NS1_7vsmem_tEENKUlT_SK_SL_SM_E_clIPiSE_SF_SF_EESJ_SZ_SK_SL_SM_EUlSZ_E_NS1_11comp_targetILNS1_3genE3ELNS1_11target_archE908ELNS1_3gpuE7ELNS1_3repE0EEENS1_48merge_mergepath_partition_config_static_selectorELNS0_4arch9wavefront6targetE0EEEvSL_.has_indirect_call, 0
	.section	.AMDGPU.csdata,"",@progbits
; Kernel info:
; codeLenInByte = 0
; TotalNumSgprs: 0
; NumVgprs: 0
; ScratchSize: 0
; MemoryBound: 0
; FloatMode: 240
; IeeeMode: 1
; LDSByteSize: 0 bytes/workgroup (compile time only)
; SGPRBlocks: 0
; VGPRBlocks: 0
; NumSGPRsForWavesPerEU: 1
; NumVGPRsForWavesPerEU: 1
; Occupancy: 16
; WaveLimiterHint : 0
; COMPUTE_PGM_RSRC2:SCRATCH_EN: 0
; COMPUTE_PGM_RSRC2:USER_SGPR: 6
; COMPUTE_PGM_RSRC2:TRAP_HANDLER: 0
; COMPUTE_PGM_RSRC2:TGID_X_EN: 1
; COMPUTE_PGM_RSRC2:TGID_Y_EN: 0
; COMPUTE_PGM_RSRC2:TGID_Z_EN: 0
; COMPUTE_PGM_RSRC2:TIDIG_COMP_CNT: 0
	.section	.text._ZN7rocprim17ROCPRIM_400000_NS6detail17trampoline_kernelINS0_14default_configENS1_38merge_sort_block_merge_config_selectorIiNS0_10empty_typeEEEZZNS1_27merge_sort_block_merge_implIS3_N6thrust23THRUST_200600_302600_NS6detail15normal_iteratorINS9_10device_ptrIiEEEEPS5_jNS1_19radix_merge_compareILb0ELb0EiNS0_19identity_decomposerEEEEE10hipError_tT0_T1_T2_jT3_P12ihipStream_tbPNSt15iterator_traitsISK_E10value_typeEPNSQ_ISL_E10value_typeEPSM_NS1_7vsmem_tEENKUlT_SK_SL_SM_E_clIPiSE_SF_SF_EESJ_SZ_SK_SL_SM_EUlSZ_E_NS1_11comp_targetILNS1_3genE2ELNS1_11target_archE906ELNS1_3gpuE6ELNS1_3repE0EEENS1_48merge_mergepath_partition_config_static_selectorELNS0_4arch9wavefront6targetE0EEEvSL_,"axG",@progbits,_ZN7rocprim17ROCPRIM_400000_NS6detail17trampoline_kernelINS0_14default_configENS1_38merge_sort_block_merge_config_selectorIiNS0_10empty_typeEEEZZNS1_27merge_sort_block_merge_implIS3_N6thrust23THRUST_200600_302600_NS6detail15normal_iteratorINS9_10device_ptrIiEEEEPS5_jNS1_19radix_merge_compareILb0ELb0EiNS0_19identity_decomposerEEEEE10hipError_tT0_T1_T2_jT3_P12ihipStream_tbPNSt15iterator_traitsISK_E10value_typeEPNSQ_ISL_E10value_typeEPSM_NS1_7vsmem_tEENKUlT_SK_SL_SM_E_clIPiSE_SF_SF_EESJ_SZ_SK_SL_SM_EUlSZ_E_NS1_11comp_targetILNS1_3genE2ELNS1_11target_archE906ELNS1_3gpuE6ELNS1_3repE0EEENS1_48merge_mergepath_partition_config_static_selectorELNS0_4arch9wavefront6targetE0EEEvSL_,comdat
	.protected	_ZN7rocprim17ROCPRIM_400000_NS6detail17trampoline_kernelINS0_14default_configENS1_38merge_sort_block_merge_config_selectorIiNS0_10empty_typeEEEZZNS1_27merge_sort_block_merge_implIS3_N6thrust23THRUST_200600_302600_NS6detail15normal_iteratorINS9_10device_ptrIiEEEEPS5_jNS1_19radix_merge_compareILb0ELb0EiNS0_19identity_decomposerEEEEE10hipError_tT0_T1_T2_jT3_P12ihipStream_tbPNSt15iterator_traitsISK_E10value_typeEPNSQ_ISL_E10value_typeEPSM_NS1_7vsmem_tEENKUlT_SK_SL_SM_E_clIPiSE_SF_SF_EESJ_SZ_SK_SL_SM_EUlSZ_E_NS1_11comp_targetILNS1_3genE2ELNS1_11target_archE906ELNS1_3gpuE6ELNS1_3repE0EEENS1_48merge_mergepath_partition_config_static_selectorELNS0_4arch9wavefront6targetE0EEEvSL_ ; -- Begin function _ZN7rocprim17ROCPRIM_400000_NS6detail17trampoline_kernelINS0_14default_configENS1_38merge_sort_block_merge_config_selectorIiNS0_10empty_typeEEEZZNS1_27merge_sort_block_merge_implIS3_N6thrust23THRUST_200600_302600_NS6detail15normal_iteratorINS9_10device_ptrIiEEEEPS5_jNS1_19radix_merge_compareILb0ELb0EiNS0_19identity_decomposerEEEEE10hipError_tT0_T1_T2_jT3_P12ihipStream_tbPNSt15iterator_traitsISK_E10value_typeEPNSQ_ISL_E10value_typeEPSM_NS1_7vsmem_tEENKUlT_SK_SL_SM_E_clIPiSE_SF_SF_EESJ_SZ_SK_SL_SM_EUlSZ_E_NS1_11comp_targetILNS1_3genE2ELNS1_11target_archE906ELNS1_3gpuE6ELNS1_3repE0EEENS1_48merge_mergepath_partition_config_static_selectorELNS0_4arch9wavefront6targetE0EEEvSL_
	.globl	_ZN7rocprim17ROCPRIM_400000_NS6detail17trampoline_kernelINS0_14default_configENS1_38merge_sort_block_merge_config_selectorIiNS0_10empty_typeEEEZZNS1_27merge_sort_block_merge_implIS3_N6thrust23THRUST_200600_302600_NS6detail15normal_iteratorINS9_10device_ptrIiEEEEPS5_jNS1_19radix_merge_compareILb0ELb0EiNS0_19identity_decomposerEEEEE10hipError_tT0_T1_T2_jT3_P12ihipStream_tbPNSt15iterator_traitsISK_E10value_typeEPNSQ_ISL_E10value_typeEPSM_NS1_7vsmem_tEENKUlT_SK_SL_SM_E_clIPiSE_SF_SF_EESJ_SZ_SK_SL_SM_EUlSZ_E_NS1_11comp_targetILNS1_3genE2ELNS1_11target_archE906ELNS1_3gpuE6ELNS1_3repE0EEENS1_48merge_mergepath_partition_config_static_selectorELNS0_4arch9wavefront6targetE0EEEvSL_
	.p2align	8
	.type	_ZN7rocprim17ROCPRIM_400000_NS6detail17trampoline_kernelINS0_14default_configENS1_38merge_sort_block_merge_config_selectorIiNS0_10empty_typeEEEZZNS1_27merge_sort_block_merge_implIS3_N6thrust23THRUST_200600_302600_NS6detail15normal_iteratorINS9_10device_ptrIiEEEEPS5_jNS1_19radix_merge_compareILb0ELb0EiNS0_19identity_decomposerEEEEE10hipError_tT0_T1_T2_jT3_P12ihipStream_tbPNSt15iterator_traitsISK_E10value_typeEPNSQ_ISL_E10value_typeEPSM_NS1_7vsmem_tEENKUlT_SK_SL_SM_E_clIPiSE_SF_SF_EESJ_SZ_SK_SL_SM_EUlSZ_E_NS1_11comp_targetILNS1_3genE2ELNS1_11target_archE906ELNS1_3gpuE6ELNS1_3repE0EEENS1_48merge_mergepath_partition_config_static_selectorELNS0_4arch9wavefront6targetE0EEEvSL_,@function
_ZN7rocprim17ROCPRIM_400000_NS6detail17trampoline_kernelINS0_14default_configENS1_38merge_sort_block_merge_config_selectorIiNS0_10empty_typeEEEZZNS1_27merge_sort_block_merge_implIS3_N6thrust23THRUST_200600_302600_NS6detail15normal_iteratorINS9_10device_ptrIiEEEEPS5_jNS1_19radix_merge_compareILb0ELb0EiNS0_19identity_decomposerEEEEE10hipError_tT0_T1_T2_jT3_P12ihipStream_tbPNSt15iterator_traitsISK_E10value_typeEPNSQ_ISL_E10value_typeEPSM_NS1_7vsmem_tEENKUlT_SK_SL_SM_E_clIPiSE_SF_SF_EESJ_SZ_SK_SL_SM_EUlSZ_E_NS1_11comp_targetILNS1_3genE2ELNS1_11target_archE906ELNS1_3gpuE6ELNS1_3repE0EEENS1_48merge_mergepath_partition_config_static_selectorELNS0_4arch9wavefront6targetE0EEEvSL_: ; @_ZN7rocprim17ROCPRIM_400000_NS6detail17trampoline_kernelINS0_14default_configENS1_38merge_sort_block_merge_config_selectorIiNS0_10empty_typeEEEZZNS1_27merge_sort_block_merge_implIS3_N6thrust23THRUST_200600_302600_NS6detail15normal_iteratorINS9_10device_ptrIiEEEEPS5_jNS1_19radix_merge_compareILb0ELb0EiNS0_19identity_decomposerEEEEE10hipError_tT0_T1_T2_jT3_P12ihipStream_tbPNSt15iterator_traitsISK_E10value_typeEPNSQ_ISL_E10value_typeEPSM_NS1_7vsmem_tEENKUlT_SK_SL_SM_E_clIPiSE_SF_SF_EESJ_SZ_SK_SL_SM_EUlSZ_E_NS1_11comp_targetILNS1_3genE2ELNS1_11target_archE906ELNS1_3gpuE6ELNS1_3repE0EEENS1_48merge_mergepath_partition_config_static_selectorELNS0_4arch9wavefront6targetE0EEEvSL_
; %bb.0:
	.section	.rodata,"a",@progbits
	.p2align	6, 0x0
	.amdhsa_kernel _ZN7rocprim17ROCPRIM_400000_NS6detail17trampoline_kernelINS0_14default_configENS1_38merge_sort_block_merge_config_selectorIiNS0_10empty_typeEEEZZNS1_27merge_sort_block_merge_implIS3_N6thrust23THRUST_200600_302600_NS6detail15normal_iteratorINS9_10device_ptrIiEEEEPS5_jNS1_19radix_merge_compareILb0ELb0EiNS0_19identity_decomposerEEEEE10hipError_tT0_T1_T2_jT3_P12ihipStream_tbPNSt15iterator_traitsISK_E10value_typeEPNSQ_ISL_E10value_typeEPSM_NS1_7vsmem_tEENKUlT_SK_SL_SM_E_clIPiSE_SF_SF_EESJ_SZ_SK_SL_SM_EUlSZ_E_NS1_11comp_targetILNS1_3genE2ELNS1_11target_archE906ELNS1_3gpuE6ELNS1_3repE0EEENS1_48merge_mergepath_partition_config_static_selectorELNS0_4arch9wavefront6targetE0EEEvSL_
		.amdhsa_group_segment_fixed_size 0
		.amdhsa_private_segment_fixed_size 0
		.amdhsa_kernarg_size 40
		.amdhsa_user_sgpr_count 6
		.amdhsa_user_sgpr_private_segment_buffer 1
		.amdhsa_user_sgpr_dispatch_ptr 0
		.amdhsa_user_sgpr_queue_ptr 0
		.amdhsa_user_sgpr_kernarg_segment_ptr 1
		.amdhsa_user_sgpr_dispatch_id 0
		.amdhsa_user_sgpr_flat_scratch_init 0
		.amdhsa_user_sgpr_private_segment_size 0
		.amdhsa_wavefront_size32 1
		.amdhsa_uses_dynamic_stack 0
		.amdhsa_system_sgpr_private_segment_wavefront_offset 0
		.amdhsa_system_sgpr_workgroup_id_x 1
		.amdhsa_system_sgpr_workgroup_id_y 0
		.amdhsa_system_sgpr_workgroup_id_z 0
		.amdhsa_system_sgpr_workgroup_info 0
		.amdhsa_system_vgpr_workitem_id 0
		.amdhsa_next_free_vgpr 1
		.amdhsa_next_free_sgpr 1
		.amdhsa_reserve_vcc 0
		.amdhsa_reserve_flat_scratch 0
		.amdhsa_float_round_mode_32 0
		.amdhsa_float_round_mode_16_64 0
		.amdhsa_float_denorm_mode_32 3
		.amdhsa_float_denorm_mode_16_64 3
		.amdhsa_dx10_clamp 1
		.amdhsa_ieee_mode 1
		.amdhsa_fp16_overflow 0
		.amdhsa_workgroup_processor_mode 1
		.amdhsa_memory_ordered 1
		.amdhsa_forward_progress 1
		.amdhsa_shared_vgpr_count 0
		.amdhsa_exception_fp_ieee_invalid_op 0
		.amdhsa_exception_fp_denorm_src 0
		.amdhsa_exception_fp_ieee_div_zero 0
		.amdhsa_exception_fp_ieee_overflow 0
		.amdhsa_exception_fp_ieee_underflow 0
		.amdhsa_exception_fp_ieee_inexact 0
		.amdhsa_exception_int_div_zero 0
	.end_amdhsa_kernel
	.section	.text._ZN7rocprim17ROCPRIM_400000_NS6detail17trampoline_kernelINS0_14default_configENS1_38merge_sort_block_merge_config_selectorIiNS0_10empty_typeEEEZZNS1_27merge_sort_block_merge_implIS3_N6thrust23THRUST_200600_302600_NS6detail15normal_iteratorINS9_10device_ptrIiEEEEPS5_jNS1_19radix_merge_compareILb0ELb0EiNS0_19identity_decomposerEEEEE10hipError_tT0_T1_T2_jT3_P12ihipStream_tbPNSt15iterator_traitsISK_E10value_typeEPNSQ_ISL_E10value_typeEPSM_NS1_7vsmem_tEENKUlT_SK_SL_SM_E_clIPiSE_SF_SF_EESJ_SZ_SK_SL_SM_EUlSZ_E_NS1_11comp_targetILNS1_3genE2ELNS1_11target_archE906ELNS1_3gpuE6ELNS1_3repE0EEENS1_48merge_mergepath_partition_config_static_selectorELNS0_4arch9wavefront6targetE0EEEvSL_,"axG",@progbits,_ZN7rocprim17ROCPRIM_400000_NS6detail17trampoline_kernelINS0_14default_configENS1_38merge_sort_block_merge_config_selectorIiNS0_10empty_typeEEEZZNS1_27merge_sort_block_merge_implIS3_N6thrust23THRUST_200600_302600_NS6detail15normal_iteratorINS9_10device_ptrIiEEEEPS5_jNS1_19radix_merge_compareILb0ELb0EiNS0_19identity_decomposerEEEEE10hipError_tT0_T1_T2_jT3_P12ihipStream_tbPNSt15iterator_traitsISK_E10value_typeEPNSQ_ISL_E10value_typeEPSM_NS1_7vsmem_tEENKUlT_SK_SL_SM_E_clIPiSE_SF_SF_EESJ_SZ_SK_SL_SM_EUlSZ_E_NS1_11comp_targetILNS1_3genE2ELNS1_11target_archE906ELNS1_3gpuE6ELNS1_3repE0EEENS1_48merge_mergepath_partition_config_static_selectorELNS0_4arch9wavefront6targetE0EEEvSL_,comdat
.Lfunc_end24:
	.size	_ZN7rocprim17ROCPRIM_400000_NS6detail17trampoline_kernelINS0_14default_configENS1_38merge_sort_block_merge_config_selectorIiNS0_10empty_typeEEEZZNS1_27merge_sort_block_merge_implIS3_N6thrust23THRUST_200600_302600_NS6detail15normal_iteratorINS9_10device_ptrIiEEEEPS5_jNS1_19radix_merge_compareILb0ELb0EiNS0_19identity_decomposerEEEEE10hipError_tT0_T1_T2_jT3_P12ihipStream_tbPNSt15iterator_traitsISK_E10value_typeEPNSQ_ISL_E10value_typeEPSM_NS1_7vsmem_tEENKUlT_SK_SL_SM_E_clIPiSE_SF_SF_EESJ_SZ_SK_SL_SM_EUlSZ_E_NS1_11comp_targetILNS1_3genE2ELNS1_11target_archE906ELNS1_3gpuE6ELNS1_3repE0EEENS1_48merge_mergepath_partition_config_static_selectorELNS0_4arch9wavefront6targetE0EEEvSL_, .Lfunc_end24-_ZN7rocprim17ROCPRIM_400000_NS6detail17trampoline_kernelINS0_14default_configENS1_38merge_sort_block_merge_config_selectorIiNS0_10empty_typeEEEZZNS1_27merge_sort_block_merge_implIS3_N6thrust23THRUST_200600_302600_NS6detail15normal_iteratorINS9_10device_ptrIiEEEEPS5_jNS1_19radix_merge_compareILb0ELb0EiNS0_19identity_decomposerEEEEE10hipError_tT0_T1_T2_jT3_P12ihipStream_tbPNSt15iterator_traitsISK_E10value_typeEPNSQ_ISL_E10value_typeEPSM_NS1_7vsmem_tEENKUlT_SK_SL_SM_E_clIPiSE_SF_SF_EESJ_SZ_SK_SL_SM_EUlSZ_E_NS1_11comp_targetILNS1_3genE2ELNS1_11target_archE906ELNS1_3gpuE6ELNS1_3repE0EEENS1_48merge_mergepath_partition_config_static_selectorELNS0_4arch9wavefront6targetE0EEEvSL_
                                        ; -- End function
	.set _ZN7rocprim17ROCPRIM_400000_NS6detail17trampoline_kernelINS0_14default_configENS1_38merge_sort_block_merge_config_selectorIiNS0_10empty_typeEEEZZNS1_27merge_sort_block_merge_implIS3_N6thrust23THRUST_200600_302600_NS6detail15normal_iteratorINS9_10device_ptrIiEEEEPS5_jNS1_19radix_merge_compareILb0ELb0EiNS0_19identity_decomposerEEEEE10hipError_tT0_T1_T2_jT3_P12ihipStream_tbPNSt15iterator_traitsISK_E10value_typeEPNSQ_ISL_E10value_typeEPSM_NS1_7vsmem_tEENKUlT_SK_SL_SM_E_clIPiSE_SF_SF_EESJ_SZ_SK_SL_SM_EUlSZ_E_NS1_11comp_targetILNS1_3genE2ELNS1_11target_archE906ELNS1_3gpuE6ELNS1_3repE0EEENS1_48merge_mergepath_partition_config_static_selectorELNS0_4arch9wavefront6targetE0EEEvSL_.num_vgpr, 0
	.set _ZN7rocprim17ROCPRIM_400000_NS6detail17trampoline_kernelINS0_14default_configENS1_38merge_sort_block_merge_config_selectorIiNS0_10empty_typeEEEZZNS1_27merge_sort_block_merge_implIS3_N6thrust23THRUST_200600_302600_NS6detail15normal_iteratorINS9_10device_ptrIiEEEEPS5_jNS1_19radix_merge_compareILb0ELb0EiNS0_19identity_decomposerEEEEE10hipError_tT0_T1_T2_jT3_P12ihipStream_tbPNSt15iterator_traitsISK_E10value_typeEPNSQ_ISL_E10value_typeEPSM_NS1_7vsmem_tEENKUlT_SK_SL_SM_E_clIPiSE_SF_SF_EESJ_SZ_SK_SL_SM_EUlSZ_E_NS1_11comp_targetILNS1_3genE2ELNS1_11target_archE906ELNS1_3gpuE6ELNS1_3repE0EEENS1_48merge_mergepath_partition_config_static_selectorELNS0_4arch9wavefront6targetE0EEEvSL_.num_agpr, 0
	.set _ZN7rocprim17ROCPRIM_400000_NS6detail17trampoline_kernelINS0_14default_configENS1_38merge_sort_block_merge_config_selectorIiNS0_10empty_typeEEEZZNS1_27merge_sort_block_merge_implIS3_N6thrust23THRUST_200600_302600_NS6detail15normal_iteratorINS9_10device_ptrIiEEEEPS5_jNS1_19radix_merge_compareILb0ELb0EiNS0_19identity_decomposerEEEEE10hipError_tT0_T1_T2_jT3_P12ihipStream_tbPNSt15iterator_traitsISK_E10value_typeEPNSQ_ISL_E10value_typeEPSM_NS1_7vsmem_tEENKUlT_SK_SL_SM_E_clIPiSE_SF_SF_EESJ_SZ_SK_SL_SM_EUlSZ_E_NS1_11comp_targetILNS1_3genE2ELNS1_11target_archE906ELNS1_3gpuE6ELNS1_3repE0EEENS1_48merge_mergepath_partition_config_static_selectorELNS0_4arch9wavefront6targetE0EEEvSL_.numbered_sgpr, 0
	.set _ZN7rocprim17ROCPRIM_400000_NS6detail17trampoline_kernelINS0_14default_configENS1_38merge_sort_block_merge_config_selectorIiNS0_10empty_typeEEEZZNS1_27merge_sort_block_merge_implIS3_N6thrust23THRUST_200600_302600_NS6detail15normal_iteratorINS9_10device_ptrIiEEEEPS5_jNS1_19radix_merge_compareILb0ELb0EiNS0_19identity_decomposerEEEEE10hipError_tT0_T1_T2_jT3_P12ihipStream_tbPNSt15iterator_traitsISK_E10value_typeEPNSQ_ISL_E10value_typeEPSM_NS1_7vsmem_tEENKUlT_SK_SL_SM_E_clIPiSE_SF_SF_EESJ_SZ_SK_SL_SM_EUlSZ_E_NS1_11comp_targetILNS1_3genE2ELNS1_11target_archE906ELNS1_3gpuE6ELNS1_3repE0EEENS1_48merge_mergepath_partition_config_static_selectorELNS0_4arch9wavefront6targetE0EEEvSL_.num_named_barrier, 0
	.set _ZN7rocprim17ROCPRIM_400000_NS6detail17trampoline_kernelINS0_14default_configENS1_38merge_sort_block_merge_config_selectorIiNS0_10empty_typeEEEZZNS1_27merge_sort_block_merge_implIS3_N6thrust23THRUST_200600_302600_NS6detail15normal_iteratorINS9_10device_ptrIiEEEEPS5_jNS1_19radix_merge_compareILb0ELb0EiNS0_19identity_decomposerEEEEE10hipError_tT0_T1_T2_jT3_P12ihipStream_tbPNSt15iterator_traitsISK_E10value_typeEPNSQ_ISL_E10value_typeEPSM_NS1_7vsmem_tEENKUlT_SK_SL_SM_E_clIPiSE_SF_SF_EESJ_SZ_SK_SL_SM_EUlSZ_E_NS1_11comp_targetILNS1_3genE2ELNS1_11target_archE906ELNS1_3gpuE6ELNS1_3repE0EEENS1_48merge_mergepath_partition_config_static_selectorELNS0_4arch9wavefront6targetE0EEEvSL_.private_seg_size, 0
	.set _ZN7rocprim17ROCPRIM_400000_NS6detail17trampoline_kernelINS0_14default_configENS1_38merge_sort_block_merge_config_selectorIiNS0_10empty_typeEEEZZNS1_27merge_sort_block_merge_implIS3_N6thrust23THRUST_200600_302600_NS6detail15normal_iteratorINS9_10device_ptrIiEEEEPS5_jNS1_19radix_merge_compareILb0ELb0EiNS0_19identity_decomposerEEEEE10hipError_tT0_T1_T2_jT3_P12ihipStream_tbPNSt15iterator_traitsISK_E10value_typeEPNSQ_ISL_E10value_typeEPSM_NS1_7vsmem_tEENKUlT_SK_SL_SM_E_clIPiSE_SF_SF_EESJ_SZ_SK_SL_SM_EUlSZ_E_NS1_11comp_targetILNS1_3genE2ELNS1_11target_archE906ELNS1_3gpuE6ELNS1_3repE0EEENS1_48merge_mergepath_partition_config_static_selectorELNS0_4arch9wavefront6targetE0EEEvSL_.uses_vcc, 0
	.set _ZN7rocprim17ROCPRIM_400000_NS6detail17trampoline_kernelINS0_14default_configENS1_38merge_sort_block_merge_config_selectorIiNS0_10empty_typeEEEZZNS1_27merge_sort_block_merge_implIS3_N6thrust23THRUST_200600_302600_NS6detail15normal_iteratorINS9_10device_ptrIiEEEEPS5_jNS1_19radix_merge_compareILb0ELb0EiNS0_19identity_decomposerEEEEE10hipError_tT0_T1_T2_jT3_P12ihipStream_tbPNSt15iterator_traitsISK_E10value_typeEPNSQ_ISL_E10value_typeEPSM_NS1_7vsmem_tEENKUlT_SK_SL_SM_E_clIPiSE_SF_SF_EESJ_SZ_SK_SL_SM_EUlSZ_E_NS1_11comp_targetILNS1_3genE2ELNS1_11target_archE906ELNS1_3gpuE6ELNS1_3repE0EEENS1_48merge_mergepath_partition_config_static_selectorELNS0_4arch9wavefront6targetE0EEEvSL_.uses_flat_scratch, 0
	.set _ZN7rocprim17ROCPRIM_400000_NS6detail17trampoline_kernelINS0_14default_configENS1_38merge_sort_block_merge_config_selectorIiNS0_10empty_typeEEEZZNS1_27merge_sort_block_merge_implIS3_N6thrust23THRUST_200600_302600_NS6detail15normal_iteratorINS9_10device_ptrIiEEEEPS5_jNS1_19radix_merge_compareILb0ELb0EiNS0_19identity_decomposerEEEEE10hipError_tT0_T1_T2_jT3_P12ihipStream_tbPNSt15iterator_traitsISK_E10value_typeEPNSQ_ISL_E10value_typeEPSM_NS1_7vsmem_tEENKUlT_SK_SL_SM_E_clIPiSE_SF_SF_EESJ_SZ_SK_SL_SM_EUlSZ_E_NS1_11comp_targetILNS1_3genE2ELNS1_11target_archE906ELNS1_3gpuE6ELNS1_3repE0EEENS1_48merge_mergepath_partition_config_static_selectorELNS0_4arch9wavefront6targetE0EEEvSL_.has_dyn_sized_stack, 0
	.set _ZN7rocprim17ROCPRIM_400000_NS6detail17trampoline_kernelINS0_14default_configENS1_38merge_sort_block_merge_config_selectorIiNS0_10empty_typeEEEZZNS1_27merge_sort_block_merge_implIS3_N6thrust23THRUST_200600_302600_NS6detail15normal_iteratorINS9_10device_ptrIiEEEEPS5_jNS1_19radix_merge_compareILb0ELb0EiNS0_19identity_decomposerEEEEE10hipError_tT0_T1_T2_jT3_P12ihipStream_tbPNSt15iterator_traitsISK_E10value_typeEPNSQ_ISL_E10value_typeEPSM_NS1_7vsmem_tEENKUlT_SK_SL_SM_E_clIPiSE_SF_SF_EESJ_SZ_SK_SL_SM_EUlSZ_E_NS1_11comp_targetILNS1_3genE2ELNS1_11target_archE906ELNS1_3gpuE6ELNS1_3repE0EEENS1_48merge_mergepath_partition_config_static_selectorELNS0_4arch9wavefront6targetE0EEEvSL_.has_recursion, 0
	.set _ZN7rocprim17ROCPRIM_400000_NS6detail17trampoline_kernelINS0_14default_configENS1_38merge_sort_block_merge_config_selectorIiNS0_10empty_typeEEEZZNS1_27merge_sort_block_merge_implIS3_N6thrust23THRUST_200600_302600_NS6detail15normal_iteratorINS9_10device_ptrIiEEEEPS5_jNS1_19radix_merge_compareILb0ELb0EiNS0_19identity_decomposerEEEEE10hipError_tT0_T1_T2_jT3_P12ihipStream_tbPNSt15iterator_traitsISK_E10value_typeEPNSQ_ISL_E10value_typeEPSM_NS1_7vsmem_tEENKUlT_SK_SL_SM_E_clIPiSE_SF_SF_EESJ_SZ_SK_SL_SM_EUlSZ_E_NS1_11comp_targetILNS1_3genE2ELNS1_11target_archE906ELNS1_3gpuE6ELNS1_3repE0EEENS1_48merge_mergepath_partition_config_static_selectorELNS0_4arch9wavefront6targetE0EEEvSL_.has_indirect_call, 0
	.section	.AMDGPU.csdata,"",@progbits
; Kernel info:
; codeLenInByte = 0
; TotalNumSgprs: 0
; NumVgprs: 0
; ScratchSize: 0
; MemoryBound: 0
; FloatMode: 240
; IeeeMode: 1
; LDSByteSize: 0 bytes/workgroup (compile time only)
; SGPRBlocks: 0
; VGPRBlocks: 0
; NumSGPRsForWavesPerEU: 1
; NumVGPRsForWavesPerEU: 1
; Occupancy: 16
; WaveLimiterHint : 0
; COMPUTE_PGM_RSRC2:SCRATCH_EN: 0
; COMPUTE_PGM_RSRC2:USER_SGPR: 6
; COMPUTE_PGM_RSRC2:TRAP_HANDLER: 0
; COMPUTE_PGM_RSRC2:TGID_X_EN: 1
; COMPUTE_PGM_RSRC2:TGID_Y_EN: 0
; COMPUTE_PGM_RSRC2:TGID_Z_EN: 0
; COMPUTE_PGM_RSRC2:TIDIG_COMP_CNT: 0
	.section	.text._ZN7rocprim17ROCPRIM_400000_NS6detail17trampoline_kernelINS0_14default_configENS1_38merge_sort_block_merge_config_selectorIiNS0_10empty_typeEEEZZNS1_27merge_sort_block_merge_implIS3_N6thrust23THRUST_200600_302600_NS6detail15normal_iteratorINS9_10device_ptrIiEEEEPS5_jNS1_19radix_merge_compareILb0ELb0EiNS0_19identity_decomposerEEEEE10hipError_tT0_T1_T2_jT3_P12ihipStream_tbPNSt15iterator_traitsISK_E10value_typeEPNSQ_ISL_E10value_typeEPSM_NS1_7vsmem_tEENKUlT_SK_SL_SM_E_clIPiSE_SF_SF_EESJ_SZ_SK_SL_SM_EUlSZ_E_NS1_11comp_targetILNS1_3genE9ELNS1_11target_archE1100ELNS1_3gpuE3ELNS1_3repE0EEENS1_48merge_mergepath_partition_config_static_selectorELNS0_4arch9wavefront6targetE0EEEvSL_,"axG",@progbits,_ZN7rocprim17ROCPRIM_400000_NS6detail17trampoline_kernelINS0_14default_configENS1_38merge_sort_block_merge_config_selectorIiNS0_10empty_typeEEEZZNS1_27merge_sort_block_merge_implIS3_N6thrust23THRUST_200600_302600_NS6detail15normal_iteratorINS9_10device_ptrIiEEEEPS5_jNS1_19radix_merge_compareILb0ELb0EiNS0_19identity_decomposerEEEEE10hipError_tT0_T1_T2_jT3_P12ihipStream_tbPNSt15iterator_traitsISK_E10value_typeEPNSQ_ISL_E10value_typeEPSM_NS1_7vsmem_tEENKUlT_SK_SL_SM_E_clIPiSE_SF_SF_EESJ_SZ_SK_SL_SM_EUlSZ_E_NS1_11comp_targetILNS1_3genE9ELNS1_11target_archE1100ELNS1_3gpuE3ELNS1_3repE0EEENS1_48merge_mergepath_partition_config_static_selectorELNS0_4arch9wavefront6targetE0EEEvSL_,comdat
	.protected	_ZN7rocprim17ROCPRIM_400000_NS6detail17trampoline_kernelINS0_14default_configENS1_38merge_sort_block_merge_config_selectorIiNS0_10empty_typeEEEZZNS1_27merge_sort_block_merge_implIS3_N6thrust23THRUST_200600_302600_NS6detail15normal_iteratorINS9_10device_ptrIiEEEEPS5_jNS1_19radix_merge_compareILb0ELb0EiNS0_19identity_decomposerEEEEE10hipError_tT0_T1_T2_jT3_P12ihipStream_tbPNSt15iterator_traitsISK_E10value_typeEPNSQ_ISL_E10value_typeEPSM_NS1_7vsmem_tEENKUlT_SK_SL_SM_E_clIPiSE_SF_SF_EESJ_SZ_SK_SL_SM_EUlSZ_E_NS1_11comp_targetILNS1_3genE9ELNS1_11target_archE1100ELNS1_3gpuE3ELNS1_3repE0EEENS1_48merge_mergepath_partition_config_static_selectorELNS0_4arch9wavefront6targetE0EEEvSL_ ; -- Begin function _ZN7rocprim17ROCPRIM_400000_NS6detail17trampoline_kernelINS0_14default_configENS1_38merge_sort_block_merge_config_selectorIiNS0_10empty_typeEEEZZNS1_27merge_sort_block_merge_implIS3_N6thrust23THRUST_200600_302600_NS6detail15normal_iteratorINS9_10device_ptrIiEEEEPS5_jNS1_19radix_merge_compareILb0ELb0EiNS0_19identity_decomposerEEEEE10hipError_tT0_T1_T2_jT3_P12ihipStream_tbPNSt15iterator_traitsISK_E10value_typeEPNSQ_ISL_E10value_typeEPSM_NS1_7vsmem_tEENKUlT_SK_SL_SM_E_clIPiSE_SF_SF_EESJ_SZ_SK_SL_SM_EUlSZ_E_NS1_11comp_targetILNS1_3genE9ELNS1_11target_archE1100ELNS1_3gpuE3ELNS1_3repE0EEENS1_48merge_mergepath_partition_config_static_selectorELNS0_4arch9wavefront6targetE0EEEvSL_
	.globl	_ZN7rocprim17ROCPRIM_400000_NS6detail17trampoline_kernelINS0_14default_configENS1_38merge_sort_block_merge_config_selectorIiNS0_10empty_typeEEEZZNS1_27merge_sort_block_merge_implIS3_N6thrust23THRUST_200600_302600_NS6detail15normal_iteratorINS9_10device_ptrIiEEEEPS5_jNS1_19radix_merge_compareILb0ELb0EiNS0_19identity_decomposerEEEEE10hipError_tT0_T1_T2_jT3_P12ihipStream_tbPNSt15iterator_traitsISK_E10value_typeEPNSQ_ISL_E10value_typeEPSM_NS1_7vsmem_tEENKUlT_SK_SL_SM_E_clIPiSE_SF_SF_EESJ_SZ_SK_SL_SM_EUlSZ_E_NS1_11comp_targetILNS1_3genE9ELNS1_11target_archE1100ELNS1_3gpuE3ELNS1_3repE0EEENS1_48merge_mergepath_partition_config_static_selectorELNS0_4arch9wavefront6targetE0EEEvSL_
	.p2align	8
	.type	_ZN7rocprim17ROCPRIM_400000_NS6detail17trampoline_kernelINS0_14default_configENS1_38merge_sort_block_merge_config_selectorIiNS0_10empty_typeEEEZZNS1_27merge_sort_block_merge_implIS3_N6thrust23THRUST_200600_302600_NS6detail15normal_iteratorINS9_10device_ptrIiEEEEPS5_jNS1_19radix_merge_compareILb0ELb0EiNS0_19identity_decomposerEEEEE10hipError_tT0_T1_T2_jT3_P12ihipStream_tbPNSt15iterator_traitsISK_E10value_typeEPNSQ_ISL_E10value_typeEPSM_NS1_7vsmem_tEENKUlT_SK_SL_SM_E_clIPiSE_SF_SF_EESJ_SZ_SK_SL_SM_EUlSZ_E_NS1_11comp_targetILNS1_3genE9ELNS1_11target_archE1100ELNS1_3gpuE3ELNS1_3repE0EEENS1_48merge_mergepath_partition_config_static_selectorELNS0_4arch9wavefront6targetE0EEEvSL_,@function
_ZN7rocprim17ROCPRIM_400000_NS6detail17trampoline_kernelINS0_14default_configENS1_38merge_sort_block_merge_config_selectorIiNS0_10empty_typeEEEZZNS1_27merge_sort_block_merge_implIS3_N6thrust23THRUST_200600_302600_NS6detail15normal_iteratorINS9_10device_ptrIiEEEEPS5_jNS1_19radix_merge_compareILb0ELb0EiNS0_19identity_decomposerEEEEE10hipError_tT0_T1_T2_jT3_P12ihipStream_tbPNSt15iterator_traitsISK_E10value_typeEPNSQ_ISL_E10value_typeEPSM_NS1_7vsmem_tEENKUlT_SK_SL_SM_E_clIPiSE_SF_SF_EESJ_SZ_SK_SL_SM_EUlSZ_E_NS1_11comp_targetILNS1_3genE9ELNS1_11target_archE1100ELNS1_3gpuE3ELNS1_3repE0EEENS1_48merge_mergepath_partition_config_static_selectorELNS0_4arch9wavefront6targetE0EEEvSL_: ; @_ZN7rocprim17ROCPRIM_400000_NS6detail17trampoline_kernelINS0_14default_configENS1_38merge_sort_block_merge_config_selectorIiNS0_10empty_typeEEEZZNS1_27merge_sort_block_merge_implIS3_N6thrust23THRUST_200600_302600_NS6detail15normal_iteratorINS9_10device_ptrIiEEEEPS5_jNS1_19radix_merge_compareILb0ELb0EiNS0_19identity_decomposerEEEEE10hipError_tT0_T1_T2_jT3_P12ihipStream_tbPNSt15iterator_traitsISK_E10value_typeEPNSQ_ISL_E10value_typeEPSM_NS1_7vsmem_tEENKUlT_SK_SL_SM_E_clIPiSE_SF_SF_EESJ_SZ_SK_SL_SM_EUlSZ_E_NS1_11comp_targetILNS1_3genE9ELNS1_11target_archE1100ELNS1_3gpuE3ELNS1_3repE0EEENS1_48merge_mergepath_partition_config_static_selectorELNS0_4arch9wavefront6targetE0EEEvSL_
; %bb.0:
	.section	.rodata,"a",@progbits
	.p2align	6, 0x0
	.amdhsa_kernel _ZN7rocprim17ROCPRIM_400000_NS6detail17trampoline_kernelINS0_14default_configENS1_38merge_sort_block_merge_config_selectorIiNS0_10empty_typeEEEZZNS1_27merge_sort_block_merge_implIS3_N6thrust23THRUST_200600_302600_NS6detail15normal_iteratorINS9_10device_ptrIiEEEEPS5_jNS1_19radix_merge_compareILb0ELb0EiNS0_19identity_decomposerEEEEE10hipError_tT0_T1_T2_jT3_P12ihipStream_tbPNSt15iterator_traitsISK_E10value_typeEPNSQ_ISL_E10value_typeEPSM_NS1_7vsmem_tEENKUlT_SK_SL_SM_E_clIPiSE_SF_SF_EESJ_SZ_SK_SL_SM_EUlSZ_E_NS1_11comp_targetILNS1_3genE9ELNS1_11target_archE1100ELNS1_3gpuE3ELNS1_3repE0EEENS1_48merge_mergepath_partition_config_static_selectorELNS0_4arch9wavefront6targetE0EEEvSL_
		.amdhsa_group_segment_fixed_size 0
		.amdhsa_private_segment_fixed_size 0
		.amdhsa_kernarg_size 40
		.amdhsa_user_sgpr_count 6
		.amdhsa_user_sgpr_private_segment_buffer 1
		.amdhsa_user_sgpr_dispatch_ptr 0
		.amdhsa_user_sgpr_queue_ptr 0
		.amdhsa_user_sgpr_kernarg_segment_ptr 1
		.amdhsa_user_sgpr_dispatch_id 0
		.amdhsa_user_sgpr_flat_scratch_init 0
		.amdhsa_user_sgpr_private_segment_size 0
		.amdhsa_wavefront_size32 1
		.amdhsa_uses_dynamic_stack 0
		.amdhsa_system_sgpr_private_segment_wavefront_offset 0
		.amdhsa_system_sgpr_workgroup_id_x 1
		.amdhsa_system_sgpr_workgroup_id_y 0
		.amdhsa_system_sgpr_workgroup_id_z 0
		.amdhsa_system_sgpr_workgroup_info 0
		.amdhsa_system_vgpr_workitem_id 0
		.amdhsa_next_free_vgpr 1
		.amdhsa_next_free_sgpr 1
		.amdhsa_reserve_vcc 0
		.amdhsa_reserve_flat_scratch 0
		.amdhsa_float_round_mode_32 0
		.amdhsa_float_round_mode_16_64 0
		.amdhsa_float_denorm_mode_32 3
		.amdhsa_float_denorm_mode_16_64 3
		.amdhsa_dx10_clamp 1
		.amdhsa_ieee_mode 1
		.amdhsa_fp16_overflow 0
		.amdhsa_workgroup_processor_mode 1
		.amdhsa_memory_ordered 1
		.amdhsa_forward_progress 1
		.amdhsa_shared_vgpr_count 0
		.amdhsa_exception_fp_ieee_invalid_op 0
		.amdhsa_exception_fp_denorm_src 0
		.amdhsa_exception_fp_ieee_div_zero 0
		.amdhsa_exception_fp_ieee_overflow 0
		.amdhsa_exception_fp_ieee_underflow 0
		.amdhsa_exception_fp_ieee_inexact 0
		.amdhsa_exception_int_div_zero 0
	.end_amdhsa_kernel
	.section	.text._ZN7rocprim17ROCPRIM_400000_NS6detail17trampoline_kernelINS0_14default_configENS1_38merge_sort_block_merge_config_selectorIiNS0_10empty_typeEEEZZNS1_27merge_sort_block_merge_implIS3_N6thrust23THRUST_200600_302600_NS6detail15normal_iteratorINS9_10device_ptrIiEEEEPS5_jNS1_19radix_merge_compareILb0ELb0EiNS0_19identity_decomposerEEEEE10hipError_tT0_T1_T2_jT3_P12ihipStream_tbPNSt15iterator_traitsISK_E10value_typeEPNSQ_ISL_E10value_typeEPSM_NS1_7vsmem_tEENKUlT_SK_SL_SM_E_clIPiSE_SF_SF_EESJ_SZ_SK_SL_SM_EUlSZ_E_NS1_11comp_targetILNS1_3genE9ELNS1_11target_archE1100ELNS1_3gpuE3ELNS1_3repE0EEENS1_48merge_mergepath_partition_config_static_selectorELNS0_4arch9wavefront6targetE0EEEvSL_,"axG",@progbits,_ZN7rocprim17ROCPRIM_400000_NS6detail17trampoline_kernelINS0_14default_configENS1_38merge_sort_block_merge_config_selectorIiNS0_10empty_typeEEEZZNS1_27merge_sort_block_merge_implIS3_N6thrust23THRUST_200600_302600_NS6detail15normal_iteratorINS9_10device_ptrIiEEEEPS5_jNS1_19radix_merge_compareILb0ELb0EiNS0_19identity_decomposerEEEEE10hipError_tT0_T1_T2_jT3_P12ihipStream_tbPNSt15iterator_traitsISK_E10value_typeEPNSQ_ISL_E10value_typeEPSM_NS1_7vsmem_tEENKUlT_SK_SL_SM_E_clIPiSE_SF_SF_EESJ_SZ_SK_SL_SM_EUlSZ_E_NS1_11comp_targetILNS1_3genE9ELNS1_11target_archE1100ELNS1_3gpuE3ELNS1_3repE0EEENS1_48merge_mergepath_partition_config_static_selectorELNS0_4arch9wavefront6targetE0EEEvSL_,comdat
.Lfunc_end25:
	.size	_ZN7rocprim17ROCPRIM_400000_NS6detail17trampoline_kernelINS0_14default_configENS1_38merge_sort_block_merge_config_selectorIiNS0_10empty_typeEEEZZNS1_27merge_sort_block_merge_implIS3_N6thrust23THRUST_200600_302600_NS6detail15normal_iteratorINS9_10device_ptrIiEEEEPS5_jNS1_19radix_merge_compareILb0ELb0EiNS0_19identity_decomposerEEEEE10hipError_tT0_T1_T2_jT3_P12ihipStream_tbPNSt15iterator_traitsISK_E10value_typeEPNSQ_ISL_E10value_typeEPSM_NS1_7vsmem_tEENKUlT_SK_SL_SM_E_clIPiSE_SF_SF_EESJ_SZ_SK_SL_SM_EUlSZ_E_NS1_11comp_targetILNS1_3genE9ELNS1_11target_archE1100ELNS1_3gpuE3ELNS1_3repE0EEENS1_48merge_mergepath_partition_config_static_selectorELNS0_4arch9wavefront6targetE0EEEvSL_, .Lfunc_end25-_ZN7rocprim17ROCPRIM_400000_NS6detail17trampoline_kernelINS0_14default_configENS1_38merge_sort_block_merge_config_selectorIiNS0_10empty_typeEEEZZNS1_27merge_sort_block_merge_implIS3_N6thrust23THRUST_200600_302600_NS6detail15normal_iteratorINS9_10device_ptrIiEEEEPS5_jNS1_19radix_merge_compareILb0ELb0EiNS0_19identity_decomposerEEEEE10hipError_tT0_T1_T2_jT3_P12ihipStream_tbPNSt15iterator_traitsISK_E10value_typeEPNSQ_ISL_E10value_typeEPSM_NS1_7vsmem_tEENKUlT_SK_SL_SM_E_clIPiSE_SF_SF_EESJ_SZ_SK_SL_SM_EUlSZ_E_NS1_11comp_targetILNS1_3genE9ELNS1_11target_archE1100ELNS1_3gpuE3ELNS1_3repE0EEENS1_48merge_mergepath_partition_config_static_selectorELNS0_4arch9wavefront6targetE0EEEvSL_
                                        ; -- End function
	.set _ZN7rocprim17ROCPRIM_400000_NS6detail17trampoline_kernelINS0_14default_configENS1_38merge_sort_block_merge_config_selectorIiNS0_10empty_typeEEEZZNS1_27merge_sort_block_merge_implIS3_N6thrust23THRUST_200600_302600_NS6detail15normal_iteratorINS9_10device_ptrIiEEEEPS5_jNS1_19radix_merge_compareILb0ELb0EiNS0_19identity_decomposerEEEEE10hipError_tT0_T1_T2_jT3_P12ihipStream_tbPNSt15iterator_traitsISK_E10value_typeEPNSQ_ISL_E10value_typeEPSM_NS1_7vsmem_tEENKUlT_SK_SL_SM_E_clIPiSE_SF_SF_EESJ_SZ_SK_SL_SM_EUlSZ_E_NS1_11comp_targetILNS1_3genE9ELNS1_11target_archE1100ELNS1_3gpuE3ELNS1_3repE0EEENS1_48merge_mergepath_partition_config_static_selectorELNS0_4arch9wavefront6targetE0EEEvSL_.num_vgpr, 0
	.set _ZN7rocprim17ROCPRIM_400000_NS6detail17trampoline_kernelINS0_14default_configENS1_38merge_sort_block_merge_config_selectorIiNS0_10empty_typeEEEZZNS1_27merge_sort_block_merge_implIS3_N6thrust23THRUST_200600_302600_NS6detail15normal_iteratorINS9_10device_ptrIiEEEEPS5_jNS1_19radix_merge_compareILb0ELb0EiNS0_19identity_decomposerEEEEE10hipError_tT0_T1_T2_jT3_P12ihipStream_tbPNSt15iterator_traitsISK_E10value_typeEPNSQ_ISL_E10value_typeEPSM_NS1_7vsmem_tEENKUlT_SK_SL_SM_E_clIPiSE_SF_SF_EESJ_SZ_SK_SL_SM_EUlSZ_E_NS1_11comp_targetILNS1_3genE9ELNS1_11target_archE1100ELNS1_3gpuE3ELNS1_3repE0EEENS1_48merge_mergepath_partition_config_static_selectorELNS0_4arch9wavefront6targetE0EEEvSL_.num_agpr, 0
	.set _ZN7rocprim17ROCPRIM_400000_NS6detail17trampoline_kernelINS0_14default_configENS1_38merge_sort_block_merge_config_selectorIiNS0_10empty_typeEEEZZNS1_27merge_sort_block_merge_implIS3_N6thrust23THRUST_200600_302600_NS6detail15normal_iteratorINS9_10device_ptrIiEEEEPS5_jNS1_19radix_merge_compareILb0ELb0EiNS0_19identity_decomposerEEEEE10hipError_tT0_T1_T2_jT3_P12ihipStream_tbPNSt15iterator_traitsISK_E10value_typeEPNSQ_ISL_E10value_typeEPSM_NS1_7vsmem_tEENKUlT_SK_SL_SM_E_clIPiSE_SF_SF_EESJ_SZ_SK_SL_SM_EUlSZ_E_NS1_11comp_targetILNS1_3genE9ELNS1_11target_archE1100ELNS1_3gpuE3ELNS1_3repE0EEENS1_48merge_mergepath_partition_config_static_selectorELNS0_4arch9wavefront6targetE0EEEvSL_.numbered_sgpr, 0
	.set _ZN7rocprim17ROCPRIM_400000_NS6detail17trampoline_kernelINS0_14default_configENS1_38merge_sort_block_merge_config_selectorIiNS0_10empty_typeEEEZZNS1_27merge_sort_block_merge_implIS3_N6thrust23THRUST_200600_302600_NS6detail15normal_iteratorINS9_10device_ptrIiEEEEPS5_jNS1_19radix_merge_compareILb0ELb0EiNS0_19identity_decomposerEEEEE10hipError_tT0_T1_T2_jT3_P12ihipStream_tbPNSt15iterator_traitsISK_E10value_typeEPNSQ_ISL_E10value_typeEPSM_NS1_7vsmem_tEENKUlT_SK_SL_SM_E_clIPiSE_SF_SF_EESJ_SZ_SK_SL_SM_EUlSZ_E_NS1_11comp_targetILNS1_3genE9ELNS1_11target_archE1100ELNS1_3gpuE3ELNS1_3repE0EEENS1_48merge_mergepath_partition_config_static_selectorELNS0_4arch9wavefront6targetE0EEEvSL_.num_named_barrier, 0
	.set _ZN7rocprim17ROCPRIM_400000_NS6detail17trampoline_kernelINS0_14default_configENS1_38merge_sort_block_merge_config_selectorIiNS0_10empty_typeEEEZZNS1_27merge_sort_block_merge_implIS3_N6thrust23THRUST_200600_302600_NS6detail15normal_iteratorINS9_10device_ptrIiEEEEPS5_jNS1_19radix_merge_compareILb0ELb0EiNS0_19identity_decomposerEEEEE10hipError_tT0_T1_T2_jT3_P12ihipStream_tbPNSt15iterator_traitsISK_E10value_typeEPNSQ_ISL_E10value_typeEPSM_NS1_7vsmem_tEENKUlT_SK_SL_SM_E_clIPiSE_SF_SF_EESJ_SZ_SK_SL_SM_EUlSZ_E_NS1_11comp_targetILNS1_3genE9ELNS1_11target_archE1100ELNS1_3gpuE3ELNS1_3repE0EEENS1_48merge_mergepath_partition_config_static_selectorELNS0_4arch9wavefront6targetE0EEEvSL_.private_seg_size, 0
	.set _ZN7rocprim17ROCPRIM_400000_NS6detail17trampoline_kernelINS0_14default_configENS1_38merge_sort_block_merge_config_selectorIiNS0_10empty_typeEEEZZNS1_27merge_sort_block_merge_implIS3_N6thrust23THRUST_200600_302600_NS6detail15normal_iteratorINS9_10device_ptrIiEEEEPS5_jNS1_19radix_merge_compareILb0ELb0EiNS0_19identity_decomposerEEEEE10hipError_tT0_T1_T2_jT3_P12ihipStream_tbPNSt15iterator_traitsISK_E10value_typeEPNSQ_ISL_E10value_typeEPSM_NS1_7vsmem_tEENKUlT_SK_SL_SM_E_clIPiSE_SF_SF_EESJ_SZ_SK_SL_SM_EUlSZ_E_NS1_11comp_targetILNS1_3genE9ELNS1_11target_archE1100ELNS1_3gpuE3ELNS1_3repE0EEENS1_48merge_mergepath_partition_config_static_selectorELNS0_4arch9wavefront6targetE0EEEvSL_.uses_vcc, 0
	.set _ZN7rocprim17ROCPRIM_400000_NS6detail17trampoline_kernelINS0_14default_configENS1_38merge_sort_block_merge_config_selectorIiNS0_10empty_typeEEEZZNS1_27merge_sort_block_merge_implIS3_N6thrust23THRUST_200600_302600_NS6detail15normal_iteratorINS9_10device_ptrIiEEEEPS5_jNS1_19radix_merge_compareILb0ELb0EiNS0_19identity_decomposerEEEEE10hipError_tT0_T1_T2_jT3_P12ihipStream_tbPNSt15iterator_traitsISK_E10value_typeEPNSQ_ISL_E10value_typeEPSM_NS1_7vsmem_tEENKUlT_SK_SL_SM_E_clIPiSE_SF_SF_EESJ_SZ_SK_SL_SM_EUlSZ_E_NS1_11comp_targetILNS1_3genE9ELNS1_11target_archE1100ELNS1_3gpuE3ELNS1_3repE0EEENS1_48merge_mergepath_partition_config_static_selectorELNS0_4arch9wavefront6targetE0EEEvSL_.uses_flat_scratch, 0
	.set _ZN7rocprim17ROCPRIM_400000_NS6detail17trampoline_kernelINS0_14default_configENS1_38merge_sort_block_merge_config_selectorIiNS0_10empty_typeEEEZZNS1_27merge_sort_block_merge_implIS3_N6thrust23THRUST_200600_302600_NS6detail15normal_iteratorINS9_10device_ptrIiEEEEPS5_jNS1_19radix_merge_compareILb0ELb0EiNS0_19identity_decomposerEEEEE10hipError_tT0_T1_T2_jT3_P12ihipStream_tbPNSt15iterator_traitsISK_E10value_typeEPNSQ_ISL_E10value_typeEPSM_NS1_7vsmem_tEENKUlT_SK_SL_SM_E_clIPiSE_SF_SF_EESJ_SZ_SK_SL_SM_EUlSZ_E_NS1_11comp_targetILNS1_3genE9ELNS1_11target_archE1100ELNS1_3gpuE3ELNS1_3repE0EEENS1_48merge_mergepath_partition_config_static_selectorELNS0_4arch9wavefront6targetE0EEEvSL_.has_dyn_sized_stack, 0
	.set _ZN7rocprim17ROCPRIM_400000_NS6detail17trampoline_kernelINS0_14default_configENS1_38merge_sort_block_merge_config_selectorIiNS0_10empty_typeEEEZZNS1_27merge_sort_block_merge_implIS3_N6thrust23THRUST_200600_302600_NS6detail15normal_iteratorINS9_10device_ptrIiEEEEPS5_jNS1_19radix_merge_compareILb0ELb0EiNS0_19identity_decomposerEEEEE10hipError_tT0_T1_T2_jT3_P12ihipStream_tbPNSt15iterator_traitsISK_E10value_typeEPNSQ_ISL_E10value_typeEPSM_NS1_7vsmem_tEENKUlT_SK_SL_SM_E_clIPiSE_SF_SF_EESJ_SZ_SK_SL_SM_EUlSZ_E_NS1_11comp_targetILNS1_3genE9ELNS1_11target_archE1100ELNS1_3gpuE3ELNS1_3repE0EEENS1_48merge_mergepath_partition_config_static_selectorELNS0_4arch9wavefront6targetE0EEEvSL_.has_recursion, 0
	.set _ZN7rocprim17ROCPRIM_400000_NS6detail17trampoline_kernelINS0_14default_configENS1_38merge_sort_block_merge_config_selectorIiNS0_10empty_typeEEEZZNS1_27merge_sort_block_merge_implIS3_N6thrust23THRUST_200600_302600_NS6detail15normal_iteratorINS9_10device_ptrIiEEEEPS5_jNS1_19radix_merge_compareILb0ELb0EiNS0_19identity_decomposerEEEEE10hipError_tT0_T1_T2_jT3_P12ihipStream_tbPNSt15iterator_traitsISK_E10value_typeEPNSQ_ISL_E10value_typeEPSM_NS1_7vsmem_tEENKUlT_SK_SL_SM_E_clIPiSE_SF_SF_EESJ_SZ_SK_SL_SM_EUlSZ_E_NS1_11comp_targetILNS1_3genE9ELNS1_11target_archE1100ELNS1_3gpuE3ELNS1_3repE0EEENS1_48merge_mergepath_partition_config_static_selectorELNS0_4arch9wavefront6targetE0EEEvSL_.has_indirect_call, 0
	.section	.AMDGPU.csdata,"",@progbits
; Kernel info:
; codeLenInByte = 0
; TotalNumSgprs: 0
; NumVgprs: 0
; ScratchSize: 0
; MemoryBound: 0
; FloatMode: 240
; IeeeMode: 1
; LDSByteSize: 0 bytes/workgroup (compile time only)
; SGPRBlocks: 0
; VGPRBlocks: 0
; NumSGPRsForWavesPerEU: 1
; NumVGPRsForWavesPerEU: 1
; Occupancy: 16
; WaveLimiterHint : 0
; COMPUTE_PGM_RSRC2:SCRATCH_EN: 0
; COMPUTE_PGM_RSRC2:USER_SGPR: 6
; COMPUTE_PGM_RSRC2:TRAP_HANDLER: 0
; COMPUTE_PGM_RSRC2:TGID_X_EN: 1
; COMPUTE_PGM_RSRC2:TGID_Y_EN: 0
; COMPUTE_PGM_RSRC2:TGID_Z_EN: 0
; COMPUTE_PGM_RSRC2:TIDIG_COMP_CNT: 0
	.section	.text._ZN7rocprim17ROCPRIM_400000_NS6detail17trampoline_kernelINS0_14default_configENS1_38merge_sort_block_merge_config_selectorIiNS0_10empty_typeEEEZZNS1_27merge_sort_block_merge_implIS3_N6thrust23THRUST_200600_302600_NS6detail15normal_iteratorINS9_10device_ptrIiEEEEPS5_jNS1_19radix_merge_compareILb0ELb0EiNS0_19identity_decomposerEEEEE10hipError_tT0_T1_T2_jT3_P12ihipStream_tbPNSt15iterator_traitsISK_E10value_typeEPNSQ_ISL_E10value_typeEPSM_NS1_7vsmem_tEENKUlT_SK_SL_SM_E_clIPiSE_SF_SF_EESJ_SZ_SK_SL_SM_EUlSZ_E_NS1_11comp_targetILNS1_3genE8ELNS1_11target_archE1030ELNS1_3gpuE2ELNS1_3repE0EEENS1_48merge_mergepath_partition_config_static_selectorELNS0_4arch9wavefront6targetE0EEEvSL_,"axG",@progbits,_ZN7rocprim17ROCPRIM_400000_NS6detail17trampoline_kernelINS0_14default_configENS1_38merge_sort_block_merge_config_selectorIiNS0_10empty_typeEEEZZNS1_27merge_sort_block_merge_implIS3_N6thrust23THRUST_200600_302600_NS6detail15normal_iteratorINS9_10device_ptrIiEEEEPS5_jNS1_19radix_merge_compareILb0ELb0EiNS0_19identity_decomposerEEEEE10hipError_tT0_T1_T2_jT3_P12ihipStream_tbPNSt15iterator_traitsISK_E10value_typeEPNSQ_ISL_E10value_typeEPSM_NS1_7vsmem_tEENKUlT_SK_SL_SM_E_clIPiSE_SF_SF_EESJ_SZ_SK_SL_SM_EUlSZ_E_NS1_11comp_targetILNS1_3genE8ELNS1_11target_archE1030ELNS1_3gpuE2ELNS1_3repE0EEENS1_48merge_mergepath_partition_config_static_selectorELNS0_4arch9wavefront6targetE0EEEvSL_,comdat
	.protected	_ZN7rocprim17ROCPRIM_400000_NS6detail17trampoline_kernelINS0_14default_configENS1_38merge_sort_block_merge_config_selectorIiNS0_10empty_typeEEEZZNS1_27merge_sort_block_merge_implIS3_N6thrust23THRUST_200600_302600_NS6detail15normal_iteratorINS9_10device_ptrIiEEEEPS5_jNS1_19radix_merge_compareILb0ELb0EiNS0_19identity_decomposerEEEEE10hipError_tT0_T1_T2_jT3_P12ihipStream_tbPNSt15iterator_traitsISK_E10value_typeEPNSQ_ISL_E10value_typeEPSM_NS1_7vsmem_tEENKUlT_SK_SL_SM_E_clIPiSE_SF_SF_EESJ_SZ_SK_SL_SM_EUlSZ_E_NS1_11comp_targetILNS1_3genE8ELNS1_11target_archE1030ELNS1_3gpuE2ELNS1_3repE0EEENS1_48merge_mergepath_partition_config_static_selectorELNS0_4arch9wavefront6targetE0EEEvSL_ ; -- Begin function _ZN7rocprim17ROCPRIM_400000_NS6detail17trampoline_kernelINS0_14default_configENS1_38merge_sort_block_merge_config_selectorIiNS0_10empty_typeEEEZZNS1_27merge_sort_block_merge_implIS3_N6thrust23THRUST_200600_302600_NS6detail15normal_iteratorINS9_10device_ptrIiEEEEPS5_jNS1_19radix_merge_compareILb0ELb0EiNS0_19identity_decomposerEEEEE10hipError_tT0_T1_T2_jT3_P12ihipStream_tbPNSt15iterator_traitsISK_E10value_typeEPNSQ_ISL_E10value_typeEPSM_NS1_7vsmem_tEENKUlT_SK_SL_SM_E_clIPiSE_SF_SF_EESJ_SZ_SK_SL_SM_EUlSZ_E_NS1_11comp_targetILNS1_3genE8ELNS1_11target_archE1030ELNS1_3gpuE2ELNS1_3repE0EEENS1_48merge_mergepath_partition_config_static_selectorELNS0_4arch9wavefront6targetE0EEEvSL_
	.globl	_ZN7rocprim17ROCPRIM_400000_NS6detail17trampoline_kernelINS0_14default_configENS1_38merge_sort_block_merge_config_selectorIiNS0_10empty_typeEEEZZNS1_27merge_sort_block_merge_implIS3_N6thrust23THRUST_200600_302600_NS6detail15normal_iteratorINS9_10device_ptrIiEEEEPS5_jNS1_19radix_merge_compareILb0ELb0EiNS0_19identity_decomposerEEEEE10hipError_tT0_T1_T2_jT3_P12ihipStream_tbPNSt15iterator_traitsISK_E10value_typeEPNSQ_ISL_E10value_typeEPSM_NS1_7vsmem_tEENKUlT_SK_SL_SM_E_clIPiSE_SF_SF_EESJ_SZ_SK_SL_SM_EUlSZ_E_NS1_11comp_targetILNS1_3genE8ELNS1_11target_archE1030ELNS1_3gpuE2ELNS1_3repE0EEENS1_48merge_mergepath_partition_config_static_selectorELNS0_4arch9wavefront6targetE0EEEvSL_
	.p2align	8
	.type	_ZN7rocprim17ROCPRIM_400000_NS6detail17trampoline_kernelINS0_14default_configENS1_38merge_sort_block_merge_config_selectorIiNS0_10empty_typeEEEZZNS1_27merge_sort_block_merge_implIS3_N6thrust23THRUST_200600_302600_NS6detail15normal_iteratorINS9_10device_ptrIiEEEEPS5_jNS1_19radix_merge_compareILb0ELb0EiNS0_19identity_decomposerEEEEE10hipError_tT0_T1_T2_jT3_P12ihipStream_tbPNSt15iterator_traitsISK_E10value_typeEPNSQ_ISL_E10value_typeEPSM_NS1_7vsmem_tEENKUlT_SK_SL_SM_E_clIPiSE_SF_SF_EESJ_SZ_SK_SL_SM_EUlSZ_E_NS1_11comp_targetILNS1_3genE8ELNS1_11target_archE1030ELNS1_3gpuE2ELNS1_3repE0EEENS1_48merge_mergepath_partition_config_static_selectorELNS0_4arch9wavefront6targetE0EEEvSL_,@function
_ZN7rocprim17ROCPRIM_400000_NS6detail17trampoline_kernelINS0_14default_configENS1_38merge_sort_block_merge_config_selectorIiNS0_10empty_typeEEEZZNS1_27merge_sort_block_merge_implIS3_N6thrust23THRUST_200600_302600_NS6detail15normal_iteratorINS9_10device_ptrIiEEEEPS5_jNS1_19radix_merge_compareILb0ELb0EiNS0_19identity_decomposerEEEEE10hipError_tT0_T1_T2_jT3_P12ihipStream_tbPNSt15iterator_traitsISK_E10value_typeEPNSQ_ISL_E10value_typeEPSM_NS1_7vsmem_tEENKUlT_SK_SL_SM_E_clIPiSE_SF_SF_EESJ_SZ_SK_SL_SM_EUlSZ_E_NS1_11comp_targetILNS1_3genE8ELNS1_11target_archE1030ELNS1_3gpuE2ELNS1_3repE0EEENS1_48merge_mergepath_partition_config_static_selectorELNS0_4arch9wavefront6targetE0EEEvSL_: ; @_ZN7rocprim17ROCPRIM_400000_NS6detail17trampoline_kernelINS0_14default_configENS1_38merge_sort_block_merge_config_selectorIiNS0_10empty_typeEEEZZNS1_27merge_sort_block_merge_implIS3_N6thrust23THRUST_200600_302600_NS6detail15normal_iteratorINS9_10device_ptrIiEEEEPS5_jNS1_19radix_merge_compareILb0ELb0EiNS0_19identity_decomposerEEEEE10hipError_tT0_T1_T2_jT3_P12ihipStream_tbPNSt15iterator_traitsISK_E10value_typeEPNSQ_ISL_E10value_typeEPSM_NS1_7vsmem_tEENKUlT_SK_SL_SM_E_clIPiSE_SF_SF_EESJ_SZ_SK_SL_SM_EUlSZ_E_NS1_11comp_targetILNS1_3genE8ELNS1_11target_archE1030ELNS1_3gpuE2ELNS1_3repE0EEENS1_48merge_mergepath_partition_config_static_selectorELNS0_4arch9wavefront6targetE0EEEvSL_
; %bb.0:
	s_load_dword s0, s[4:5], 0x0
	v_lshl_or_b32 v0, s6, 7, v0
	s_waitcnt lgkmcnt(0)
	v_cmp_gt_u32_e32 vcc_lo, s0, v0
	s_and_saveexec_b32 s0, vcc_lo
	s_cbranch_execz .LBB26_6
; %bb.1:
	s_load_dwordx2 s[0:1], s[4:5], 0x4
	s_waitcnt lgkmcnt(0)
	s_lshr_b32 s2, s0, 9
	s_and_b32 s2, s2, 0x7ffffe
	s_sub_i32 s3, 0, s2
	s_add_i32 s2, s2, -1
	v_and_b32_e32 v1, s3, v0
	v_and_b32_e32 v5, s2, v0
	s_mov_b32 s3, 0
	s_mov_b32 s2, exec_lo
	v_lshlrev_b32_e32 v1, 10, v1
	v_add_nc_u32_e32 v2, s0, v1
	v_min_u32_e32 v4, s1, v2
	v_min_u32_e32 v2, s1, v1
	v_add_nc_u32_e32 v3, s0, v4
	v_min_u32_e32 v1, s1, v3
	s_load_dwordx2 s[0:1], s[4:5], 0x20
	v_lshlrev_b32_e32 v3, 10, v5
	v_sub_nc_u32_e32 v5, v1, v2
	v_sub_nc_u32_e32 v6, v1, v4
	v_min_u32_e32 v1, v5, v3
	v_sub_nc_u32_e32 v3, v4, v2
	v_sub_nc_u32_e64 v6, v1, v6 clamp
	v_min_u32_e32 v7, v1, v3
	v_cmpx_lt_u32_e64 v6, v7
	s_cbranch_execz .LBB26_5
; %bb.2:
	s_load_dwordx2 s[4:5], s[4:5], 0x10
	v_mov_b32_e32 v5, 0
	v_mov_b32_e32 v3, v5
	v_lshlrev_b64 v[10:11], 2, v[4:5]
	v_lshlrev_b64 v[8:9], 2, v[2:3]
	s_waitcnt lgkmcnt(0)
	v_add_co_u32 v3, vcc_lo, s4, v8
	v_add_co_ci_u32_e64 v8, null, s5, v9, vcc_lo
	v_add_co_u32 v9, vcc_lo, s4, v10
	v_add_co_ci_u32_e64 v10, null, s5, v11, vcc_lo
	.p2align	6
.LBB26_3:                               ; =>This Inner Loop Header: Depth=1
	v_add_nc_u32_e32 v4, v7, v6
	v_mov_b32_e32 v12, v5
	v_lshrrev_b32_e32 v4, 1, v4
	v_xad_u32 v11, v4, -1, v1
	v_lshlrev_b64 v[13:14], 2, v[4:5]
	v_lshlrev_b64 v[11:12], 2, v[11:12]
	v_add_co_u32 v13, vcc_lo, v3, v13
	v_add_co_ci_u32_e64 v14, null, v8, v14, vcc_lo
	v_add_co_u32 v11, vcc_lo, v9, v11
	v_add_co_ci_u32_e64 v12, null, v10, v12, vcc_lo
	s_clause 0x1
	global_load_dword v13, v[13:14], off
	global_load_dword v11, v[11:12], off
	v_add_nc_u32_e32 v12, 1, v4
	s_waitcnt vmcnt(0)
	v_cmp_gt_i32_e32 vcc_lo, v13, v11
	v_cndmask_b32_e32 v7, v7, v4, vcc_lo
	v_cndmask_b32_e32 v6, v12, v6, vcc_lo
	v_cmp_ge_u32_e32 vcc_lo, v6, v7
	s_or_b32 s3, vcc_lo, s3
	s_andn2_b32 exec_lo, exec_lo, s3
	s_cbranch_execnz .LBB26_3
; %bb.4:
	s_or_b32 exec_lo, exec_lo, s3
.LBB26_5:
	s_or_b32 exec_lo, exec_lo, s2
	v_mov_b32_e32 v1, 0
	v_add_nc_u32_e32 v2, v6, v2
	v_lshlrev_b64 v[0:1], 2, v[0:1]
	s_waitcnt lgkmcnt(0)
	v_add_co_u32 v0, vcc_lo, s0, v0
	v_add_co_ci_u32_e64 v1, null, s1, v1, vcc_lo
	global_store_dword v[0:1], v2, off
.LBB26_6:
	s_endpgm
	.section	.rodata,"a",@progbits
	.p2align	6, 0x0
	.amdhsa_kernel _ZN7rocprim17ROCPRIM_400000_NS6detail17trampoline_kernelINS0_14default_configENS1_38merge_sort_block_merge_config_selectorIiNS0_10empty_typeEEEZZNS1_27merge_sort_block_merge_implIS3_N6thrust23THRUST_200600_302600_NS6detail15normal_iteratorINS9_10device_ptrIiEEEEPS5_jNS1_19radix_merge_compareILb0ELb0EiNS0_19identity_decomposerEEEEE10hipError_tT0_T1_T2_jT3_P12ihipStream_tbPNSt15iterator_traitsISK_E10value_typeEPNSQ_ISL_E10value_typeEPSM_NS1_7vsmem_tEENKUlT_SK_SL_SM_E_clIPiSE_SF_SF_EESJ_SZ_SK_SL_SM_EUlSZ_E_NS1_11comp_targetILNS1_3genE8ELNS1_11target_archE1030ELNS1_3gpuE2ELNS1_3repE0EEENS1_48merge_mergepath_partition_config_static_selectorELNS0_4arch9wavefront6targetE0EEEvSL_
		.amdhsa_group_segment_fixed_size 0
		.amdhsa_private_segment_fixed_size 0
		.amdhsa_kernarg_size 40
		.amdhsa_user_sgpr_count 6
		.amdhsa_user_sgpr_private_segment_buffer 1
		.amdhsa_user_sgpr_dispatch_ptr 0
		.amdhsa_user_sgpr_queue_ptr 0
		.amdhsa_user_sgpr_kernarg_segment_ptr 1
		.amdhsa_user_sgpr_dispatch_id 0
		.amdhsa_user_sgpr_flat_scratch_init 0
		.amdhsa_user_sgpr_private_segment_size 0
		.amdhsa_wavefront_size32 1
		.amdhsa_uses_dynamic_stack 0
		.amdhsa_system_sgpr_private_segment_wavefront_offset 0
		.amdhsa_system_sgpr_workgroup_id_x 1
		.amdhsa_system_sgpr_workgroup_id_y 0
		.amdhsa_system_sgpr_workgroup_id_z 0
		.amdhsa_system_sgpr_workgroup_info 0
		.amdhsa_system_vgpr_workitem_id 0
		.amdhsa_next_free_vgpr 15
		.amdhsa_next_free_sgpr 7
		.amdhsa_reserve_vcc 1
		.amdhsa_reserve_flat_scratch 0
		.amdhsa_float_round_mode_32 0
		.amdhsa_float_round_mode_16_64 0
		.amdhsa_float_denorm_mode_32 3
		.amdhsa_float_denorm_mode_16_64 3
		.amdhsa_dx10_clamp 1
		.amdhsa_ieee_mode 1
		.amdhsa_fp16_overflow 0
		.amdhsa_workgroup_processor_mode 1
		.amdhsa_memory_ordered 1
		.amdhsa_forward_progress 1
		.amdhsa_shared_vgpr_count 0
		.amdhsa_exception_fp_ieee_invalid_op 0
		.amdhsa_exception_fp_denorm_src 0
		.amdhsa_exception_fp_ieee_div_zero 0
		.amdhsa_exception_fp_ieee_overflow 0
		.amdhsa_exception_fp_ieee_underflow 0
		.amdhsa_exception_fp_ieee_inexact 0
		.amdhsa_exception_int_div_zero 0
	.end_amdhsa_kernel
	.section	.text._ZN7rocprim17ROCPRIM_400000_NS6detail17trampoline_kernelINS0_14default_configENS1_38merge_sort_block_merge_config_selectorIiNS0_10empty_typeEEEZZNS1_27merge_sort_block_merge_implIS3_N6thrust23THRUST_200600_302600_NS6detail15normal_iteratorINS9_10device_ptrIiEEEEPS5_jNS1_19radix_merge_compareILb0ELb0EiNS0_19identity_decomposerEEEEE10hipError_tT0_T1_T2_jT3_P12ihipStream_tbPNSt15iterator_traitsISK_E10value_typeEPNSQ_ISL_E10value_typeEPSM_NS1_7vsmem_tEENKUlT_SK_SL_SM_E_clIPiSE_SF_SF_EESJ_SZ_SK_SL_SM_EUlSZ_E_NS1_11comp_targetILNS1_3genE8ELNS1_11target_archE1030ELNS1_3gpuE2ELNS1_3repE0EEENS1_48merge_mergepath_partition_config_static_selectorELNS0_4arch9wavefront6targetE0EEEvSL_,"axG",@progbits,_ZN7rocprim17ROCPRIM_400000_NS6detail17trampoline_kernelINS0_14default_configENS1_38merge_sort_block_merge_config_selectorIiNS0_10empty_typeEEEZZNS1_27merge_sort_block_merge_implIS3_N6thrust23THRUST_200600_302600_NS6detail15normal_iteratorINS9_10device_ptrIiEEEEPS5_jNS1_19radix_merge_compareILb0ELb0EiNS0_19identity_decomposerEEEEE10hipError_tT0_T1_T2_jT3_P12ihipStream_tbPNSt15iterator_traitsISK_E10value_typeEPNSQ_ISL_E10value_typeEPSM_NS1_7vsmem_tEENKUlT_SK_SL_SM_E_clIPiSE_SF_SF_EESJ_SZ_SK_SL_SM_EUlSZ_E_NS1_11comp_targetILNS1_3genE8ELNS1_11target_archE1030ELNS1_3gpuE2ELNS1_3repE0EEENS1_48merge_mergepath_partition_config_static_selectorELNS0_4arch9wavefront6targetE0EEEvSL_,comdat
.Lfunc_end26:
	.size	_ZN7rocprim17ROCPRIM_400000_NS6detail17trampoline_kernelINS0_14default_configENS1_38merge_sort_block_merge_config_selectorIiNS0_10empty_typeEEEZZNS1_27merge_sort_block_merge_implIS3_N6thrust23THRUST_200600_302600_NS6detail15normal_iteratorINS9_10device_ptrIiEEEEPS5_jNS1_19radix_merge_compareILb0ELb0EiNS0_19identity_decomposerEEEEE10hipError_tT0_T1_T2_jT3_P12ihipStream_tbPNSt15iterator_traitsISK_E10value_typeEPNSQ_ISL_E10value_typeEPSM_NS1_7vsmem_tEENKUlT_SK_SL_SM_E_clIPiSE_SF_SF_EESJ_SZ_SK_SL_SM_EUlSZ_E_NS1_11comp_targetILNS1_3genE8ELNS1_11target_archE1030ELNS1_3gpuE2ELNS1_3repE0EEENS1_48merge_mergepath_partition_config_static_selectorELNS0_4arch9wavefront6targetE0EEEvSL_, .Lfunc_end26-_ZN7rocprim17ROCPRIM_400000_NS6detail17trampoline_kernelINS0_14default_configENS1_38merge_sort_block_merge_config_selectorIiNS0_10empty_typeEEEZZNS1_27merge_sort_block_merge_implIS3_N6thrust23THRUST_200600_302600_NS6detail15normal_iteratorINS9_10device_ptrIiEEEEPS5_jNS1_19radix_merge_compareILb0ELb0EiNS0_19identity_decomposerEEEEE10hipError_tT0_T1_T2_jT3_P12ihipStream_tbPNSt15iterator_traitsISK_E10value_typeEPNSQ_ISL_E10value_typeEPSM_NS1_7vsmem_tEENKUlT_SK_SL_SM_E_clIPiSE_SF_SF_EESJ_SZ_SK_SL_SM_EUlSZ_E_NS1_11comp_targetILNS1_3genE8ELNS1_11target_archE1030ELNS1_3gpuE2ELNS1_3repE0EEENS1_48merge_mergepath_partition_config_static_selectorELNS0_4arch9wavefront6targetE0EEEvSL_
                                        ; -- End function
	.set _ZN7rocprim17ROCPRIM_400000_NS6detail17trampoline_kernelINS0_14default_configENS1_38merge_sort_block_merge_config_selectorIiNS0_10empty_typeEEEZZNS1_27merge_sort_block_merge_implIS3_N6thrust23THRUST_200600_302600_NS6detail15normal_iteratorINS9_10device_ptrIiEEEEPS5_jNS1_19radix_merge_compareILb0ELb0EiNS0_19identity_decomposerEEEEE10hipError_tT0_T1_T2_jT3_P12ihipStream_tbPNSt15iterator_traitsISK_E10value_typeEPNSQ_ISL_E10value_typeEPSM_NS1_7vsmem_tEENKUlT_SK_SL_SM_E_clIPiSE_SF_SF_EESJ_SZ_SK_SL_SM_EUlSZ_E_NS1_11comp_targetILNS1_3genE8ELNS1_11target_archE1030ELNS1_3gpuE2ELNS1_3repE0EEENS1_48merge_mergepath_partition_config_static_selectorELNS0_4arch9wavefront6targetE0EEEvSL_.num_vgpr, 15
	.set _ZN7rocprim17ROCPRIM_400000_NS6detail17trampoline_kernelINS0_14default_configENS1_38merge_sort_block_merge_config_selectorIiNS0_10empty_typeEEEZZNS1_27merge_sort_block_merge_implIS3_N6thrust23THRUST_200600_302600_NS6detail15normal_iteratorINS9_10device_ptrIiEEEEPS5_jNS1_19radix_merge_compareILb0ELb0EiNS0_19identity_decomposerEEEEE10hipError_tT0_T1_T2_jT3_P12ihipStream_tbPNSt15iterator_traitsISK_E10value_typeEPNSQ_ISL_E10value_typeEPSM_NS1_7vsmem_tEENKUlT_SK_SL_SM_E_clIPiSE_SF_SF_EESJ_SZ_SK_SL_SM_EUlSZ_E_NS1_11comp_targetILNS1_3genE8ELNS1_11target_archE1030ELNS1_3gpuE2ELNS1_3repE0EEENS1_48merge_mergepath_partition_config_static_selectorELNS0_4arch9wavefront6targetE0EEEvSL_.num_agpr, 0
	.set _ZN7rocprim17ROCPRIM_400000_NS6detail17trampoline_kernelINS0_14default_configENS1_38merge_sort_block_merge_config_selectorIiNS0_10empty_typeEEEZZNS1_27merge_sort_block_merge_implIS3_N6thrust23THRUST_200600_302600_NS6detail15normal_iteratorINS9_10device_ptrIiEEEEPS5_jNS1_19radix_merge_compareILb0ELb0EiNS0_19identity_decomposerEEEEE10hipError_tT0_T1_T2_jT3_P12ihipStream_tbPNSt15iterator_traitsISK_E10value_typeEPNSQ_ISL_E10value_typeEPSM_NS1_7vsmem_tEENKUlT_SK_SL_SM_E_clIPiSE_SF_SF_EESJ_SZ_SK_SL_SM_EUlSZ_E_NS1_11comp_targetILNS1_3genE8ELNS1_11target_archE1030ELNS1_3gpuE2ELNS1_3repE0EEENS1_48merge_mergepath_partition_config_static_selectorELNS0_4arch9wavefront6targetE0EEEvSL_.numbered_sgpr, 7
	.set _ZN7rocprim17ROCPRIM_400000_NS6detail17trampoline_kernelINS0_14default_configENS1_38merge_sort_block_merge_config_selectorIiNS0_10empty_typeEEEZZNS1_27merge_sort_block_merge_implIS3_N6thrust23THRUST_200600_302600_NS6detail15normal_iteratorINS9_10device_ptrIiEEEEPS5_jNS1_19radix_merge_compareILb0ELb0EiNS0_19identity_decomposerEEEEE10hipError_tT0_T1_T2_jT3_P12ihipStream_tbPNSt15iterator_traitsISK_E10value_typeEPNSQ_ISL_E10value_typeEPSM_NS1_7vsmem_tEENKUlT_SK_SL_SM_E_clIPiSE_SF_SF_EESJ_SZ_SK_SL_SM_EUlSZ_E_NS1_11comp_targetILNS1_3genE8ELNS1_11target_archE1030ELNS1_3gpuE2ELNS1_3repE0EEENS1_48merge_mergepath_partition_config_static_selectorELNS0_4arch9wavefront6targetE0EEEvSL_.num_named_barrier, 0
	.set _ZN7rocprim17ROCPRIM_400000_NS6detail17trampoline_kernelINS0_14default_configENS1_38merge_sort_block_merge_config_selectorIiNS0_10empty_typeEEEZZNS1_27merge_sort_block_merge_implIS3_N6thrust23THRUST_200600_302600_NS6detail15normal_iteratorINS9_10device_ptrIiEEEEPS5_jNS1_19radix_merge_compareILb0ELb0EiNS0_19identity_decomposerEEEEE10hipError_tT0_T1_T2_jT3_P12ihipStream_tbPNSt15iterator_traitsISK_E10value_typeEPNSQ_ISL_E10value_typeEPSM_NS1_7vsmem_tEENKUlT_SK_SL_SM_E_clIPiSE_SF_SF_EESJ_SZ_SK_SL_SM_EUlSZ_E_NS1_11comp_targetILNS1_3genE8ELNS1_11target_archE1030ELNS1_3gpuE2ELNS1_3repE0EEENS1_48merge_mergepath_partition_config_static_selectorELNS0_4arch9wavefront6targetE0EEEvSL_.private_seg_size, 0
	.set _ZN7rocprim17ROCPRIM_400000_NS6detail17trampoline_kernelINS0_14default_configENS1_38merge_sort_block_merge_config_selectorIiNS0_10empty_typeEEEZZNS1_27merge_sort_block_merge_implIS3_N6thrust23THRUST_200600_302600_NS6detail15normal_iteratorINS9_10device_ptrIiEEEEPS5_jNS1_19radix_merge_compareILb0ELb0EiNS0_19identity_decomposerEEEEE10hipError_tT0_T1_T2_jT3_P12ihipStream_tbPNSt15iterator_traitsISK_E10value_typeEPNSQ_ISL_E10value_typeEPSM_NS1_7vsmem_tEENKUlT_SK_SL_SM_E_clIPiSE_SF_SF_EESJ_SZ_SK_SL_SM_EUlSZ_E_NS1_11comp_targetILNS1_3genE8ELNS1_11target_archE1030ELNS1_3gpuE2ELNS1_3repE0EEENS1_48merge_mergepath_partition_config_static_selectorELNS0_4arch9wavefront6targetE0EEEvSL_.uses_vcc, 1
	.set _ZN7rocprim17ROCPRIM_400000_NS6detail17trampoline_kernelINS0_14default_configENS1_38merge_sort_block_merge_config_selectorIiNS0_10empty_typeEEEZZNS1_27merge_sort_block_merge_implIS3_N6thrust23THRUST_200600_302600_NS6detail15normal_iteratorINS9_10device_ptrIiEEEEPS5_jNS1_19radix_merge_compareILb0ELb0EiNS0_19identity_decomposerEEEEE10hipError_tT0_T1_T2_jT3_P12ihipStream_tbPNSt15iterator_traitsISK_E10value_typeEPNSQ_ISL_E10value_typeEPSM_NS1_7vsmem_tEENKUlT_SK_SL_SM_E_clIPiSE_SF_SF_EESJ_SZ_SK_SL_SM_EUlSZ_E_NS1_11comp_targetILNS1_3genE8ELNS1_11target_archE1030ELNS1_3gpuE2ELNS1_3repE0EEENS1_48merge_mergepath_partition_config_static_selectorELNS0_4arch9wavefront6targetE0EEEvSL_.uses_flat_scratch, 0
	.set _ZN7rocprim17ROCPRIM_400000_NS6detail17trampoline_kernelINS0_14default_configENS1_38merge_sort_block_merge_config_selectorIiNS0_10empty_typeEEEZZNS1_27merge_sort_block_merge_implIS3_N6thrust23THRUST_200600_302600_NS6detail15normal_iteratorINS9_10device_ptrIiEEEEPS5_jNS1_19radix_merge_compareILb0ELb0EiNS0_19identity_decomposerEEEEE10hipError_tT0_T1_T2_jT3_P12ihipStream_tbPNSt15iterator_traitsISK_E10value_typeEPNSQ_ISL_E10value_typeEPSM_NS1_7vsmem_tEENKUlT_SK_SL_SM_E_clIPiSE_SF_SF_EESJ_SZ_SK_SL_SM_EUlSZ_E_NS1_11comp_targetILNS1_3genE8ELNS1_11target_archE1030ELNS1_3gpuE2ELNS1_3repE0EEENS1_48merge_mergepath_partition_config_static_selectorELNS0_4arch9wavefront6targetE0EEEvSL_.has_dyn_sized_stack, 0
	.set _ZN7rocprim17ROCPRIM_400000_NS6detail17trampoline_kernelINS0_14default_configENS1_38merge_sort_block_merge_config_selectorIiNS0_10empty_typeEEEZZNS1_27merge_sort_block_merge_implIS3_N6thrust23THRUST_200600_302600_NS6detail15normal_iteratorINS9_10device_ptrIiEEEEPS5_jNS1_19radix_merge_compareILb0ELb0EiNS0_19identity_decomposerEEEEE10hipError_tT0_T1_T2_jT3_P12ihipStream_tbPNSt15iterator_traitsISK_E10value_typeEPNSQ_ISL_E10value_typeEPSM_NS1_7vsmem_tEENKUlT_SK_SL_SM_E_clIPiSE_SF_SF_EESJ_SZ_SK_SL_SM_EUlSZ_E_NS1_11comp_targetILNS1_3genE8ELNS1_11target_archE1030ELNS1_3gpuE2ELNS1_3repE0EEENS1_48merge_mergepath_partition_config_static_selectorELNS0_4arch9wavefront6targetE0EEEvSL_.has_recursion, 0
	.set _ZN7rocprim17ROCPRIM_400000_NS6detail17trampoline_kernelINS0_14default_configENS1_38merge_sort_block_merge_config_selectorIiNS0_10empty_typeEEEZZNS1_27merge_sort_block_merge_implIS3_N6thrust23THRUST_200600_302600_NS6detail15normal_iteratorINS9_10device_ptrIiEEEEPS5_jNS1_19radix_merge_compareILb0ELb0EiNS0_19identity_decomposerEEEEE10hipError_tT0_T1_T2_jT3_P12ihipStream_tbPNSt15iterator_traitsISK_E10value_typeEPNSQ_ISL_E10value_typeEPSM_NS1_7vsmem_tEENKUlT_SK_SL_SM_E_clIPiSE_SF_SF_EESJ_SZ_SK_SL_SM_EUlSZ_E_NS1_11comp_targetILNS1_3genE8ELNS1_11target_archE1030ELNS1_3gpuE2ELNS1_3repE0EEENS1_48merge_mergepath_partition_config_static_selectorELNS0_4arch9wavefront6targetE0EEEvSL_.has_indirect_call, 0
	.section	.AMDGPU.csdata,"",@progbits
; Kernel info:
; codeLenInByte = 436
; TotalNumSgprs: 9
; NumVgprs: 15
; ScratchSize: 0
; MemoryBound: 0
; FloatMode: 240
; IeeeMode: 1
; LDSByteSize: 0 bytes/workgroup (compile time only)
; SGPRBlocks: 0
; VGPRBlocks: 1
; NumSGPRsForWavesPerEU: 9
; NumVGPRsForWavesPerEU: 15
; Occupancy: 16
; WaveLimiterHint : 0
; COMPUTE_PGM_RSRC2:SCRATCH_EN: 0
; COMPUTE_PGM_RSRC2:USER_SGPR: 6
; COMPUTE_PGM_RSRC2:TRAP_HANDLER: 0
; COMPUTE_PGM_RSRC2:TGID_X_EN: 1
; COMPUTE_PGM_RSRC2:TGID_Y_EN: 0
; COMPUTE_PGM_RSRC2:TGID_Z_EN: 0
; COMPUTE_PGM_RSRC2:TIDIG_COMP_CNT: 0
	.section	.text._ZN7rocprim17ROCPRIM_400000_NS6detail17trampoline_kernelINS0_14default_configENS1_38merge_sort_block_merge_config_selectorIiNS0_10empty_typeEEEZZNS1_27merge_sort_block_merge_implIS3_N6thrust23THRUST_200600_302600_NS6detail15normal_iteratorINS9_10device_ptrIiEEEEPS5_jNS1_19radix_merge_compareILb0ELb0EiNS0_19identity_decomposerEEEEE10hipError_tT0_T1_T2_jT3_P12ihipStream_tbPNSt15iterator_traitsISK_E10value_typeEPNSQ_ISL_E10value_typeEPSM_NS1_7vsmem_tEENKUlT_SK_SL_SM_E_clIPiSE_SF_SF_EESJ_SZ_SK_SL_SM_EUlSZ_E0_NS1_11comp_targetILNS1_3genE0ELNS1_11target_archE4294967295ELNS1_3gpuE0ELNS1_3repE0EEENS1_38merge_mergepath_config_static_selectorELNS0_4arch9wavefront6targetE0EEEvSL_,"axG",@progbits,_ZN7rocprim17ROCPRIM_400000_NS6detail17trampoline_kernelINS0_14default_configENS1_38merge_sort_block_merge_config_selectorIiNS0_10empty_typeEEEZZNS1_27merge_sort_block_merge_implIS3_N6thrust23THRUST_200600_302600_NS6detail15normal_iteratorINS9_10device_ptrIiEEEEPS5_jNS1_19radix_merge_compareILb0ELb0EiNS0_19identity_decomposerEEEEE10hipError_tT0_T1_T2_jT3_P12ihipStream_tbPNSt15iterator_traitsISK_E10value_typeEPNSQ_ISL_E10value_typeEPSM_NS1_7vsmem_tEENKUlT_SK_SL_SM_E_clIPiSE_SF_SF_EESJ_SZ_SK_SL_SM_EUlSZ_E0_NS1_11comp_targetILNS1_3genE0ELNS1_11target_archE4294967295ELNS1_3gpuE0ELNS1_3repE0EEENS1_38merge_mergepath_config_static_selectorELNS0_4arch9wavefront6targetE0EEEvSL_,comdat
	.protected	_ZN7rocprim17ROCPRIM_400000_NS6detail17trampoline_kernelINS0_14default_configENS1_38merge_sort_block_merge_config_selectorIiNS0_10empty_typeEEEZZNS1_27merge_sort_block_merge_implIS3_N6thrust23THRUST_200600_302600_NS6detail15normal_iteratorINS9_10device_ptrIiEEEEPS5_jNS1_19radix_merge_compareILb0ELb0EiNS0_19identity_decomposerEEEEE10hipError_tT0_T1_T2_jT3_P12ihipStream_tbPNSt15iterator_traitsISK_E10value_typeEPNSQ_ISL_E10value_typeEPSM_NS1_7vsmem_tEENKUlT_SK_SL_SM_E_clIPiSE_SF_SF_EESJ_SZ_SK_SL_SM_EUlSZ_E0_NS1_11comp_targetILNS1_3genE0ELNS1_11target_archE4294967295ELNS1_3gpuE0ELNS1_3repE0EEENS1_38merge_mergepath_config_static_selectorELNS0_4arch9wavefront6targetE0EEEvSL_ ; -- Begin function _ZN7rocprim17ROCPRIM_400000_NS6detail17trampoline_kernelINS0_14default_configENS1_38merge_sort_block_merge_config_selectorIiNS0_10empty_typeEEEZZNS1_27merge_sort_block_merge_implIS3_N6thrust23THRUST_200600_302600_NS6detail15normal_iteratorINS9_10device_ptrIiEEEEPS5_jNS1_19radix_merge_compareILb0ELb0EiNS0_19identity_decomposerEEEEE10hipError_tT0_T1_T2_jT3_P12ihipStream_tbPNSt15iterator_traitsISK_E10value_typeEPNSQ_ISL_E10value_typeEPSM_NS1_7vsmem_tEENKUlT_SK_SL_SM_E_clIPiSE_SF_SF_EESJ_SZ_SK_SL_SM_EUlSZ_E0_NS1_11comp_targetILNS1_3genE0ELNS1_11target_archE4294967295ELNS1_3gpuE0ELNS1_3repE0EEENS1_38merge_mergepath_config_static_selectorELNS0_4arch9wavefront6targetE0EEEvSL_
	.globl	_ZN7rocprim17ROCPRIM_400000_NS6detail17trampoline_kernelINS0_14default_configENS1_38merge_sort_block_merge_config_selectorIiNS0_10empty_typeEEEZZNS1_27merge_sort_block_merge_implIS3_N6thrust23THRUST_200600_302600_NS6detail15normal_iteratorINS9_10device_ptrIiEEEEPS5_jNS1_19radix_merge_compareILb0ELb0EiNS0_19identity_decomposerEEEEE10hipError_tT0_T1_T2_jT3_P12ihipStream_tbPNSt15iterator_traitsISK_E10value_typeEPNSQ_ISL_E10value_typeEPSM_NS1_7vsmem_tEENKUlT_SK_SL_SM_E_clIPiSE_SF_SF_EESJ_SZ_SK_SL_SM_EUlSZ_E0_NS1_11comp_targetILNS1_3genE0ELNS1_11target_archE4294967295ELNS1_3gpuE0ELNS1_3repE0EEENS1_38merge_mergepath_config_static_selectorELNS0_4arch9wavefront6targetE0EEEvSL_
	.p2align	8
	.type	_ZN7rocprim17ROCPRIM_400000_NS6detail17trampoline_kernelINS0_14default_configENS1_38merge_sort_block_merge_config_selectorIiNS0_10empty_typeEEEZZNS1_27merge_sort_block_merge_implIS3_N6thrust23THRUST_200600_302600_NS6detail15normal_iteratorINS9_10device_ptrIiEEEEPS5_jNS1_19radix_merge_compareILb0ELb0EiNS0_19identity_decomposerEEEEE10hipError_tT0_T1_T2_jT3_P12ihipStream_tbPNSt15iterator_traitsISK_E10value_typeEPNSQ_ISL_E10value_typeEPSM_NS1_7vsmem_tEENKUlT_SK_SL_SM_E_clIPiSE_SF_SF_EESJ_SZ_SK_SL_SM_EUlSZ_E0_NS1_11comp_targetILNS1_3genE0ELNS1_11target_archE4294967295ELNS1_3gpuE0ELNS1_3repE0EEENS1_38merge_mergepath_config_static_selectorELNS0_4arch9wavefront6targetE0EEEvSL_,@function
_ZN7rocprim17ROCPRIM_400000_NS6detail17trampoline_kernelINS0_14default_configENS1_38merge_sort_block_merge_config_selectorIiNS0_10empty_typeEEEZZNS1_27merge_sort_block_merge_implIS3_N6thrust23THRUST_200600_302600_NS6detail15normal_iteratorINS9_10device_ptrIiEEEEPS5_jNS1_19radix_merge_compareILb0ELb0EiNS0_19identity_decomposerEEEEE10hipError_tT0_T1_T2_jT3_P12ihipStream_tbPNSt15iterator_traitsISK_E10value_typeEPNSQ_ISL_E10value_typeEPSM_NS1_7vsmem_tEENKUlT_SK_SL_SM_E_clIPiSE_SF_SF_EESJ_SZ_SK_SL_SM_EUlSZ_E0_NS1_11comp_targetILNS1_3genE0ELNS1_11target_archE4294967295ELNS1_3gpuE0ELNS1_3repE0EEENS1_38merge_mergepath_config_static_selectorELNS0_4arch9wavefront6targetE0EEEvSL_: ; @_ZN7rocprim17ROCPRIM_400000_NS6detail17trampoline_kernelINS0_14default_configENS1_38merge_sort_block_merge_config_selectorIiNS0_10empty_typeEEEZZNS1_27merge_sort_block_merge_implIS3_N6thrust23THRUST_200600_302600_NS6detail15normal_iteratorINS9_10device_ptrIiEEEEPS5_jNS1_19radix_merge_compareILb0ELb0EiNS0_19identity_decomposerEEEEE10hipError_tT0_T1_T2_jT3_P12ihipStream_tbPNSt15iterator_traitsISK_E10value_typeEPNSQ_ISL_E10value_typeEPSM_NS1_7vsmem_tEENKUlT_SK_SL_SM_E_clIPiSE_SF_SF_EESJ_SZ_SK_SL_SM_EUlSZ_E0_NS1_11comp_targetILNS1_3genE0ELNS1_11target_archE4294967295ELNS1_3gpuE0ELNS1_3repE0EEENS1_38merge_mergepath_config_static_selectorELNS0_4arch9wavefront6targetE0EEEvSL_
; %bb.0:
	.section	.rodata,"a",@progbits
	.p2align	6, 0x0
	.amdhsa_kernel _ZN7rocprim17ROCPRIM_400000_NS6detail17trampoline_kernelINS0_14default_configENS1_38merge_sort_block_merge_config_selectorIiNS0_10empty_typeEEEZZNS1_27merge_sort_block_merge_implIS3_N6thrust23THRUST_200600_302600_NS6detail15normal_iteratorINS9_10device_ptrIiEEEEPS5_jNS1_19radix_merge_compareILb0ELb0EiNS0_19identity_decomposerEEEEE10hipError_tT0_T1_T2_jT3_P12ihipStream_tbPNSt15iterator_traitsISK_E10value_typeEPNSQ_ISL_E10value_typeEPSM_NS1_7vsmem_tEENKUlT_SK_SL_SM_E_clIPiSE_SF_SF_EESJ_SZ_SK_SL_SM_EUlSZ_E0_NS1_11comp_targetILNS1_3genE0ELNS1_11target_archE4294967295ELNS1_3gpuE0ELNS1_3repE0EEENS1_38merge_mergepath_config_static_selectorELNS0_4arch9wavefront6targetE0EEEvSL_
		.amdhsa_group_segment_fixed_size 0
		.amdhsa_private_segment_fixed_size 0
		.amdhsa_kernarg_size 64
		.amdhsa_user_sgpr_count 6
		.amdhsa_user_sgpr_private_segment_buffer 1
		.amdhsa_user_sgpr_dispatch_ptr 0
		.amdhsa_user_sgpr_queue_ptr 0
		.amdhsa_user_sgpr_kernarg_segment_ptr 1
		.amdhsa_user_sgpr_dispatch_id 0
		.amdhsa_user_sgpr_flat_scratch_init 0
		.amdhsa_user_sgpr_private_segment_size 0
		.amdhsa_wavefront_size32 1
		.amdhsa_uses_dynamic_stack 0
		.amdhsa_system_sgpr_private_segment_wavefront_offset 0
		.amdhsa_system_sgpr_workgroup_id_x 1
		.amdhsa_system_sgpr_workgroup_id_y 0
		.amdhsa_system_sgpr_workgroup_id_z 0
		.amdhsa_system_sgpr_workgroup_info 0
		.amdhsa_system_vgpr_workitem_id 0
		.amdhsa_next_free_vgpr 1
		.amdhsa_next_free_sgpr 1
		.amdhsa_reserve_vcc 0
		.amdhsa_reserve_flat_scratch 0
		.amdhsa_float_round_mode_32 0
		.amdhsa_float_round_mode_16_64 0
		.amdhsa_float_denorm_mode_32 3
		.amdhsa_float_denorm_mode_16_64 3
		.amdhsa_dx10_clamp 1
		.amdhsa_ieee_mode 1
		.amdhsa_fp16_overflow 0
		.amdhsa_workgroup_processor_mode 1
		.amdhsa_memory_ordered 1
		.amdhsa_forward_progress 1
		.amdhsa_shared_vgpr_count 0
		.amdhsa_exception_fp_ieee_invalid_op 0
		.amdhsa_exception_fp_denorm_src 0
		.amdhsa_exception_fp_ieee_div_zero 0
		.amdhsa_exception_fp_ieee_overflow 0
		.amdhsa_exception_fp_ieee_underflow 0
		.amdhsa_exception_fp_ieee_inexact 0
		.amdhsa_exception_int_div_zero 0
	.end_amdhsa_kernel
	.section	.text._ZN7rocprim17ROCPRIM_400000_NS6detail17trampoline_kernelINS0_14default_configENS1_38merge_sort_block_merge_config_selectorIiNS0_10empty_typeEEEZZNS1_27merge_sort_block_merge_implIS3_N6thrust23THRUST_200600_302600_NS6detail15normal_iteratorINS9_10device_ptrIiEEEEPS5_jNS1_19radix_merge_compareILb0ELb0EiNS0_19identity_decomposerEEEEE10hipError_tT0_T1_T2_jT3_P12ihipStream_tbPNSt15iterator_traitsISK_E10value_typeEPNSQ_ISL_E10value_typeEPSM_NS1_7vsmem_tEENKUlT_SK_SL_SM_E_clIPiSE_SF_SF_EESJ_SZ_SK_SL_SM_EUlSZ_E0_NS1_11comp_targetILNS1_3genE0ELNS1_11target_archE4294967295ELNS1_3gpuE0ELNS1_3repE0EEENS1_38merge_mergepath_config_static_selectorELNS0_4arch9wavefront6targetE0EEEvSL_,"axG",@progbits,_ZN7rocprim17ROCPRIM_400000_NS6detail17trampoline_kernelINS0_14default_configENS1_38merge_sort_block_merge_config_selectorIiNS0_10empty_typeEEEZZNS1_27merge_sort_block_merge_implIS3_N6thrust23THRUST_200600_302600_NS6detail15normal_iteratorINS9_10device_ptrIiEEEEPS5_jNS1_19radix_merge_compareILb0ELb0EiNS0_19identity_decomposerEEEEE10hipError_tT0_T1_T2_jT3_P12ihipStream_tbPNSt15iterator_traitsISK_E10value_typeEPNSQ_ISL_E10value_typeEPSM_NS1_7vsmem_tEENKUlT_SK_SL_SM_E_clIPiSE_SF_SF_EESJ_SZ_SK_SL_SM_EUlSZ_E0_NS1_11comp_targetILNS1_3genE0ELNS1_11target_archE4294967295ELNS1_3gpuE0ELNS1_3repE0EEENS1_38merge_mergepath_config_static_selectorELNS0_4arch9wavefront6targetE0EEEvSL_,comdat
.Lfunc_end27:
	.size	_ZN7rocprim17ROCPRIM_400000_NS6detail17trampoline_kernelINS0_14default_configENS1_38merge_sort_block_merge_config_selectorIiNS0_10empty_typeEEEZZNS1_27merge_sort_block_merge_implIS3_N6thrust23THRUST_200600_302600_NS6detail15normal_iteratorINS9_10device_ptrIiEEEEPS5_jNS1_19radix_merge_compareILb0ELb0EiNS0_19identity_decomposerEEEEE10hipError_tT0_T1_T2_jT3_P12ihipStream_tbPNSt15iterator_traitsISK_E10value_typeEPNSQ_ISL_E10value_typeEPSM_NS1_7vsmem_tEENKUlT_SK_SL_SM_E_clIPiSE_SF_SF_EESJ_SZ_SK_SL_SM_EUlSZ_E0_NS1_11comp_targetILNS1_3genE0ELNS1_11target_archE4294967295ELNS1_3gpuE0ELNS1_3repE0EEENS1_38merge_mergepath_config_static_selectorELNS0_4arch9wavefront6targetE0EEEvSL_, .Lfunc_end27-_ZN7rocprim17ROCPRIM_400000_NS6detail17trampoline_kernelINS0_14default_configENS1_38merge_sort_block_merge_config_selectorIiNS0_10empty_typeEEEZZNS1_27merge_sort_block_merge_implIS3_N6thrust23THRUST_200600_302600_NS6detail15normal_iteratorINS9_10device_ptrIiEEEEPS5_jNS1_19radix_merge_compareILb0ELb0EiNS0_19identity_decomposerEEEEE10hipError_tT0_T1_T2_jT3_P12ihipStream_tbPNSt15iterator_traitsISK_E10value_typeEPNSQ_ISL_E10value_typeEPSM_NS1_7vsmem_tEENKUlT_SK_SL_SM_E_clIPiSE_SF_SF_EESJ_SZ_SK_SL_SM_EUlSZ_E0_NS1_11comp_targetILNS1_3genE0ELNS1_11target_archE4294967295ELNS1_3gpuE0ELNS1_3repE0EEENS1_38merge_mergepath_config_static_selectorELNS0_4arch9wavefront6targetE0EEEvSL_
                                        ; -- End function
	.set _ZN7rocprim17ROCPRIM_400000_NS6detail17trampoline_kernelINS0_14default_configENS1_38merge_sort_block_merge_config_selectorIiNS0_10empty_typeEEEZZNS1_27merge_sort_block_merge_implIS3_N6thrust23THRUST_200600_302600_NS6detail15normal_iteratorINS9_10device_ptrIiEEEEPS5_jNS1_19radix_merge_compareILb0ELb0EiNS0_19identity_decomposerEEEEE10hipError_tT0_T1_T2_jT3_P12ihipStream_tbPNSt15iterator_traitsISK_E10value_typeEPNSQ_ISL_E10value_typeEPSM_NS1_7vsmem_tEENKUlT_SK_SL_SM_E_clIPiSE_SF_SF_EESJ_SZ_SK_SL_SM_EUlSZ_E0_NS1_11comp_targetILNS1_3genE0ELNS1_11target_archE4294967295ELNS1_3gpuE0ELNS1_3repE0EEENS1_38merge_mergepath_config_static_selectorELNS0_4arch9wavefront6targetE0EEEvSL_.num_vgpr, 0
	.set _ZN7rocprim17ROCPRIM_400000_NS6detail17trampoline_kernelINS0_14default_configENS1_38merge_sort_block_merge_config_selectorIiNS0_10empty_typeEEEZZNS1_27merge_sort_block_merge_implIS3_N6thrust23THRUST_200600_302600_NS6detail15normal_iteratorINS9_10device_ptrIiEEEEPS5_jNS1_19radix_merge_compareILb0ELb0EiNS0_19identity_decomposerEEEEE10hipError_tT0_T1_T2_jT3_P12ihipStream_tbPNSt15iterator_traitsISK_E10value_typeEPNSQ_ISL_E10value_typeEPSM_NS1_7vsmem_tEENKUlT_SK_SL_SM_E_clIPiSE_SF_SF_EESJ_SZ_SK_SL_SM_EUlSZ_E0_NS1_11comp_targetILNS1_3genE0ELNS1_11target_archE4294967295ELNS1_3gpuE0ELNS1_3repE0EEENS1_38merge_mergepath_config_static_selectorELNS0_4arch9wavefront6targetE0EEEvSL_.num_agpr, 0
	.set _ZN7rocprim17ROCPRIM_400000_NS6detail17trampoline_kernelINS0_14default_configENS1_38merge_sort_block_merge_config_selectorIiNS0_10empty_typeEEEZZNS1_27merge_sort_block_merge_implIS3_N6thrust23THRUST_200600_302600_NS6detail15normal_iteratorINS9_10device_ptrIiEEEEPS5_jNS1_19radix_merge_compareILb0ELb0EiNS0_19identity_decomposerEEEEE10hipError_tT0_T1_T2_jT3_P12ihipStream_tbPNSt15iterator_traitsISK_E10value_typeEPNSQ_ISL_E10value_typeEPSM_NS1_7vsmem_tEENKUlT_SK_SL_SM_E_clIPiSE_SF_SF_EESJ_SZ_SK_SL_SM_EUlSZ_E0_NS1_11comp_targetILNS1_3genE0ELNS1_11target_archE4294967295ELNS1_3gpuE0ELNS1_3repE0EEENS1_38merge_mergepath_config_static_selectorELNS0_4arch9wavefront6targetE0EEEvSL_.numbered_sgpr, 0
	.set _ZN7rocprim17ROCPRIM_400000_NS6detail17trampoline_kernelINS0_14default_configENS1_38merge_sort_block_merge_config_selectorIiNS0_10empty_typeEEEZZNS1_27merge_sort_block_merge_implIS3_N6thrust23THRUST_200600_302600_NS6detail15normal_iteratorINS9_10device_ptrIiEEEEPS5_jNS1_19radix_merge_compareILb0ELb0EiNS0_19identity_decomposerEEEEE10hipError_tT0_T1_T2_jT3_P12ihipStream_tbPNSt15iterator_traitsISK_E10value_typeEPNSQ_ISL_E10value_typeEPSM_NS1_7vsmem_tEENKUlT_SK_SL_SM_E_clIPiSE_SF_SF_EESJ_SZ_SK_SL_SM_EUlSZ_E0_NS1_11comp_targetILNS1_3genE0ELNS1_11target_archE4294967295ELNS1_3gpuE0ELNS1_3repE0EEENS1_38merge_mergepath_config_static_selectorELNS0_4arch9wavefront6targetE0EEEvSL_.num_named_barrier, 0
	.set _ZN7rocprim17ROCPRIM_400000_NS6detail17trampoline_kernelINS0_14default_configENS1_38merge_sort_block_merge_config_selectorIiNS0_10empty_typeEEEZZNS1_27merge_sort_block_merge_implIS3_N6thrust23THRUST_200600_302600_NS6detail15normal_iteratorINS9_10device_ptrIiEEEEPS5_jNS1_19radix_merge_compareILb0ELb0EiNS0_19identity_decomposerEEEEE10hipError_tT0_T1_T2_jT3_P12ihipStream_tbPNSt15iterator_traitsISK_E10value_typeEPNSQ_ISL_E10value_typeEPSM_NS1_7vsmem_tEENKUlT_SK_SL_SM_E_clIPiSE_SF_SF_EESJ_SZ_SK_SL_SM_EUlSZ_E0_NS1_11comp_targetILNS1_3genE0ELNS1_11target_archE4294967295ELNS1_3gpuE0ELNS1_3repE0EEENS1_38merge_mergepath_config_static_selectorELNS0_4arch9wavefront6targetE0EEEvSL_.private_seg_size, 0
	.set _ZN7rocprim17ROCPRIM_400000_NS6detail17trampoline_kernelINS0_14default_configENS1_38merge_sort_block_merge_config_selectorIiNS0_10empty_typeEEEZZNS1_27merge_sort_block_merge_implIS3_N6thrust23THRUST_200600_302600_NS6detail15normal_iteratorINS9_10device_ptrIiEEEEPS5_jNS1_19radix_merge_compareILb0ELb0EiNS0_19identity_decomposerEEEEE10hipError_tT0_T1_T2_jT3_P12ihipStream_tbPNSt15iterator_traitsISK_E10value_typeEPNSQ_ISL_E10value_typeEPSM_NS1_7vsmem_tEENKUlT_SK_SL_SM_E_clIPiSE_SF_SF_EESJ_SZ_SK_SL_SM_EUlSZ_E0_NS1_11comp_targetILNS1_3genE0ELNS1_11target_archE4294967295ELNS1_3gpuE0ELNS1_3repE0EEENS1_38merge_mergepath_config_static_selectorELNS0_4arch9wavefront6targetE0EEEvSL_.uses_vcc, 0
	.set _ZN7rocprim17ROCPRIM_400000_NS6detail17trampoline_kernelINS0_14default_configENS1_38merge_sort_block_merge_config_selectorIiNS0_10empty_typeEEEZZNS1_27merge_sort_block_merge_implIS3_N6thrust23THRUST_200600_302600_NS6detail15normal_iteratorINS9_10device_ptrIiEEEEPS5_jNS1_19radix_merge_compareILb0ELb0EiNS0_19identity_decomposerEEEEE10hipError_tT0_T1_T2_jT3_P12ihipStream_tbPNSt15iterator_traitsISK_E10value_typeEPNSQ_ISL_E10value_typeEPSM_NS1_7vsmem_tEENKUlT_SK_SL_SM_E_clIPiSE_SF_SF_EESJ_SZ_SK_SL_SM_EUlSZ_E0_NS1_11comp_targetILNS1_3genE0ELNS1_11target_archE4294967295ELNS1_3gpuE0ELNS1_3repE0EEENS1_38merge_mergepath_config_static_selectorELNS0_4arch9wavefront6targetE0EEEvSL_.uses_flat_scratch, 0
	.set _ZN7rocprim17ROCPRIM_400000_NS6detail17trampoline_kernelINS0_14default_configENS1_38merge_sort_block_merge_config_selectorIiNS0_10empty_typeEEEZZNS1_27merge_sort_block_merge_implIS3_N6thrust23THRUST_200600_302600_NS6detail15normal_iteratorINS9_10device_ptrIiEEEEPS5_jNS1_19radix_merge_compareILb0ELb0EiNS0_19identity_decomposerEEEEE10hipError_tT0_T1_T2_jT3_P12ihipStream_tbPNSt15iterator_traitsISK_E10value_typeEPNSQ_ISL_E10value_typeEPSM_NS1_7vsmem_tEENKUlT_SK_SL_SM_E_clIPiSE_SF_SF_EESJ_SZ_SK_SL_SM_EUlSZ_E0_NS1_11comp_targetILNS1_3genE0ELNS1_11target_archE4294967295ELNS1_3gpuE0ELNS1_3repE0EEENS1_38merge_mergepath_config_static_selectorELNS0_4arch9wavefront6targetE0EEEvSL_.has_dyn_sized_stack, 0
	.set _ZN7rocprim17ROCPRIM_400000_NS6detail17trampoline_kernelINS0_14default_configENS1_38merge_sort_block_merge_config_selectorIiNS0_10empty_typeEEEZZNS1_27merge_sort_block_merge_implIS3_N6thrust23THRUST_200600_302600_NS6detail15normal_iteratorINS9_10device_ptrIiEEEEPS5_jNS1_19radix_merge_compareILb0ELb0EiNS0_19identity_decomposerEEEEE10hipError_tT0_T1_T2_jT3_P12ihipStream_tbPNSt15iterator_traitsISK_E10value_typeEPNSQ_ISL_E10value_typeEPSM_NS1_7vsmem_tEENKUlT_SK_SL_SM_E_clIPiSE_SF_SF_EESJ_SZ_SK_SL_SM_EUlSZ_E0_NS1_11comp_targetILNS1_3genE0ELNS1_11target_archE4294967295ELNS1_3gpuE0ELNS1_3repE0EEENS1_38merge_mergepath_config_static_selectorELNS0_4arch9wavefront6targetE0EEEvSL_.has_recursion, 0
	.set _ZN7rocprim17ROCPRIM_400000_NS6detail17trampoline_kernelINS0_14default_configENS1_38merge_sort_block_merge_config_selectorIiNS0_10empty_typeEEEZZNS1_27merge_sort_block_merge_implIS3_N6thrust23THRUST_200600_302600_NS6detail15normal_iteratorINS9_10device_ptrIiEEEEPS5_jNS1_19radix_merge_compareILb0ELb0EiNS0_19identity_decomposerEEEEE10hipError_tT0_T1_T2_jT3_P12ihipStream_tbPNSt15iterator_traitsISK_E10value_typeEPNSQ_ISL_E10value_typeEPSM_NS1_7vsmem_tEENKUlT_SK_SL_SM_E_clIPiSE_SF_SF_EESJ_SZ_SK_SL_SM_EUlSZ_E0_NS1_11comp_targetILNS1_3genE0ELNS1_11target_archE4294967295ELNS1_3gpuE0ELNS1_3repE0EEENS1_38merge_mergepath_config_static_selectorELNS0_4arch9wavefront6targetE0EEEvSL_.has_indirect_call, 0
	.section	.AMDGPU.csdata,"",@progbits
; Kernel info:
; codeLenInByte = 0
; TotalNumSgprs: 0
; NumVgprs: 0
; ScratchSize: 0
; MemoryBound: 0
; FloatMode: 240
; IeeeMode: 1
; LDSByteSize: 0 bytes/workgroup (compile time only)
; SGPRBlocks: 0
; VGPRBlocks: 0
; NumSGPRsForWavesPerEU: 1
; NumVGPRsForWavesPerEU: 1
; Occupancy: 16
; WaveLimiterHint : 0
; COMPUTE_PGM_RSRC2:SCRATCH_EN: 0
; COMPUTE_PGM_RSRC2:USER_SGPR: 6
; COMPUTE_PGM_RSRC2:TRAP_HANDLER: 0
; COMPUTE_PGM_RSRC2:TGID_X_EN: 1
; COMPUTE_PGM_RSRC2:TGID_Y_EN: 0
; COMPUTE_PGM_RSRC2:TGID_Z_EN: 0
; COMPUTE_PGM_RSRC2:TIDIG_COMP_CNT: 0
	.section	.text._ZN7rocprim17ROCPRIM_400000_NS6detail17trampoline_kernelINS0_14default_configENS1_38merge_sort_block_merge_config_selectorIiNS0_10empty_typeEEEZZNS1_27merge_sort_block_merge_implIS3_N6thrust23THRUST_200600_302600_NS6detail15normal_iteratorINS9_10device_ptrIiEEEEPS5_jNS1_19radix_merge_compareILb0ELb0EiNS0_19identity_decomposerEEEEE10hipError_tT0_T1_T2_jT3_P12ihipStream_tbPNSt15iterator_traitsISK_E10value_typeEPNSQ_ISL_E10value_typeEPSM_NS1_7vsmem_tEENKUlT_SK_SL_SM_E_clIPiSE_SF_SF_EESJ_SZ_SK_SL_SM_EUlSZ_E0_NS1_11comp_targetILNS1_3genE10ELNS1_11target_archE1201ELNS1_3gpuE5ELNS1_3repE0EEENS1_38merge_mergepath_config_static_selectorELNS0_4arch9wavefront6targetE0EEEvSL_,"axG",@progbits,_ZN7rocprim17ROCPRIM_400000_NS6detail17trampoline_kernelINS0_14default_configENS1_38merge_sort_block_merge_config_selectorIiNS0_10empty_typeEEEZZNS1_27merge_sort_block_merge_implIS3_N6thrust23THRUST_200600_302600_NS6detail15normal_iteratorINS9_10device_ptrIiEEEEPS5_jNS1_19radix_merge_compareILb0ELb0EiNS0_19identity_decomposerEEEEE10hipError_tT0_T1_T2_jT3_P12ihipStream_tbPNSt15iterator_traitsISK_E10value_typeEPNSQ_ISL_E10value_typeEPSM_NS1_7vsmem_tEENKUlT_SK_SL_SM_E_clIPiSE_SF_SF_EESJ_SZ_SK_SL_SM_EUlSZ_E0_NS1_11comp_targetILNS1_3genE10ELNS1_11target_archE1201ELNS1_3gpuE5ELNS1_3repE0EEENS1_38merge_mergepath_config_static_selectorELNS0_4arch9wavefront6targetE0EEEvSL_,comdat
	.protected	_ZN7rocprim17ROCPRIM_400000_NS6detail17trampoline_kernelINS0_14default_configENS1_38merge_sort_block_merge_config_selectorIiNS0_10empty_typeEEEZZNS1_27merge_sort_block_merge_implIS3_N6thrust23THRUST_200600_302600_NS6detail15normal_iteratorINS9_10device_ptrIiEEEEPS5_jNS1_19radix_merge_compareILb0ELb0EiNS0_19identity_decomposerEEEEE10hipError_tT0_T1_T2_jT3_P12ihipStream_tbPNSt15iterator_traitsISK_E10value_typeEPNSQ_ISL_E10value_typeEPSM_NS1_7vsmem_tEENKUlT_SK_SL_SM_E_clIPiSE_SF_SF_EESJ_SZ_SK_SL_SM_EUlSZ_E0_NS1_11comp_targetILNS1_3genE10ELNS1_11target_archE1201ELNS1_3gpuE5ELNS1_3repE0EEENS1_38merge_mergepath_config_static_selectorELNS0_4arch9wavefront6targetE0EEEvSL_ ; -- Begin function _ZN7rocprim17ROCPRIM_400000_NS6detail17trampoline_kernelINS0_14default_configENS1_38merge_sort_block_merge_config_selectorIiNS0_10empty_typeEEEZZNS1_27merge_sort_block_merge_implIS3_N6thrust23THRUST_200600_302600_NS6detail15normal_iteratorINS9_10device_ptrIiEEEEPS5_jNS1_19radix_merge_compareILb0ELb0EiNS0_19identity_decomposerEEEEE10hipError_tT0_T1_T2_jT3_P12ihipStream_tbPNSt15iterator_traitsISK_E10value_typeEPNSQ_ISL_E10value_typeEPSM_NS1_7vsmem_tEENKUlT_SK_SL_SM_E_clIPiSE_SF_SF_EESJ_SZ_SK_SL_SM_EUlSZ_E0_NS1_11comp_targetILNS1_3genE10ELNS1_11target_archE1201ELNS1_3gpuE5ELNS1_3repE0EEENS1_38merge_mergepath_config_static_selectorELNS0_4arch9wavefront6targetE0EEEvSL_
	.globl	_ZN7rocprim17ROCPRIM_400000_NS6detail17trampoline_kernelINS0_14default_configENS1_38merge_sort_block_merge_config_selectorIiNS0_10empty_typeEEEZZNS1_27merge_sort_block_merge_implIS3_N6thrust23THRUST_200600_302600_NS6detail15normal_iteratorINS9_10device_ptrIiEEEEPS5_jNS1_19radix_merge_compareILb0ELb0EiNS0_19identity_decomposerEEEEE10hipError_tT0_T1_T2_jT3_P12ihipStream_tbPNSt15iterator_traitsISK_E10value_typeEPNSQ_ISL_E10value_typeEPSM_NS1_7vsmem_tEENKUlT_SK_SL_SM_E_clIPiSE_SF_SF_EESJ_SZ_SK_SL_SM_EUlSZ_E0_NS1_11comp_targetILNS1_3genE10ELNS1_11target_archE1201ELNS1_3gpuE5ELNS1_3repE0EEENS1_38merge_mergepath_config_static_selectorELNS0_4arch9wavefront6targetE0EEEvSL_
	.p2align	8
	.type	_ZN7rocprim17ROCPRIM_400000_NS6detail17trampoline_kernelINS0_14default_configENS1_38merge_sort_block_merge_config_selectorIiNS0_10empty_typeEEEZZNS1_27merge_sort_block_merge_implIS3_N6thrust23THRUST_200600_302600_NS6detail15normal_iteratorINS9_10device_ptrIiEEEEPS5_jNS1_19radix_merge_compareILb0ELb0EiNS0_19identity_decomposerEEEEE10hipError_tT0_T1_T2_jT3_P12ihipStream_tbPNSt15iterator_traitsISK_E10value_typeEPNSQ_ISL_E10value_typeEPSM_NS1_7vsmem_tEENKUlT_SK_SL_SM_E_clIPiSE_SF_SF_EESJ_SZ_SK_SL_SM_EUlSZ_E0_NS1_11comp_targetILNS1_3genE10ELNS1_11target_archE1201ELNS1_3gpuE5ELNS1_3repE0EEENS1_38merge_mergepath_config_static_selectorELNS0_4arch9wavefront6targetE0EEEvSL_,@function
_ZN7rocprim17ROCPRIM_400000_NS6detail17trampoline_kernelINS0_14default_configENS1_38merge_sort_block_merge_config_selectorIiNS0_10empty_typeEEEZZNS1_27merge_sort_block_merge_implIS3_N6thrust23THRUST_200600_302600_NS6detail15normal_iteratorINS9_10device_ptrIiEEEEPS5_jNS1_19radix_merge_compareILb0ELb0EiNS0_19identity_decomposerEEEEE10hipError_tT0_T1_T2_jT3_P12ihipStream_tbPNSt15iterator_traitsISK_E10value_typeEPNSQ_ISL_E10value_typeEPSM_NS1_7vsmem_tEENKUlT_SK_SL_SM_E_clIPiSE_SF_SF_EESJ_SZ_SK_SL_SM_EUlSZ_E0_NS1_11comp_targetILNS1_3genE10ELNS1_11target_archE1201ELNS1_3gpuE5ELNS1_3repE0EEENS1_38merge_mergepath_config_static_selectorELNS0_4arch9wavefront6targetE0EEEvSL_: ; @_ZN7rocprim17ROCPRIM_400000_NS6detail17trampoline_kernelINS0_14default_configENS1_38merge_sort_block_merge_config_selectorIiNS0_10empty_typeEEEZZNS1_27merge_sort_block_merge_implIS3_N6thrust23THRUST_200600_302600_NS6detail15normal_iteratorINS9_10device_ptrIiEEEEPS5_jNS1_19radix_merge_compareILb0ELb0EiNS0_19identity_decomposerEEEEE10hipError_tT0_T1_T2_jT3_P12ihipStream_tbPNSt15iterator_traitsISK_E10value_typeEPNSQ_ISL_E10value_typeEPSM_NS1_7vsmem_tEENKUlT_SK_SL_SM_E_clIPiSE_SF_SF_EESJ_SZ_SK_SL_SM_EUlSZ_E0_NS1_11comp_targetILNS1_3genE10ELNS1_11target_archE1201ELNS1_3gpuE5ELNS1_3repE0EEENS1_38merge_mergepath_config_static_selectorELNS0_4arch9wavefront6targetE0EEEvSL_
; %bb.0:
	.section	.rodata,"a",@progbits
	.p2align	6, 0x0
	.amdhsa_kernel _ZN7rocprim17ROCPRIM_400000_NS6detail17trampoline_kernelINS0_14default_configENS1_38merge_sort_block_merge_config_selectorIiNS0_10empty_typeEEEZZNS1_27merge_sort_block_merge_implIS3_N6thrust23THRUST_200600_302600_NS6detail15normal_iteratorINS9_10device_ptrIiEEEEPS5_jNS1_19radix_merge_compareILb0ELb0EiNS0_19identity_decomposerEEEEE10hipError_tT0_T1_T2_jT3_P12ihipStream_tbPNSt15iterator_traitsISK_E10value_typeEPNSQ_ISL_E10value_typeEPSM_NS1_7vsmem_tEENKUlT_SK_SL_SM_E_clIPiSE_SF_SF_EESJ_SZ_SK_SL_SM_EUlSZ_E0_NS1_11comp_targetILNS1_3genE10ELNS1_11target_archE1201ELNS1_3gpuE5ELNS1_3repE0EEENS1_38merge_mergepath_config_static_selectorELNS0_4arch9wavefront6targetE0EEEvSL_
		.amdhsa_group_segment_fixed_size 0
		.amdhsa_private_segment_fixed_size 0
		.amdhsa_kernarg_size 64
		.amdhsa_user_sgpr_count 6
		.amdhsa_user_sgpr_private_segment_buffer 1
		.amdhsa_user_sgpr_dispatch_ptr 0
		.amdhsa_user_sgpr_queue_ptr 0
		.amdhsa_user_sgpr_kernarg_segment_ptr 1
		.amdhsa_user_sgpr_dispatch_id 0
		.amdhsa_user_sgpr_flat_scratch_init 0
		.amdhsa_user_sgpr_private_segment_size 0
		.amdhsa_wavefront_size32 1
		.amdhsa_uses_dynamic_stack 0
		.amdhsa_system_sgpr_private_segment_wavefront_offset 0
		.amdhsa_system_sgpr_workgroup_id_x 1
		.amdhsa_system_sgpr_workgroup_id_y 0
		.amdhsa_system_sgpr_workgroup_id_z 0
		.amdhsa_system_sgpr_workgroup_info 0
		.amdhsa_system_vgpr_workitem_id 0
		.amdhsa_next_free_vgpr 1
		.amdhsa_next_free_sgpr 1
		.amdhsa_reserve_vcc 0
		.amdhsa_reserve_flat_scratch 0
		.amdhsa_float_round_mode_32 0
		.amdhsa_float_round_mode_16_64 0
		.amdhsa_float_denorm_mode_32 3
		.amdhsa_float_denorm_mode_16_64 3
		.amdhsa_dx10_clamp 1
		.amdhsa_ieee_mode 1
		.amdhsa_fp16_overflow 0
		.amdhsa_workgroup_processor_mode 1
		.amdhsa_memory_ordered 1
		.amdhsa_forward_progress 1
		.amdhsa_shared_vgpr_count 0
		.amdhsa_exception_fp_ieee_invalid_op 0
		.amdhsa_exception_fp_denorm_src 0
		.amdhsa_exception_fp_ieee_div_zero 0
		.amdhsa_exception_fp_ieee_overflow 0
		.amdhsa_exception_fp_ieee_underflow 0
		.amdhsa_exception_fp_ieee_inexact 0
		.amdhsa_exception_int_div_zero 0
	.end_amdhsa_kernel
	.section	.text._ZN7rocprim17ROCPRIM_400000_NS6detail17trampoline_kernelINS0_14default_configENS1_38merge_sort_block_merge_config_selectorIiNS0_10empty_typeEEEZZNS1_27merge_sort_block_merge_implIS3_N6thrust23THRUST_200600_302600_NS6detail15normal_iteratorINS9_10device_ptrIiEEEEPS5_jNS1_19radix_merge_compareILb0ELb0EiNS0_19identity_decomposerEEEEE10hipError_tT0_T1_T2_jT3_P12ihipStream_tbPNSt15iterator_traitsISK_E10value_typeEPNSQ_ISL_E10value_typeEPSM_NS1_7vsmem_tEENKUlT_SK_SL_SM_E_clIPiSE_SF_SF_EESJ_SZ_SK_SL_SM_EUlSZ_E0_NS1_11comp_targetILNS1_3genE10ELNS1_11target_archE1201ELNS1_3gpuE5ELNS1_3repE0EEENS1_38merge_mergepath_config_static_selectorELNS0_4arch9wavefront6targetE0EEEvSL_,"axG",@progbits,_ZN7rocprim17ROCPRIM_400000_NS6detail17trampoline_kernelINS0_14default_configENS1_38merge_sort_block_merge_config_selectorIiNS0_10empty_typeEEEZZNS1_27merge_sort_block_merge_implIS3_N6thrust23THRUST_200600_302600_NS6detail15normal_iteratorINS9_10device_ptrIiEEEEPS5_jNS1_19radix_merge_compareILb0ELb0EiNS0_19identity_decomposerEEEEE10hipError_tT0_T1_T2_jT3_P12ihipStream_tbPNSt15iterator_traitsISK_E10value_typeEPNSQ_ISL_E10value_typeEPSM_NS1_7vsmem_tEENKUlT_SK_SL_SM_E_clIPiSE_SF_SF_EESJ_SZ_SK_SL_SM_EUlSZ_E0_NS1_11comp_targetILNS1_3genE10ELNS1_11target_archE1201ELNS1_3gpuE5ELNS1_3repE0EEENS1_38merge_mergepath_config_static_selectorELNS0_4arch9wavefront6targetE0EEEvSL_,comdat
.Lfunc_end28:
	.size	_ZN7rocprim17ROCPRIM_400000_NS6detail17trampoline_kernelINS0_14default_configENS1_38merge_sort_block_merge_config_selectorIiNS0_10empty_typeEEEZZNS1_27merge_sort_block_merge_implIS3_N6thrust23THRUST_200600_302600_NS6detail15normal_iteratorINS9_10device_ptrIiEEEEPS5_jNS1_19radix_merge_compareILb0ELb0EiNS0_19identity_decomposerEEEEE10hipError_tT0_T1_T2_jT3_P12ihipStream_tbPNSt15iterator_traitsISK_E10value_typeEPNSQ_ISL_E10value_typeEPSM_NS1_7vsmem_tEENKUlT_SK_SL_SM_E_clIPiSE_SF_SF_EESJ_SZ_SK_SL_SM_EUlSZ_E0_NS1_11comp_targetILNS1_3genE10ELNS1_11target_archE1201ELNS1_3gpuE5ELNS1_3repE0EEENS1_38merge_mergepath_config_static_selectorELNS0_4arch9wavefront6targetE0EEEvSL_, .Lfunc_end28-_ZN7rocprim17ROCPRIM_400000_NS6detail17trampoline_kernelINS0_14default_configENS1_38merge_sort_block_merge_config_selectorIiNS0_10empty_typeEEEZZNS1_27merge_sort_block_merge_implIS3_N6thrust23THRUST_200600_302600_NS6detail15normal_iteratorINS9_10device_ptrIiEEEEPS5_jNS1_19radix_merge_compareILb0ELb0EiNS0_19identity_decomposerEEEEE10hipError_tT0_T1_T2_jT3_P12ihipStream_tbPNSt15iterator_traitsISK_E10value_typeEPNSQ_ISL_E10value_typeEPSM_NS1_7vsmem_tEENKUlT_SK_SL_SM_E_clIPiSE_SF_SF_EESJ_SZ_SK_SL_SM_EUlSZ_E0_NS1_11comp_targetILNS1_3genE10ELNS1_11target_archE1201ELNS1_3gpuE5ELNS1_3repE0EEENS1_38merge_mergepath_config_static_selectorELNS0_4arch9wavefront6targetE0EEEvSL_
                                        ; -- End function
	.set _ZN7rocprim17ROCPRIM_400000_NS6detail17trampoline_kernelINS0_14default_configENS1_38merge_sort_block_merge_config_selectorIiNS0_10empty_typeEEEZZNS1_27merge_sort_block_merge_implIS3_N6thrust23THRUST_200600_302600_NS6detail15normal_iteratorINS9_10device_ptrIiEEEEPS5_jNS1_19radix_merge_compareILb0ELb0EiNS0_19identity_decomposerEEEEE10hipError_tT0_T1_T2_jT3_P12ihipStream_tbPNSt15iterator_traitsISK_E10value_typeEPNSQ_ISL_E10value_typeEPSM_NS1_7vsmem_tEENKUlT_SK_SL_SM_E_clIPiSE_SF_SF_EESJ_SZ_SK_SL_SM_EUlSZ_E0_NS1_11comp_targetILNS1_3genE10ELNS1_11target_archE1201ELNS1_3gpuE5ELNS1_3repE0EEENS1_38merge_mergepath_config_static_selectorELNS0_4arch9wavefront6targetE0EEEvSL_.num_vgpr, 0
	.set _ZN7rocprim17ROCPRIM_400000_NS6detail17trampoline_kernelINS0_14default_configENS1_38merge_sort_block_merge_config_selectorIiNS0_10empty_typeEEEZZNS1_27merge_sort_block_merge_implIS3_N6thrust23THRUST_200600_302600_NS6detail15normal_iteratorINS9_10device_ptrIiEEEEPS5_jNS1_19radix_merge_compareILb0ELb0EiNS0_19identity_decomposerEEEEE10hipError_tT0_T1_T2_jT3_P12ihipStream_tbPNSt15iterator_traitsISK_E10value_typeEPNSQ_ISL_E10value_typeEPSM_NS1_7vsmem_tEENKUlT_SK_SL_SM_E_clIPiSE_SF_SF_EESJ_SZ_SK_SL_SM_EUlSZ_E0_NS1_11comp_targetILNS1_3genE10ELNS1_11target_archE1201ELNS1_3gpuE5ELNS1_3repE0EEENS1_38merge_mergepath_config_static_selectorELNS0_4arch9wavefront6targetE0EEEvSL_.num_agpr, 0
	.set _ZN7rocprim17ROCPRIM_400000_NS6detail17trampoline_kernelINS0_14default_configENS1_38merge_sort_block_merge_config_selectorIiNS0_10empty_typeEEEZZNS1_27merge_sort_block_merge_implIS3_N6thrust23THRUST_200600_302600_NS6detail15normal_iteratorINS9_10device_ptrIiEEEEPS5_jNS1_19radix_merge_compareILb0ELb0EiNS0_19identity_decomposerEEEEE10hipError_tT0_T1_T2_jT3_P12ihipStream_tbPNSt15iterator_traitsISK_E10value_typeEPNSQ_ISL_E10value_typeEPSM_NS1_7vsmem_tEENKUlT_SK_SL_SM_E_clIPiSE_SF_SF_EESJ_SZ_SK_SL_SM_EUlSZ_E0_NS1_11comp_targetILNS1_3genE10ELNS1_11target_archE1201ELNS1_3gpuE5ELNS1_3repE0EEENS1_38merge_mergepath_config_static_selectorELNS0_4arch9wavefront6targetE0EEEvSL_.numbered_sgpr, 0
	.set _ZN7rocprim17ROCPRIM_400000_NS6detail17trampoline_kernelINS0_14default_configENS1_38merge_sort_block_merge_config_selectorIiNS0_10empty_typeEEEZZNS1_27merge_sort_block_merge_implIS3_N6thrust23THRUST_200600_302600_NS6detail15normal_iteratorINS9_10device_ptrIiEEEEPS5_jNS1_19radix_merge_compareILb0ELb0EiNS0_19identity_decomposerEEEEE10hipError_tT0_T1_T2_jT3_P12ihipStream_tbPNSt15iterator_traitsISK_E10value_typeEPNSQ_ISL_E10value_typeEPSM_NS1_7vsmem_tEENKUlT_SK_SL_SM_E_clIPiSE_SF_SF_EESJ_SZ_SK_SL_SM_EUlSZ_E0_NS1_11comp_targetILNS1_3genE10ELNS1_11target_archE1201ELNS1_3gpuE5ELNS1_3repE0EEENS1_38merge_mergepath_config_static_selectorELNS0_4arch9wavefront6targetE0EEEvSL_.num_named_barrier, 0
	.set _ZN7rocprim17ROCPRIM_400000_NS6detail17trampoline_kernelINS0_14default_configENS1_38merge_sort_block_merge_config_selectorIiNS0_10empty_typeEEEZZNS1_27merge_sort_block_merge_implIS3_N6thrust23THRUST_200600_302600_NS6detail15normal_iteratorINS9_10device_ptrIiEEEEPS5_jNS1_19radix_merge_compareILb0ELb0EiNS0_19identity_decomposerEEEEE10hipError_tT0_T1_T2_jT3_P12ihipStream_tbPNSt15iterator_traitsISK_E10value_typeEPNSQ_ISL_E10value_typeEPSM_NS1_7vsmem_tEENKUlT_SK_SL_SM_E_clIPiSE_SF_SF_EESJ_SZ_SK_SL_SM_EUlSZ_E0_NS1_11comp_targetILNS1_3genE10ELNS1_11target_archE1201ELNS1_3gpuE5ELNS1_3repE0EEENS1_38merge_mergepath_config_static_selectorELNS0_4arch9wavefront6targetE0EEEvSL_.private_seg_size, 0
	.set _ZN7rocprim17ROCPRIM_400000_NS6detail17trampoline_kernelINS0_14default_configENS1_38merge_sort_block_merge_config_selectorIiNS0_10empty_typeEEEZZNS1_27merge_sort_block_merge_implIS3_N6thrust23THRUST_200600_302600_NS6detail15normal_iteratorINS9_10device_ptrIiEEEEPS5_jNS1_19radix_merge_compareILb0ELb0EiNS0_19identity_decomposerEEEEE10hipError_tT0_T1_T2_jT3_P12ihipStream_tbPNSt15iterator_traitsISK_E10value_typeEPNSQ_ISL_E10value_typeEPSM_NS1_7vsmem_tEENKUlT_SK_SL_SM_E_clIPiSE_SF_SF_EESJ_SZ_SK_SL_SM_EUlSZ_E0_NS1_11comp_targetILNS1_3genE10ELNS1_11target_archE1201ELNS1_3gpuE5ELNS1_3repE0EEENS1_38merge_mergepath_config_static_selectorELNS0_4arch9wavefront6targetE0EEEvSL_.uses_vcc, 0
	.set _ZN7rocprim17ROCPRIM_400000_NS6detail17trampoline_kernelINS0_14default_configENS1_38merge_sort_block_merge_config_selectorIiNS0_10empty_typeEEEZZNS1_27merge_sort_block_merge_implIS3_N6thrust23THRUST_200600_302600_NS6detail15normal_iteratorINS9_10device_ptrIiEEEEPS5_jNS1_19radix_merge_compareILb0ELb0EiNS0_19identity_decomposerEEEEE10hipError_tT0_T1_T2_jT3_P12ihipStream_tbPNSt15iterator_traitsISK_E10value_typeEPNSQ_ISL_E10value_typeEPSM_NS1_7vsmem_tEENKUlT_SK_SL_SM_E_clIPiSE_SF_SF_EESJ_SZ_SK_SL_SM_EUlSZ_E0_NS1_11comp_targetILNS1_3genE10ELNS1_11target_archE1201ELNS1_3gpuE5ELNS1_3repE0EEENS1_38merge_mergepath_config_static_selectorELNS0_4arch9wavefront6targetE0EEEvSL_.uses_flat_scratch, 0
	.set _ZN7rocprim17ROCPRIM_400000_NS6detail17trampoline_kernelINS0_14default_configENS1_38merge_sort_block_merge_config_selectorIiNS0_10empty_typeEEEZZNS1_27merge_sort_block_merge_implIS3_N6thrust23THRUST_200600_302600_NS6detail15normal_iteratorINS9_10device_ptrIiEEEEPS5_jNS1_19radix_merge_compareILb0ELb0EiNS0_19identity_decomposerEEEEE10hipError_tT0_T1_T2_jT3_P12ihipStream_tbPNSt15iterator_traitsISK_E10value_typeEPNSQ_ISL_E10value_typeEPSM_NS1_7vsmem_tEENKUlT_SK_SL_SM_E_clIPiSE_SF_SF_EESJ_SZ_SK_SL_SM_EUlSZ_E0_NS1_11comp_targetILNS1_3genE10ELNS1_11target_archE1201ELNS1_3gpuE5ELNS1_3repE0EEENS1_38merge_mergepath_config_static_selectorELNS0_4arch9wavefront6targetE0EEEvSL_.has_dyn_sized_stack, 0
	.set _ZN7rocprim17ROCPRIM_400000_NS6detail17trampoline_kernelINS0_14default_configENS1_38merge_sort_block_merge_config_selectorIiNS0_10empty_typeEEEZZNS1_27merge_sort_block_merge_implIS3_N6thrust23THRUST_200600_302600_NS6detail15normal_iteratorINS9_10device_ptrIiEEEEPS5_jNS1_19radix_merge_compareILb0ELb0EiNS0_19identity_decomposerEEEEE10hipError_tT0_T1_T2_jT3_P12ihipStream_tbPNSt15iterator_traitsISK_E10value_typeEPNSQ_ISL_E10value_typeEPSM_NS1_7vsmem_tEENKUlT_SK_SL_SM_E_clIPiSE_SF_SF_EESJ_SZ_SK_SL_SM_EUlSZ_E0_NS1_11comp_targetILNS1_3genE10ELNS1_11target_archE1201ELNS1_3gpuE5ELNS1_3repE0EEENS1_38merge_mergepath_config_static_selectorELNS0_4arch9wavefront6targetE0EEEvSL_.has_recursion, 0
	.set _ZN7rocprim17ROCPRIM_400000_NS6detail17trampoline_kernelINS0_14default_configENS1_38merge_sort_block_merge_config_selectorIiNS0_10empty_typeEEEZZNS1_27merge_sort_block_merge_implIS3_N6thrust23THRUST_200600_302600_NS6detail15normal_iteratorINS9_10device_ptrIiEEEEPS5_jNS1_19radix_merge_compareILb0ELb0EiNS0_19identity_decomposerEEEEE10hipError_tT0_T1_T2_jT3_P12ihipStream_tbPNSt15iterator_traitsISK_E10value_typeEPNSQ_ISL_E10value_typeEPSM_NS1_7vsmem_tEENKUlT_SK_SL_SM_E_clIPiSE_SF_SF_EESJ_SZ_SK_SL_SM_EUlSZ_E0_NS1_11comp_targetILNS1_3genE10ELNS1_11target_archE1201ELNS1_3gpuE5ELNS1_3repE0EEENS1_38merge_mergepath_config_static_selectorELNS0_4arch9wavefront6targetE0EEEvSL_.has_indirect_call, 0
	.section	.AMDGPU.csdata,"",@progbits
; Kernel info:
; codeLenInByte = 0
; TotalNumSgprs: 0
; NumVgprs: 0
; ScratchSize: 0
; MemoryBound: 0
; FloatMode: 240
; IeeeMode: 1
; LDSByteSize: 0 bytes/workgroup (compile time only)
; SGPRBlocks: 0
; VGPRBlocks: 0
; NumSGPRsForWavesPerEU: 1
; NumVGPRsForWavesPerEU: 1
; Occupancy: 16
; WaveLimiterHint : 0
; COMPUTE_PGM_RSRC2:SCRATCH_EN: 0
; COMPUTE_PGM_RSRC2:USER_SGPR: 6
; COMPUTE_PGM_RSRC2:TRAP_HANDLER: 0
; COMPUTE_PGM_RSRC2:TGID_X_EN: 1
; COMPUTE_PGM_RSRC2:TGID_Y_EN: 0
; COMPUTE_PGM_RSRC2:TGID_Z_EN: 0
; COMPUTE_PGM_RSRC2:TIDIG_COMP_CNT: 0
	.section	.text._ZN7rocprim17ROCPRIM_400000_NS6detail17trampoline_kernelINS0_14default_configENS1_38merge_sort_block_merge_config_selectorIiNS0_10empty_typeEEEZZNS1_27merge_sort_block_merge_implIS3_N6thrust23THRUST_200600_302600_NS6detail15normal_iteratorINS9_10device_ptrIiEEEEPS5_jNS1_19radix_merge_compareILb0ELb0EiNS0_19identity_decomposerEEEEE10hipError_tT0_T1_T2_jT3_P12ihipStream_tbPNSt15iterator_traitsISK_E10value_typeEPNSQ_ISL_E10value_typeEPSM_NS1_7vsmem_tEENKUlT_SK_SL_SM_E_clIPiSE_SF_SF_EESJ_SZ_SK_SL_SM_EUlSZ_E0_NS1_11comp_targetILNS1_3genE5ELNS1_11target_archE942ELNS1_3gpuE9ELNS1_3repE0EEENS1_38merge_mergepath_config_static_selectorELNS0_4arch9wavefront6targetE0EEEvSL_,"axG",@progbits,_ZN7rocprim17ROCPRIM_400000_NS6detail17trampoline_kernelINS0_14default_configENS1_38merge_sort_block_merge_config_selectorIiNS0_10empty_typeEEEZZNS1_27merge_sort_block_merge_implIS3_N6thrust23THRUST_200600_302600_NS6detail15normal_iteratorINS9_10device_ptrIiEEEEPS5_jNS1_19radix_merge_compareILb0ELb0EiNS0_19identity_decomposerEEEEE10hipError_tT0_T1_T2_jT3_P12ihipStream_tbPNSt15iterator_traitsISK_E10value_typeEPNSQ_ISL_E10value_typeEPSM_NS1_7vsmem_tEENKUlT_SK_SL_SM_E_clIPiSE_SF_SF_EESJ_SZ_SK_SL_SM_EUlSZ_E0_NS1_11comp_targetILNS1_3genE5ELNS1_11target_archE942ELNS1_3gpuE9ELNS1_3repE0EEENS1_38merge_mergepath_config_static_selectorELNS0_4arch9wavefront6targetE0EEEvSL_,comdat
	.protected	_ZN7rocprim17ROCPRIM_400000_NS6detail17trampoline_kernelINS0_14default_configENS1_38merge_sort_block_merge_config_selectorIiNS0_10empty_typeEEEZZNS1_27merge_sort_block_merge_implIS3_N6thrust23THRUST_200600_302600_NS6detail15normal_iteratorINS9_10device_ptrIiEEEEPS5_jNS1_19radix_merge_compareILb0ELb0EiNS0_19identity_decomposerEEEEE10hipError_tT0_T1_T2_jT3_P12ihipStream_tbPNSt15iterator_traitsISK_E10value_typeEPNSQ_ISL_E10value_typeEPSM_NS1_7vsmem_tEENKUlT_SK_SL_SM_E_clIPiSE_SF_SF_EESJ_SZ_SK_SL_SM_EUlSZ_E0_NS1_11comp_targetILNS1_3genE5ELNS1_11target_archE942ELNS1_3gpuE9ELNS1_3repE0EEENS1_38merge_mergepath_config_static_selectorELNS0_4arch9wavefront6targetE0EEEvSL_ ; -- Begin function _ZN7rocprim17ROCPRIM_400000_NS6detail17trampoline_kernelINS0_14default_configENS1_38merge_sort_block_merge_config_selectorIiNS0_10empty_typeEEEZZNS1_27merge_sort_block_merge_implIS3_N6thrust23THRUST_200600_302600_NS6detail15normal_iteratorINS9_10device_ptrIiEEEEPS5_jNS1_19radix_merge_compareILb0ELb0EiNS0_19identity_decomposerEEEEE10hipError_tT0_T1_T2_jT3_P12ihipStream_tbPNSt15iterator_traitsISK_E10value_typeEPNSQ_ISL_E10value_typeEPSM_NS1_7vsmem_tEENKUlT_SK_SL_SM_E_clIPiSE_SF_SF_EESJ_SZ_SK_SL_SM_EUlSZ_E0_NS1_11comp_targetILNS1_3genE5ELNS1_11target_archE942ELNS1_3gpuE9ELNS1_3repE0EEENS1_38merge_mergepath_config_static_selectorELNS0_4arch9wavefront6targetE0EEEvSL_
	.globl	_ZN7rocprim17ROCPRIM_400000_NS6detail17trampoline_kernelINS0_14default_configENS1_38merge_sort_block_merge_config_selectorIiNS0_10empty_typeEEEZZNS1_27merge_sort_block_merge_implIS3_N6thrust23THRUST_200600_302600_NS6detail15normal_iteratorINS9_10device_ptrIiEEEEPS5_jNS1_19radix_merge_compareILb0ELb0EiNS0_19identity_decomposerEEEEE10hipError_tT0_T1_T2_jT3_P12ihipStream_tbPNSt15iterator_traitsISK_E10value_typeEPNSQ_ISL_E10value_typeEPSM_NS1_7vsmem_tEENKUlT_SK_SL_SM_E_clIPiSE_SF_SF_EESJ_SZ_SK_SL_SM_EUlSZ_E0_NS1_11comp_targetILNS1_3genE5ELNS1_11target_archE942ELNS1_3gpuE9ELNS1_3repE0EEENS1_38merge_mergepath_config_static_selectorELNS0_4arch9wavefront6targetE0EEEvSL_
	.p2align	8
	.type	_ZN7rocprim17ROCPRIM_400000_NS6detail17trampoline_kernelINS0_14default_configENS1_38merge_sort_block_merge_config_selectorIiNS0_10empty_typeEEEZZNS1_27merge_sort_block_merge_implIS3_N6thrust23THRUST_200600_302600_NS6detail15normal_iteratorINS9_10device_ptrIiEEEEPS5_jNS1_19radix_merge_compareILb0ELb0EiNS0_19identity_decomposerEEEEE10hipError_tT0_T1_T2_jT3_P12ihipStream_tbPNSt15iterator_traitsISK_E10value_typeEPNSQ_ISL_E10value_typeEPSM_NS1_7vsmem_tEENKUlT_SK_SL_SM_E_clIPiSE_SF_SF_EESJ_SZ_SK_SL_SM_EUlSZ_E0_NS1_11comp_targetILNS1_3genE5ELNS1_11target_archE942ELNS1_3gpuE9ELNS1_3repE0EEENS1_38merge_mergepath_config_static_selectorELNS0_4arch9wavefront6targetE0EEEvSL_,@function
_ZN7rocprim17ROCPRIM_400000_NS6detail17trampoline_kernelINS0_14default_configENS1_38merge_sort_block_merge_config_selectorIiNS0_10empty_typeEEEZZNS1_27merge_sort_block_merge_implIS3_N6thrust23THRUST_200600_302600_NS6detail15normal_iteratorINS9_10device_ptrIiEEEEPS5_jNS1_19radix_merge_compareILb0ELb0EiNS0_19identity_decomposerEEEEE10hipError_tT0_T1_T2_jT3_P12ihipStream_tbPNSt15iterator_traitsISK_E10value_typeEPNSQ_ISL_E10value_typeEPSM_NS1_7vsmem_tEENKUlT_SK_SL_SM_E_clIPiSE_SF_SF_EESJ_SZ_SK_SL_SM_EUlSZ_E0_NS1_11comp_targetILNS1_3genE5ELNS1_11target_archE942ELNS1_3gpuE9ELNS1_3repE0EEENS1_38merge_mergepath_config_static_selectorELNS0_4arch9wavefront6targetE0EEEvSL_: ; @_ZN7rocprim17ROCPRIM_400000_NS6detail17trampoline_kernelINS0_14default_configENS1_38merge_sort_block_merge_config_selectorIiNS0_10empty_typeEEEZZNS1_27merge_sort_block_merge_implIS3_N6thrust23THRUST_200600_302600_NS6detail15normal_iteratorINS9_10device_ptrIiEEEEPS5_jNS1_19radix_merge_compareILb0ELb0EiNS0_19identity_decomposerEEEEE10hipError_tT0_T1_T2_jT3_P12ihipStream_tbPNSt15iterator_traitsISK_E10value_typeEPNSQ_ISL_E10value_typeEPSM_NS1_7vsmem_tEENKUlT_SK_SL_SM_E_clIPiSE_SF_SF_EESJ_SZ_SK_SL_SM_EUlSZ_E0_NS1_11comp_targetILNS1_3genE5ELNS1_11target_archE942ELNS1_3gpuE9ELNS1_3repE0EEENS1_38merge_mergepath_config_static_selectorELNS0_4arch9wavefront6targetE0EEEvSL_
; %bb.0:
	.section	.rodata,"a",@progbits
	.p2align	6, 0x0
	.amdhsa_kernel _ZN7rocprim17ROCPRIM_400000_NS6detail17trampoline_kernelINS0_14default_configENS1_38merge_sort_block_merge_config_selectorIiNS0_10empty_typeEEEZZNS1_27merge_sort_block_merge_implIS3_N6thrust23THRUST_200600_302600_NS6detail15normal_iteratorINS9_10device_ptrIiEEEEPS5_jNS1_19radix_merge_compareILb0ELb0EiNS0_19identity_decomposerEEEEE10hipError_tT0_T1_T2_jT3_P12ihipStream_tbPNSt15iterator_traitsISK_E10value_typeEPNSQ_ISL_E10value_typeEPSM_NS1_7vsmem_tEENKUlT_SK_SL_SM_E_clIPiSE_SF_SF_EESJ_SZ_SK_SL_SM_EUlSZ_E0_NS1_11comp_targetILNS1_3genE5ELNS1_11target_archE942ELNS1_3gpuE9ELNS1_3repE0EEENS1_38merge_mergepath_config_static_selectorELNS0_4arch9wavefront6targetE0EEEvSL_
		.amdhsa_group_segment_fixed_size 0
		.amdhsa_private_segment_fixed_size 0
		.amdhsa_kernarg_size 64
		.amdhsa_user_sgpr_count 6
		.amdhsa_user_sgpr_private_segment_buffer 1
		.amdhsa_user_sgpr_dispatch_ptr 0
		.amdhsa_user_sgpr_queue_ptr 0
		.amdhsa_user_sgpr_kernarg_segment_ptr 1
		.amdhsa_user_sgpr_dispatch_id 0
		.amdhsa_user_sgpr_flat_scratch_init 0
		.amdhsa_user_sgpr_private_segment_size 0
		.amdhsa_wavefront_size32 1
		.amdhsa_uses_dynamic_stack 0
		.amdhsa_system_sgpr_private_segment_wavefront_offset 0
		.amdhsa_system_sgpr_workgroup_id_x 1
		.amdhsa_system_sgpr_workgroup_id_y 0
		.amdhsa_system_sgpr_workgroup_id_z 0
		.amdhsa_system_sgpr_workgroup_info 0
		.amdhsa_system_vgpr_workitem_id 0
		.amdhsa_next_free_vgpr 1
		.amdhsa_next_free_sgpr 1
		.amdhsa_reserve_vcc 0
		.amdhsa_reserve_flat_scratch 0
		.amdhsa_float_round_mode_32 0
		.amdhsa_float_round_mode_16_64 0
		.amdhsa_float_denorm_mode_32 3
		.amdhsa_float_denorm_mode_16_64 3
		.amdhsa_dx10_clamp 1
		.amdhsa_ieee_mode 1
		.amdhsa_fp16_overflow 0
		.amdhsa_workgroup_processor_mode 1
		.amdhsa_memory_ordered 1
		.amdhsa_forward_progress 1
		.amdhsa_shared_vgpr_count 0
		.amdhsa_exception_fp_ieee_invalid_op 0
		.amdhsa_exception_fp_denorm_src 0
		.amdhsa_exception_fp_ieee_div_zero 0
		.amdhsa_exception_fp_ieee_overflow 0
		.amdhsa_exception_fp_ieee_underflow 0
		.amdhsa_exception_fp_ieee_inexact 0
		.amdhsa_exception_int_div_zero 0
	.end_amdhsa_kernel
	.section	.text._ZN7rocprim17ROCPRIM_400000_NS6detail17trampoline_kernelINS0_14default_configENS1_38merge_sort_block_merge_config_selectorIiNS0_10empty_typeEEEZZNS1_27merge_sort_block_merge_implIS3_N6thrust23THRUST_200600_302600_NS6detail15normal_iteratorINS9_10device_ptrIiEEEEPS5_jNS1_19radix_merge_compareILb0ELb0EiNS0_19identity_decomposerEEEEE10hipError_tT0_T1_T2_jT3_P12ihipStream_tbPNSt15iterator_traitsISK_E10value_typeEPNSQ_ISL_E10value_typeEPSM_NS1_7vsmem_tEENKUlT_SK_SL_SM_E_clIPiSE_SF_SF_EESJ_SZ_SK_SL_SM_EUlSZ_E0_NS1_11comp_targetILNS1_3genE5ELNS1_11target_archE942ELNS1_3gpuE9ELNS1_3repE0EEENS1_38merge_mergepath_config_static_selectorELNS0_4arch9wavefront6targetE0EEEvSL_,"axG",@progbits,_ZN7rocprim17ROCPRIM_400000_NS6detail17trampoline_kernelINS0_14default_configENS1_38merge_sort_block_merge_config_selectorIiNS0_10empty_typeEEEZZNS1_27merge_sort_block_merge_implIS3_N6thrust23THRUST_200600_302600_NS6detail15normal_iteratorINS9_10device_ptrIiEEEEPS5_jNS1_19radix_merge_compareILb0ELb0EiNS0_19identity_decomposerEEEEE10hipError_tT0_T1_T2_jT3_P12ihipStream_tbPNSt15iterator_traitsISK_E10value_typeEPNSQ_ISL_E10value_typeEPSM_NS1_7vsmem_tEENKUlT_SK_SL_SM_E_clIPiSE_SF_SF_EESJ_SZ_SK_SL_SM_EUlSZ_E0_NS1_11comp_targetILNS1_3genE5ELNS1_11target_archE942ELNS1_3gpuE9ELNS1_3repE0EEENS1_38merge_mergepath_config_static_selectorELNS0_4arch9wavefront6targetE0EEEvSL_,comdat
.Lfunc_end29:
	.size	_ZN7rocprim17ROCPRIM_400000_NS6detail17trampoline_kernelINS0_14default_configENS1_38merge_sort_block_merge_config_selectorIiNS0_10empty_typeEEEZZNS1_27merge_sort_block_merge_implIS3_N6thrust23THRUST_200600_302600_NS6detail15normal_iteratorINS9_10device_ptrIiEEEEPS5_jNS1_19radix_merge_compareILb0ELb0EiNS0_19identity_decomposerEEEEE10hipError_tT0_T1_T2_jT3_P12ihipStream_tbPNSt15iterator_traitsISK_E10value_typeEPNSQ_ISL_E10value_typeEPSM_NS1_7vsmem_tEENKUlT_SK_SL_SM_E_clIPiSE_SF_SF_EESJ_SZ_SK_SL_SM_EUlSZ_E0_NS1_11comp_targetILNS1_3genE5ELNS1_11target_archE942ELNS1_3gpuE9ELNS1_3repE0EEENS1_38merge_mergepath_config_static_selectorELNS0_4arch9wavefront6targetE0EEEvSL_, .Lfunc_end29-_ZN7rocprim17ROCPRIM_400000_NS6detail17trampoline_kernelINS0_14default_configENS1_38merge_sort_block_merge_config_selectorIiNS0_10empty_typeEEEZZNS1_27merge_sort_block_merge_implIS3_N6thrust23THRUST_200600_302600_NS6detail15normal_iteratorINS9_10device_ptrIiEEEEPS5_jNS1_19radix_merge_compareILb0ELb0EiNS0_19identity_decomposerEEEEE10hipError_tT0_T1_T2_jT3_P12ihipStream_tbPNSt15iterator_traitsISK_E10value_typeEPNSQ_ISL_E10value_typeEPSM_NS1_7vsmem_tEENKUlT_SK_SL_SM_E_clIPiSE_SF_SF_EESJ_SZ_SK_SL_SM_EUlSZ_E0_NS1_11comp_targetILNS1_3genE5ELNS1_11target_archE942ELNS1_3gpuE9ELNS1_3repE0EEENS1_38merge_mergepath_config_static_selectorELNS0_4arch9wavefront6targetE0EEEvSL_
                                        ; -- End function
	.set _ZN7rocprim17ROCPRIM_400000_NS6detail17trampoline_kernelINS0_14default_configENS1_38merge_sort_block_merge_config_selectorIiNS0_10empty_typeEEEZZNS1_27merge_sort_block_merge_implIS3_N6thrust23THRUST_200600_302600_NS6detail15normal_iteratorINS9_10device_ptrIiEEEEPS5_jNS1_19radix_merge_compareILb0ELb0EiNS0_19identity_decomposerEEEEE10hipError_tT0_T1_T2_jT3_P12ihipStream_tbPNSt15iterator_traitsISK_E10value_typeEPNSQ_ISL_E10value_typeEPSM_NS1_7vsmem_tEENKUlT_SK_SL_SM_E_clIPiSE_SF_SF_EESJ_SZ_SK_SL_SM_EUlSZ_E0_NS1_11comp_targetILNS1_3genE5ELNS1_11target_archE942ELNS1_3gpuE9ELNS1_3repE0EEENS1_38merge_mergepath_config_static_selectorELNS0_4arch9wavefront6targetE0EEEvSL_.num_vgpr, 0
	.set _ZN7rocprim17ROCPRIM_400000_NS6detail17trampoline_kernelINS0_14default_configENS1_38merge_sort_block_merge_config_selectorIiNS0_10empty_typeEEEZZNS1_27merge_sort_block_merge_implIS3_N6thrust23THRUST_200600_302600_NS6detail15normal_iteratorINS9_10device_ptrIiEEEEPS5_jNS1_19radix_merge_compareILb0ELb0EiNS0_19identity_decomposerEEEEE10hipError_tT0_T1_T2_jT3_P12ihipStream_tbPNSt15iterator_traitsISK_E10value_typeEPNSQ_ISL_E10value_typeEPSM_NS1_7vsmem_tEENKUlT_SK_SL_SM_E_clIPiSE_SF_SF_EESJ_SZ_SK_SL_SM_EUlSZ_E0_NS1_11comp_targetILNS1_3genE5ELNS1_11target_archE942ELNS1_3gpuE9ELNS1_3repE0EEENS1_38merge_mergepath_config_static_selectorELNS0_4arch9wavefront6targetE0EEEvSL_.num_agpr, 0
	.set _ZN7rocprim17ROCPRIM_400000_NS6detail17trampoline_kernelINS0_14default_configENS1_38merge_sort_block_merge_config_selectorIiNS0_10empty_typeEEEZZNS1_27merge_sort_block_merge_implIS3_N6thrust23THRUST_200600_302600_NS6detail15normal_iteratorINS9_10device_ptrIiEEEEPS5_jNS1_19radix_merge_compareILb0ELb0EiNS0_19identity_decomposerEEEEE10hipError_tT0_T1_T2_jT3_P12ihipStream_tbPNSt15iterator_traitsISK_E10value_typeEPNSQ_ISL_E10value_typeEPSM_NS1_7vsmem_tEENKUlT_SK_SL_SM_E_clIPiSE_SF_SF_EESJ_SZ_SK_SL_SM_EUlSZ_E0_NS1_11comp_targetILNS1_3genE5ELNS1_11target_archE942ELNS1_3gpuE9ELNS1_3repE0EEENS1_38merge_mergepath_config_static_selectorELNS0_4arch9wavefront6targetE0EEEvSL_.numbered_sgpr, 0
	.set _ZN7rocprim17ROCPRIM_400000_NS6detail17trampoline_kernelINS0_14default_configENS1_38merge_sort_block_merge_config_selectorIiNS0_10empty_typeEEEZZNS1_27merge_sort_block_merge_implIS3_N6thrust23THRUST_200600_302600_NS6detail15normal_iteratorINS9_10device_ptrIiEEEEPS5_jNS1_19radix_merge_compareILb0ELb0EiNS0_19identity_decomposerEEEEE10hipError_tT0_T1_T2_jT3_P12ihipStream_tbPNSt15iterator_traitsISK_E10value_typeEPNSQ_ISL_E10value_typeEPSM_NS1_7vsmem_tEENKUlT_SK_SL_SM_E_clIPiSE_SF_SF_EESJ_SZ_SK_SL_SM_EUlSZ_E0_NS1_11comp_targetILNS1_3genE5ELNS1_11target_archE942ELNS1_3gpuE9ELNS1_3repE0EEENS1_38merge_mergepath_config_static_selectorELNS0_4arch9wavefront6targetE0EEEvSL_.num_named_barrier, 0
	.set _ZN7rocprim17ROCPRIM_400000_NS6detail17trampoline_kernelINS0_14default_configENS1_38merge_sort_block_merge_config_selectorIiNS0_10empty_typeEEEZZNS1_27merge_sort_block_merge_implIS3_N6thrust23THRUST_200600_302600_NS6detail15normal_iteratorINS9_10device_ptrIiEEEEPS5_jNS1_19radix_merge_compareILb0ELb0EiNS0_19identity_decomposerEEEEE10hipError_tT0_T1_T2_jT3_P12ihipStream_tbPNSt15iterator_traitsISK_E10value_typeEPNSQ_ISL_E10value_typeEPSM_NS1_7vsmem_tEENKUlT_SK_SL_SM_E_clIPiSE_SF_SF_EESJ_SZ_SK_SL_SM_EUlSZ_E0_NS1_11comp_targetILNS1_3genE5ELNS1_11target_archE942ELNS1_3gpuE9ELNS1_3repE0EEENS1_38merge_mergepath_config_static_selectorELNS0_4arch9wavefront6targetE0EEEvSL_.private_seg_size, 0
	.set _ZN7rocprim17ROCPRIM_400000_NS6detail17trampoline_kernelINS0_14default_configENS1_38merge_sort_block_merge_config_selectorIiNS0_10empty_typeEEEZZNS1_27merge_sort_block_merge_implIS3_N6thrust23THRUST_200600_302600_NS6detail15normal_iteratorINS9_10device_ptrIiEEEEPS5_jNS1_19radix_merge_compareILb0ELb0EiNS0_19identity_decomposerEEEEE10hipError_tT0_T1_T2_jT3_P12ihipStream_tbPNSt15iterator_traitsISK_E10value_typeEPNSQ_ISL_E10value_typeEPSM_NS1_7vsmem_tEENKUlT_SK_SL_SM_E_clIPiSE_SF_SF_EESJ_SZ_SK_SL_SM_EUlSZ_E0_NS1_11comp_targetILNS1_3genE5ELNS1_11target_archE942ELNS1_3gpuE9ELNS1_3repE0EEENS1_38merge_mergepath_config_static_selectorELNS0_4arch9wavefront6targetE0EEEvSL_.uses_vcc, 0
	.set _ZN7rocprim17ROCPRIM_400000_NS6detail17trampoline_kernelINS0_14default_configENS1_38merge_sort_block_merge_config_selectorIiNS0_10empty_typeEEEZZNS1_27merge_sort_block_merge_implIS3_N6thrust23THRUST_200600_302600_NS6detail15normal_iteratorINS9_10device_ptrIiEEEEPS5_jNS1_19radix_merge_compareILb0ELb0EiNS0_19identity_decomposerEEEEE10hipError_tT0_T1_T2_jT3_P12ihipStream_tbPNSt15iterator_traitsISK_E10value_typeEPNSQ_ISL_E10value_typeEPSM_NS1_7vsmem_tEENKUlT_SK_SL_SM_E_clIPiSE_SF_SF_EESJ_SZ_SK_SL_SM_EUlSZ_E0_NS1_11comp_targetILNS1_3genE5ELNS1_11target_archE942ELNS1_3gpuE9ELNS1_3repE0EEENS1_38merge_mergepath_config_static_selectorELNS0_4arch9wavefront6targetE0EEEvSL_.uses_flat_scratch, 0
	.set _ZN7rocprim17ROCPRIM_400000_NS6detail17trampoline_kernelINS0_14default_configENS1_38merge_sort_block_merge_config_selectorIiNS0_10empty_typeEEEZZNS1_27merge_sort_block_merge_implIS3_N6thrust23THRUST_200600_302600_NS6detail15normal_iteratorINS9_10device_ptrIiEEEEPS5_jNS1_19radix_merge_compareILb0ELb0EiNS0_19identity_decomposerEEEEE10hipError_tT0_T1_T2_jT3_P12ihipStream_tbPNSt15iterator_traitsISK_E10value_typeEPNSQ_ISL_E10value_typeEPSM_NS1_7vsmem_tEENKUlT_SK_SL_SM_E_clIPiSE_SF_SF_EESJ_SZ_SK_SL_SM_EUlSZ_E0_NS1_11comp_targetILNS1_3genE5ELNS1_11target_archE942ELNS1_3gpuE9ELNS1_3repE0EEENS1_38merge_mergepath_config_static_selectorELNS0_4arch9wavefront6targetE0EEEvSL_.has_dyn_sized_stack, 0
	.set _ZN7rocprim17ROCPRIM_400000_NS6detail17trampoline_kernelINS0_14default_configENS1_38merge_sort_block_merge_config_selectorIiNS0_10empty_typeEEEZZNS1_27merge_sort_block_merge_implIS3_N6thrust23THRUST_200600_302600_NS6detail15normal_iteratorINS9_10device_ptrIiEEEEPS5_jNS1_19radix_merge_compareILb0ELb0EiNS0_19identity_decomposerEEEEE10hipError_tT0_T1_T2_jT3_P12ihipStream_tbPNSt15iterator_traitsISK_E10value_typeEPNSQ_ISL_E10value_typeEPSM_NS1_7vsmem_tEENKUlT_SK_SL_SM_E_clIPiSE_SF_SF_EESJ_SZ_SK_SL_SM_EUlSZ_E0_NS1_11comp_targetILNS1_3genE5ELNS1_11target_archE942ELNS1_3gpuE9ELNS1_3repE0EEENS1_38merge_mergepath_config_static_selectorELNS0_4arch9wavefront6targetE0EEEvSL_.has_recursion, 0
	.set _ZN7rocprim17ROCPRIM_400000_NS6detail17trampoline_kernelINS0_14default_configENS1_38merge_sort_block_merge_config_selectorIiNS0_10empty_typeEEEZZNS1_27merge_sort_block_merge_implIS3_N6thrust23THRUST_200600_302600_NS6detail15normal_iteratorINS9_10device_ptrIiEEEEPS5_jNS1_19radix_merge_compareILb0ELb0EiNS0_19identity_decomposerEEEEE10hipError_tT0_T1_T2_jT3_P12ihipStream_tbPNSt15iterator_traitsISK_E10value_typeEPNSQ_ISL_E10value_typeEPSM_NS1_7vsmem_tEENKUlT_SK_SL_SM_E_clIPiSE_SF_SF_EESJ_SZ_SK_SL_SM_EUlSZ_E0_NS1_11comp_targetILNS1_3genE5ELNS1_11target_archE942ELNS1_3gpuE9ELNS1_3repE0EEENS1_38merge_mergepath_config_static_selectorELNS0_4arch9wavefront6targetE0EEEvSL_.has_indirect_call, 0
	.section	.AMDGPU.csdata,"",@progbits
; Kernel info:
; codeLenInByte = 0
; TotalNumSgprs: 0
; NumVgprs: 0
; ScratchSize: 0
; MemoryBound: 0
; FloatMode: 240
; IeeeMode: 1
; LDSByteSize: 0 bytes/workgroup (compile time only)
; SGPRBlocks: 0
; VGPRBlocks: 0
; NumSGPRsForWavesPerEU: 1
; NumVGPRsForWavesPerEU: 1
; Occupancy: 16
; WaveLimiterHint : 0
; COMPUTE_PGM_RSRC2:SCRATCH_EN: 0
; COMPUTE_PGM_RSRC2:USER_SGPR: 6
; COMPUTE_PGM_RSRC2:TRAP_HANDLER: 0
; COMPUTE_PGM_RSRC2:TGID_X_EN: 1
; COMPUTE_PGM_RSRC2:TGID_Y_EN: 0
; COMPUTE_PGM_RSRC2:TGID_Z_EN: 0
; COMPUTE_PGM_RSRC2:TIDIG_COMP_CNT: 0
	.section	.text._ZN7rocprim17ROCPRIM_400000_NS6detail17trampoline_kernelINS0_14default_configENS1_38merge_sort_block_merge_config_selectorIiNS0_10empty_typeEEEZZNS1_27merge_sort_block_merge_implIS3_N6thrust23THRUST_200600_302600_NS6detail15normal_iteratorINS9_10device_ptrIiEEEEPS5_jNS1_19radix_merge_compareILb0ELb0EiNS0_19identity_decomposerEEEEE10hipError_tT0_T1_T2_jT3_P12ihipStream_tbPNSt15iterator_traitsISK_E10value_typeEPNSQ_ISL_E10value_typeEPSM_NS1_7vsmem_tEENKUlT_SK_SL_SM_E_clIPiSE_SF_SF_EESJ_SZ_SK_SL_SM_EUlSZ_E0_NS1_11comp_targetILNS1_3genE4ELNS1_11target_archE910ELNS1_3gpuE8ELNS1_3repE0EEENS1_38merge_mergepath_config_static_selectorELNS0_4arch9wavefront6targetE0EEEvSL_,"axG",@progbits,_ZN7rocprim17ROCPRIM_400000_NS6detail17trampoline_kernelINS0_14default_configENS1_38merge_sort_block_merge_config_selectorIiNS0_10empty_typeEEEZZNS1_27merge_sort_block_merge_implIS3_N6thrust23THRUST_200600_302600_NS6detail15normal_iteratorINS9_10device_ptrIiEEEEPS5_jNS1_19radix_merge_compareILb0ELb0EiNS0_19identity_decomposerEEEEE10hipError_tT0_T1_T2_jT3_P12ihipStream_tbPNSt15iterator_traitsISK_E10value_typeEPNSQ_ISL_E10value_typeEPSM_NS1_7vsmem_tEENKUlT_SK_SL_SM_E_clIPiSE_SF_SF_EESJ_SZ_SK_SL_SM_EUlSZ_E0_NS1_11comp_targetILNS1_3genE4ELNS1_11target_archE910ELNS1_3gpuE8ELNS1_3repE0EEENS1_38merge_mergepath_config_static_selectorELNS0_4arch9wavefront6targetE0EEEvSL_,comdat
	.protected	_ZN7rocprim17ROCPRIM_400000_NS6detail17trampoline_kernelINS0_14default_configENS1_38merge_sort_block_merge_config_selectorIiNS0_10empty_typeEEEZZNS1_27merge_sort_block_merge_implIS3_N6thrust23THRUST_200600_302600_NS6detail15normal_iteratorINS9_10device_ptrIiEEEEPS5_jNS1_19radix_merge_compareILb0ELb0EiNS0_19identity_decomposerEEEEE10hipError_tT0_T1_T2_jT3_P12ihipStream_tbPNSt15iterator_traitsISK_E10value_typeEPNSQ_ISL_E10value_typeEPSM_NS1_7vsmem_tEENKUlT_SK_SL_SM_E_clIPiSE_SF_SF_EESJ_SZ_SK_SL_SM_EUlSZ_E0_NS1_11comp_targetILNS1_3genE4ELNS1_11target_archE910ELNS1_3gpuE8ELNS1_3repE0EEENS1_38merge_mergepath_config_static_selectorELNS0_4arch9wavefront6targetE0EEEvSL_ ; -- Begin function _ZN7rocprim17ROCPRIM_400000_NS6detail17trampoline_kernelINS0_14default_configENS1_38merge_sort_block_merge_config_selectorIiNS0_10empty_typeEEEZZNS1_27merge_sort_block_merge_implIS3_N6thrust23THRUST_200600_302600_NS6detail15normal_iteratorINS9_10device_ptrIiEEEEPS5_jNS1_19radix_merge_compareILb0ELb0EiNS0_19identity_decomposerEEEEE10hipError_tT0_T1_T2_jT3_P12ihipStream_tbPNSt15iterator_traitsISK_E10value_typeEPNSQ_ISL_E10value_typeEPSM_NS1_7vsmem_tEENKUlT_SK_SL_SM_E_clIPiSE_SF_SF_EESJ_SZ_SK_SL_SM_EUlSZ_E0_NS1_11comp_targetILNS1_3genE4ELNS1_11target_archE910ELNS1_3gpuE8ELNS1_3repE0EEENS1_38merge_mergepath_config_static_selectorELNS0_4arch9wavefront6targetE0EEEvSL_
	.globl	_ZN7rocprim17ROCPRIM_400000_NS6detail17trampoline_kernelINS0_14default_configENS1_38merge_sort_block_merge_config_selectorIiNS0_10empty_typeEEEZZNS1_27merge_sort_block_merge_implIS3_N6thrust23THRUST_200600_302600_NS6detail15normal_iteratorINS9_10device_ptrIiEEEEPS5_jNS1_19radix_merge_compareILb0ELb0EiNS0_19identity_decomposerEEEEE10hipError_tT0_T1_T2_jT3_P12ihipStream_tbPNSt15iterator_traitsISK_E10value_typeEPNSQ_ISL_E10value_typeEPSM_NS1_7vsmem_tEENKUlT_SK_SL_SM_E_clIPiSE_SF_SF_EESJ_SZ_SK_SL_SM_EUlSZ_E0_NS1_11comp_targetILNS1_3genE4ELNS1_11target_archE910ELNS1_3gpuE8ELNS1_3repE0EEENS1_38merge_mergepath_config_static_selectorELNS0_4arch9wavefront6targetE0EEEvSL_
	.p2align	8
	.type	_ZN7rocprim17ROCPRIM_400000_NS6detail17trampoline_kernelINS0_14default_configENS1_38merge_sort_block_merge_config_selectorIiNS0_10empty_typeEEEZZNS1_27merge_sort_block_merge_implIS3_N6thrust23THRUST_200600_302600_NS6detail15normal_iteratorINS9_10device_ptrIiEEEEPS5_jNS1_19radix_merge_compareILb0ELb0EiNS0_19identity_decomposerEEEEE10hipError_tT0_T1_T2_jT3_P12ihipStream_tbPNSt15iterator_traitsISK_E10value_typeEPNSQ_ISL_E10value_typeEPSM_NS1_7vsmem_tEENKUlT_SK_SL_SM_E_clIPiSE_SF_SF_EESJ_SZ_SK_SL_SM_EUlSZ_E0_NS1_11comp_targetILNS1_3genE4ELNS1_11target_archE910ELNS1_3gpuE8ELNS1_3repE0EEENS1_38merge_mergepath_config_static_selectorELNS0_4arch9wavefront6targetE0EEEvSL_,@function
_ZN7rocprim17ROCPRIM_400000_NS6detail17trampoline_kernelINS0_14default_configENS1_38merge_sort_block_merge_config_selectorIiNS0_10empty_typeEEEZZNS1_27merge_sort_block_merge_implIS3_N6thrust23THRUST_200600_302600_NS6detail15normal_iteratorINS9_10device_ptrIiEEEEPS5_jNS1_19radix_merge_compareILb0ELb0EiNS0_19identity_decomposerEEEEE10hipError_tT0_T1_T2_jT3_P12ihipStream_tbPNSt15iterator_traitsISK_E10value_typeEPNSQ_ISL_E10value_typeEPSM_NS1_7vsmem_tEENKUlT_SK_SL_SM_E_clIPiSE_SF_SF_EESJ_SZ_SK_SL_SM_EUlSZ_E0_NS1_11comp_targetILNS1_3genE4ELNS1_11target_archE910ELNS1_3gpuE8ELNS1_3repE0EEENS1_38merge_mergepath_config_static_selectorELNS0_4arch9wavefront6targetE0EEEvSL_: ; @_ZN7rocprim17ROCPRIM_400000_NS6detail17trampoline_kernelINS0_14default_configENS1_38merge_sort_block_merge_config_selectorIiNS0_10empty_typeEEEZZNS1_27merge_sort_block_merge_implIS3_N6thrust23THRUST_200600_302600_NS6detail15normal_iteratorINS9_10device_ptrIiEEEEPS5_jNS1_19radix_merge_compareILb0ELb0EiNS0_19identity_decomposerEEEEE10hipError_tT0_T1_T2_jT3_P12ihipStream_tbPNSt15iterator_traitsISK_E10value_typeEPNSQ_ISL_E10value_typeEPSM_NS1_7vsmem_tEENKUlT_SK_SL_SM_E_clIPiSE_SF_SF_EESJ_SZ_SK_SL_SM_EUlSZ_E0_NS1_11comp_targetILNS1_3genE4ELNS1_11target_archE910ELNS1_3gpuE8ELNS1_3repE0EEENS1_38merge_mergepath_config_static_selectorELNS0_4arch9wavefront6targetE0EEEvSL_
; %bb.0:
	.section	.rodata,"a",@progbits
	.p2align	6, 0x0
	.amdhsa_kernel _ZN7rocprim17ROCPRIM_400000_NS6detail17trampoline_kernelINS0_14default_configENS1_38merge_sort_block_merge_config_selectorIiNS0_10empty_typeEEEZZNS1_27merge_sort_block_merge_implIS3_N6thrust23THRUST_200600_302600_NS6detail15normal_iteratorINS9_10device_ptrIiEEEEPS5_jNS1_19radix_merge_compareILb0ELb0EiNS0_19identity_decomposerEEEEE10hipError_tT0_T1_T2_jT3_P12ihipStream_tbPNSt15iterator_traitsISK_E10value_typeEPNSQ_ISL_E10value_typeEPSM_NS1_7vsmem_tEENKUlT_SK_SL_SM_E_clIPiSE_SF_SF_EESJ_SZ_SK_SL_SM_EUlSZ_E0_NS1_11comp_targetILNS1_3genE4ELNS1_11target_archE910ELNS1_3gpuE8ELNS1_3repE0EEENS1_38merge_mergepath_config_static_selectorELNS0_4arch9wavefront6targetE0EEEvSL_
		.amdhsa_group_segment_fixed_size 0
		.amdhsa_private_segment_fixed_size 0
		.amdhsa_kernarg_size 64
		.amdhsa_user_sgpr_count 6
		.amdhsa_user_sgpr_private_segment_buffer 1
		.amdhsa_user_sgpr_dispatch_ptr 0
		.amdhsa_user_sgpr_queue_ptr 0
		.amdhsa_user_sgpr_kernarg_segment_ptr 1
		.amdhsa_user_sgpr_dispatch_id 0
		.amdhsa_user_sgpr_flat_scratch_init 0
		.amdhsa_user_sgpr_private_segment_size 0
		.amdhsa_wavefront_size32 1
		.amdhsa_uses_dynamic_stack 0
		.amdhsa_system_sgpr_private_segment_wavefront_offset 0
		.amdhsa_system_sgpr_workgroup_id_x 1
		.amdhsa_system_sgpr_workgroup_id_y 0
		.amdhsa_system_sgpr_workgroup_id_z 0
		.amdhsa_system_sgpr_workgroup_info 0
		.amdhsa_system_vgpr_workitem_id 0
		.amdhsa_next_free_vgpr 1
		.amdhsa_next_free_sgpr 1
		.amdhsa_reserve_vcc 0
		.amdhsa_reserve_flat_scratch 0
		.amdhsa_float_round_mode_32 0
		.amdhsa_float_round_mode_16_64 0
		.amdhsa_float_denorm_mode_32 3
		.amdhsa_float_denorm_mode_16_64 3
		.amdhsa_dx10_clamp 1
		.amdhsa_ieee_mode 1
		.amdhsa_fp16_overflow 0
		.amdhsa_workgroup_processor_mode 1
		.amdhsa_memory_ordered 1
		.amdhsa_forward_progress 1
		.amdhsa_shared_vgpr_count 0
		.amdhsa_exception_fp_ieee_invalid_op 0
		.amdhsa_exception_fp_denorm_src 0
		.amdhsa_exception_fp_ieee_div_zero 0
		.amdhsa_exception_fp_ieee_overflow 0
		.amdhsa_exception_fp_ieee_underflow 0
		.amdhsa_exception_fp_ieee_inexact 0
		.amdhsa_exception_int_div_zero 0
	.end_amdhsa_kernel
	.section	.text._ZN7rocprim17ROCPRIM_400000_NS6detail17trampoline_kernelINS0_14default_configENS1_38merge_sort_block_merge_config_selectorIiNS0_10empty_typeEEEZZNS1_27merge_sort_block_merge_implIS3_N6thrust23THRUST_200600_302600_NS6detail15normal_iteratorINS9_10device_ptrIiEEEEPS5_jNS1_19radix_merge_compareILb0ELb0EiNS0_19identity_decomposerEEEEE10hipError_tT0_T1_T2_jT3_P12ihipStream_tbPNSt15iterator_traitsISK_E10value_typeEPNSQ_ISL_E10value_typeEPSM_NS1_7vsmem_tEENKUlT_SK_SL_SM_E_clIPiSE_SF_SF_EESJ_SZ_SK_SL_SM_EUlSZ_E0_NS1_11comp_targetILNS1_3genE4ELNS1_11target_archE910ELNS1_3gpuE8ELNS1_3repE0EEENS1_38merge_mergepath_config_static_selectorELNS0_4arch9wavefront6targetE0EEEvSL_,"axG",@progbits,_ZN7rocprim17ROCPRIM_400000_NS6detail17trampoline_kernelINS0_14default_configENS1_38merge_sort_block_merge_config_selectorIiNS0_10empty_typeEEEZZNS1_27merge_sort_block_merge_implIS3_N6thrust23THRUST_200600_302600_NS6detail15normal_iteratorINS9_10device_ptrIiEEEEPS5_jNS1_19radix_merge_compareILb0ELb0EiNS0_19identity_decomposerEEEEE10hipError_tT0_T1_T2_jT3_P12ihipStream_tbPNSt15iterator_traitsISK_E10value_typeEPNSQ_ISL_E10value_typeEPSM_NS1_7vsmem_tEENKUlT_SK_SL_SM_E_clIPiSE_SF_SF_EESJ_SZ_SK_SL_SM_EUlSZ_E0_NS1_11comp_targetILNS1_3genE4ELNS1_11target_archE910ELNS1_3gpuE8ELNS1_3repE0EEENS1_38merge_mergepath_config_static_selectorELNS0_4arch9wavefront6targetE0EEEvSL_,comdat
.Lfunc_end30:
	.size	_ZN7rocprim17ROCPRIM_400000_NS6detail17trampoline_kernelINS0_14default_configENS1_38merge_sort_block_merge_config_selectorIiNS0_10empty_typeEEEZZNS1_27merge_sort_block_merge_implIS3_N6thrust23THRUST_200600_302600_NS6detail15normal_iteratorINS9_10device_ptrIiEEEEPS5_jNS1_19radix_merge_compareILb0ELb0EiNS0_19identity_decomposerEEEEE10hipError_tT0_T1_T2_jT3_P12ihipStream_tbPNSt15iterator_traitsISK_E10value_typeEPNSQ_ISL_E10value_typeEPSM_NS1_7vsmem_tEENKUlT_SK_SL_SM_E_clIPiSE_SF_SF_EESJ_SZ_SK_SL_SM_EUlSZ_E0_NS1_11comp_targetILNS1_3genE4ELNS1_11target_archE910ELNS1_3gpuE8ELNS1_3repE0EEENS1_38merge_mergepath_config_static_selectorELNS0_4arch9wavefront6targetE0EEEvSL_, .Lfunc_end30-_ZN7rocprim17ROCPRIM_400000_NS6detail17trampoline_kernelINS0_14default_configENS1_38merge_sort_block_merge_config_selectorIiNS0_10empty_typeEEEZZNS1_27merge_sort_block_merge_implIS3_N6thrust23THRUST_200600_302600_NS6detail15normal_iteratorINS9_10device_ptrIiEEEEPS5_jNS1_19radix_merge_compareILb0ELb0EiNS0_19identity_decomposerEEEEE10hipError_tT0_T1_T2_jT3_P12ihipStream_tbPNSt15iterator_traitsISK_E10value_typeEPNSQ_ISL_E10value_typeEPSM_NS1_7vsmem_tEENKUlT_SK_SL_SM_E_clIPiSE_SF_SF_EESJ_SZ_SK_SL_SM_EUlSZ_E0_NS1_11comp_targetILNS1_3genE4ELNS1_11target_archE910ELNS1_3gpuE8ELNS1_3repE0EEENS1_38merge_mergepath_config_static_selectorELNS0_4arch9wavefront6targetE0EEEvSL_
                                        ; -- End function
	.set _ZN7rocprim17ROCPRIM_400000_NS6detail17trampoline_kernelINS0_14default_configENS1_38merge_sort_block_merge_config_selectorIiNS0_10empty_typeEEEZZNS1_27merge_sort_block_merge_implIS3_N6thrust23THRUST_200600_302600_NS6detail15normal_iteratorINS9_10device_ptrIiEEEEPS5_jNS1_19radix_merge_compareILb0ELb0EiNS0_19identity_decomposerEEEEE10hipError_tT0_T1_T2_jT3_P12ihipStream_tbPNSt15iterator_traitsISK_E10value_typeEPNSQ_ISL_E10value_typeEPSM_NS1_7vsmem_tEENKUlT_SK_SL_SM_E_clIPiSE_SF_SF_EESJ_SZ_SK_SL_SM_EUlSZ_E0_NS1_11comp_targetILNS1_3genE4ELNS1_11target_archE910ELNS1_3gpuE8ELNS1_3repE0EEENS1_38merge_mergepath_config_static_selectorELNS0_4arch9wavefront6targetE0EEEvSL_.num_vgpr, 0
	.set _ZN7rocprim17ROCPRIM_400000_NS6detail17trampoline_kernelINS0_14default_configENS1_38merge_sort_block_merge_config_selectorIiNS0_10empty_typeEEEZZNS1_27merge_sort_block_merge_implIS3_N6thrust23THRUST_200600_302600_NS6detail15normal_iteratorINS9_10device_ptrIiEEEEPS5_jNS1_19radix_merge_compareILb0ELb0EiNS0_19identity_decomposerEEEEE10hipError_tT0_T1_T2_jT3_P12ihipStream_tbPNSt15iterator_traitsISK_E10value_typeEPNSQ_ISL_E10value_typeEPSM_NS1_7vsmem_tEENKUlT_SK_SL_SM_E_clIPiSE_SF_SF_EESJ_SZ_SK_SL_SM_EUlSZ_E0_NS1_11comp_targetILNS1_3genE4ELNS1_11target_archE910ELNS1_3gpuE8ELNS1_3repE0EEENS1_38merge_mergepath_config_static_selectorELNS0_4arch9wavefront6targetE0EEEvSL_.num_agpr, 0
	.set _ZN7rocprim17ROCPRIM_400000_NS6detail17trampoline_kernelINS0_14default_configENS1_38merge_sort_block_merge_config_selectorIiNS0_10empty_typeEEEZZNS1_27merge_sort_block_merge_implIS3_N6thrust23THRUST_200600_302600_NS6detail15normal_iteratorINS9_10device_ptrIiEEEEPS5_jNS1_19radix_merge_compareILb0ELb0EiNS0_19identity_decomposerEEEEE10hipError_tT0_T1_T2_jT3_P12ihipStream_tbPNSt15iterator_traitsISK_E10value_typeEPNSQ_ISL_E10value_typeEPSM_NS1_7vsmem_tEENKUlT_SK_SL_SM_E_clIPiSE_SF_SF_EESJ_SZ_SK_SL_SM_EUlSZ_E0_NS1_11comp_targetILNS1_3genE4ELNS1_11target_archE910ELNS1_3gpuE8ELNS1_3repE0EEENS1_38merge_mergepath_config_static_selectorELNS0_4arch9wavefront6targetE0EEEvSL_.numbered_sgpr, 0
	.set _ZN7rocprim17ROCPRIM_400000_NS6detail17trampoline_kernelINS0_14default_configENS1_38merge_sort_block_merge_config_selectorIiNS0_10empty_typeEEEZZNS1_27merge_sort_block_merge_implIS3_N6thrust23THRUST_200600_302600_NS6detail15normal_iteratorINS9_10device_ptrIiEEEEPS5_jNS1_19radix_merge_compareILb0ELb0EiNS0_19identity_decomposerEEEEE10hipError_tT0_T1_T2_jT3_P12ihipStream_tbPNSt15iterator_traitsISK_E10value_typeEPNSQ_ISL_E10value_typeEPSM_NS1_7vsmem_tEENKUlT_SK_SL_SM_E_clIPiSE_SF_SF_EESJ_SZ_SK_SL_SM_EUlSZ_E0_NS1_11comp_targetILNS1_3genE4ELNS1_11target_archE910ELNS1_3gpuE8ELNS1_3repE0EEENS1_38merge_mergepath_config_static_selectorELNS0_4arch9wavefront6targetE0EEEvSL_.num_named_barrier, 0
	.set _ZN7rocprim17ROCPRIM_400000_NS6detail17trampoline_kernelINS0_14default_configENS1_38merge_sort_block_merge_config_selectorIiNS0_10empty_typeEEEZZNS1_27merge_sort_block_merge_implIS3_N6thrust23THRUST_200600_302600_NS6detail15normal_iteratorINS9_10device_ptrIiEEEEPS5_jNS1_19radix_merge_compareILb0ELb0EiNS0_19identity_decomposerEEEEE10hipError_tT0_T1_T2_jT3_P12ihipStream_tbPNSt15iterator_traitsISK_E10value_typeEPNSQ_ISL_E10value_typeEPSM_NS1_7vsmem_tEENKUlT_SK_SL_SM_E_clIPiSE_SF_SF_EESJ_SZ_SK_SL_SM_EUlSZ_E0_NS1_11comp_targetILNS1_3genE4ELNS1_11target_archE910ELNS1_3gpuE8ELNS1_3repE0EEENS1_38merge_mergepath_config_static_selectorELNS0_4arch9wavefront6targetE0EEEvSL_.private_seg_size, 0
	.set _ZN7rocprim17ROCPRIM_400000_NS6detail17trampoline_kernelINS0_14default_configENS1_38merge_sort_block_merge_config_selectorIiNS0_10empty_typeEEEZZNS1_27merge_sort_block_merge_implIS3_N6thrust23THRUST_200600_302600_NS6detail15normal_iteratorINS9_10device_ptrIiEEEEPS5_jNS1_19radix_merge_compareILb0ELb0EiNS0_19identity_decomposerEEEEE10hipError_tT0_T1_T2_jT3_P12ihipStream_tbPNSt15iterator_traitsISK_E10value_typeEPNSQ_ISL_E10value_typeEPSM_NS1_7vsmem_tEENKUlT_SK_SL_SM_E_clIPiSE_SF_SF_EESJ_SZ_SK_SL_SM_EUlSZ_E0_NS1_11comp_targetILNS1_3genE4ELNS1_11target_archE910ELNS1_3gpuE8ELNS1_3repE0EEENS1_38merge_mergepath_config_static_selectorELNS0_4arch9wavefront6targetE0EEEvSL_.uses_vcc, 0
	.set _ZN7rocprim17ROCPRIM_400000_NS6detail17trampoline_kernelINS0_14default_configENS1_38merge_sort_block_merge_config_selectorIiNS0_10empty_typeEEEZZNS1_27merge_sort_block_merge_implIS3_N6thrust23THRUST_200600_302600_NS6detail15normal_iteratorINS9_10device_ptrIiEEEEPS5_jNS1_19radix_merge_compareILb0ELb0EiNS0_19identity_decomposerEEEEE10hipError_tT0_T1_T2_jT3_P12ihipStream_tbPNSt15iterator_traitsISK_E10value_typeEPNSQ_ISL_E10value_typeEPSM_NS1_7vsmem_tEENKUlT_SK_SL_SM_E_clIPiSE_SF_SF_EESJ_SZ_SK_SL_SM_EUlSZ_E0_NS1_11comp_targetILNS1_3genE4ELNS1_11target_archE910ELNS1_3gpuE8ELNS1_3repE0EEENS1_38merge_mergepath_config_static_selectorELNS0_4arch9wavefront6targetE0EEEvSL_.uses_flat_scratch, 0
	.set _ZN7rocprim17ROCPRIM_400000_NS6detail17trampoline_kernelINS0_14default_configENS1_38merge_sort_block_merge_config_selectorIiNS0_10empty_typeEEEZZNS1_27merge_sort_block_merge_implIS3_N6thrust23THRUST_200600_302600_NS6detail15normal_iteratorINS9_10device_ptrIiEEEEPS5_jNS1_19radix_merge_compareILb0ELb0EiNS0_19identity_decomposerEEEEE10hipError_tT0_T1_T2_jT3_P12ihipStream_tbPNSt15iterator_traitsISK_E10value_typeEPNSQ_ISL_E10value_typeEPSM_NS1_7vsmem_tEENKUlT_SK_SL_SM_E_clIPiSE_SF_SF_EESJ_SZ_SK_SL_SM_EUlSZ_E0_NS1_11comp_targetILNS1_3genE4ELNS1_11target_archE910ELNS1_3gpuE8ELNS1_3repE0EEENS1_38merge_mergepath_config_static_selectorELNS0_4arch9wavefront6targetE0EEEvSL_.has_dyn_sized_stack, 0
	.set _ZN7rocprim17ROCPRIM_400000_NS6detail17trampoline_kernelINS0_14default_configENS1_38merge_sort_block_merge_config_selectorIiNS0_10empty_typeEEEZZNS1_27merge_sort_block_merge_implIS3_N6thrust23THRUST_200600_302600_NS6detail15normal_iteratorINS9_10device_ptrIiEEEEPS5_jNS1_19radix_merge_compareILb0ELb0EiNS0_19identity_decomposerEEEEE10hipError_tT0_T1_T2_jT3_P12ihipStream_tbPNSt15iterator_traitsISK_E10value_typeEPNSQ_ISL_E10value_typeEPSM_NS1_7vsmem_tEENKUlT_SK_SL_SM_E_clIPiSE_SF_SF_EESJ_SZ_SK_SL_SM_EUlSZ_E0_NS1_11comp_targetILNS1_3genE4ELNS1_11target_archE910ELNS1_3gpuE8ELNS1_3repE0EEENS1_38merge_mergepath_config_static_selectorELNS0_4arch9wavefront6targetE0EEEvSL_.has_recursion, 0
	.set _ZN7rocprim17ROCPRIM_400000_NS6detail17trampoline_kernelINS0_14default_configENS1_38merge_sort_block_merge_config_selectorIiNS0_10empty_typeEEEZZNS1_27merge_sort_block_merge_implIS3_N6thrust23THRUST_200600_302600_NS6detail15normal_iteratorINS9_10device_ptrIiEEEEPS5_jNS1_19radix_merge_compareILb0ELb0EiNS0_19identity_decomposerEEEEE10hipError_tT0_T1_T2_jT3_P12ihipStream_tbPNSt15iterator_traitsISK_E10value_typeEPNSQ_ISL_E10value_typeEPSM_NS1_7vsmem_tEENKUlT_SK_SL_SM_E_clIPiSE_SF_SF_EESJ_SZ_SK_SL_SM_EUlSZ_E0_NS1_11comp_targetILNS1_3genE4ELNS1_11target_archE910ELNS1_3gpuE8ELNS1_3repE0EEENS1_38merge_mergepath_config_static_selectorELNS0_4arch9wavefront6targetE0EEEvSL_.has_indirect_call, 0
	.section	.AMDGPU.csdata,"",@progbits
; Kernel info:
; codeLenInByte = 0
; TotalNumSgprs: 0
; NumVgprs: 0
; ScratchSize: 0
; MemoryBound: 0
; FloatMode: 240
; IeeeMode: 1
; LDSByteSize: 0 bytes/workgroup (compile time only)
; SGPRBlocks: 0
; VGPRBlocks: 0
; NumSGPRsForWavesPerEU: 1
; NumVGPRsForWavesPerEU: 1
; Occupancy: 16
; WaveLimiterHint : 0
; COMPUTE_PGM_RSRC2:SCRATCH_EN: 0
; COMPUTE_PGM_RSRC2:USER_SGPR: 6
; COMPUTE_PGM_RSRC2:TRAP_HANDLER: 0
; COMPUTE_PGM_RSRC2:TGID_X_EN: 1
; COMPUTE_PGM_RSRC2:TGID_Y_EN: 0
; COMPUTE_PGM_RSRC2:TGID_Z_EN: 0
; COMPUTE_PGM_RSRC2:TIDIG_COMP_CNT: 0
	.section	.text._ZN7rocprim17ROCPRIM_400000_NS6detail17trampoline_kernelINS0_14default_configENS1_38merge_sort_block_merge_config_selectorIiNS0_10empty_typeEEEZZNS1_27merge_sort_block_merge_implIS3_N6thrust23THRUST_200600_302600_NS6detail15normal_iteratorINS9_10device_ptrIiEEEEPS5_jNS1_19radix_merge_compareILb0ELb0EiNS0_19identity_decomposerEEEEE10hipError_tT0_T1_T2_jT3_P12ihipStream_tbPNSt15iterator_traitsISK_E10value_typeEPNSQ_ISL_E10value_typeEPSM_NS1_7vsmem_tEENKUlT_SK_SL_SM_E_clIPiSE_SF_SF_EESJ_SZ_SK_SL_SM_EUlSZ_E0_NS1_11comp_targetILNS1_3genE3ELNS1_11target_archE908ELNS1_3gpuE7ELNS1_3repE0EEENS1_38merge_mergepath_config_static_selectorELNS0_4arch9wavefront6targetE0EEEvSL_,"axG",@progbits,_ZN7rocprim17ROCPRIM_400000_NS6detail17trampoline_kernelINS0_14default_configENS1_38merge_sort_block_merge_config_selectorIiNS0_10empty_typeEEEZZNS1_27merge_sort_block_merge_implIS3_N6thrust23THRUST_200600_302600_NS6detail15normal_iteratorINS9_10device_ptrIiEEEEPS5_jNS1_19radix_merge_compareILb0ELb0EiNS0_19identity_decomposerEEEEE10hipError_tT0_T1_T2_jT3_P12ihipStream_tbPNSt15iterator_traitsISK_E10value_typeEPNSQ_ISL_E10value_typeEPSM_NS1_7vsmem_tEENKUlT_SK_SL_SM_E_clIPiSE_SF_SF_EESJ_SZ_SK_SL_SM_EUlSZ_E0_NS1_11comp_targetILNS1_3genE3ELNS1_11target_archE908ELNS1_3gpuE7ELNS1_3repE0EEENS1_38merge_mergepath_config_static_selectorELNS0_4arch9wavefront6targetE0EEEvSL_,comdat
	.protected	_ZN7rocprim17ROCPRIM_400000_NS6detail17trampoline_kernelINS0_14default_configENS1_38merge_sort_block_merge_config_selectorIiNS0_10empty_typeEEEZZNS1_27merge_sort_block_merge_implIS3_N6thrust23THRUST_200600_302600_NS6detail15normal_iteratorINS9_10device_ptrIiEEEEPS5_jNS1_19radix_merge_compareILb0ELb0EiNS0_19identity_decomposerEEEEE10hipError_tT0_T1_T2_jT3_P12ihipStream_tbPNSt15iterator_traitsISK_E10value_typeEPNSQ_ISL_E10value_typeEPSM_NS1_7vsmem_tEENKUlT_SK_SL_SM_E_clIPiSE_SF_SF_EESJ_SZ_SK_SL_SM_EUlSZ_E0_NS1_11comp_targetILNS1_3genE3ELNS1_11target_archE908ELNS1_3gpuE7ELNS1_3repE0EEENS1_38merge_mergepath_config_static_selectorELNS0_4arch9wavefront6targetE0EEEvSL_ ; -- Begin function _ZN7rocprim17ROCPRIM_400000_NS6detail17trampoline_kernelINS0_14default_configENS1_38merge_sort_block_merge_config_selectorIiNS0_10empty_typeEEEZZNS1_27merge_sort_block_merge_implIS3_N6thrust23THRUST_200600_302600_NS6detail15normal_iteratorINS9_10device_ptrIiEEEEPS5_jNS1_19radix_merge_compareILb0ELb0EiNS0_19identity_decomposerEEEEE10hipError_tT0_T1_T2_jT3_P12ihipStream_tbPNSt15iterator_traitsISK_E10value_typeEPNSQ_ISL_E10value_typeEPSM_NS1_7vsmem_tEENKUlT_SK_SL_SM_E_clIPiSE_SF_SF_EESJ_SZ_SK_SL_SM_EUlSZ_E0_NS1_11comp_targetILNS1_3genE3ELNS1_11target_archE908ELNS1_3gpuE7ELNS1_3repE0EEENS1_38merge_mergepath_config_static_selectorELNS0_4arch9wavefront6targetE0EEEvSL_
	.globl	_ZN7rocprim17ROCPRIM_400000_NS6detail17trampoline_kernelINS0_14default_configENS1_38merge_sort_block_merge_config_selectorIiNS0_10empty_typeEEEZZNS1_27merge_sort_block_merge_implIS3_N6thrust23THRUST_200600_302600_NS6detail15normal_iteratorINS9_10device_ptrIiEEEEPS5_jNS1_19radix_merge_compareILb0ELb0EiNS0_19identity_decomposerEEEEE10hipError_tT0_T1_T2_jT3_P12ihipStream_tbPNSt15iterator_traitsISK_E10value_typeEPNSQ_ISL_E10value_typeEPSM_NS1_7vsmem_tEENKUlT_SK_SL_SM_E_clIPiSE_SF_SF_EESJ_SZ_SK_SL_SM_EUlSZ_E0_NS1_11comp_targetILNS1_3genE3ELNS1_11target_archE908ELNS1_3gpuE7ELNS1_3repE0EEENS1_38merge_mergepath_config_static_selectorELNS0_4arch9wavefront6targetE0EEEvSL_
	.p2align	8
	.type	_ZN7rocprim17ROCPRIM_400000_NS6detail17trampoline_kernelINS0_14default_configENS1_38merge_sort_block_merge_config_selectorIiNS0_10empty_typeEEEZZNS1_27merge_sort_block_merge_implIS3_N6thrust23THRUST_200600_302600_NS6detail15normal_iteratorINS9_10device_ptrIiEEEEPS5_jNS1_19radix_merge_compareILb0ELb0EiNS0_19identity_decomposerEEEEE10hipError_tT0_T1_T2_jT3_P12ihipStream_tbPNSt15iterator_traitsISK_E10value_typeEPNSQ_ISL_E10value_typeEPSM_NS1_7vsmem_tEENKUlT_SK_SL_SM_E_clIPiSE_SF_SF_EESJ_SZ_SK_SL_SM_EUlSZ_E0_NS1_11comp_targetILNS1_3genE3ELNS1_11target_archE908ELNS1_3gpuE7ELNS1_3repE0EEENS1_38merge_mergepath_config_static_selectorELNS0_4arch9wavefront6targetE0EEEvSL_,@function
_ZN7rocprim17ROCPRIM_400000_NS6detail17trampoline_kernelINS0_14default_configENS1_38merge_sort_block_merge_config_selectorIiNS0_10empty_typeEEEZZNS1_27merge_sort_block_merge_implIS3_N6thrust23THRUST_200600_302600_NS6detail15normal_iteratorINS9_10device_ptrIiEEEEPS5_jNS1_19radix_merge_compareILb0ELb0EiNS0_19identity_decomposerEEEEE10hipError_tT0_T1_T2_jT3_P12ihipStream_tbPNSt15iterator_traitsISK_E10value_typeEPNSQ_ISL_E10value_typeEPSM_NS1_7vsmem_tEENKUlT_SK_SL_SM_E_clIPiSE_SF_SF_EESJ_SZ_SK_SL_SM_EUlSZ_E0_NS1_11comp_targetILNS1_3genE3ELNS1_11target_archE908ELNS1_3gpuE7ELNS1_3repE0EEENS1_38merge_mergepath_config_static_selectorELNS0_4arch9wavefront6targetE0EEEvSL_: ; @_ZN7rocprim17ROCPRIM_400000_NS6detail17trampoline_kernelINS0_14default_configENS1_38merge_sort_block_merge_config_selectorIiNS0_10empty_typeEEEZZNS1_27merge_sort_block_merge_implIS3_N6thrust23THRUST_200600_302600_NS6detail15normal_iteratorINS9_10device_ptrIiEEEEPS5_jNS1_19radix_merge_compareILb0ELb0EiNS0_19identity_decomposerEEEEE10hipError_tT0_T1_T2_jT3_P12ihipStream_tbPNSt15iterator_traitsISK_E10value_typeEPNSQ_ISL_E10value_typeEPSM_NS1_7vsmem_tEENKUlT_SK_SL_SM_E_clIPiSE_SF_SF_EESJ_SZ_SK_SL_SM_EUlSZ_E0_NS1_11comp_targetILNS1_3genE3ELNS1_11target_archE908ELNS1_3gpuE7ELNS1_3repE0EEENS1_38merge_mergepath_config_static_selectorELNS0_4arch9wavefront6targetE0EEEvSL_
; %bb.0:
	.section	.rodata,"a",@progbits
	.p2align	6, 0x0
	.amdhsa_kernel _ZN7rocprim17ROCPRIM_400000_NS6detail17trampoline_kernelINS0_14default_configENS1_38merge_sort_block_merge_config_selectorIiNS0_10empty_typeEEEZZNS1_27merge_sort_block_merge_implIS3_N6thrust23THRUST_200600_302600_NS6detail15normal_iteratorINS9_10device_ptrIiEEEEPS5_jNS1_19radix_merge_compareILb0ELb0EiNS0_19identity_decomposerEEEEE10hipError_tT0_T1_T2_jT3_P12ihipStream_tbPNSt15iterator_traitsISK_E10value_typeEPNSQ_ISL_E10value_typeEPSM_NS1_7vsmem_tEENKUlT_SK_SL_SM_E_clIPiSE_SF_SF_EESJ_SZ_SK_SL_SM_EUlSZ_E0_NS1_11comp_targetILNS1_3genE3ELNS1_11target_archE908ELNS1_3gpuE7ELNS1_3repE0EEENS1_38merge_mergepath_config_static_selectorELNS0_4arch9wavefront6targetE0EEEvSL_
		.amdhsa_group_segment_fixed_size 0
		.amdhsa_private_segment_fixed_size 0
		.amdhsa_kernarg_size 64
		.amdhsa_user_sgpr_count 6
		.amdhsa_user_sgpr_private_segment_buffer 1
		.amdhsa_user_sgpr_dispatch_ptr 0
		.amdhsa_user_sgpr_queue_ptr 0
		.amdhsa_user_sgpr_kernarg_segment_ptr 1
		.amdhsa_user_sgpr_dispatch_id 0
		.amdhsa_user_sgpr_flat_scratch_init 0
		.amdhsa_user_sgpr_private_segment_size 0
		.amdhsa_wavefront_size32 1
		.amdhsa_uses_dynamic_stack 0
		.amdhsa_system_sgpr_private_segment_wavefront_offset 0
		.amdhsa_system_sgpr_workgroup_id_x 1
		.amdhsa_system_sgpr_workgroup_id_y 0
		.amdhsa_system_sgpr_workgroup_id_z 0
		.amdhsa_system_sgpr_workgroup_info 0
		.amdhsa_system_vgpr_workitem_id 0
		.amdhsa_next_free_vgpr 1
		.amdhsa_next_free_sgpr 1
		.amdhsa_reserve_vcc 0
		.amdhsa_reserve_flat_scratch 0
		.amdhsa_float_round_mode_32 0
		.amdhsa_float_round_mode_16_64 0
		.amdhsa_float_denorm_mode_32 3
		.amdhsa_float_denorm_mode_16_64 3
		.amdhsa_dx10_clamp 1
		.amdhsa_ieee_mode 1
		.amdhsa_fp16_overflow 0
		.amdhsa_workgroup_processor_mode 1
		.amdhsa_memory_ordered 1
		.amdhsa_forward_progress 1
		.amdhsa_shared_vgpr_count 0
		.amdhsa_exception_fp_ieee_invalid_op 0
		.amdhsa_exception_fp_denorm_src 0
		.amdhsa_exception_fp_ieee_div_zero 0
		.amdhsa_exception_fp_ieee_overflow 0
		.amdhsa_exception_fp_ieee_underflow 0
		.amdhsa_exception_fp_ieee_inexact 0
		.amdhsa_exception_int_div_zero 0
	.end_amdhsa_kernel
	.section	.text._ZN7rocprim17ROCPRIM_400000_NS6detail17trampoline_kernelINS0_14default_configENS1_38merge_sort_block_merge_config_selectorIiNS0_10empty_typeEEEZZNS1_27merge_sort_block_merge_implIS3_N6thrust23THRUST_200600_302600_NS6detail15normal_iteratorINS9_10device_ptrIiEEEEPS5_jNS1_19radix_merge_compareILb0ELb0EiNS0_19identity_decomposerEEEEE10hipError_tT0_T1_T2_jT3_P12ihipStream_tbPNSt15iterator_traitsISK_E10value_typeEPNSQ_ISL_E10value_typeEPSM_NS1_7vsmem_tEENKUlT_SK_SL_SM_E_clIPiSE_SF_SF_EESJ_SZ_SK_SL_SM_EUlSZ_E0_NS1_11comp_targetILNS1_3genE3ELNS1_11target_archE908ELNS1_3gpuE7ELNS1_3repE0EEENS1_38merge_mergepath_config_static_selectorELNS0_4arch9wavefront6targetE0EEEvSL_,"axG",@progbits,_ZN7rocprim17ROCPRIM_400000_NS6detail17trampoline_kernelINS0_14default_configENS1_38merge_sort_block_merge_config_selectorIiNS0_10empty_typeEEEZZNS1_27merge_sort_block_merge_implIS3_N6thrust23THRUST_200600_302600_NS6detail15normal_iteratorINS9_10device_ptrIiEEEEPS5_jNS1_19radix_merge_compareILb0ELb0EiNS0_19identity_decomposerEEEEE10hipError_tT0_T1_T2_jT3_P12ihipStream_tbPNSt15iterator_traitsISK_E10value_typeEPNSQ_ISL_E10value_typeEPSM_NS1_7vsmem_tEENKUlT_SK_SL_SM_E_clIPiSE_SF_SF_EESJ_SZ_SK_SL_SM_EUlSZ_E0_NS1_11comp_targetILNS1_3genE3ELNS1_11target_archE908ELNS1_3gpuE7ELNS1_3repE0EEENS1_38merge_mergepath_config_static_selectorELNS0_4arch9wavefront6targetE0EEEvSL_,comdat
.Lfunc_end31:
	.size	_ZN7rocprim17ROCPRIM_400000_NS6detail17trampoline_kernelINS0_14default_configENS1_38merge_sort_block_merge_config_selectorIiNS0_10empty_typeEEEZZNS1_27merge_sort_block_merge_implIS3_N6thrust23THRUST_200600_302600_NS6detail15normal_iteratorINS9_10device_ptrIiEEEEPS5_jNS1_19radix_merge_compareILb0ELb0EiNS0_19identity_decomposerEEEEE10hipError_tT0_T1_T2_jT3_P12ihipStream_tbPNSt15iterator_traitsISK_E10value_typeEPNSQ_ISL_E10value_typeEPSM_NS1_7vsmem_tEENKUlT_SK_SL_SM_E_clIPiSE_SF_SF_EESJ_SZ_SK_SL_SM_EUlSZ_E0_NS1_11comp_targetILNS1_3genE3ELNS1_11target_archE908ELNS1_3gpuE7ELNS1_3repE0EEENS1_38merge_mergepath_config_static_selectorELNS0_4arch9wavefront6targetE0EEEvSL_, .Lfunc_end31-_ZN7rocprim17ROCPRIM_400000_NS6detail17trampoline_kernelINS0_14default_configENS1_38merge_sort_block_merge_config_selectorIiNS0_10empty_typeEEEZZNS1_27merge_sort_block_merge_implIS3_N6thrust23THRUST_200600_302600_NS6detail15normal_iteratorINS9_10device_ptrIiEEEEPS5_jNS1_19radix_merge_compareILb0ELb0EiNS0_19identity_decomposerEEEEE10hipError_tT0_T1_T2_jT3_P12ihipStream_tbPNSt15iterator_traitsISK_E10value_typeEPNSQ_ISL_E10value_typeEPSM_NS1_7vsmem_tEENKUlT_SK_SL_SM_E_clIPiSE_SF_SF_EESJ_SZ_SK_SL_SM_EUlSZ_E0_NS1_11comp_targetILNS1_3genE3ELNS1_11target_archE908ELNS1_3gpuE7ELNS1_3repE0EEENS1_38merge_mergepath_config_static_selectorELNS0_4arch9wavefront6targetE0EEEvSL_
                                        ; -- End function
	.set _ZN7rocprim17ROCPRIM_400000_NS6detail17trampoline_kernelINS0_14default_configENS1_38merge_sort_block_merge_config_selectorIiNS0_10empty_typeEEEZZNS1_27merge_sort_block_merge_implIS3_N6thrust23THRUST_200600_302600_NS6detail15normal_iteratorINS9_10device_ptrIiEEEEPS5_jNS1_19radix_merge_compareILb0ELb0EiNS0_19identity_decomposerEEEEE10hipError_tT0_T1_T2_jT3_P12ihipStream_tbPNSt15iterator_traitsISK_E10value_typeEPNSQ_ISL_E10value_typeEPSM_NS1_7vsmem_tEENKUlT_SK_SL_SM_E_clIPiSE_SF_SF_EESJ_SZ_SK_SL_SM_EUlSZ_E0_NS1_11comp_targetILNS1_3genE3ELNS1_11target_archE908ELNS1_3gpuE7ELNS1_3repE0EEENS1_38merge_mergepath_config_static_selectorELNS0_4arch9wavefront6targetE0EEEvSL_.num_vgpr, 0
	.set _ZN7rocprim17ROCPRIM_400000_NS6detail17trampoline_kernelINS0_14default_configENS1_38merge_sort_block_merge_config_selectorIiNS0_10empty_typeEEEZZNS1_27merge_sort_block_merge_implIS3_N6thrust23THRUST_200600_302600_NS6detail15normal_iteratorINS9_10device_ptrIiEEEEPS5_jNS1_19radix_merge_compareILb0ELb0EiNS0_19identity_decomposerEEEEE10hipError_tT0_T1_T2_jT3_P12ihipStream_tbPNSt15iterator_traitsISK_E10value_typeEPNSQ_ISL_E10value_typeEPSM_NS1_7vsmem_tEENKUlT_SK_SL_SM_E_clIPiSE_SF_SF_EESJ_SZ_SK_SL_SM_EUlSZ_E0_NS1_11comp_targetILNS1_3genE3ELNS1_11target_archE908ELNS1_3gpuE7ELNS1_3repE0EEENS1_38merge_mergepath_config_static_selectorELNS0_4arch9wavefront6targetE0EEEvSL_.num_agpr, 0
	.set _ZN7rocprim17ROCPRIM_400000_NS6detail17trampoline_kernelINS0_14default_configENS1_38merge_sort_block_merge_config_selectorIiNS0_10empty_typeEEEZZNS1_27merge_sort_block_merge_implIS3_N6thrust23THRUST_200600_302600_NS6detail15normal_iteratorINS9_10device_ptrIiEEEEPS5_jNS1_19radix_merge_compareILb0ELb0EiNS0_19identity_decomposerEEEEE10hipError_tT0_T1_T2_jT3_P12ihipStream_tbPNSt15iterator_traitsISK_E10value_typeEPNSQ_ISL_E10value_typeEPSM_NS1_7vsmem_tEENKUlT_SK_SL_SM_E_clIPiSE_SF_SF_EESJ_SZ_SK_SL_SM_EUlSZ_E0_NS1_11comp_targetILNS1_3genE3ELNS1_11target_archE908ELNS1_3gpuE7ELNS1_3repE0EEENS1_38merge_mergepath_config_static_selectorELNS0_4arch9wavefront6targetE0EEEvSL_.numbered_sgpr, 0
	.set _ZN7rocprim17ROCPRIM_400000_NS6detail17trampoline_kernelINS0_14default_configENS1_38merge_sort_block_merge_config_selectorIiNS0_10empty_typeEEEZZNS1_27merge_sort_block_merge_implIS3_N6thrust23THRUST_200600_302600_NS6detail15normal_iteratorINS9_10device_ptrIiEEEEPS5_jNS1_19radix_merge_compareILb0ELb0EiNS0_19identity_decomposerEEEEE10hipError_tT0_T1_T2_jT3_P12ihipStream_tbPNSt15iterator_traitsISK_E10value_typeEPNSQ_ISL_E10value_typeEPSM_NS1_7vsmem_tEENKUlT_SK_SL_SM_E_clIPiSE_SF_SF_EESJ_SZ_SK_SL_SM_EUlSZ_E0_NS1_11comp_targetILNS1_3genE3ELNS1_11target_archE908ELNS1_3gpuE7ELNS1_3repE0EEENS1_38merge_mergepath_config_static_selectorELNS0_4arch9wavefront6targetE0EEEvSL_.num_named_barrier, 0
	.set _ZN7rocprim17ROCPRIM_400000_NS6detail17trampoline_kernelINS0_14default_configENS1_38merge_sort_block_merge_config_selectorIiNS0_10empty_typeEEEZZNS1_27merge_sort_block_merge_implIS3_N6thrust23THRUST_200600_302600_NS6detail15normal_iteratorINS9_10device_ptrIiEEEEPS5_jNS1_19radix_merge_compareILb0ELb0EiNS0_19identity_decomposerEEEEE10hipError_tT0_T1_T2_jT3_P12ihipStream_tbPNSt15iterator_traitsISK_E10value_typeEPNSQ_ISL_E10value_typeEPSM_NS1_7vsmem_tEENKUlT_SK_SL_SM_E_clIPiSE_SF_SF_EESJ_SZ_SK_SL_SM_EUlSZ_E0_NS1_11comp_targetILNS1_3genE3ELNS1_11target_archE908ELNS1_3gpuE7ELNS1_3repE0EEENS1_38merge_mergepath_config_static_selectorELNS0_4arch9wavefront6targetE0EEEvSL_.private_seg_size, 0
	.set _ZN7rocprim17ROCPRIM_400000_NS6detail17trampoline_kernelINS0_14default_configENS1_38merge_sort_block_merge_config_selectorIiNS0_10empty_typeEEEZZNS1_27merge_sort_block_merge_implIS3_N6thrust23THRUST_200600_302600_NS6detail15normal_iteratorINS9_10device_ptrIiEEEEPS5_jNS1_19radix_merge_compareILb0ELb0EiNS0_19identity_decomposerEEEEE10hipError_tT0_T1_T2_jT3_P12ihipStream_tbPNSt15iterator_traitsISK_E10value_typeEPNSQ_ISL_E10value_typeEPSM_NS1_7vsmem_tEENKUlT_SK_SL_SM_E_clIPiSE_SF_SF_EESJ_SZ_SK_SL_SM_EUlSZ_E0_NS1_11comp_targetILNS1_3genE3ELNS1_11target_archE908ELNS1_3gpuE7ELNS1_3repE0EEENS1_38merge_mergepath_config_static_selectorELNS0_4arch9wavefront6targetE0EEEvSL_.uses_vcc, 0
	.set _ZN7rocprim17ROCPRIM_400000_NS6detail17trampoline_kernelINS0_14default_configENS1_38merge_sort_block_merge_config_selectorIiNS0_10empty_typeEEEZZNS1_27merge_sort_block_merge_implIS3_N6thrust23THRUST_200600_302600_NS6detail15normal_iteratorINS9_10device_ptrIiEEEEPS5_jNS1_19radix_merge_compareILb0ELb0EiNS0_19identity_decomposerEEEEE10hipError_tT0_T1_T2_jT3_P12ihipStream_tbPNSt15iterator_traitsISK_E10value_typeEPNSQ_ISL_E10value_typeEPSM_NS1_7vsmem_tEENKUlT_SK_SL_SM_E_clIPiSE_SF_SF_EESJ_SZ_SK_SL_SM_EUlSZ_E0_NS1_11comp_targetILNS1_3genE3ELNS1_11target_archE908ELNS1_3gpuE7ELNS1_3repE0EEENS1_38merge_mergepath_config_static_selectorELNS0_4arch9wavefront6targetE0EEEvSL_.uses_flat_scratch, 0
	.set _ZN7rocprim17ROCPRIM_400000_NS6detail17trampoline_kernelINS0_14default_configENS1_38merge_sort_block_merge_config_selectorIiNS0_10empty_typeEEEZZNS1_27merge_sort_block_merge_implIS3_N6thrust23THRUST_200600_302600_NS6detail15normal_iteratorINS9_10device_ptrIiEEEEPS5_jNS1_19radix_merge_compareILb0ELb0EiNS0_19identity_decomposerEEEEE10hipError_tT0_T1_T2_jT3_P12ihipStream_tbPNSt15iterator_traitsISK_E10value_typeEPNSQ_ISL_E10value_typeEPSM_NS1_7vsmem_tEENKUlT_SK_SL_SM_E_clIPiSE_SF_SF_EESJ_SZ_SK_SL_SM_EUlSZ_E0_NS1_11comp_targetILNS1_3genE3ELNS1_11target_archE908ELNS1_3gpuE7ELNS1_3repE0EEENS1_38merge_mergepath_config_static_selectorELNS0_4arch9wavefront6targetE0EEEvSL_.has_dyn_sized_stack, 0
	.set _ZN7rocprim17ROCPRIM_400000_NS6detail17trampoline_kernelINS0_14default_configENS1_38merge_sort_block_merge_config_selectorIiNS0_10empty_typeEEEZZNS1_27merge_sort_block_merge_implIS3_N6thrust23THRUST_200600_302600_NS6detail15normal_iteratorINS9_10device_ptrIiEEEEPS5_jNS1_19radix_merge_compareILb0ELb0EiNS0_19identity_decomposerEEEEE10hipError_tT0_T1_T2_jT3_P12ihipStream_tbPNSt15iterator_traitsISK_E10value_typeEPNSQ_ISL_E10value_typeEPSM_NS1_7vsmem_tEENKUlT_SK_SL_SM_E_clIPiSE_SF_SF_EESJ_SZ_SK_SL_SM_EUlSZ_E0_NS1_11comp_targetILNS1_3genE3ELNS1_11target_archE908ELNS1_3gpuE7ELNS1_3repE0EEENS1_38merge_mergepath_config_static_selectorELNS0_4arch9wavefront6targetE0EEEvSL_.has_recursion, 0
	.set _ZN7rocprim17ROCPRIM_400000_NS6detail17trampoline_kernelINS0_14default_configENS1_38merge_sort_block_merge_config_selectorIiNS0_10empty_typeEEEZZNS1_27merge_sort_block_merge_implIS3_N6thrust23THRUST_200600_302600_NS6detail15normal_iteratorINS9_10device_ptrIiEEEEPS5_jNS1_19radix_merge_compareILb0ELb0EiNS0_19identity_decomposerEEEEE10hipError_tT0_T1_T2_jT3_P12ihipStream_tbPNSt15iterator_traitsISK_E10value_typeEPNSQ_ISL_E10value_typeEPSM_NS1_7vsmem_tEENKUlT_SK_SL_SM_E_clIPiSE_SF_SF_EESJ_SZ_SK_SL_SM_EUlSZ_E0_NS1_11comp_targetILNS1_3genE3ELNS1_11target_archE908ELNS1_3gpuE7ELNS1_3repE0EEENS1_38merge_mergepath_config_static_selectorELNS0_4arch9wavefront6targetE0EEEvSL_.has_indirect_call, 0
	.section	.AMDGPU.csdata,"",@progbits
; Kernel info:
; codeLenInByte = 0
; TotalNumSgprs: 0
; NumVgprs: 0
; ScratchSize: 0
; MemoryBound: 0
; FloatMode: 240
; IeeeMode: 1
; LDSByteSize: 0 bytes/workgroup (compile time only)
; SGPRBlocks: 0
; VGPRBlocks: 0
; NumSGPRsForWavesPerEU: 1
; NumVGPRsForWavesPerEU: 1
; Occupancy: 16
; WaveLimiterHint : 0
; COMPUTE_PGM_RSRC2:SCRATCH_EN: 0
; COMPUTE_PGM_RSRC2:USER_SGPR: 6
; COMPUTE_PGM_RSRC2:TRAP_HANDLER: 0
; COMPUTE_PGM_RSRC2:TGID_X_EN: 1
; COMPUTE_PGM_RSRC2:TGID_Y_EN: 0
; COMPUTE_PGM_RSRC2:TGID_Z_EN: 0
; COMPUTE_PGM_RSRC2:TIDIG_COMP_CNT: 0
	.section	.text._ZN7rocprim17ROCPRIM_400000_NS6detail17trampoline_kernelINS0_14default_configENS1_38merge_sort_block_merge_config_selectorIiNS0_10empty_typeEEEZZNS1_27merge_sort_block_merge_implIS3_N6thrust23THRUST_200600_302600_NS6detail15normal_iteratorINS9_10device_ptrIiEEEEPS5_jNS1_19radix_merge_compareILb0ELb0EiNS0_19identity_decomposerEEEEE10hipError_tT0_T1_T2_jT3_P12ihipStream_tbPNSt15iterator_traitsISK_E10value_typeEPNSQ_ISL_E10value_typeEPSM_NS1_7vsmem_tEENKUlT_SK_SL_SM_E_clIPiSE_SF_SF_EESJ_SZ_SK_SL_SM_EUlSZ_E0_NS1_11comp_targetILNS1_3genE2ELNS1_11target_archE906ELNS1_3gpuE6ELNS1_3repE0EEENS1_38merge_mergepath_config_static_selectorELNS0_4arch9wavefront6targetE0EEEvSL_,"axG",@progbits,_ZN7rocprim17ROCPRIM_400000_NS6detail17trampoline_kernelINS0_14default_configENS1_38merge_sort_block_merge_config_selectorIiNS0_10empty_typeEEEZZNS1_27merge_sort_block_merge_implIS3_N6thrust23THRUST_200600_302600_NS6detail15normal_iteratorINS9_10device_ptrIiEEEEPS5_jNS1_19radix_merge_compareILb0ELb0EiNS0_19identity_decomposerEEEEE10hipError_tT0_T1_T2_jT3_P12ihipStream_tbPNSt15iterator_traitsISK_E10value_typeEPNSQ_ISL_E10value_typeEPSM_NS1_7vsmem_tEENKUlT_SK_SL_SM_E_clIPiSE_SF_SF_EESJ_SZ_SK_SL_SM_EUlSZ_E0_NS1_11comp_targetILNS1_3genE2ELNS1_11target_archE906ELNS1_3gpuE6ELNS1_3repE0EEENS1_38merge_mergepath_config_static_selectorELNS0_4arch9wavefront6targetE0EEEvSL_,comdat
	.protected	_ZN7rocprim17ROCPRIM_400000_NS6detail17trampoline_kernelINS0_14default_configENS1_38merge_sort_block_merge_config_selectorIiNS0_10empty_typeEEEZZNS1_27merge_sort_block_merge_implIS3_N6thrust23THRUST_200600_302600_NS6detail15normal_iteratorINS9_10device_ptrIiEEEEPS5_jNS1_19radix_merge_compareILb0ELb0EiNS0_19identity_decomposerEEEEE10hipError_tT0_T1_T2_jT3_P12ihipStream_tbPNSt15iterator_traitsISK_E10value_typeEPNSQ_ISL_E10value_typeEPSM_NS1_7vsmem_tEENKUlT_SK_SL_SM_E_clIPiSE_SF_SF_EESJ_SZ_SK_SL_SM_EUlSZ_E0_NS1_11comp_targetILNS1_3genE2ELNS1_11target_archE906ELNS1_3gpuE6ELNS1_3repE0EEENS1_38merge_mergepath_config_static_selectorELNS0_4arch9wavefront6targetE0EEEvSL_ ; -- Begin function _ZN7rocprim17ROCPRIM_400000_NS6detail17trampoline_kernelINS0_14default_configENS1_38merge_sort_block_merge_config_selectorIiNS0_10empty_typeEEEZZNS1_27merge_sort_block_merge_implIS3_N6thrust23THRUST_200600_302600_NS6detail15normal_iteratorINS9_10device_ptrIiEEEEPS5_jNS1_19radix_merge_compareILb0ELb0EiNS0_19identity_decomposerEEEEE10hipError_tT0_T1_T2_jT3_P12ihipStream_tbPNSt15iterator_traitsISK_E10value_typeEPNSQ_ISL_E10value_typeEPSM_NS1_7vsmem_tEENKUlT_SK_SL_SM_E_clIPiSE_SF_SF_EESJ_SZ_SK_SL_SM_EUlSZ_E0_NS1_11comp_targetILNS1_3genE2ELNS1_11target_archE906ELNS1_3gpuE6ELNS1_3repE0EEENS1_38merge_mergepath_config_static_selectorELNS0_4arch9wavefront6targetE0EEEvSL_
	.globl	_ZN7rocprim17ROCPRIM_400000_NS6detail17trampoline_kernelINS0_14default_configENS1_38merge_sort_block_merge_config_selectorIiNS0_10empty_typeEEEZZNS1_27merge_sort_block_merge_implIS3_N6thrust23THRUST_200600_302600_NS6detail15normal_iteratorINS9_10device_ptrIiEEEEPS5_jNS1_19radix_merge_compareILb0ELb0EiNS0_19identity_decomposerEEEEE10hipError_tT0_T1_T2_jT3_P12ihipStream_tbPNSt15iterator_traitsISK_E10value_typeEPNSQ_ISL_E10value_typeEPSM_NS1_7vsmem_tEENKUlT_SK_SL_SM_E_clIPiSE_SF_SF_EESJ_SZ_SK_SL_SM_EUlSZ_E0_NS1_11comp_targetILNS1_3genE2ELNS1_11target_archE906ELNS1_3gpuE6ELNS1_3repE0EEENS1_38merge_mergepath_config_static_selectorELNS0_4arch9wavefront6targetE0EEEvSL_
	.p2align	8
	.type	_ZN7rocprim17ROCPRIM_400000_NS6detail17trampoline_kernelINS0_14default_configENS1_38merge_sort_block_merge_config_selectorIiNS0_10empty_typeEEEZZNS1_27merge_sort_block_merge_implIS3_N6thrust23THRUST_200600_302600_NS6detail15normal_iteratorINS9_10device_ptrIiEEEEPS5_jNS1_19radix_merge_compareILb0ELb0EiNS0_19identity_decomposerEEEEE10hipError_tT0_T1_T2_jT3_P12ihipStream_tbPNSt15iterator_traitsISK_E10value_typeEPNSQ_ISL_E10value_typeEPSM_NS1_7vsmem_tEENKUlT_SK_SL_SM_E_clIPiSE_SF_SF_EESJ_SZ_SK_SL_SM_EUlSZ_E0_NS1_11comp_targetILNS1_3genE2ELNS1_11target_archE906ELNS1_3gpuE6ELNS1_3repE0EEENS1_38merge_mergepath_config_static_selectorELNS0_4arch9wavefront6targetE0EEEvSL_,@function
_ZN7rocprim17ROCPRIM_400000_NS6detail17trampoline_kernelINS0_14default_configENS1_38merge_sort_block_merge_config_selectorIiNS0_10empty_typeEEEZZNS1_27merge_sort_block_merge_implIS3_N6thrust23THRUST_200600_302600_NS6detail15normal_iteratorINS9_10device_ptrIiEEEEPS5_jNS1_19radix_merge_compareILb0ELb0EiNS0_19identity_decomposerEEEEE10hipError_tT0_T1_T2_jT3_P12ihipStream_tbPNSt15iterator_traitsISK_E10value_typeEPNSQ_ISL_E10value_typeEPSM_NS1_7vsmem_tEENKUlT_SK_SL_SM_E_clIPiSE_SF_SF_EESJ_SZ_SK_SL_SM_EUlSZ_E0_NS1_11comp_targetILNS1_3genE2ELNS1_11target_archE906ELNS1_3gpuE6ELNS1_3repE0EEENS1_38merge_mergepath_config_static_selectorELNS0_4arch9wavefront6targetE0EEEvSL_: ; @_ZN7rocprim17ROCPRIM_400000_NS6detail17trampoline_kernelINS0_14default_configENS1_38merge_sort_block_merge_config_selectorIiNS0_10empty_typeEEEZZNS1_27merge_sort_block_merge_implIS3_N6thrust23THRUST_200600_302600_NS6detail15normal_iteratorINS9_10device_ptrIiEEEEPS5_jNS1_19radix_merge_compareILb0ELb0EiNS0_19identity_decomposerEEEEE10hipError_tT0_T1_T2_jT3_P12ihipStream_tbPNSt15iterator_traitsISK_E10value_typeEPNSQ_ISL_E10value_typeEPSM_NS1_7vsmem_tEENKUlT_SK_SL_SM_E_clIPiSE_SF_SF_EESJ_SZ_SK_SL_SM_EUlSZ_E0_NS1_11comp_targetILNS1_3genE2ELNS1_11target_archE906ELNS1_3gpuE6ELNS1_3repE0EEENS1_38merge_mergepath_config_static_selectorELNS0_4arch9wavefront6targetE0EEEvSL_
; %bb.0:
	.section	.rodata,"a",@progbits
	.p2align	6, 0x0
	.amdhsa_kernel _ZN7rocprim17ROCPRIM_400000_NS6detail17trampoline_kernelINS0_14default_configENS1_38merge_sort_block_merge_config_selectorIiNS0_10empty_typeEEEZZNS1_27merge_sort_block_merge_implIS3_N6thrust23THRUST_200600_302600_NS6detail15normal_iteratorINS9_10device_ptrIiEEEEPS5_jNS1_19radix_merge_compareILb0ELb0EiNS0_19identity_decomposerEEEEE10hipError_tT0_T1_T2_jT3_P12ihipStream_tbPNSt15iterator_traitsISK_E10value_typeEPNSQ_ISL_E10value_typeEPSM_NS1_7vsmem_tEENKUlT_SK_SL_SM_E_clIPiSE_SF_SF_EESJ_SZ_SK_SL_SM_EUlSZ_E0_NS1_11comp_targetILNS1_3genE2ELNS1_11target_archE906ELNS1_3gpuE6ELNS1_3repE0EEENS1_38merge_mergepath_config_static_selectorELNS0_4arch9wavefront6targetE0EEEvSL_
		.amdhsa_group_segment_fixed_size 0
		.amdhsa_private_segment_fixed_size 0
		.amdhsa_kernarg_size 64
		.amdhsa_user_sgpr_count 6
		.amdhsa_user_sgpr_private_segment_buffer 1
		.amdhsa_user_sgpr_dispatch_ptr 0
		.amdhsa_user_sgpr_queue_ptr 0
		.amdhsa_user_sgpr_kernarg_segment_ptr 1
		.amdhsa_user_sgpr_dispatch_id 0
		.amdhsa_user_sgpr_flat_scratch_init 0
		.amdhsa_user_sgpr_private_segment_size 0
		.amdhsa_wavefront_size32 1
		.amdhsa_uses_dynamic_stack 0
		.amdhsa_system_sgpr_private_segment_wavefront_offset 0
		.amdhsa_system_sgpr_workgroup_id_x 1
		.amdhsa_system_sgpr_workgroup_id_y 0
		.amdhsa_system_sgpr_workgroup_id_z 0
		.amdhsa_system_sgpr_workgroup_info 0
		.amdhsa_system_vgpr_workitem_id 0
		.amdhsa_next_free_vgpr 1
		.amdhsa_next_free_sgpr 1
		.amdhsa_reserve_vcc 0
		.amdhsa_reserve_flat_scratch 0
		.amdhsa_float_round_mode_32 0
		.amdhsa_float_round_mode_16_64 0
		.amdhsa_float_denorm_mode_32 3
		.amdhsa_float_denorm_mode_16_64 3
		.amdhsa_dx10_clamp 1
		.amdhsa_ieee_mode 1
		.amdhsa_fp16_overflow 0
		.amdhsa_workgroup_processor_mode 1
		.amdhsa_memory_ordered 1
		.amdhsa_forward_progress 1
		.amdhsa_shared_vgpr_count 0
		.amdhsa_exception_fp_ieee_invalid_op 0
		.amdhsa_exception_fp_denorm_src 0
		.amdhsa_exception_fp_ieee_div_zero 0
		.amdhsa_exception_fp_ieee_overflow 0
		.amdhsa_exception_fp_ieee_underflow 0
		.amdhsa_exception_fp_ieee_inexact 0
		.amdhsa_exception_int_div_zero 0
	.end_amdhsa_kernel
	.section	.text._ZN7rocprim17ROCPRIM_400000_NS6detail17trampoline_kernelINS0_14default_configENS1_38merge_sort_block_merge_config_selectorIiNS0_10empty_typeEEEZZNS1_27merge_sort_block_merge_implIS3_N6thrust23THRUST_200600_302600_NS6detail15normal_iteratorINS9_10device_ptrIiEEEEPS5_jNS1_19radix_merge_compareILb0ELb0EiNS0_19identity_decomposerEEEEE10hipError_tT0_T1_T2_jT3_P12ihipStream_tbPNSt15iterator_traitsISK_E10value_typeEPNSQ_ISL_E10value_typeEPSM_NS1_7vsmem_tEENKUlT_SK_SL_SM_E_clIPiSE_SF_SF_EESJ_SZ_SK_SL_SM_EUlSZ_E0_NS1_11comp_targetILNS1_3genE2ELNS1_11target_archE906ELNS1_3gpuE6ELNS1_3repE0EEENS1_38merge_mergepath_config_static_selectorELNS0_4arch9wavefront6targetE0EEEvSL_,"axG",@progbits,_ZN7rocprim17ROCPRIM_400000_NS6detail17trampoline_kernelINS0_14default_configENS1_38merge_sort_block_merge_config_selectorIiNS0_10empty_typeEEEZZNS1_27merge_sort_block_merge_implIS3_N6thrust23THRUST_200600_302600_NS6detail15normal_iteratorINS9_10device_ptrIiEEEEPS5_jNS1_19radix_merge_compareILb0ELb0EiNS0_19identity_decomposerEEEEE10hipError_tT0_T1_T2_jT3_P12ihipStream_tbPNSt15iterator_traitsISK_E10value_typeEPNSQ_ISL_E10value_typeEPSM_NS1_7vsmem_tEENKUlT_SK_SL_SM_E_clIPiSE_SF_SF_EESJ_SZ_SK_SL_SM_EUlSZ_E0_NS1_11comp_targetILNS1_3genE2ELNS1_11target_archE906ELNS1_3gpuE6ELNS1_3repE0EEENS1_38merge_mergepath_config_static_selectorELNS0_4arch9wavefront6targetE0EEEvSL_,comdat
.Lfunc_end32:
	.size	_ZN7rocprim17ROCPRIM_400000_NS6detail17trampoline_kernelINS0_14default_configENS1_38merge_sort_block_merge_config_selectorIiNS0_10empty_typeEEEZZNS1_27merge_sort_block_merge_implIS3_N6thrust23THRUST_200600_302600_NS6detail15normal_iteratorINS9_10device_ptrIiEEEEPS5_jNS1_19radix_merge_compareILb0ELb0EiNS0_19identity_decomposerEEEEE10hipError_tT0_T1_T2_jT3_P12ihipStream_tbPNSt15iterator_traitsISK_E10value_typeEPNSQ_ISL_E10value_typeEPSM_NS1_7vsmem_tEENKUlT_SK_SL_SM_E_clIPiSE_SF_SF_EESJ_SZ_SK_SL_SM_EUlSZ_E0_NS1_11comp_targetILNS1_3genE2ELNS1_11target_archE906ELNS1_3gpuE6ELNS1_3repE0EEENS1_38merge_mergepath_config_static_selectorELNS0_4arch9wavefront6targetE0EEEvSL_, .Lfunc_end32-_ZN7rocprim17ROCPRIM_400000_NS6detail17trampoline_kernelINS0_14default_configENS1_38merge_sort_block_merge_config_selectorIiNS0_10empty_typeEEEZZNS1_27merge_sort_block_merge_implIS3_N6thrust23THRUST_200600_302600_NS6detail15normal_iteratorINS9_10device_ptrIiEEEEPS5_jNS1_19radix_merge_compareILb0ELb0EiNS0_19identity_decomposerEEEEE10hipError_tT0_T1_T2_jT3_P12ihipStream_tbPNSt15iterator_traitsISK_E10value_typeEPNSQ_ISL_E10value_typeEPSM_NS1_7vsmem_tEENKUlT_SK_SL_SM_E_clIPiSE_SF_SF_EESJ_SZ_SK_SL_SM_EUlSZ_E0_NS1_11comp_targetILNS1_3genE2ELNS1_11target_archE906ELNS1_3gpuE6ELNS1_3repE0EEENS1_38merge_mergepath_config_static_selectorELNS0_4arch9wavefront6targetE0EEEvSL_
                                        ; -- End function
	.set _ZN7rocprim17ROCPRIM_400000_NS6detail17trampoline_kernelINS0_14default_configENS1_38merge_sort_block_merge_config_selectorIiNS0_10empty_typeEEEZZNS1_27merge_sort_block_merge_implIS3_N6thrust23THRUST_200600_302600_NS6detail15normal_iteratorINS9_10device_ptrIiEEEEPS5_jNS1_19radix_merge_compareILb0ELb0EiNS0_19identity_decomposerEEEEE10hipError_tT0_T1_T2_jT3_P12ihipStream_tbPNSt15iterator_traitsISK_E10value_typeEPNSQ_ISL_E10value_typeEPSM_NS1_7vsmem_tEENKUlT_SK_SL_SM_E_clIPiSE_SF_SF_EESJ_SZ_SK_SL_SM_EUlSZ_E0_NS1_11comp_targetILNS1_3genE2ELNS1_11target_archE906ELNS1_3gpuE6ELNS1_3repE0EEENS1_38merge_mergepath_config_static_selectorELNS0_4arch9wavefront6targetE0EEEvSL_.num_vgpr, 0
	.set _ZN7rocprim17ROCPRIM_400000_NS6detail17trampoline_kernelINS0_14default_configENS1_38merge_sort_block_merge_config_selectorIiNS0_10empty_typeEEEZZNS1_27merge_sort_block_merge_implIS3_N6thrust23THRUST_200600_302600_NS6detail15normal_iteratorINS9_10device_ptrIiEEEEPS5_jNS1_19radix_merge_compareILb0ELb0EiNS0_19identity_decomposerEEEEE10hipError_tT0_T1_T2_jT3_P12ihipStream_tbPNSt15iterator_traitsISK_E10value_typeEPNSQ_ISL_E10value_typeEPSM_NS1_7vsmem_tEENKUlT_SK_SL_SM_E_clIPiSE_SF_SF_EESJ_SZ_SK_SL_SM_EUlSZ_E0_NS1_11comp_targetILNS1_3genE2ELNS1_11target_archE906ELNS1_3gpuE6ELNS1_3repE0EEENS1_38merge_mergepath_config_static_selectorELNS0_4arch9wavefront6targetE0EEEvSL_.num_agpr, 0
	.set _ZN7rocprim17ROCPRIM_400000_NS6detail17trampoline_kernelINS0_14default_configENS1_38merge_sort_block_merge_config_selectorIiNS0_10empty_typeEEEZZNS1_27merge_sort_block_merge_implIS3_N6thrust23THRUST_200600_302600_NS6detail15normal_iteratorINS9_10device_ptrIiEEEEPS5_jNS1_19radix_merge_compareILb0ELb0EiNS0_19identity_decomposerEEEEE10hipError_tT0_T1_T2_jT3_P12ihipStream_tbPNSt15iterator_traitsISK_E10value_typeEPNSQ_ISL_E10value_typeEPSM_NS1_7vsmem_tEENKUlT_SK_SL_SM_E_clIPiSE_SF_SF_EESJ_SZ_SK_SL_SM_EUlSZ_E0_NS1_11comp_targetILNS1_3genE2ELNS1_11target_archE906ELNS1_3gpuE6ELNS1_3repE0EEENS1_38merge_mergepath_config_static_selectorELNS0_4arch9wavefront6targetE0EEEvSL_.numbered_sgpr, 0
	.set _ZN7rocprim17ROCPRIM_400000_NS6detail17trampoline_kernelINS0_14default_configENS1_38merge_sort_block_merge_config_selectorIiNS0_10empty_typeEEEZZNS1_27merge_sort_block_merge_implIS3_N6thrust23THRUST_200600_302600_NS6detail15normal_iteratorINS9_10device_ptrIiEEEEPS5_jNS1_19radix_merge_compareILb0ELb0EiNS0_19identity_decomposerEEEEE10hipError_tT0_T1_T2_jT3_P12ihipStream_tbPNSt15iterator_traitsISK_E10value_typeEPNSQ_ISL_E10value_typeEPSM_NS1_7vsmem_tEENKUlT_SK_SL_SM_E_clIPiSE_SF_SF_EESJ_SZ_SK_SL_SM_EUlSZ_E0_NS1_11comp_targetILNS1_3genE2ELNS1_11target_archE906ELNS1_3gpuE6ELNS1_3repE0EEENS1_38merge_mergepath_config_static_selectorELNS0_4arch9wavefront6targetE0EEEvSL_.num_named_barrier, 0
	.set _ZN7rocprim17ROCPRIM_400000_NS6detail17trampoline_kernelINS0_14default_configENS1_38merge_sort_block_merge_config_selectorIiNS0_10empty_typeEEEZZNS1_27merge_sort_block_merge_implIS3_N6thrust23THRUST_200600_302600_NS6detail15normal_iteratorINS9_10device_ptrIiEEEEPS5_jNS1_19radix_merge_compareILb0ELb0EiNS0_19identity_decomposerEEEEE10hipError_tT0_T1_T2_jT3_P12ihipStream_tbPNSt15iterator_traitsISK_E10value_typeEPNSQ_ISL_E10value_typeEPSM_NS1_7vsmem_tEENKUlT_SK_SL_SM_E_clIPiSE_SF_SF_EESJ_SZ_SK_SL_SM_EUlSZ_E0_NS1_11comp_targetILNS1_3genE2ELNS1_11target_archE906ELNS1_3gpuE6ELNS1_3repE0EEENS1_38merge_mergepath_config_static_selectorELNS0_4arch9wavefront6targetE0EEEvSL_.private_seg_size, 0
	.set _ZN7rocprim17ROCPRIM_400000_NS6detail17trampoline_kernelINS0_14default_configENS1_38merge_sort_block_merge_config_selectorIiNS0_10empty_typeEEEZZNS1_27merge_sort_block_merge_implIS3_N6thrust23THRUST_200600_302600_NS6detail15normal_iteratorINS9_10device_ptrIiEEEEPS5_jNS1_19radix_merge_compareILb0ELb0EiNS0_19identity_decomposerEEEEE10hipError_tT0_T1_T2_jT3_P12ihipStream_tbPNSt15iterator_traitsISK_E10value_typeEPNSQ_ISL_E10value_typeEPSM_NS1_7vsmem_tEENKUlT_SK_SL_SM_E_clIPiSE_SF_SF_EESJ_SZ_SK_SL_SM_EUlSZ_E0_NS1_11comp_targetILNS1_3genE2ELNS1_11target_archE906ELNS1_3gpuE6ELNS1_3repE0EEENS1_38merge_mergepath_config_static_selectorELNS0_4arch9wavefront6targetE0EEEvSL_.uses_vcc, 0
	.set _ZN7rocprim17ROCPRIM_400000_NS6detail17trampoline_kernelINS0_14default_configENS1_38merge_sort_block_merge_config_selectorIiNS0_10empty_typeEEEZZNS1_27merge_sort_block_merge_implIS3_N6thrust23THRUST_200600_302600_NS6detail15normal_iteratorINS9_10device_ptrIiEEEEPS5_jNS1_19radix_merge_compareILb0ELb0EiNS0_19identity_decomposerEEEEE10hipError_tT0_T1_T2_jT3_P12ihipStream_tbPNSt15iterator_traitsISK_E10value_typeEPNSQ_ISL_E10value_typeEPSM_NS1_7vsmem_tEENKUlT_SK_SL_SM_E_clIPiSE_SF_SF_EESJ_SZ_SK_SL_SM_EUlSZ_E0_NS1_11comp_targetILNS1_3genE2ELNS1_11target_archE906ELNS1_3gpuE6ELNS1_3repE0EEENS1_38merge_mergepath_config_static_selectorELNS0_4arch9wavefront6targetE0EEEvSL_.uses_flat_scratch, 0
	.set _ZN7rocprim17ROCPRIM_400000_NS6detail17trampoline_kernelINS0_14default_configENS1_38merge_sort_block_merge_config_selectorIiNS0_10empty_typeEEEZZNS1_27merge_sort_block_merge_implIS3_N6thrust23THRUST_200600_302600_NS6detail15normal_iteratorINS9_10device_ptrIiEEEEPS5_jNS1_19radix_merge_compareILb0ELb0EiNS0_19identity_decomposerEEEEE10hipError_tT0_T1_T2_jT3_P12ihipStream_tbPNSt15iterator_traitsISK_E10value_typeEPNSQ_ISL_E10value_typeEPSM_NS1_7vsmem_tEENKUlT_SK_SL_SM_E_clIPiSE_SF_SF_EESJ_SZ_SK_SL_SM_EUlSZ_E0_NS1_11comp_targetILNS1_3genE2ELNS1_11target_archE906ELNS1_3gpuE6ELNS1_3repE0EEENS1_38merge_mergepath_config_static_selectorELNS0_4arch9wavefront6targetE0EEEvSL_.has_dyn_sized_stack, 0
	.set _ZN7rocprim17ROCPRIM_400000_NS6detail17trampoline_kernelINS0_14default_configENS1_38merge_sort_block_merge_config_selectorIiNS0_10empty_typeEEEZZNS1_27merge_sort_block_merge_implIS3_N6thrust23THRUST_200600_302600_NS6detail15normal_iteratorINS9_10device_ptrIiEEEEPS5_jNS1_19radix_merge_compareILb0ELb0EiNS0_19identity_decomposerEEEEE10hipError_tT0_T1_T2_jT3_P12ihipStream_tbPNSt15iterator_traitsISK_E10value_typeEPNSQ_ISL_E10value_typeEPSM_NS1_7vsmem_tEENKUlT_SK_SL_SM_E_clIPiSE_SF_SF_EESJ_SZ_SK_SL_SM_EUlSZ_E0_NS1_11comp_targetILNS1_3genE2ELNS1_11target_archE906ELNS1_3gpuE6ELNS1_3repE0EEENS1_38merge_mergepath_config_static_selectorELNS0_4arch9wavefront6targetE0EEEvSL_.has_recursion, 0
	.set _ZN7rocprim17ROCPRIM_400000_NS6detail17trampoline_kernelINS0_14default_configENS1_38merge_sort_block_merge_config_selectorIiNS0_10empty_typeEEEZZNS1_27merge_sort_block_merge_implIS3_N6thrust23THRUST_200600_302600_NS6detail15normal_iteratorINS9_10device_ptrIiEEEEPS5_jNS1_19radix_merge_compareILb0ELb0EiNS0_19identity_decomposerEEEEE10hipError_tT0_T1_T2_jT3_P12ihipStream_tbPNSt15iterator_traitsISK_E10value_typeEPNSQ_ISL_E10value_typeEPSM_NS1_7vsmem_tEENKUlT_SK_SL_SM_E_clIPiSE_SF_SF_EESJ_SZ_SK_SL_SM_EUlSZ_E0_NS1_11comp_targetILNS1_3genE2ELNS1_11target_archE906ELNS1_3gpuE6ELNS1_3repE0EEENS1_38merge_mergepath_config_static_selectorELNS0_4arch9wavefront6targetE0EEEvSL_.has_indirect_call, 0
	.section	.AMDGPU.csdata,"",@progbits
; Kernel info:
; codeLenInByte = 0
; TotalNumSgprs: 0
; NumVgprs: 0
; ScratchSize: 0
; MemoryBound: 0
; FloatMode: 240
; IeeeMode: 1
; LDSByteSize: 0 bytes/workgroup (compile time only)
; SGPRBlocks: 0
; VGPRBlocks: 0
; NumSGPRsForWavesPerEU: 1
; NumVGPRsForWavesPerEU: 1
; Occupancy: 16
; WaveLimiterHint : 0
; COMPUTE_PGM_RSRC2:SCRATCH_EN: 0
; COMPUTE_PGM_RSRC2:USER_SGPR: 6
; COMPUTE_PGM_RSRC2:TRAP_HANDLER: 0
; COMPUTE_PGM_RSRC2:TGID_X_EN: 1
; COMPUTE_PGM_RSRC2:TGID_Y_EN: 0
; COMPUTE_PGM_RSRC2:TGID_Z_EN: 0
; COMPUTE_PGM_RSRC2:TIDIG_COMP_CNT: 0
	.section	.text._ZN7rocprim17ROCPRIM_400000_NS6detail17trampoline_kernelINS0_14default_configENS1_38merge_sort_block_merge_config_selectorIiNS0_10empty_typeEEEZZNS1_27merge_sort_block_merge_implIS3_N6thrust23THRUST_200600_302600_NS6detail15normal_iteratorINS9_10device_ptrIiEEEEPS5_jNS1_19radix_merge_compareILb0ELb0EiNS0_19identity_decomposerEEEEE10hipError_tT0_T1_T2_jT3_P12ihipStream_tbPNSt15iterator_traitsISK_E10value_typeEPNSQ_ISL_E10value_typeEPSM_NS1_7vsmem_tEENKUlT_SK_SL_SM_E_clIPiSE_SF_SF_EESJ_SZ_SK_SL_SM_EUlSZ_E0_NS1_11comp_targetILNS1_3genE9ELNS1_11target_archE1100ELNS1_3gpuE3ELNS1_3repE0EEENS1_38merge_mergepath_config_static_selectorELNS0_4arch9wavefront6targetE0EEEvSL_,"axG",@progbits,_ZN7rocprim17ROCPRIM_400000_NS6detail17trampoline_kernelINS0_14default_configENS1_38merge_sort_block_merge_config_selectorIiNS0_10empty_typeEEEZZNS1_27merge_sort_block_merge_implIS3_N6thrust23THRUST_200600_302600_NS6detail15normal_iteratorINS9_10device_ptrIiEEEEPS5_jNS1_19radix_merge_compareILb0ELb0EiNS0_19identity_decomposerEEEEE10hipError_tT0_T1_T2_jT3_P12ihipStream_tbPNSt15iterator_traitsISK_E10value_typeEPNSQ_ISL_E10value_typeEPSM_NS1_7vsmem_tEENKUlT_SK_SL_SM_E_clIPiSE_SF_SF_EESJ_SZ_SK_SL_SM_EUlSZ_E0_NS1_11comp_targetILNS1_3genE9ELNS1_11target_archE1100ELNS1_3gpuE3ELNS1_3repE0EEENS1_38merge_mergepath_config_static_selectorELNS0_4arch9wavefront6targetE0EEEvSL_,comdat
	.protected	_ZN7rocprim17ROCPRIM_400000_NS6detail17trampoline_kernelINS0_14default_configENS1_38merge_sort_block_merge_config_selectorIiNS0_10empty_typeEEEZZNS1_27merge_sort_block_merge_implIS3_N6thrust23THRUST_200600_302600_NS6detail15normal_iteratorINS9_10device_ptrIiEEEEPS5_jNS1_19radix_merge_compareILb0ELb0EiNS0_19identity_decomposerEEEEE10hipError_tT0_T1_T2_jT3_P12ihipStream_tbPNSt15iterator_traitsISK_E10value_typeEPNSQ_ISL_E10value_typeEPSM_NS1_7vsmem_tEENKUlT_SK_SL_SM_E_clIPiSE_SF_SF_EESJ_SZ_SK_SL_SM_EUlSZ_E0_NS1_11comp_targetILNS1_3genE9ELNS1_11target_archE1100ELNS1_3gpuE3ELNS1_3repE0EEENS1_38merge_mergepath_config_static_selectorELNS0_4arch9wavefront6targetE0EEEvSL_ ; -- Begin function _ZN7rocprim17ROCPRIM_400000_NS6detail17trampoline_kernelINS0_14default_configENS1_38merge_sort_block_merge_config_selectorIiNS0_10empty_typeEEEZZNS1_27merge_sort_block_merge_implIS3_N6thrust23THRUST_200600_302600_NS6detail15normal_iteratorINS9_10device_ptrIiEEEEPS5_jNS1_19radix_merge_compareILb0ELb0EiNS0_19identity_decomposerEEEEE10hipError_tT0_T1_T2_jT3_P12ihipStream_tbPNSt15iterator_traitsISK_E10value_typeEPNSQ_ISL_E10value_typeEPSM_NS1_7vsmem_tEENKUlT_SK_SL_SM_E_clIPiSE_SF_SF_EESJ_SZ_SK_SL_SM_EUlSZ_E0_NS1_11comp_targetILNS1_3genE9ELNS1_11target_archE1100ELNS1_3gpuE3ELNS1_3repE0EEENS1_38merge_mergepath_config_static_selectorELNS0_4arch9wavefront6targetE0EEEvSL_
	.globl	_ZN7rocprim17ROCPRIM_400000_NS6detail17trampoline_kernelINS0_14default_configENS1_38merge_sort_block_merge_config_selectorIiNS0_10empty_typeEEEZZNS1_27merge_sort_block_merge_implIS3_N6thrust23THRUST_200600_302600_NS6detail15normal_iteratorINS9_10device_ptrIiEEEEPS5_jNS1_19radix_merge_compareILb0ELb0EiNS0_19identity_decomposerEEEEE10hipError_tT0_T1_T2_jT3_P12ihipStream_tbPNSt15iterator_traitsISK_E10value_typeEPNSQ_ISL_E10value_typeEPSM_NS1_7vsmem_tEENKUlT_SK_SL_SM_E_clIPiSE_SF_SF_EESJ_SZ_SK_SL_SM_EUlSZ_E0_NS1_11comp_targetILNS1_3genE9ELNS1_11target_archE1100ELNS1_3gpuE3ELNS1_3repE0EEENS1_38merge_mergepath_config_static_selectorELNS0_4arch9wavefront6targetE0EEEvSL_
	.p2align	8
	.type	_ZN7rocprim17ROCPRIM_400000_NS6detail17trampoline_kernelINS0_14default_configENS1_38merge_sort_block_merge_config_selectorIiNS0_10empty_typeEEEZZNS1_27merge_sort_block_merge_implIS3_N6thrust23THRUST_200600_302600_NS6detail15normal_iteratorINS9_10device_ptrIiEEEEPS5_jNS1_19radix_merge_compareILb0ELb0EiNS0_19identity_decomposerEEEEE10hipError_tT0_T1_T2_jT3_P12ihipStream_tbPNSt15iterator_traitsISK_E10value_typeEPNSQ_ISL_E10value_typeEPSM_NS1_7vsmem_tEENKUlT_SK_SL_SM_E_clIPiSE_SF_SF_EESJ_SZ_SK_SL_SM_EUlSZ_E0_NS1_11comp_targetILNS1_3genE9ELNS1_11target_archE1100ELNS1_3gpuE3ELNS1_3repE0EEENS1_38merge_mergepath_config_static_selectorELNS0_4arch9wavefront6targetE0EEEvSL_,@function
_ZN7rocprim17ROCPRIM_400000_NS6detail17trampoline_kernelINS0_14default_configENS1_38merge_sort_block_merge_config_selectorIiNS0_10empty_typeEEEZZNS1_27merge_sort_block_merge_implIS3_N6thrust23THRUST_200600_302600_NS6detail15normal_iteratorINS9_10device_ptrIiEEEEPS5_jNS1_19radix_merge_compareILb0ELb0EiNS0_19identity_decomposerEEEEE10hipError_tT0_T1_T2_jT3_P12ihipStream_tbPNSt15iterator_traitsISK_E10value_typeEPNSQ_ISL_E10value_typeEPSM_NS1_7vsmem_tEENKUlT_SK_SL_SM_E_clIPiSE_SF_SF_EESJ_SZ_SK_SL_SM_EUlSZ_E0_NS1_11comp_targetILNS1_3genE9ELNS1_11target_archE1100ELNS1_3gpuE3ELNS1_3repE0EEENS1_38merge_mergepath_config_static_selectorELNS0_4arch9wavefront6targetE0EEEvSL_: ; @_ZN7rocprim17ROCPRIM_400000_NS6detail17trampoline_kernelINS0_14default_configENS1_38merge_sort_block_merge_config_selectorIiNS0_10empty_typeEEEZZNS1_27merge_sort_block_merge_implIS3_N6thrust23THRUST_200600_302600_NS6detail15normal_iteratorINS9_10device_ptrIiEEEEPS5_jNS1_19radix_merge_compareILb0ELb0EiNS0_19identity_decomposerEEEEE10hipError_tT0_T1_T2_jT3_P12ihipStream_tbPNSt15iterator_traitsISK_E10value_typeEPNSQ_ISL_E10value_typeEPSM_NS1_7vsmem_tEENKUlT_SK_SL_SM_E_clIPiSE_SF_SF_EESJ_SZ_SK_SL_SM_EUlSZ_E0_NS1_11comp_targetILNS1_3genE9ELNS1_11target_archE1100ELNS1_3gpuE3ELNS1_3repE0EEENS1_38merge_mergepath_config_static_selectorELNS0_4arch9wavefront6targetE0EEEvSL_
; %bb.0:
	.section	.rodata,"a",@progbits
	.p2align	6, 0x0
	.amdhsa_kernel _ZN7rocprim17ROCPRIM_400000_NS6detail17trampoline_kernelINS0_14default_configENS1_38merge_sort_block_merge_config_selectorIiNS0_10empty_typeEEEZZNS1_27merge_sort_block_merge_implIS3_N6thrust23THRUST_200600_302600_NS6detail15normal_iteratorINS9_10device_ptrIiEEEEPS5_jNS1_19radix_merge_compareILb0ELb0EiNS0_19identity_decomposerEEEEE10hipError_tT0_T1_T2_jT3_P12ihipStream_tbPNSt15iterator_traitsISK_E10value_typeEPNSQ_ISL_E10value_typeEPSM_NS1_7vsmem_tEENKUlT_SK_SL_SM_E_clIPiSE_SF_SF_EESJ_SZ_SK_SL_SM_EUlSZ_E0_NS1_11comp_targetILNS1_3genE9ELNS1_11target_archE1100ELNS1_3gpuE3ELNS1_3repE0EEENS1_38merge_mergepath_config_static_selectorELNS0_4arch9wavefront6targetE0EEEvSL_
		.amdhsa_group_segment_fixed_size 0
		.amdhsa_private_segment_fixed_size 0
		.amdhsa_kernarg_size 64
		.amdhsa_user_sgpr_count 6
		.amdhsa_user_sgpr_private_segment_buffer 1
		.amdhsa_user_sgpr_dispatch_ptr 0
		.amdhsa_user_sgpr_queue_ptr 0
		.amdhsa_user_sgpr_kernarg_segment_ptr 1
		.amdhsa_user_sgpr_dispatch_id 0
		.amdhsa_user_sgpr_flat_scratch_init 0
		.amdhsa_user_sgpr_private_segment_size 0
		.amdhsa_wavefront_size32 1
		.amdhsa_uses_dynamic_stack 0
		.amdhsa_system_sgpr_private_segment_wavefront_offset 0
		.amdhsa_system_sgpr_workgroup_id_x 1
		.amdhsa_system_sgpr_workgroup_id_y 0
		.amdhsa_system_sgpr_workgroup_id_z 0
		.amdhsa_system_sgpr_workgroup_info 0
		.amdhsa_system_vgpr_workitem_id 0
		.amdhsa_next_free_vgpr 1
		.amdhsa_next_free_sgpr 1
		.amdhsa_reserve_vcc 0
		.amdhsa_reserve_flat_scratch 0
		.amdhsa_float_round_mode_32 0
		.amdhsa_float_round_mode_16_64 0
		.amdhsa_float_denorm_mode_32 3
		.amdhsa_float_denorm_mode_16_64 3
		.amdhsa_dx10_clamp 1
		.amdhsa_ieee_mode 1
		.amdhsa_fp16_overflow 0
		.amdhsa_workgroup_processor_mode 1
		.amdhsa_memory_ordered 1
		.amdhsa_forward_progress 1
		.amdhsa_shared_vgpr_count 0
		.amdhsa_exception_fp_ieee_invalid_op 0
		.amdhsa_exception_fp_denorm_src 0
		.amdhsa_exception_fp_ieee_div_zero 0
		.amdhsa_exception_fp_ieee_overflow 0
		.amdhsa_exception_fp_ieee_underflow 0
		.amdhsa_exception_fp_ieee_inexact 0
		.amdhsa_exception_int_div_zero 0
	.end_amdhsa_kernel
	.section	.text._ZN7rocprim17ROCPRIM_400000_NS6detail17trampoline_kernelINS0_14default_configENS1_38merge_sort_block_merge_config_selectorIiNS0_10empty_typeEEEZZNS1_27merge_sort_block_merge_implIS3_N6thrust23THRUST_200600_302600_NS6detail15normal_iteratorINS9_10device_ptrIiEEEEPS5_jNS1_19radix_merge_compareILb0ELb0EiNS0_19identity_decomposerEEEEE10hipError_tT0_T1_T2_jT3_P12ihipStream_tbPNSt15iterator_traitsISK_E10value_typeEPNSQ_ISL_E10value_typeEPSM_NS1_7vsmem_tEENKUlT_SK_SL_SM_E_clIPiSE_SF_SF_EESJ_SZ_SK_SL_SM_EUlSZ_E0_NS1_11comp_targetILNS1_3genE9ELNS1_11target_archE1100ELNS1_3gpuE3ELNS1_3repE0EEENS1_38merge_mergepath_config_static_selectorELNS0_4arch9wavefront6targetE0EEEvSL_,"axG",@progbits,_ZN7rocprim17ROCPRIM_400000_NS6detail17trampoline_kernelINS0_14default_configENS1_38merge_sort_block_merge_config_selectorIiNS0_10empty_typeEEEZZNS1_27merge_sort_block_merge_implIS3_N6thrust23THRUST_200600_302600_NS6detail15normal_iteratorINS9_10device_ptrIiEEEEPS5_jNS1_19radix_merge_compareILb0ELb0EiNS0_19identity_decomposerEEEEE10hipError_tT0_T1_T2_jT3_P12ihipStream_tbPNSt15iterator_traitsISK_E10value_typeEPNSQ_ISL_E10value_typeEPSM_NS1_7vsmem_tEENKUlT_SK_SL_SM_E_clIPiSE_SF_SF_EESJ_SZ_SK_SL_SM_EUlSZ_E0_NS1_11comp_targetILNS1_3genE9ELNS1_11target_archE1100ELNS1_3gpuE3ELNS1_3repE0EEENS1_38merge_mergepath_config_static_selectorELNS0_4arch9wavefront6targetE0EEEvSL_,comdat
.Lfunc_end33:
	.size	_ZN7rocprim17ROCPRIM_400000_NS6detail17trampoline_kernelINS0_14default_configENS1_38merge_sort_block_merge_config_selectorIiNS0_10empty_typeEEEZZNS1_27merge_sort_block_merge_implIS3_N6thrust23THRUST_200600_302600_NS6detail15normal_iteratorINS9_10device_ptrIiEEEEPS5_jNS1_19radix_merge_compareILb0ELb0EiNS0_19identity_decomposerEEEEE10hipError_tT0_T1_T2_jT3_P12ihipStream_tbPNSt15iterator_traitsISK_E10value_typeEPNSQ_ISL_E10value_typeEPSM_NS1_7vsmem_tEENKUlT_SK_SL_SM_E_clIPiSE_SF_SF_EESJ_SZ_SK_SL_SM_EUlSZ_E0_NS1_11comp_targetILNS1_3genE9ELNS1_11target_archE1100ELNS1_3gpuE3ELNS1_3repE0EEENS1_38merge_mergepath_config_static_selectorELNS0_4arch9wavefront6targetE0EEEvSL_, .Lfunc_end33-_ZN7rocprim17ROCPRIM_400000_NS6detail17trampoline_kernelINS0_14default_configENS1_38merge_sort_block_merge_config_selectorIiNS0_10empty_typeEEEZZNS1_27merge_sort_block_merge_implIS3_N6thrust23THRUST_200600_302600_NS6detail15normal_iteratorINS9_10device_ptrIiEEEEPS5_jNS1_19radix_merge_compareILb0ELb0EiNS0_19identity_decomposerEEEEE10hipError_tT0_T1_T2_jT3_P12ihipStream_tbPNSt15iterator_traitsISK_E10value_typeEPNSQ_ISL_E10value_typeEPSM_NS1_7vsmem_tEENKUlT_SK_SL_SM_E_clIPiSE_SF_SF_EESJ_SZ_SK_SL_SM_EUlSZ_E0_NS1_11comp_targetILNS1_3genE9ELNS1_11target_archE1100ELNS1_3gpuE3ELNS1_3repE0EEENS1_38merge_mergepath_config_static_selectorELNS0_4arch9wavefront6targetE0EEEvSL_
                                        ; -- End function
	.set _ZN7rocprim17ROCPRIM_400000_NS6detail17trampoline_kernelINS0_14default_configENS1_38merge_sort_block_merge_config_selectorIiNS0_10empty_typeEEEZZNS1_27merge_sort_block_merge_implIS3_N6thrust23THRUST_200600_302600_NS6detail15normal_iteratorINS9_10device_ptrIiEEEEPS5_jNS1_19radix_merge_compareILb0ELb0EiNS0_19identity_decomposerEEEEE10hipError_tT0_T1_T2_jT3_P12ihipStream_tbPNSt15iterator_traitsISK_E10value_typeEPNSQ_ISL_E10value_typeEPSM_NS1_7vsmem_tEENKUlT_SK_SL_SM_E_clIPiSE_SF_SF_EESJ_SZ_SK_SL_SM_EUlSZ_E0_NS1_11comp_targetILNS1_3genE9ELNS1_11target_archE1100ELNS1_3gpuE3ELNS1_3repE0EEENS1_38merge_mergepath_config_static_selectorELNS0_4arch9wavefront6targetE0EEEvSL_.num_vgpr, 0
	.set _ZN7rocprim17ROCPRIM_400000_NS6detail17trampoline_kernelINS0_14default_configENS1_38merge_sort_block_merge_config_selectorIiNS0_10empty_typeEEEZZNS1_27merge_sort_block_merge_implIS3_N6thrust23THRUST_200600_302600_NS6detail15normal_iteratorINS9_10device_ptrIiEEEEPS5_jNS1_19radix_merge_compareILb0ELb0EiNS0_19identity_decomposerEEEEE10hipError_tT0_T1_T2_jT3_P12ihipStream_tbPNSt15iterator_traitsISK_E10value_typeEPNSQ_ISL_E10value_typeEPSM_NS1_7vsmem_tEENKUlT_SK_SL_SM_E_clIPiSE_SF_SF_EESJ_SZ_SK_SL_SM_EUlSZ_E0_NS1_11comp_targetILNS1_3genE9ELNS1_11target_archE1100ELNS1_3gpuE3ELNS1_3repE0EEENS1_38merge_mergepath_config_static_selectorELNS0_4arch9wavefront6targetE0EEEvSL_.num_agpr, 0
	.set _ZN7rocprim17ROCPRIM_400000_NS6detail17trampoline_kernelINS0_14default_configENS1_38merge_sort_block_merge_config_selectorIiNS0_10empty_typeEEEZZNS1_27merge_sort_block_merge_implIS3_N6thrust23THRUST_200600_302600_NS6detail15normal_iteratorINS9_10device_ptrIiEEEEPS5_jNS1_19radix_merge_compareILb0ELb0EiNS0_19identity_decomposerEEEEE10hipError_tT0_T1_T2_jT3_P12ihipStream_tbPNSt15iterator_traitsISK_E10value_typeEPNSQ_ISL_E10value_typeEPSM_NS1_7vsmem_tEENKUlT_SK_SL_SM_E_clIPiSE_SF_SF_EESJ_SZ_SK_SL_SM_EUlSZ_E0_NS1_11comp_targetILNS1_3genE9ELNS1_11target_archE1100ELNS1_3gpuE3ELNS1_3repE0EEENS1_38merge_mergepath_config_static_selectorELNS0_4arch9wavefront6targetE0EEEvSL_.numbered_sgpr, 0
	.set _ZN7rocprim17ROCPRIM_400000_NS6detail17trampoline_kernelINS0_14default_configENS1_38merge_sort_block_merge_config_selectorIiNS0_10empty_typeEEEZZNS1_27merge_sort_block_merge_implIS3_N6thrust23THRUST_200600_302600_NS6detail15normal_iteratorINS9_10device_ptrIiEEEEPS5_jNS1_19radix_merge_compareILb0ELb0EiNS0_19identity_decomposerEEEEE10hipError_tT0_T1_T2_jT3_P12ihipStream_tbPNSt15iterator_traitsISK_E10value_typeEPNSQ_ISL_E10value_typeEPSM_NS1_7vsmem_tEENKUlT_SK_SL_SM_E_clIPiSE_SF_SF_EESJ_SZ_SK_SL_SM_EUlSZ_E0_NS1_11comp_targetILNS1_3genE9ELNS1_11target_archE1100ELNS1_3gpuE3ELNS1_3repE0EEENS1_38merge_mergepath_config_static_selectorELNS0_4arch9wavefront6targetE0EEEvSL_.num_named_barrier, 0
	.set _ZN7rocprim17ROCPRIM_400000_NS6detail17trampoline_kernelINS0_14default_configENS1_38merge_sort_block_merge_config_selectorIiNS0_10empty_typeEEEZZNS1_27merge_sort_block_merge_implIS3_N6thrust23THRUST_200600_302600_NS6detail15normal_iteratorINS9_10device_ptrIiEEEEPS5_jNS1_19radix_merge_compareILb0ELb0EiNS0_19identity_decomposerEEEEE10hipError_tT0_T1_T2_jT3_P12ihipStream_tbPNSt15iterator_traitsISK_E10value_typeEPNSQ_ISL_E10value_typeEPSM_NS1_7vsmem_tEENKUlT_SK_SL_SM_E_clIPiSE_SF_SF_EESJ_SZ_SK_SL_SM_EUlSZ_E0_NS1_11comp_targetILNS1_3genE9ELNS1_11target_archE1100ELNS1_3gpuE3ELNS1_3repE0EEENS1_38merge_mergepath_config_static_selectorELNS0_4arch9wavefront6targetE0EEEvSL_.private_seg_size, 0
	.set _ZN7rocprim17ROCPRIM_400000_NS6detail17trampoline_kernelINS0_14default_configENS1_38merge_sort_block_merge_config_selectorIiNS0_10empty_typeEEEZZNS1_27merge_sort_block_merge_implIS3_N6thrust23THRUST_200600_302600_NS6detail15normal_iteratorINS9_10device_ptrIiEEEEPS5_jNS1_19radix_merge_compareILb0ELb0EiNS0_19identity_decomposerEEEEE10hipError_tT0_T1_T2_jT3_P12ihipStream_tbPNSt15iterator_traitsISK_E10value_typeEPNSQ_ISL_E10value_typeEPSM_NS1_7vsmem_tEENKUlT_SK_SL_SM_E_clIPiSE_SF_SF_EESJ_SZ_SK_SL_SM_EUlSZ_E0_NS1_11comp_targetILNS1_3genE9ELNS1_11target_archE1100ELNS1_3gpuE3ELNS1_3repE0EEENS1_38merge_mergepath_config_static_selectorELNS0_4arch9wavefront6targetE0EEEvSL_.uses_vcc, 0
	.set _ZN7rocprim17ROCPRIM_400000_NS6detail17trampoline_kernelINS0_14default_configENS1_38merge_sort_block_merge_config_selectorIiNS0_10empty_typeEEEZZNS1_27merge_sort_block_merge_implIS3_N6thrust23THRUST_200600_302600_NS6detail15normal_iteratorINS9_10device_ptrIiEEEEPS5_jNS1_19radix_merge_compareILb0ELb0EiNS0_19identity_decomposerEEEEE10hipError_tT0_T1_T2_jT3_P12ihipStream_tbPNSt15iterator_traitsISK_E10value_typeEPNSQ_ISL_E10value_typeEPSM_NS1_7vsmem_tEENKUlT_SK_SL_SM_E_clIPiSE_SF_SF_EESJ_SZ_SK_SL_SM_EUlSZ_E0_NS1_11comp_targetILNS1_3genE9ELNS1_11target_archE1100ELNS1_3gpuE3ELNS1_3repE0EEENS1_38merge_mergepath_config_static_selectorELNS0_4arch9wavefront6targetE0EEEvSL_.uses_flat_scratch, 0
	.set _ZN7rocprim17ROCPRIM_400000_NS6detail17trampoline_kernelINS0_14default_configENS1_38merge_sort_block_merge_config_selectorIiNS0_10empty_typeEEEZZNS1_27merge_sort_block_merge_implIS3_N6thrust23THRUST_200600_302600_NS6detail15normal_iteratorINS9_10device_ptrIiEEEEPS5_jNS1_19radix_merge_compareILb0ELb0EiNS0_19identity_decomposerEEEEE10hipError_tT0_T1_T2_jT3_P12ihipStream_tbPNSt15iterator_traitsISK_E10value_typeEPNSQ_ISL_E10value_typeEPSM_NS1_7vsmem_tEENKUlT_SK_SL_SM_E_clIPiSE_SF_SF_EESJ_SZ_SK_SL_SM_EUlSZ_E0_NS1_11comp_targetILNS1_3genE9ELNS1_11target_archE1100ELNS1_3gpuE3ELNS1_3repE0EEENS1_38merge_mergepath_config_static_selectorELNS0_4arch9wavefront6targetE0EEEvSL_.has_dyn_sized_stack, 0
	.set _ZN7rocprim17ROCPRIM_400000_NS6detail17trampoline_kernelINS0_14default_configENS1_38merge_sort_block_merge_config_selectorIiNS0_10empty_typeEEEZZNS1_27merge_sort_block_merge_implIS3_N6thrust23THRUST_200600_302600_NS6detail15normal_iteratorINS9_10device_ptrIiEEEEPS5_jNS1_19radix_merge_compareILb0ELb0EiNS0_19identity_decomposerEEEEE10hipError_tT0_T1_T2_jT3_P12ihipStream_tbPNSt15iterator_traitsISK_E10value_typeEPNSQ_ISL_E10value_typeEPSM_NS1_7vsmem_tEENKUlT_SK_SL_SM_E_clIPiSE_SF_SF_EESJ_SZ_SK_SL_SM_EUlSZ_E0_NS1_11comp_targetILNS1_3genE9ELNS1_11target_archE1100ELNS1_3gpuE3ELNS1_3repE0EEENS1_38merge_mergepath_config_static_selectorELNS0_4arch9wavefront6targetE0EEEvSL_.has_recursion, 0
	.set _ZN7rocprim17ROCPRIM_400000_NS6detail17trampoline_kernelINS0_14default_configENS1_38merge_sort_block_merge_config_selectorIiNS0_10empty_typeEEEZZNS1_27merge_sort_block_merge_implIS3_N6thrust23THRUST_200600_302600_NS6detail15normal_iteratorINS9_10device_ptrIiEEEEPS5_jNS1_19radix_merge_compareILb0ELb0EiNS0_19identity_decomposerEEEEE10hipError_tT0_T1_T2_jT3_P12ihipStream_tbPNSt15iterator_traitsISK_E10value_typeEPNSQ_ISL_E10value_typeEPSM_NS1_7vsmem_tEENKUlT_SK_SL_SM_E_clIPiSE_SF_SF_EESJ_SZ_SK_SL_SM_EUlSZ_E0_NS1_11comp_targetILNS1_3genE9ELNS1_11target_archE1100ELNS1_3gpuE3ELNS1_3repE0EEENS1_38merge_mergepath_config_static_selectorELNS0_4arch9wavefront6targetE0EEEvSL_.has_indirect_call, 0
	.section	.AMDGPU.csdata,"",@progbits
; Kernel info:
; codeLenInByte = 0
; TotalNumSgprs: 0
; NumVgprs: 0
; ScratchSize: 0
; MemoryBound: 0
; FloatMode: 240
; IeeeMode: 1
; LDSByteSize: 0 bytes/workgroup (compile time only)
; SGPRBlocks: 0
; VGPRBlocks: 0
; NumSGPRsForWavesPerEU: 1
; NumVGPRsForWavesPerEU: 1
; Occupancy: 16
; WaveLimiterHint : 0
; COMPUTE_PGM_RSRC2:SCRATCH_EN: 0
; COMPUTE_PGM_RSRC2:USER_SGPR: 6
; COMPUTE_PGM_RSRC2:TRAP_HANDLER: 0
; COMPUTE_PGM_RSRC2:TGID_X_EN: 1
; COMPUTE_PGM_RSRC2:TGID_Y_EN: 0
; COMPUTE_PGM_RSRC2:TGID_Z_EN: 0
; COMPUTE_PGM_RSRC2:TIDIG_COMP_CNT: 0
	.section	.text._ZN7rocprim17ROCPRIM_400000_NS6detail17trampoline_kernelINS0_14default_configENS1_38merge_sort_block_merge_config_selectorIiNS0_10empty_typeEEEZZNS1_27merge_sort_block_merge_implIS3_N6thrust23THRUST_200600_302600_NS6detail15normal_iteratorINS9_10device_ptrIiEEEEPS5_jNS1_19radix_merge_compareILb0ELb0EiNS0_19identity_decomposerEEEEE10hipError_tT0_T1_T2_jT3_P12ihipStream_tbPNSt15iterator_traitsISK_E10value_typeEPNSQ_ISL_E10value_typeEPSM_NS1_7vsmem_tEENKUlT_SK_SL_SM_E_clIPiSE_SF_SF_EESJ_SZ_SK_SL_SM_EUlSZ_E0_NS1_11comp_targetILNS1_3genE8ELNS1_11target_archE1030ELNS1_3gpuE2ELNS1_3repE0EEENS1_38merge_mergepath_config_static_selectorELNS0_4arch9wavefront6targetE0EEEvSL_,"axG",@progbits,_ZN7rocprim17ROCPRIM_400000_NS6detail17trampoline_kernelINS0_14default_configENS1_38merge_sort_block_merge_config_selectorIiNS0_10empty_typeEEEZZNS1_27merge_sort_block_merge_implIS3_N6thrust23THRUST_200600_302600_NS6detail15normal_iteratorINS9_10device_ptrIiEEEEPS5_jNS1_19radix_merge_compareILb0ELb0EiNS0_19identity_decomposerEEEEE10hipError_tT0_T1_T2_jT3_P12ihipStream_tbPNSt15iterator_traitsISK_E10value_typeEPNSQ_ISL_E10value_typeEPSM_NS1_7vsmem_tEENKUlT_SK_SL_SM_E_clIPiSE_SF_SF_EESJ_SZ_SK_SL_SM_EUlSZ_E0_NS1_11comp_targetILNS1_3genE8ELNS1_11target_archE1030ELNS1_3gpuE2ELNS1_3repE0EEENS1_38merge_mergepath_config_static_selectorELNS0_4arch9wavefront6targetE0EEEvSL_,comdat
	.protected	_ZN7rocprim17ROCPRIM_400000_NS6detail17trampoline_kernelINS0_14default_configENS1_38merge_sort_block_merge_config_selectorIiNS0_10empty_typeEEEZZNS1_27merge_sort_block_merge_implIS3_N6thrust23THRUST_200600_302600_NS6detail15normal_iteratorINS9_10device_ptrIiEEEEPS5_jNS1_19radix_merge_compareILb0ELb0EiNS0_19identity_decomposerEEEEE10hipError_tT0_T1_T2_jT3_P12ihipStream_tbPNSt15iterator_traitsISK_E10value_typeEPNSQ_ISL_E10value_typeEPSM_NS1_7vsmem_tEENKUlT_SK_SL_SM_E_clIPiSE_SF_SF_EESJ_SZ_SK_SL_SM_EUlSZ_E0_NS1_11comp_targetILNS1_3genE8ELNS1_11target_archE1030ELNS1_3gpuE2ELNS1_3repE0EEENS1_38merge_mergepath_config_static_selectorELNS0_4arch9wavefront6targetE0EEEvSL_ ; -- Begin function _ZN7rocprim17ROCPRIM_400000_NS6detail17trampoline_kernelINS0_14default_configENS1_38merge_sort_block_merge_config_selectorIiNS0_10empty_typeEEEZZNS1_27merge_sort_block_merge_implIS3_N6thrust23THRUST_200600_302600_NS6detail15normal_iteratorINS9_10device_ptrIiEEEEPS5_jNS1_19radix_merge_compareILb0ELb0EiNS0_19identity_decomposerEEEEE10hipError_tT0_T1_T2_jT3_P12ihipStream_tbPNSt15iterator_traitsISK_E10value_typeEPNSQ_ISL_E10value_typeEPSM_NS1_7vsmem_tEENKUlT_SK_SL_SM_E_clIPiSE_SF_SF_EESJ_SZ_SK_SL_SM_EUlSZ_E0_NS1_11comp_targetILNS1_3genE8ELNS1_11target_archE1030ELNS1_3gpuE2ELNS1_3repE0EEENS1_38merge_mergepath_config_static_selectorELNS0_4arch9wavefront6targetE0EEEvSL_
	.globl	_ZN7rocprim17ROCPRIM_400000_NS6detail17trampoline_kernelINS0_14default_configENS1_38merge_sort_block_merge_config_selectorIiNS0_10empty_typeEEEZZNS1_27merge_sort_block_merge_implIS3_N6thrust23THRUST_200600_302600_NS6detail15normal_iteratorINS9_10device_ptrIiEEEEPS5_jNS1_19radix_merge_compareILb0ELb0EiNS0_19identity_decomposerEEEEE10hipError_tT0_T1_T2_jT3_P12ihipStream_tbPNSt15iterator_traitsISK_E10value_typeEPNSQ_ISL_E10value_typeEPSM_NS1_7vsmem_tEENKUlT_SK_SL_SM_E_clIPiSE_SF_SF_EESJ_SZ_SK_SL_SM_EUlSZ_E0_NS1_11comp_targetILNS1_3genE8ELNS1_11target_archE1030ELNS1_3gpuE2ELNS1_3repE0EEENS1_38merge_mergepath_config_static_selectorELNS0_4arch9wavefront6targetE0EEEvSL_
	.p2align	8
	.type	_ZN7rocprim17ROCPRIM_400000_NS6detail17trampoline_kernelINS0_14default_configENS1_38merge_sort_block_merge_config_selectorIiNS0_10empty_typeEEEZZNS1_27merge_sort_block_merge_implIS3_N6thrust23THRUST_200600_302600_NS6detail15normal_iteratorINS9_10device_ptrIiEEEEPS5_jNS1_19radix_merge_compareILb0ELb0EiNS0_19identity_decomposerEEEEE10hipError_tT0_T1_T2_jT3_P12ihipStream_tbPNSt15iterator_traitsISK_E10value_typeEPNSQ_ISL_E10value_typeEPSM_NS1_7vsmem_tEENKUlT_SK_SL_SM_E_clIPiSE_SF_SF_EESJ_SZ_SK_SL_SM_EUlSZ_E0_NS1_11comp_targetILNS1_3genE8ELNS1_11target_archE1030ELNS1_3gpuE2ELNS1_3repE0EEENS1_38merge_mergepath_config_static_selectorELNS0_4arch9wavefront6targetE0EEEvSL_,@function
_ZN7rocprim17ROCPRIM_400000_NS6detail17trampoline_kernelINS0_14default_configENS1_38merge_sort_block_merge_config_selectorIiNS0_10empty_typeEEEZZNS1_27merge_sort_block_merge_implIS3_N6thrust23THRUST_200600_302600_NS6detail15normal_iteratorINS9_10device_ptrIiEEEEPS5_jNS1_19radix_merge_compareILb0ELb0EiNS0_19identity_decomposerEEEEE10hipError_tT0_T1_T2_jT3_P12ihipStream_tbPNSt15iterator_traitsISK_E10value_typeEPNSQ_ISL_E10value_typeEPSM_NS1_7vsmem_tEENKUlT_SK_SL_SM_E_clIPiSE_SF_SF_EESJ_SZ_SK_SL_SM_EUlSZ_E0_NS1_11comp_targetILNS1_3genE8ELNS1_11target_archE1030ELNS1_3gpuE2ELNS1_3repE0EEENS1_38merge_mergepath_config_static_selectorELNS0_4arch9wavefront6targetE0EEEvSL_: ; @_ZN7rocprim17ROCPRIM_400000_NS6detail17trampoline_kernelINS0_14default_configENS1_38merge_sort_block_merge_config_selectorIiNS0_10empty_typeEEEZZNS1_27merge_sort_block_merge_implIS3_N6thrust23THRUST_200600_302600_NS6detail15normal_iteratorINS9_10device_ptrIiEEEEPS5_jNS1_19radix_merge_compareILb0ELb0EiNS0_19identity_decomposerEEEEE10hipError_tT0_T1_T2_jT3_P12ihipStream_tbPNSt15iterator_traitsISK_E10value_typeEPNSQ_ISL_E10value_typeEPSM_NS1_7vsmem_tEENKUlT_SK_SL_SM_E_clIPiSE_SF_SF_EESJ_SZ_SK_SL_SM_EUlSZ_E0_NS1_11comp_targetILNS1_3genE8ELNS1_11target_archE1030ELNS1_3gpuE2ELNS1_3repE0EEENS1_38merge_mergepath_config_static_selectorELNS0_4arch9wavefront6targetE0EEEvSL_
; %bb.0:
	s_clause 0x1
	s_load_dwordx2 s[12:13], s[4:5], 0x40
	s_load_dword s1, s[4:5], 0x30
	s_add_u32 s2, s4, 64
	s_addc_u32 s3, s5, 0
	s_waitcnt lgkmcnt(0)
	s_mul_i32 s0, s13, s8
	s_add_i32 s0, s0, s7
	s_mul_i32 s0, s0, s12
	s_add_i32 s0, s0, s6
	s_cmp_ge_u32 s0, s1
	s_cbranch_scc1 .LBB34_27
; %bb.1:
	s_clause 0x2
	s_load_dwordx2 s[8:9], s[4:5], 0x28
	s_load_dwordx2 s[10:11], s[4:5], 0x38
	;; [unrolled: 1-line block ×3, first 2 shown]
	s_mov_b32 s1, 0
	v_mov_b32_e32 v4, 0
	s_mov_b32 s21, s1
	v_lshlrev_b32_e32 v5, 2, v0
                                        ; implicit-def: $vgpr6
	global_load_dword v1, v4, s[2:3] offset:14
	s_waitcnt lgkmcnt(0)
	s_lshr_b32 s22, s8, 10
	s_cmp_lg_u32 s0, s22
	s_cselect_b32 s7, -1, 0
	s_lshl_b64 s[14:15], s[0:1], 2
	s_add_u32 s10, s10, s14
	s_addc_u32 s11, s11, s15
	s_load_dwordx2 s[14:15], s[10:11], 0x0
	s_lshr_b32 s10, s9, 9
	s_and_b32 s10, s10, 0x7ffffe
	s_sub_i32 s11, 0, s10
	s_lshl_b32 s10, s0, 10
	s_and_b32 s13, s0, s11
	s_or_b32 s11, s0, s11
	s_lshl_b32 s16, s13, 11
	s_lshl_b32 s13, s13, 10
	s_add_i32 s16, s16, s9
	s_sub_i32 s17, s10, s13
	s_sub_i32 s13, s16, s13
	s_add_i32 s16, s16, s17
	s_min_u32 s17, s8, s13
	s_add_i32 s13, s13, s9
	s_waitcnt lgkmcnt(0)
	s_sub_i32 s9, s16, s14
	s_sub_i32 s16, s16, s15
	s_min_u32 s20, s8, s9
	s_addk_i32 s16, 0x400
	s_cmp_eq_u32 s11, -1
	s_cselect_b32 s9, s13, s16
	s_cselect_b32 s11, s17, s15
	s_mov_b32 s15, s1
	s_min_u32 s1, s9, s8
	s_lshl_b64 s[16:17], s[14:15], 2
	s_sub_i32 s9, s11, s14
	s_sub_i32 s11, s1, s20
	s_add_u32 s15, s18, s16
	s_addc_u32 s16, s19, s17
	s_lshl_b64 s[20:21], s[20:21], 2
	s_add_u32 s13, s18, s20
	s_addc_u32 s14, s19, s21
	s_cmp_lt_u32 s6, s12
	s_cselect_b32 s1, 12, 18
	s_add_u32 s2, s2, s1
	s_addc_u32 s3, s3, 0
	s_cmp_eq_u32 s0, s22
	global_load_ushort v2, v4, s[2:3]
	s_mov_b32 s0, -1
	s_waitcnt vmcnt(1)
	v_lshrrev_b32_e32 v3, 16, v1
	v_and_b32_e32 v1, 0xffff, v1
	v_mul_lo_u32 v1, v1, v3
                                        ; implicit-def: $vgpr3
	s_waitcnt vmcnt(0)
	v_mul_lo_u32 v1, v1, v2
                                        ; implicit-def: $vgpr2
	v_add_nc_u32_e32 v1, v1, v0
	s_cbranch_scc1 .LBB34_3
; %bb.2:
	v_mov_b32_e32 v2, v4
	v_sub_co_u32 v3, vcc_lo, v0, s9
	v_add_co_u32 v10, s0, s15, v5
	v_lshlrev_b64 v[6:7], 2, v[1:2]
	v_add_co_ci_u32_e64 v11, null, s16, 0, s0
	v_lshlrev_b64 v[8:9], 2, v[3:4]
	v_add_co_u32 v6, s0, s15, v6
	v_add_co_ci_u32_e64 v7, null, s16, v7, s0
	v_sub_co_u32 v3, s0, v1, s9
	v_lshlrev_b64 v[2:3], 2, v[3:4]
	v_add_co_u32 v4, s1, s13, v8
	v_add_co_ci_u32_e64 v8, null, s14, v9, s1
	v_add_co_u32 v9, s1, s13, v2
	v_add_co_ci_u32_e64 v12, null, s14, v3, s1
	v_cndmask_b32_e32 v3, v8, v11, vcc_lo
	v_cndmask_b32_e32 v2, v4, v10, vcc_lo
	v_cndmask_b32_e64 v6, v9, v6, s0
	v_cndmask_b32_e64 v7, v12, v7, s0
	s_add_i32 s0, s11, s9
	global_load_dword v3, v[2:3], off
	global_load_dword v2, v[6:7], off
	v_mov_b32_e32 v6, s0
	s_mov_b32 s0, 0
.LBB34_3:
	s_load_dwordx2 s[4:5], s[4:5], 0x10
	s_andn2_b32 vcc_lo, exec_lo, s0
	s_cbranch_vccnz .LBB34_9
; %bb.4:
	s_waitcnt vmcnt(0)
	v_mov_b32_e32 v2, 0
	v_mov_b32_e32 v3, 0
	s_add_i32 s1, s11, s9
	s_mov_b32 s2, exec_lo
	v_cmpx_gt_u32_e64 s1, v0
	s_cbranch_execz .LBB34_6
; %bb.5:
	v_sub_co_u32 v3, vcc_lo, v0, s9
	v_mov_b32_e32 v4, 0
	v_add_co_u32 v6, s0, s15, v5
	v_add_co_ci_u32_e64 v7, null, s16, 0, s0
	v_lshlrev_b64 v[3:4], 2, v[3:4]
	v_add_co_u32 v3, s0, s13, v3
	v_add_co_ci_u32_e64 v4, null, s14, v4, s0
	v_cndmask_b32_e32 v3, v3, v6, vcc_lo
	v_cndmask_b32_e32 v4, v4, v7, vcc_lo
	global_load_dword v3, v[3:4], off
.LBB34_6:
	s_or_b32 exec_lo, exec_lo, s2
	s_mov_b32 s2, exec_lo
	v_cmpx_gt_u32_e64 s1, v1
	s_cbranch_execz .LBB34_8
; %bb.7:
	v_mov_b32_e32 v2, 0
	v_lshlrev_b64 v[6:7], 2, v[1:2]
	v_add_co_u32 v4, vcc_lo, s15, v6
	v_add_co_ci_u32_e64 v6, null, s16, v7, vcc_lo
	v_sub_co_u32 v1, vcc_lo, v1, s9
	v_lshlrev_b64 v[1:2], 2, v[1:2]
	v_add_co_u32 v1, s0, s13, v1
	v_add_co_ci_u32_e64 v2, null, s14, v2, s0
	v_cndmask_b32_e32 v1, v1, v4, vcc_lo
	v_cndmask_b32_e32 v2, v2, v6, vcc_lo
	global_load_dword v2, v[1:2], off
.LBB34_8:
	s_or_b32 exec_lo, exec_lo, s2
	v_mov_b32_e32 v6, s1
.LBB34_9:
	v_lshlrev_b32_e32 v1, 1, v0
	s_mov_b32 s0, exec_lo
	s_waitcnt vmcnt(0)
	ds_write2st64_b32 v5, v3, v2 offset1:8
	s_waitcnt lgkmcnt(0)
	s_barrier
	v_min_u32_e32 v7, v6, v1
	buffer_gl0_inv
	v_sub_nc_u32_e64 v4, v7, s11 clamp
	v_min_u32_e32 v8, s9, v7
	v_cmpx_lt_u32_e64 v4, v8
	s_cbranch_execz .LBB34_13
; %bb.10:
	v_lshlrev_b32_e32 v9, 2, v7
	s_mov_b32 s1, 0
	v_lshl_add_u32 v9, s9, 2, v9
	.p2align	6
.LBB34_11:                              ; =>This Inner Loop Header: Depth=1
	v_add_nc_u32_e32 v10, v8, v4
	v_lshrrev_b32_e32 v10, 1, v10
	v_not_b32_e32 v11, v10
	v_lshlrev_b32_e32 v12, 2, v10
	v_add_nc_u32_e32 v13, 1, v10
	v_lshl_add_u32 v11, v11, 2, v9
	ds_read_b32 v12, v12
	ds_read_b32 v11, v11
	s_waitcnt lgkmcnt(0)
	v_cmp_gt_i32_e32 vcc_lo, v12, v11
	v_cndmask_b32_e32 v8, v8, v10, vcc_lo
	v_cndmask_b32_e32 v4, v13, v4, vcc_lo
	v_cmp_ge_u32_e32 vcc_lo, v4, v8
	s_or_b32 s1, vcc_lo, s1
	s_andn2_b32 exec_lo, exec_lo, s1
	s_cbranch_execnz .LBB34_11
; %bb.12:
	s_or_b32 exec_lo, exec_lo, s1
.LBB34_13:
	s_or_b32 exec_lo, exec_lo, s0
	v_sub_nc_u32_e32 v7, v7, v4
	v_cmp_ge_u32_e32 vcc_lo, s9, v4
	v_add_nc_u32_e32 v7, s9, v7
	v_cmp_le_u32_e64 s0, v7, v6
	s_or_b32 s0, vcc_lo, s0
	s_and_saveexec_b32 s3, s0
	s_cbranch_execz .LBB34_19
; %bb.14:
	v_cmp_gt_u32_e32 vcc_lo, s9, v4
                                        ; implicit-def: $vgpr2
	s_and_saveexec_b32 s0, vcc_lo
; %bb.15:
	v_lshlrev_b32_e32 v2, 2, v4
	ds_read_b32 v2, v2
; %bb.16:
	s_or_b32 exec_lo, exec_lo, s0
	v_cmp_ge_u32_e64 s0, v7, v6
	s_mov_b32 s2, exec_lo
                                        ; implicit-def: $vgpr3
	v_cmpx_lt_u32_e64 v7, v6
; %bb.17:
	v_lshlrev_b32_e32 v3, 2, v7
	ds_read_b32 v3, v3
; %bb.18:
	s_or_b32 exec_lo, exec_lo, s2
	s_waitcnt lgkmcnt(0)
	v_cmp_le_i32_e64 s1, v2, v3
	s_and_b32 s1, vcc_lo, s1
	s_or_b32 vcc_lo, s0, s1
	v_cndmask_b32_e32 v8, v7, v4, vcc_lo
	v_cndmask_b32_e64 v9, v6, s9, vcc_lo
	v_add_nc_u32_e32 v8, 1, v8
	v_add_nc_u32_e32 v9, -1, v9
	v_cndmask_b32_e32 v4, v4, v8, vcc_lo
	v_min_u32_e32 v9, v8, v9
	v_cndmask_b32_e32 v7, v8, v7, vcc_lo
	v_cmp_gt_u32_e64 s0, s9, v4
	v_lshlrev_b32_e32 v9, 2, v9
	v_cmp_ge_u32_e64 s2, v7, v6
	ds_read_b32 v9, v9
	s_waitcnt lgkmcnt(0)
	v_cndmask_b32_e32 v10, v9, v3, vcc_lo
	v_cndmask_b32_e32 v9, v2, v9, vcc_lo
	;; [unrolled: 1-line block ×3, first 2 shown]
	v_cmp_le_i32_e64 s1, v9, v10
	s_and_b32 s0, s0, s1
	s_or_b32 vcc_lo, s2, s0
	v_cndmask_b32_e32 v2, v10, v9, vcc_lo
.LBB34_19:
	s_or_b32 exec_lo, exec_lo, s3
	v_lshrrev_b32_e32 v6, 2, v0
	v_or_b32_e32 v4, 0x200, v0
	v_lshrrev_b32_e32 v7, 3, v0
	s_mov_b32 s11, 0
	v_and_b32_e32 v6, 0x7c, v6
	v_lshrrev_b32_e32 v8, 3, v4
	s_lshl_b64 s[0:1], s[10:11], 2
	s_barrier
	s_add_u32 s0, s4, s0
	v_lshl_add_u32 v1, v1, 2, v6
	v_and_b32_e32 v6, 60, v7
	v_and_b32_e32 v7, 0x7c, v8
	buffer_gl0_inv
	s_barrier
	buffer_gl0_inv
	s_addc_u32 s1, s5, s1
	ds_write2_b32 v1, v3, v2 offset1:1
	v_add_co_u32 v1, s0, s0, v5
	v_add_nc_u32_e32 v6, v6, v5
	v_add_nc_u32_e32 v7, v7, v5
	v_add_co_ci_u32_e64 v2, null, s1, 0, s0
	s_and_b32 vcc_lo, exec_lo, s7
	s_waitcnt lgkmcnt(0)
	s_cbranch_vccz .LBB34_21
; %bb.20:
	s_barrier
	buffer_gl0_inv
	ds_read_b32 v5, v6
	ds_read_b32 v3, v7 offset:2048
	s_mov_b32 s11, -1
	s_waitcnt lgkmcnt(1)
	global_store_dword v[1:2], v5, off
	s_cbranch_execz .LBB34_22
	s_branch .LBB34_25
.LBB34_21:
                                        ; implicit-def: $vgpr3
.LBB34_22:
	s_barrier
	s_waitcnt lgkmcnt(0)
	s_waitcnt_vscnt null, 0x0
	buffer_gl0_inv
	ds_read_b32 v3, v7 offset:2048
	s_sub_i32 s0, s8, s10
	s_mov_b32 s1, exec_lo
	v_cmpx_gt_u32_e64 s0, v0
	s_cbranch_execz .LBB34_24
; %bb.23:
	ds_read_b32 v0, v6
	s_waitcnt lgkmcnt(0)
	global_store_dword v[1:2], v0, off
.LBB34_24:
	s_or_b32 exec_lo, exec_lo, s1
	v_cmp_gt_u32_e64 s11, s0, v4
.LBB34_25:
	s_and_saveexec_b32 s0, s11
	s_cbranch_execz .LBB34_27
; %bb.26:
	v_add_co_u32 v0, vcc_lo, 0x800, v1
	v_add_co_ci_u32_e64 v1, null, 0, v2, vcc_lo
	s_waitcnt lgkmcnt(0)
	global_store_dword v[0:1], v3, off
.LBB34_27:
	s_endpgm
	.section	.rodata,"a",@progbits
	.p2align	6, 0x0
	.amdhsa_kernel _ZN7rocprim17ROCPRIM_400000_NS6detail17trampoline_kernelINS0_14default_configENS1_38merge_sort_block_merge_config_selectorIiNS0_10empty_typeEEEZZNS1_27merge_sort_block_merge_implIS3_N6thrust23THRUST_200600_302600_NS6detail15normal_iteratorINS9_10device_ptrIiEEEEPS5_jNS1_19radix_merge_compareILb0ELb0EiNS0_19identity_decomposerEEEEE10hipError_tT0_T1_T2_jT3_P12ihipStream_tbPNSt15iterator_traitsISK_E10value_typeEPNSQ_ISL_E10value_typeEPSM_NS1_7vsmem_tEENKUlT_SK_SL_SM_E_clIPiSE_SF_SF_EESJ_SZ_SK_SL_SM_EUlSZ_E0_NS1_11comp_targetILNS1_3genE8ELNS1_11target_archE1030ELNS1_3gpuE2ELNS1_3repE0EEENS1_38merge_mergepath_config_static_selectorELNS0_4arch9wavefront6targetE0EEEvSL_
		.amdhsa_group_segment_fixed_size 4224
		.amdhsa_private_segment_fixed_size 0
		.amdhsa_kernarg_size 320
		.amdhsa_user_sgpr_count 6
		.amdhsa_user_sgpr_private_segment_buffer 1
		.amdhsa_user_sgpr_dispatch_ptr 0
		.amdhsa_user_sgpr_queue_ptr 0
		.amdhsa_user_sgpr_kernarg_segment_ptr 1
		.amdhsa_user_sgpr_dispatch_id 0
		.amdhsa_user_sgpr_flat_scratch_init 0
		.amdhsa_user_sgpr_private_segment_size 0
		.amdhsa_wavefront_size32 1
		.amdhsa_uses_dynamic_stack 0
		.amdhsa_system_sgpr_private_segment_wavefront_offset 0
		.amdhsa_system_sgpr_workgroup_id_x 1
		.amdhsa_system_sgpr_workgroup_id_y 1
		.amdhsa_system_sgpr_workgroup_id_z 1
		.amdhsa_system_sgpr_workgroup_info 0
		.amdhsa_system_vgpr_workitem_id 0
		.amdhsa_next_free_vgpr 14
		.amdhsa_next_free_sgpr 23
		.amdhsa_reserve_vcc 1
		.amdhsa_reserve_flat_scratch 0
		.amdhsa_float_round_mode_32 0
		.amdhsa_float_round_mode_16_64 0
		.amdhsa_float_denorm_mode_32 3
		.amdhsa_float_denorm_mode_16_64 3
		.amdhsa_dx10_clamp 1
		.amdhsa_ieee_mode 1
		.amdhsa_fp16_overflow 0
		.amdhsa_workgroup_processor_mode 1
		.amdhsa_memory_ordered 1
		.amdhsa_forward_progress 1
		.amdhsa_shared_vgpr_count 0
		.amdhsa_exception_fp_ieee_invalid_op 0
		.amdhsa_exception_fp_denorm_src 0
		.amdhsa_exception_fp_ieee_div_zero 0
		.amdhsa_exception_fp_ieee_overflow 0
		.amdhsa_exception_fp_ieee_underflow 0
		.amdhsa_exception_fp_ieee_inexact 0
		.amdhsa_exception_int_div_zero 0
	.end_amdhsa_kernel
	.section	.text._ZN7rocprim17ROCPRIM_400000_NS6detail17trampoline_kernelINS0_14default_configENS1_38merge_sort_block_merge_config_selectorIiNS0_10empty_typeEEEZZNS1_27merge_sort_block_merge_implIS3_N6thrust23THRUST_200600_302600_NS6detail15normal_iteratorINS9_10device_ptrIiEEEEPS5_jNS1_19radix_merge_compareILb0ELb0EiNS0_19identity_decomposerEEEEE10hipError_tT0_T1_T2_jT3_P12ihipStream_tbPNSt15iterator_traitsISK_E10value_typeEPNSQ_ISL_E10value_typeEPSM_NS1_7vsmem_tEENKUlT_SK_SL_SM_E_clIPiSE_SF_SF_EESJ_SZ_SK_SL_SM_EUlSZ_E0_NS1_11comp_targetILNS1_3genE8ELNS1_11target_archE1030ELNS1_3gpuE2ELNS1_3repE0EEENS1_38merge_mergepath_config_static_selectorELNS0_4arch9wavefront6targetE0EEEvSL_,"axG",@progbits,_ZN7rocprim17ROCPRIM_400000_NS6detail17trampoline_kernelINS0_14default_configENS1_38merge_sort_block_merge_config_selectorIiNS0_10empty_typeEEEZZNS1_27merge_sort_block_merge_implIS3_N6thrust23THRUST_200600_302600_NS6detail15normal_iteratorINS9_10device_ptrIiEEEEPS5_jNS1_19radix_merge_compareILb0ELb0EiNS0_19identity_decomposerEEEEE10hipError_tT0_T1_T2_jT3_P12ihipStream_tbPNSt15iterator_traitsISK_E10value_typeEPNSQ_ISL_E10value_typeEPSM_NS1_7vsmem_tEENKUlT_SK_SL_SM_E_clIPiSE_SF_SF_EESJ_SZ_SK_SL_SM_EUlSZ_E0_NS1_11comp_targetILNS1_3genE8ELNS1_11target_archE1030ELNS1_3gpuE2ELNS1_3repE0EEENS1_38merge_mergepath_config_static_selectorELNS0_4arch9wavefront6targetE0EEEvSL_,comdat
.Lfunc_end34:
	.size	_ZN7rocprim17ROCPRIM_400000_NS6detail17trampoline_kernelINS0_14default_configENS1_38merge_sort_block_merge_config_selectorIiNS0_10empty_typeEEEZZNS1_27merge_sort_block_merge_implIS3_N6thrust23THRUST_200600_302600_NS6detail15normal_iteratorINS9_10device_ptrIiEEEEPS5_jNS1_19radix_merge_compareILb0ELb0EiNS0_19identity_decomposerEEEEE10hipError_tT0_T1_T2_jT3_P12ihipStream_tbPNSt15iterator_traitsISK_E10value_typeEPNSQ_ISL_E10value_typeEPSM_NS1_7vsmem_tEENKUlT_SK_SL_SM_E_clIPiSE_SF_SF_EESJ_SZ_SK_SL_SM_EUlSZ_E0_NS1_11comp_targetILNS1_3genE8ELNS1_11target_archE1030ELNS1_3gpuE2ELNS1_3repE0EEENS1_38merge_mergepath_config_static_selectorELNS0_4arch9wavefront6targetE0EEEvSL_, .Lfunc_end34-_ZN7rocprim17ROCPRIM_400000_NS6detail17trampoline_kernelINS0_14default_configENS1_38merge_sort_block_merge_config_selectorIiNS0_10empty_typeEEEZZNS1_27merge_sort_block_merge_implIS3_N6thrust23THRUST_200600_302600_NS6detail15normal_iteratorINS9_10device_ptrIiEEEEPS5_jNS1_19radix_merge_compareILb0ELb0EiNS0_19identity_decomposerEEEEE10hipError_tT0_T1_T2_jT3_P12ihipStream_tbPNSt15iterator_traitsISK_E10value_typeEPNSQ_ISL_E10value_typeEPSM_NS1_7vsmem_tEENKUlT_SK_SL_SM_E_clIPiSE_SF_SF_EESJ_SZ_SK_SL_SM_EUlSZ_E0_NS1_11comp_targetILNS1_3genE8ELNS1_11target_archE1030ELNS1_3gpuE2ELNS1_3repE0EEENS1_38merge_mergepath_config_static_selectorELNS0_4arch9wavefront6targetE0EEEvSL_
                                        ; -- End function
	.set _ZN7rocprim17ROCPRIM_400000_NS6detail17trampoline_kernelINS0_14default_configENS1_38merge_sort_block_merge_config_selectorIiNS0_10empty_typeEEEZZNS1_27merge_sort_block_merge_implIS3_N6thrust23THRUST_200600_302600_NS6detail15normal_iteratorINS9_10device_ptrIiEEEEPS5_jNS1_19radix_merge_compareILb0ELb0EiNS0_19identity_decomposerEEEEE10hipError_tT0_T1_T2_jT3_P12ihipStream_tbPNSt15iterator_traitsISK_E10value_typeEPNSQ_ISL_E10value_typeEPSM_NS1_7vsmem_tEENKUlT_SK_SL_SM_E_clIPiSE_SF_SF_EESJ_SZ_SK_SL_SM_EUlSZ_E0_NS1_11comp_targetILNS1_3genE8ELNS1_11target_archE1030ELNS1_3gpuE2ELNS1_3repE0EEENS1_38merge_mergepath_config_static_selectorELNS0_4arch9wavefront6targetE0EEEvSL_.num_vgpr, 14
	.set _ZN7rocprim17ROCPRIM_400000_NS6detail17trampoline_kernelINS0_14default_configENS1_38merge_sort_block_merge_config_selectorIiNS0_10empty_typeEEEZZNS1_27merge_sort_block_merge_implIS3_N6thrust23THRUST_200600_302600_NS6detail15normal_iteratorINS9_10device_ptrIiEEEEPS5_jNS1_19radix_merge_compareILb0ELb0EiNS0_19identity_decomposerEEEEE10hipError_tT0_T1_T2_jT3_P12ihipStream_tbPNSt15iterator_traitsISK_E10value_typeEPNSQ_ISL_E10value_typeEPSM_NS1_7vsmem_tEENKUlT_SK_SL_SM_E_clIPiSE_SF_SF_EESJ_SZ_SK_SL_SM_EUlSZ_E0_NS1_11comp_targetILNS1_3genE8ELNS1_11target_archE1030ELNS1_3gpuE2ELNS1_3repE0EEENS1_38merge_mergepath_config_static_selectorELNS0_4arch9wavefront6targetE0EEEvSL_.num_agpr, 0
	.set _ZN7rocprim17ROCPRIM_400000_NS6detail17trampoline_kernelINS0_14default_configENS1_38merge_sort_block_merge_config_selectorIiNS0_10empty_typeEEEZZNS1_27merge_sort_block_merge_implIS3_N6thrust23THRUST_200600_302600_NS6detail15normal_iteratorINS9_10device_ptrIiEEEEPS5_jNS1_19radix_merge_compareILb0ELb0EiNS0_19identity_decomposerEEEEE10hipError_tT0_T1_T2_jT3_P12ihipStream_tbPNSt15iterator_traitsISK_E10value_typeEPNSQ_ISL_E10value_typeEPSM_NS1_7vsmem_tEENKUlT_SK_SL_SM_E_clIPiSE_SF_SF_EESJ_SZ_SK_SL_SM_EUlSZ_E0_NS1_11comp_targetILNS1_3genE8ELNS1_11target_archE1030ELNS1_3gpuE2ELNS1_3repE0EEENS1_38merge_mergepath_config_static_selectorELNS0_4arch9wavefront6targetE0EEEvSL_.numbered_sgpr, 23
	.set _ZN7rocprim17ROCPRIM_400000_NS6detail17trampoline_kernelINS0_14default_configENS1_38merge_sort_block_merge_config_selectorIiNS0_10empty_typeEEEZZNS1_27merge_sort_block_merge_implIS3_N6thrust23THRUST_200600_302600_NS6detail15normal_iteratorINS9_10device_ptrIiEEEEPS5_jNS1_19radix_merge_compareILb0ELb0EiNS0_19identity_decomposerEEEEE10hipError_tT0_T1_T2_jT3_P12ihipStream_tbPNSt15iterator_traitsISK_E10value_typeEPNSQ_ISL_E10value_typeEPSM_NS1_7vsmem_tEENKUlT_SK_SL_SM_E_clIPiSE_SF_SF_EESJ_SZ_SK_SL_SM_EUlSZ_E0_NS1_11comp_targetILNS1_3genE8ELNS1_11target_archE1030ELNS1_3gpuE2ELNS1_3repE0EEENS1_38merge_mergepath_config_static_selectorELNS0_4arch9wavefront6targetE0EEEvSL_.num_named_barrier, 0
	.set _ZN7rocprim17ROCPRIM_400000_NS6detail17trampoline_kernelINS0_14default_configENS1_38merge_sort_block_merge_config_selectorIiNS0_10empty_typeEEEZZNS1_27merge_sort_block_merge_implIS3_N6thrust23THRUST_200600_302600_NS6detail15normal_iteratorINS9_10device_ptrIiEEEEPS5_jNS1_19radix_merge_compareILb0ELb0EiNS0_19identity_decomposerEEEEE10hipError_tT0_T1_T2_jT3_P12ihipStream_tbPNSt15iterator_traitsISK_E10value_typeEPNSQ_ISL_E10value_typeEPSM_NS1_7vsmem_tEENKUlT_SK_SL_SM_E_clIPiSE_SF_SF_EESJ_SZ_SK_SL_SM_EUlSZ_E0_NS1_11comp_targetILNS1_3genE8ELNS1_11target_archE1030ELNS1_3gpuE2ELNS1_3repE0EEENS1_38merge_mergepath_config_static_selectorELNS0_4arch9wavefront6targetE0EEEvSL_.private_seg_size, 0
	.set _ZN7rocprim17ROCPRIM_400000_NS6detail17trampoline_kernelINS0_14default_configENS1_38merge_sort_block_merge_config_selectorIiNS0_10empty_typeEEEZZNS1_27merge_sort_block_merge_implIS3_N6thrust23THRUST_200600_302600_NS6detail15normal_iteratorINS9_10device_ptrIiEEEEPS5_jNS1_19radix_merge_compareILb0ELb0EiNS0_19identity_decomposerEEEEE10hipError_tT0_T1_T2_jT3_P12ihipStream_tbPNSt15iterator_traitsISK_E10value_typeEPNSQ_ISL_E10value_typeEPSM_NS1_7vsmem_tEENKUlT_SK_SL_SM_E_clIPiSE_SF_SF_EESJ_SZ_SK_SL_SM_EUlSZ_E0_NS1_11comp_targetILNS1_3genE8ELNS1_11target_archE1030ELNS1_3gpuE2ELNS1_3repE0EEENS1_38merge_mergepath_config_static_selectorELNS0_4arch9wavefront6targetE0EEEvSL_.uses_vcc, 1
	.set _ZN7rocprim17ROCPRIM_400000_NS6detail17trampoline_kernelINS0_14default_configENS1_38merge_sort_block_merge_config_selectorIiNS0_10empty_typeEEEZZNS1_27merge_sort_block_merge_implIS3_N6thrust23THRUST_200600_302600_NS6detail15normal_iteratorINS9_10device_ptrIiEEEEPS5_jNS1_19radix_merge_compareILb0ELb0EiNS0_19identity_decomposerEEEEE10hipError_tT0_T1_T2_jT3_P12ihipStream_tbPNSt15iterator_traitsISK_E10value_typeEPNSQ_ISL_E10value_typeEPSM_NS1_7vsmem_tEENKUlT_SK_SL_SM_E_clIPiSE_SF_SF_EESJ_SZ_SK_SL_SM_EUlSZ_E0_NS1_11comp_targetILNS1_3genE8ELNS1_11target_archE1030ELNS1_3gpuE2ELNS1_3repE0EEENS1_38merge_mergepath_config_static_selectorELNS0_4arch9wavefront6targetE0EEEvSL_.uses_flat_scratch, 0
	.set _ZN7rocprim17ROCPRIM_400000_NS6detail17trampoline_kernelINS0_14default_configENS1_38merge_sort_block_merge_config_selectorIiNS0_10empty_typeEEEZZNS1_27merge_sort_block_merge_implIS3_N6thrust23THRUST_200600_302600_NS6detail15normal_iteratorINS9_10device_ptrIiEEEEPS5_jNS1_19radix_merge_compareILb0ELb0EiNS0_19identity_decomposerEEEEE10hipError_tT0_T1_T2_jT3_P12ihipStream_tbPNSt15iterator_traitsISK_E10value_typeEPNSQ_ISL_E10value_typeEPSM_NS1_7vsmem_tEENKUlT_SK_SL_SM_E_clIPiSE_SF_SF_EESJ_SZ_SK_SL_SM_EUlSZ_E0_NS1_11comp_targetILNS1_3genE8ELNS1_11target_archE1030ELNS1_3gpuE2ELNS1_3repE0EEENS1_38merge_mergepath_config_static_selectorELNS0_4arch9wavefront6targetE0EEEvSL_.has_dyn_sized_stack, 0
	.set _ZN7rocprim17ROCPRIM_400000_NS6detail17trampoline_kernelINS0_14default_configENS1_38merge_sort_block_merge_config_selectorIiNS0_10empty_typeEEEZZNS1_27merge_sort_block_merge_implIS3_N6thrust23THRUST_200600_302600_NS6detail15normal_iteratorINS9_10device_ptrIiEEEEPS5_jNS1_19radix_merge_compareILb0ELb0EiNS0_19identity_decomposerEEEEE10hipError_tT0_T1_T2_jT3_P12ihipStream_tbPNSt15iterator_traitsISK_E10value_typeEPNSQ_ISL_E10value_typeEPSM_NS1_7vsmem_tEENKUlT_SK_SL_SM_E_clIPiSE_SF_SF_EESJ_SZ_SK_SL_SM_EUlSZ_E0_NS1_11comp_targetILNS1_3genE8ELNS1_11target_archE1030ELNS1_3gpuE2ELNS1_3repE0EEENS1_38merge_mergepath_config_static_selectorELNS0_4arch9wavefront6targetE0EEEvSL_.has_recursion, 0
	.set _ZN7rocprim17ROCPRIM_400000_NS6detail17trampoline_kernelINS0_14default_configENS1_38merge_sort_block_merge_config_selectorIiNS0_10empty_typeEEEZZNS1_27merge_sort_block_merge_implIS3_N6thrust23THRUST_200600_302600_NS6detail15normal_iteratorINS9_10device_ptrIiEEEEPS5_jNS1_19radix_merge_compareILb0ELb0EiNS0_19identity_decomposerEEEEE10hipError_tT0_T1_T2_jT3_P12ihipStream_tbPNSt15iterator_traitsISK_E10value_typeEPNSQ_ISL_E10value_typeEPSM_NS1_7vsmem_tEENKUlT_SK_SL_SM_E_clIPiSE_SF_SF_EESJ_SZ_SK_SL_SM_EUlSZ_E0_NS1_11comp_targetILNS1_3genE8ELNS1_11target_archE1030ELNS1_3gpuE2ELNS1_3repE0EEENS1_38merge_mergepath_config_static_selectorELNS0_4arch9wavefront6targetE0EEEvSL_.has_indirect_call, 0
	.section	.AMDGPU.csdata,"",@progbits
; Kernel info:
; codeLenInByte = 1436
; TotalNumSgprs: 25
; NumVgprs: 14
; ScratchSize: 0
; MemoryBound: 0
; FloatMode: 240
; IeeeMode: 1
; LDSByteSize: 4224 bytes/workgroup (compile time only)
; SGPRBlocks: 0
; VGPRBlocks: 1
; NumSGPRsForWavesPerEU: 25
; NumVGPRsForWavesPerEU: 14
; Occupancy: 16
; WaveLimiterHint : 1
; COMPUTE_PGM_RSRC2:SCRATCH_EN: 0
; COMPUTE_PGM_RSRC2:USER_SGPR: 6
; COMPUTE_PGM_RSRC2:TRAP_HANDLER: 0
; COMPUTE_PGM_RSRC2:TGID_X_EN: 1
; COMPUTE_PGM_RSRC2:TGID_Y_EN: 1
; COMPUTE_PGM_RSRC2:TGID_Z_EN: 1
; COMPUTE_PGM_RSRC2:TIDIG_COMP_CNT: 0
	.section	.text._ZN7rocprim17ROCPRIM_400000_NS6detail17trampoline_kernelINS0_14default_configENS1_38merge_sort_block_merge_config_selectorIiNS0_10empty_typeEEEZZNS1_27merge_sort_block_merge_implIS3_N6thrust23THRUST_200600_302600_NS6detail15normal_iteratorINS9_10device_ptrIiEEEEPS5_jNS1_19radix_merge_compareILb0ELb0EiNS0_19identity_decomposerEEEEE10hipError_tT0_T1_T2_jT3_P12ihipStream_tbPNSt15iterator_traitsISK_E10value_typeEPNSQ_ISL_E10value_typeEPSM_NS1_7vsmem_tEENKUlT_SK_SL_SM_E_clIPiSE_SF_SF_EESJ_SZ_SK_SL_SM_EUlSZ_E1_NS1_11comp_targetILNS1_3genE0ELNS1_11target_archE4294967295ELNS1_3gpuE0ELNS1_3repE0EEENS1_36merge_oddeven_config_static_selectorELNS0_4arch9wavefront6targetE0EEEvSL_,"axG",@progbits,_ZN7rocprim17ROCPRIM_400000_NS6detail17trampoline_kernelINS0_14default_configENS1_38merge_sort_block_merge_config_selectorIiNS0_10empty_typeEEEZZNS1_27merge_sort_block_merge_implIS3_N6thrust23THRUST_200600_302600_NS6detail15normal_iteratorINS9_10device_ptrIiEEEEPS5_jNS1_19radix_merge_compareILb0ELb0EiNS0_19identity_decomposerEEEEE10hipError_tT0_T1_T2_jT3_P12ihipStream_tbPNSt15iterator_traitsISK_E10value_typeEPNSQ_ISL_E10value_typeEPSM_NS1_7vsmem_tEENKUlT_SK_SL_SM_E_clIPiSE_SF_SF_EESJ_SZ_SK_SL_SM_EUlSZ_E1_NS1_11comp_targetILNS1_3genE0ELNS1_11target_archE4294967295ELNS1_3gpuE0ELNS1_3repE0EEENS1_36merge_oddeven_config_static_selectorELNS0_4arch9wavefront6targetE0EEEvSL_,comdat
	.protected	_ZN7rocprim17ROCPRIM_400000_NS6detail17trampoline_kernelINS0_14default_configENS1_38merge_sort_block_merge_config_selectorIiNS0_10empty_typeEEEZZNS1_27merge_sort_block_merge_implIS3_N6thrust23THRUST_200600_302600_NS6detail15normal_iteratorINS9_10device_ptrIiEEEEPS5_jNS1_19radix_merge_compareILb0ELb0EiNS0_19identity_decomposerEEEEE10hipError_tT0_T1_T2_jT3_P12ihipStream_tbPNSt15iterator_traitsISK_E10value_typeEPNSQ_ISL_E10value_typeEPSM_NS1_7vsmem_tEENKUlT_SK_SL_SM_E_clIPiSE_SF_SF_EESJ_SZ_SK_SL_SM_EUlSZ_E1_NS1_11comp_targetILNS1_3genE0ELNS1_11target_archE4294967295ELNS1_3gpuE0ELNS1_3repE0EEENS1_36merge_oddeven_config_static_selectorELNS0_4arch9wavefront6targetE0EEEvSL_ ; -- Begin function _ZN7rocprim17ROCPRIM_400000_NS6detail17trampoline_kernelINS0_14default_configENS1_38merge_sort_block_merge_config_selectorIiNS0_10empty_typeEEEZZNS1_27merge_sort_block_merge_implIS3_N6thrust23THRUST_200600_302600_NS6detail15normal_iteratorINS9_10device_ptrIiEEEEPS5_jNS1_19radix_merge_compareILb0ELb0EiNS0_19identity_decomposerEEEEE10hipError_tT0_T1_T2_jT3_P12ihipStream_tbPNSt15iterator_traitsISK_E10value_typeEPNSQ_ISL_E10value_typeEPSM_NS1_7vsmem_tEENKUlT_SK_SL_SM_E_clIPiSE_SF_SF_EESJ_SZ_SK_SL_SM_EUlSZ_E1_NS1_11comp_targetILNS1_3genE0ELNS1_11target_archE4294967295ELNS1_3gpuE0ELNS1_3repE0EEENS1_36merge_oddeven_config_static_selectorELNS0_4arch9wavefront6targetE0EEEvSL_
	.globl	_ZN7rocprim17ROCPRIM_400000_NS6detail17trampoline_kernelINS0_14default_configENS1_38merge_sort_block_merge_config_selectorIiNS0_10empty_typeEEEZZNS1_27merge_sort_block_merge_implIS3_N6thrust23THRUST_200600_302600_NS6detail15normal_iteratorINS9_10device_ptrIiEEEEPS5_jNS1_19radix_merge_compareILb0ELb0EiNS0_19identity_decomposerEEEEE10hipError_tT0_T1_T2_jT3_P12ihipStream_tbPNSt15iterator_traitsISK_E10value_typeEPNSQ_ISL_E10value_typeEPSM_NS1_7vsmem_tEENKUlT_SK_SL_SM_E_clIPiSE_SF_SF_EESJ_SZ_SK_SL_SM_EUlSZ_E1_NS1_11comp_targetILNS1_3genE0ELNS1_11target_archE4294967295ELNS1_3gpuE0ELNS1_3repE0EEENS1_36merge_oddeven_config_static_selectorELNS0_4arch9wavefront6targetE0EEEvSL_
	.p2align	8
	.type	_ZN7rocprim17ROCPRIM_400000_NS6detail17trampoline_kernelINS0_14default_configENS1_38merge_sort_block_merge_config_selectorIiNS0_10empty_typeEEEZZNS1_27merge_sort_block_merge_implIS3_N6thrust23THRUST_200600_302600_NS6detail15normal_iteratorINS9_10device_ptrIiEEEEPS5_jNS1_19radix_merge_compareILb0ELb0EiNS0_19identity_decomposerEEEEE10hipError_tT0_T1_T2_jT3_P12ihipStream_tbPNSt15iterator_traitsISK_E10value_typeEPNSQ_ISL_E10value_typeEPSM_NS1_7vsmem_tEENKUlT_SK_SL_SM_E_clIPiSE_SF_SF_EESJ_SZ_SK_SL_SM_EUlSZ_E1_NS1_11comp_targetILNS1_3genE0ELNS1_11target_archE4294967295ELNS1_3gpuE0ELNS1_3repE0EEENS1_36merge_oddeven_config_static_selectorELNS0_4arch9wavefront6targetE0EEEvSL_,@function
_ZN7rocprim17ROCPRIM_400000_NS6detail17trampoline_kernelINS0_14default_configENS1_38merge_sort_block_merge_config_selectorIiNS0_10empty_typeEEEZZNS1_27merge_sort_block_merge_implIS3_N6thrust23THRUST_200600_302600_NS6detail15normal_iteratorINS9_10device_ptrIiEEEEPS5_jNS1_19radix_merge_compareILb0ELb0EiNS0_19identity_decomposerEEEEE10hipError_tT0_T1_T2_jT3_P12ihipStream_tbPNSt15iterator_traitsISK_E10value_typeEPNSQ_ISL_E10value_typeEPSM_NS1_7vsmem_tEENKUlT_SK_SL_SM_E_clIPiSE_SF_SF_EESJ_SZ_SK_SL_SM_EUlSZ_E1_NS1_11comp_targetILNS1_3genE0ELNS1_11target_archE4294967295ELNS1_3gpuE0ELNS1_3repE0EEENS1_36merge_oddeven_config_static_selectorELNS0_4arch9wavefront6targetE0EEEvSL_: ; @_ZN7rocprim17ROCPRIM_400000_NS6detail17trampoline_kernelINS0_14default_configENS1_38merge_sort_block_merge_config_selectorIiNS0_10empty_typeEEEZZNS1_27merge_sort_block_merge_implIS3_N6thrust23THRUST_200600_302600_NS6detail15normal_iteratorINS9_10device_ptrIiEEEEPS5_jNS1_19radix_merge_compareILb0ELb0EiNS0_19identity_decomposerEEEEE10hipError_tT0_T1_T2_jT3_P12ihipStream_tbPNSt15iterator_traitsISK_E10value_typeEPNSQ_ISL_E10value_typeEPSM_NS1_7vsmem_tEENKUlT_SK_SL_SM_E_clIPiSE_SF_SF_EESJ_SZ_SK_SL_SM_EUlSZ_E1_NS1_11comp_targetILNS1_3genE0ELNS1_11target_archE4294967295ELNS1_3gpuE0ELNS1_3repE0EEENS1_36merge_oddeven_config_static_selectorELNS0_4arch9wavefront6targetE0EEEvSL_
; %bb.0:
	.section	.rodata,"a",@progbits
	.p2align	6, 0x0
	.amdhsa_kernel _ZN7rocprim17ROCPRIM_400000_NS6detail17trampoline_kernelINS0_14default_configENS1_38merge_sort_block_merge_config_selectorIiNS0_10empty_typeEEEZZNS1_27merge_sort_block_merge_implIS3_N6thrust23THRUST_200600_302600_NS6detail15normal_iteratorINS9_10device_ptrIiEEEEPS5_jNS1_19radix_merge_compareILb0ELb0EiNS0_19identity_decomposerEEEEE10hipError_tT0_T1_T2_jT3_P12ihipStream_tbPNSt15iterator_traitsISK_E10value_typeEPNSQ_ISL_E10value_typeEPSM_NS1_7vsmem_tEENKUlT_SK_SL_SM_E_clIPiSE_SF_SF_EESJ_SZ_SK_SL_SM_EUlSZ_E1_NS1_11comp_targetILNS1_3genE0ELNS1_11target_archE4294967295ELNS1_3gpuE0ELNS1_3repE0EEENS1_36merge_oddeven_config_static_selectorELNS0_4arch9wavefront6targetE0EEEvSL_
		.amdhsa_group_segment_fixed_size 0
		.amdhsa_private_segment_fixed_size 0
		.amdhsa_kernarg_size 48
		.amdhsa_user_sgpr_count 6
		.amdhsa_user_sgpr_private_segment_buffer 1
		.amdhsa_user_sgpr_dispatch_ptr 0
		.amdhsa_user_sgpr_queue_ptr 0
		.amdhsa_user_sgpr_kernarg_segment_ptr 1
		.amdhsa_user_sgpr_dispatch_id 0
		.amdhsa_user_sgpr_flat_scratch_init 0
		.amdhsa_user_sgpr_private_segment_size 0
		.amdhsa_wavefront_size32 1
		.amdhsa_uses_dynamic_stack 0
		.amdhsa_system_sgpr_private_segment_wavefront_offset 0
		.amdhsa_system_sgpr_workgroup_id_x 1
		.amdhsa_system_sgpr_workgroup_id_y 0
		.amdhsa_system_sgpr_workgroup_id_z 0
		.amdhsa_system_sgpr_workgroup_info 0
		.amdhsa_system_vgpr_workitem_id 0
		.amdhsa_next_free_vgpr 1
		.amdhsa_next_free_sgpr 1
		.amdhsa_reserve_vcc 0
		.amdhsa_reserve_flat_scratch 0
		.amdhsa_float_round_mode_32 0
		.amdhsa_float_round_mode_16_64 0
		.amdhsa_float_denorm_mode_32 3
		.amdhsa_float_denorm_mode_16_64 3
		.amdhsa_dx10_clamp 1
		.amdhsa_ieee_mode 1
		.amdhsa_fp16_overflow 0
		.amdhsa_workgroup_processor_mode 1
		.amdhsa_memory_ordered 1
		.amdhsa_forward_progress 1
		.amdhsa_shared_vgpr_count 0
		.amdhsa_exception_fp_ieee_invalid_op 0
		.amdhsa_exception_fp_denorm_src 0
		.amdhsa_exception_fp_ieee_div_zero 0
		.amdhsa_exception_fp_ieee_overflow 0
		.amdhsa_exception_fp_ieee_underflow 0
		.amdhsa_exception_fp_ieee_inexact 0
		.amdhsa_exception_int_div_zero 0
	.end_amdhsa_kernel
	.section	.text._ZN7rocprim17ROCPRIM_400000_NS6detail17trampoline_kernelINS0_14default_configENS1_38merge_sort_block_merge_config_selectorIiNS0_10empty_typeEEEZZNS1_27merge_sort_block_merge_implIS3_N6thrust23THRUST_200600_302600_NS6detail15normal_iteratorINS9_10device_ptrIiEEEEPS5_jNS1_19radix_merge_compareILb0ELb0EiNS0_19identity_decomposerEEEEE10hipError_tT0_T1_T2_jT3_P12ihipStream_tbPNSt15iterator_traitsISK_E10value_typeEPNSQ_ISL_E10value_typeEPSM_NS1_7vsmem_tEENKUlT_SK_SL_SM_E_clIPiSE_SF_SF_EESJ_SZ_SK_SL_SM_EUlSZ_E1_NS1_11comp_targetILNS1_3genE0ELNS1_11target_archE4294967295ELNS1_3gpuE0ELNS1_3repE0EEENS1_36merge_oddeven_config_static_selectorELNS0_4arch9wavefront6targetE0EEEvSL_,"axG",@progbits,_ZN7rocprim17ROCPRIM_400000_NS6detail17trampoline_kernelINS0_14default_configENS1_38merge_sort_block_merge_config_selectorIiNS0_10empty_typeEEEZZNS1_27merge_sort_block_merge_implIS3_N6thrust23THRUST_200600_302600_NS6detail15normal_iteratorINS9_10device_ptrIiEEEEPS5_jNS1_19radix_merge_compareILb0ELb0EiNS0_19identity_decomposerEEEEE10hipError_tT0_T1_T2_jT3_P12ihipStream_tbPNSt15iterator_traitsISK_E10value_typeEPNSQ_ISL_E10value_typeEPSM_NS1_7vsmem_tEENKUlT_SK_SL_SM_E_clIPiSE_SF_SF_EESJ_SZ_SK_SL_SM_EUlSZ_E1_NS1_11comp_targetILNS1_3genE0ELNS1_11target_archE4294967295ELNS1_3gpuE0ELNS1_3repE0EEENS1_36merge_oddeven_config_static_selectorELNS0_4arch9wavefront6targetE0EEEvSL_,comdat
.Lfunc_end35:
	.size	_ZN7rocprim17ROCPRIM_400000_NS6detail17trampoline_kernelINS0_14default_configENS1_38merge_sort_block_merge_config_selectorIiNS0_10empty_typeEEEZZNS1_27merge_sort_block_merge_implIS3_N6thrust23THRUST_200600_302600_NS6detail15normal_iteratorINS9_10device_ptrIiEEEEPS5_jNS1_19radix_merge_compareILb0ELb0EiNS0_19identity_decomposerEEEEE10hipError_tT0_T1_T2_jT3_P12ihipStream_tbPNSt15iterator_traitsISK_E10value_typeEPNSQ_ISL_E10value_typeEPSM_NS1_7vsmem_tEENKUlT_SK_SL_SM_E_clIPiSE_SF_SF_EESJ_SZ_SK_SL_SM_EUlSZ_E1_NS1_11comp_targetILNS1_3genE0ELNS1_11target_archE4294967295ELNS1_3gpuE0ELNS1_3repE0EEENS1_36merge_oddeven_config_static_selectorELNS0_4arch9wavefront6targetE0EEEvSL_, .Lfunc_end35-_ZN7rocprim17ROCPRIM_400000_NS6detail17trampoline_kernelINS0_14default_configENS1_38merge_sort_block_merge_config_selectorIiNS0_10empty_typeEEEZZNS1_27merge_sort_block_merge_implIS3_N6thrust23THRUST_200600_302600_NS6detail15normal_iteratorINS9_10device_ptrIiEEEEPS5_jNS1_19radix_merge_compareILb0ELb0EiNS0_19identity_decomposerEEEEE10hipError_tT0_T1_T2_jT3_P12ihipStream_tbPNSt15iterator_traitsISK_E10value_typeEPNSQ_ISL_E10value_typeEPSM_NS1_7vsmem_tEENKUlT_SK_SL_SM_E_clIPiSE_SF_SF_EESJ_SZ_SK_SL_SM_EUlSZ_E1_NS1_11comp_targetILNS1_3genE0ELNS1_11target_archE4294967295ELNS1_3gpuE0ELNS1_3repE0EEENS1_36merge_oddeven_config_static_selectorELNS0_4arch9wavefront6targetE0EEEvSL_
                                        ; -- End function
	.set _ZN7rocprim17ROCPRIM_400000_NS6detail17trampoline_kernelINS0_14default_configENS1_38merge_sort_block_merge_config_selectorIiNS0_10empty_typeEEEZZNS1_27merge_sort_block_merge_implIS3_N6thrust23THRUST_200600_302600_NS6detail15normal_iteratorINS9_10device_ptrIiEEEEPS5_jNS1_19radix_merge_compareILb0ELb0EiNS0_19identity_decomposerEEEEE10hipError_tT0_T1_T2_jT3_P12ihipStream_tbPNSt15iterator_traitsISK_E10value_typeEPNSQ_ISL_E10value_typeEPSM_NS1_7vsmem_tEENKUlT_SK_SL_SM_E_clIPiSE_SF_SF_EESJ_SZ_SK_SL_SM_EUlSZ_E1_NS1_11comp_targetILNS1_3genE0ELNS1_11target_archE4294967295ELNS1_3gpuE0ELNS1_3repE0EEENS1_36merge_oddeven_config_static_selectorELNS0_4arch9wavefront6targetE0EEEvSL_.num_vgpr, 0
	.set _ZN7rocprim17ROCPRIM_400000_NS6detail17trampoline_kernelINS0_14default_configENS1_38merge_sort_block_merge_config_selectorIiNS0_10empty_typeEEEZZNS1_27merge_sort_block_merge_implIS3_N6thrust23THRUST_200600_302600_NS6detail15normal_iteratorINS9_10device_ptrIiEEEEPS5_jNS1_19radix_merge_compareILb0ELb0EiNS0_19identity_decomposerEEEEE10hipError_tT0_T1_T2_jT3_P12ihipStream_tbPNSt15iterator_traitsISK_E10value_typeEPNSQ_ISL_E10value_typeEPSM_NS1_7vsmem_tEENKUlT_SK_SL_SM_E_clIPiSE_SF_SF_EESJ_SZ_SK_SL_SM_EUlSZ_E1_NS1_11comp_targetILNS1_3genE0ELNS1_11target_archE4294967295ELNS1_3gpuE0ELNS1_3repE0EEENS1_36merge_oddeven_config_static_selectorELNS0_4arch9wavefront6targetE0EEEvSL_.num_agpr, 0
	.set _ZN7rocprim17ROCPRIM_400000_NS6detail17trampoline_kernelINS0_14default_configENS1_38merge_sort_block_merge_config_selectorIiNS0_10empty_typeEEEZZNS1_27merge_sort_block_merge_implIS3_N6thrust23THRUST_200600_302600_NS6detail15normal_iteratorINS9_10device_ptrIiEEEEPS5_jNS1_19radix_merge_compareILb0ELb0EiNS0_19identity_decomposerEEEEE10hipError_tT0_T1_T2_jT3_P12ihipStream_tbPNSt15iterator_traitsISK_E10value_typeEPNSQ_ISL_E10value_typeEPSM_NS1_7vsmem_tEENKUlT_SK_SL_SM_E_clIPiSE_SF_SF_EESJ_SZ_SK_SL_SM_EUlSZ_E1_NS1_11comp_targetILNS1_3genE0ELNS1_11target_archE4294967295ELNS1_3gpuE0ELNS1_3repE0EEENS1_36merge_oddeven_config_static_selectorELNS0_4arch9wavefront6targetE0EEEvSL_.numbered_sgpr, 0
	.set _ZN7rocprim17ROCPRIM_400000_NS6detail17trampoline_kernelINS0_14default_configENS1_38merge_sort_block_merge_config_selectorIiNS0_10empty_typeEEEZZNS1_27merge_sort_block_merge_implIS3_N6thrust23THRUST_200600_302600_NS6detail15normal_iteratorINS9_10device_ptrIiEEEEPS5_jNS1_19radix_merge_compareILb0ELb0EiNS0_19identity_decomposerEEEEE10hipError_tT0_T1_T2_jT3_P12ihipStream_tbPNSt15iterator_traitsISK_E10value_typeEPNSQ_ISL_E10value_typeEPSM_NS1_7vsmem_tEENKUlT_SK_SL_SM_E_clIPiSE_SF_SF_EESJ_SZ_SK_SL_SM_EUlSZ_E1_NS1_11comp_targetILNS1_3genE0ELNS1_11target_archE4294967295ELNS1_3gpuE0ELNS1_3repE0EEENS1_36merge_oddeven_config_static_selectorELNS0_4arch9wavefront6targetE0EEEvSL_.num_named_barrier, 0
	.set _ZN7rocprim17ROCPRIM_400000_NS6detail17trampoline_kernelINS0_14default_configENS1_38merge_sort_block_merge_config_selectorIiNS0_10empty_typeEEEZZNS1_27merge_sort_block_merge_implIS3_N6thrust23THRUST_200600_302600_NS6detail15normal_iteratorINS9_10device_ptrIiEEEEPS5_jNS1_19radix_merge_compareILb0ELb0EiNS0_19identity_decomposerEEEEE10hipError_tT0_T1_T2_jT3_P12ihipStream_tbPNSt15iterator_traitsISK_E10value_typeEPNSQ_ISL_E10value_typeEPSM_NS1_7vsmem_tEENKUlT_SK_SL_SM_E_clIPiSE_SF_SF_EESJ_SZ_SK_SL_SM_EUlSZ_E1_NS1_11comp_targetILNS1_3genE0ELNS1_11target_archE4294967295ELNS1_3gpuE0ELNS1_3repE0EEENS1_36merge_oddeven_config_static_selectorELNS0_4arch9wavefront6targetE0EEEvSL_.private_seg_size, 0
	.set _ZN7rocprim17ROCPRIM_400000_NS6detail17trampoline_kernelINS0_14default_configENS1_38merge_sort_block_merge_config_selectorIiNS0_10empty_typeEEEZZNS1_27merge_sort_block_merge_implIS3_N6thrust23THRUST_200600_302600_NS6detail15normal_iteratorINS9_10device_ptrIiEEEEPS5_jNS1_19radix_merge_compareILb0ELb0EiNS0_19identity_decomposerEEEEE10hipError_tT0_T1_T2_jT3_P12ihipStream_tbPNSt15iterator_traitsISK_E10value_typeEPNSQ_ISL_E10value_typeEPSM_NS1_7vsmem_tEENKUlT_SK_SL_SM_E_clIPiSE_SF_SF_EESJ_SZ_SK_SL_SM_EUlSZ_E1_NS1_11comp_targetILNS1_3genE0ELNS1_11target_archE4294967295ELNS1_3gpuE0ELNS1_3repE0EEENS1_36merge_oddeven_config_static_selectorELNS0_4arch9wavefront6targetE0EEEvSL_.uses_vcc, 0
	.set _ZN7rocprim17ROCPRIM_400000_NS6detail17trampoline_kernelINS0_14default_configENS1_38merge_sort_block_merge_config_selectorIiNS0_10empty_typeEEEZZNS1_27merge_sort_block_merge_implIS3_N6thrust23THRUST_200600_302600_NS6detail15normal_iteratorINS9_10device_ptrIiEEEEPS5_jNS1_19radix_merge_compareILb0ELb0EiNS0_19identity_decomposerEEEEE10hipError_tT0_T1_T2_jT3_P12ihipStream_tbPNSt15iterator_traitsISK_E10value_typeEPNSQ_ISL_E10value_typeEPSM_NS1_7vsmem_tEENKUlT_SK_SL_SM_E_clIPiSE_SF_SF_EESJ_SZ_SK_SL_SM_EUlSZ_E1_NS1_11comp_targetILNS1_3genE0ELNS1_11target_archE4294967295ELNS1_3gpuE0ELNS1_3repE0EEENS1_36merge_oddeven_config_static_selectorELNS0_4arch9wavefront6targetE0EEEvSL_.uses_flat_scratch, 0
	.set _ZN7rocprim17ROCPRIM_400000_NS6detail17trampoline_kernelINS0_14default_configENS1_38merge_sort_block_merge_config_selectorIiNS0_10empty_typeEEEZZNS1_27merge_sort_block_merge_implIS3_N6thrust23THRUST_200600_302600_NS6detail15normal_iteratorINS9_10device_ptrIiEEEEPS5_jNS1_19radix_merge_compareILb0ELb0EiNS0_19identity_decomposerEEEEE10hipError_tT0_T1_T2_jT3_P12ihipStream_tbPNSt15iterator_traitsISK_E10value_typeEPNSQ_ISL_E10value_typeEPSM_NS1_7vsmem_tEENKUlT_SK_SL_SM_E_clIPiSE_SF_SF_EESJ_SZ_SK_SL_SM_EUlSZ_E1_NS1_11comp_targetILNS1_3genE0ELNS1_11target_archE4294967295ELNS1_3gpuE0ELNS1_3repE0EEENS1_36merge_oddeven_config_static_selectorELNS0_4arch9wavefront6targetE0EEEvSL_.has_dyn_sized_stack, 0
	.set _ZN7rocprim17ROCPRIM_400000_NS6detail17trampoline_kernelINS0_14default_configENS1_38merge_sort_block_merge_config_selectorIiNS0_10empty_typeEEEZZNS1_27merge_sort_block_merge_implIS3_N6thrust23THRUST_200600_302600_NS6detail15normal_iteratorINS9_10device_ptrIiEEEEPS5_jNS1_19radix_merge_compareILb0ELb0EiNS0_19identity_decomposerEEEEE10hipError_tT0_T1_T2_jT3_P12ihipStream_tbPNSt15iterator_traitsISK_E10value_typeEPNSQ_ISL_E10value_typeEPSM_NS1_7vsmem_tEENKUlT_SK_SL_SM_E_clIPiSE_SF_SF_EESJ_SZ_SK_SL_SM_EUlSZ_E1_NS1_11comp_targetILNS1_3genE0ELNS1_11target_archE4294967295ELNS1_3gpuE0ELNS1_3repE0EEENS1_36merge_oddeven_config_static_selectorELNS0_4arch9wavefront6targetE0EEEvSL_.has_recursion, 0
	.set _ZN7rocprim17ROCPRIM_400000_NS6detail17trampoline_kernelINS0_14default_configENS1_38merge_sort_block_merge_config_selectorIiNS0_10empty_typeEEEZZNS1_27merge_sort_block_merge_implIS3_N6thrust23THRUST_200600_302600_NS6detail15normal_iteratorINS9_10device_ptrIiEEEEPS5_jNS1_19radix_merge_compareILb0ELb0EiNS0_19identity_decomposerEEEEE10hipError_tT0_T1_T2_jT3_P12ihipStream_tbPNSt15iterator_traitsISK_E10value_typeEPNSQ_ISL_E10value_typeEPSM_NS1_7vsmem_tEENKUlT_SK_SL_SM_E_clIPiSE_SF_SF_EESJ_SZ_SK_SL_SM_EUlSZ_E1_NS1_11comp_targetILNS1_3genE0ELNS1_11target_archE4294967295ELNS1_3gpuE0ELNS1_3repE0EEENS1_36merge_oddeven_config_static_selectorELNS0_4arch9wavefront6targetE0EEEvSL_.has_indirect_call, 0
	.section	.AMDGPU.csdata,"",@progbits
; Kernel info:
; codeLenInByte = 0
; TotalNumSgprs: 0
; NumVgprs: 0
; ScratchSize: 0
; MemoryBound: 0
; FloatMode: 240
; IeeeMode: 1
; LDSByteSize: 0 bytes/workgroup (compile time only)
; SGPRBlocks: 0
; VGPRBlocks: 0
; NumSGPRsForWavesPerEU: 1
; NumVGPRsForWavesPerEU: 1
; Occupancy: 16
; WaveLimiterHint : 0
; COMPUTE_PGM_RSRC2:SCRATCH_EN: 0
; COMPUTE_PGM_RSRC2:USER_SGPR: 6
; COMPUTE_PGM_RSRC2:TRAP_HANDLER: 0
; COMPUTE_PGM_RSRC2:TGID_X_EN: 1
; COMPUTE_PGM_RSRC2:TGID_Y_EN: 0
; COMPUTE_PGM_RSRC2:TGID_Z_EN: 0
; COMPUTE_PGM_RSRC2:TIDIG_COMP_CNT: 0
	.section	.text._ZN7rocprim17ROCPRIM_400000_NS6detail17trampoline_kernelINS0_14default_configENS1_38merge_sort_block_merge_config_selectorIiNS0_10empty_typeEEEZZNS1_27merge_sort_block_merge_implIS3_N6thrust23THRUST_200600_302600_NS6detail15normal_iteratorINS9_10device_ptrIiEEEEPS5_jNS1_19radix_merge_compareILb0ELb0EiNS0_19identity_decomposerEEEEE10hipError_tT0_T1_T2_jT3_P12ihipStream_tbPNSt15iterator_traitsISK_E10value_typeEPNSQ_ISL_E10value_typeEPSM_NS1_7vsmem_tEENKUlT_SK_SL_SM_E_clIPiSE_SF_SF_EESJ_SZ_SK_SL_SM_EUlSZ_E1_NS1_11comp_targetILNS1_3genE10ELNS1_11target_archE1201ELNS1_3gpuE5ELNS1_3repE0EEENS1_36merge_oddeven_config_static_selectorELNS0_4arch9wavefront6targetE0EEEvSL_,"axG",@progbits,_ZN7rocprim17ROCPRIM_400000_NS6detail17trampoline_kernelINS0_14default_configENS1_38merge_sort_block_merge_config_selectorIiNS0_10empty_typeEEEZZNS1_27merge_sort_block_merge_implIS3_N6thrust23THRUST_200600_302600_NS6detail15normal_iteratorINS9_10device_ptrIiEEEEPS5_jNS1_19radix_merge_compareILb0ELb0EiNS0_19identity_decomposerEEEEE10hipError_tT0_T1_T2_jT3_P12ihipStream_tbPNSt15iterator_traitsISK_E10value_typeEPNSQ_ISL_E10value_typeEPSM_NS1_7vsmem_tEENKUlT_SK_SL_SM_E_clIPiSE_SF_SF_EESJ_SZ_SK_SL_SM_EUlSZ_E1_NS1_11comp_targetILNS1_3genE10ELNS1_11target_archE1201ELNS1_3gpuE5ELNS1_3repE0EEENS1_36merge_oddeven_config_static_selectorELNS0_4arch9wavefront6targetE0EEEvSL_,comdat
	.protected	_ZN7rocprim17ROCPRIM_400000_NS6detail17trampoline_kernelINS0_14default_configENS1_38merge_sort_block_merge_config_selectorIiNS0_10empty_typeEEEZZNS1_27merge_sort_block_merge_implIS3_N6thrust23THRUST_200600_302600_NS6detail15normal_iteratorINS9_10device_ptrIiEEEEPS5_jNS1_19radix_merge_compareILb0ELb0EiNS0_19identity_decomposerEEEEE10hipError_tT0_T1_T2_jT3_P12ihipStream_tbPNSt15iterator_traitsISK_E10value_typeEPNSQ_ISL_E10value_typeEPSM_NS1_7vsmem_tEENKUlT_SK_SL_SM_E_clIPiSE_SF_SF_EESJ_SZ_SK_SL_SM_EUlSZ_E1_NS1_11comp_targetILNS1_3genE10ELNS1_11target_archE1201ELNS1_3gpuE5ELNS1_3repE0EEENS1_36merge_oddeven_config_static_selectorELNS0_4arch9wavefront6targetE0EEEvSL_ ; -- Begin function _ZN7rocprim17ROCPRIM_400000_NS6detail17trampoline_kernelINS0_14default_configENS1_38merge_sort_block_merge_config_selectorIiNS0_10empty_typeEEEZZNS1_27merge_sort_block_merge_implIS3_N6thrust23THRUST_200600_302600_NS6detail15normal_iteratorINS9_10device_ptrIiEEEEPS5_jNS1_19radix_merge_compareILb0ELb0EiNS0_19identity_decomposerEEEEE10hipError_tT0_T1_T2_jT3_P12ihipStream_tbPNSt15iterator_traitsISK_E10value_typeEPNSQ_ISL_E10value_typeEPSM_NS1_7vsmem_tEENKUlT_SK_SL_SM_E_clIPiSE_SF_SF_EESJ_SZ_SK_SL_SM_EUlSZ_E1_NS1_11comp_targetILNS1_3genE10ELNS1_11target_archE1201ELNS1_3gpuE5ELNS1_3repE0EEENS1_36merge_oddeven_config_static_selectorELNS0_4arch9wavefront6targetE0EEEvSL_
	.globl	_ZN7rocprim17ROCPRIM_400000_NS6detail17trampoline_kernelINS0_14default_configENS1_38merge_sort_block_merge_config_selectorIiNS0_10empty_typeEEEZZNS1_27merge_sort_block_merge_implIS3_N6thrust23THRUST_200600_302600_NS6detail15normal_iteratorINS9_10device_ptrIiEEEEPS5_jNS1_19radix_merge_compareILb0ELb0EiNS0_19identity_decomposerEEEEE10hipError_tT0_T1_T2_jT3_P12ihipStream_tbPNSt15iterator_traitsISK_E10value_typeEPNSQ_ISL_E10value_typeEPSM_NS1_7vsmem_tEENKUlT_SK_SL_SM_E_clIPiSE_SF_SF_EESJ_SZ_SK_SL_SM_EUlSZ_E1_NS1_11comp_targetILNS1_3genE10ELNS1_11target_archE1201ELNS1_3gpuE5ELNS1_3repE0EEENS1_36merge_oddeven_config_static_selectorELNS0_4arch9wavefront6targetE0EEEvSL_
	.p2align	8
	.type	_ZN7rocprim17ROCPRIM_400000_NS6detail17trampoline_kernelINS0_14default_configENS1_38merge_sort_block_merge_config_selectorIiNS0_10empty_typeEEEZZNS1_27merge_sort_block_merge_implIS3_N6thrust23THRUST_200600_302600_NS6detail15normal_iteratorINS9_10device_ptrIiEEEEPS5_jNS1_19radix_merge_compareILb0ELb0EiNS0_19identity_decomposerEEEEE10hipError_tT0_T1_T2_jT3_P12ihipStream_tbPNSt15iterator_traitsISK_E10value_typeEPNSQ_ISL_E10value_typeEPSM_NS1_7vsmem_tEENKUlT_SK_SL_SM_E_clIPiSE_SF_SF_EESJ_SZ_SK_SL_SM_EUlSZ_E1_NS1_11comp_targetILNS1_3genE10ELNS1_11target_archE1201ELNS1_3gpuE5ELNS1_3repE0EEENS1_36merge_oddeven_config_static_selectorELNS0_4arch9wavefront6targetE0EEEvSL_,@function
_ZN7rocprim17ROCPRIM_400000_NS6detail17trampoline_kernelINS0_14default_configENS1_38merge_sort_block_merge_config_selectorIiNS0_10empty_typeEEEZZNS1_27merge_sort_block_merge_implIS3_N6thrust23THRUST_200600_302600_NS6detail15normal_iteratorINS9_10device_ptrIiEEEEPS5_jNS1_19radix_merge_compareILb0ELb0EiNS0_19identity_decomposerEEEEE10hipError_tT0_T1_T2_jT3_P12ihipStream_tbPNSt15iterator_traitsISK_E10value_typeEPNSQ_ISL_E10value_typeEPSM_NS1_7vsmem_tEENKUlT_SK_SL_SM_E_clIPiSE_SF_SF_EESJ_SZ_SK_SL_SM_EUlSZ_E1_NS1_11comp_targetILNS1_3genE10ELNS1_11target_archE1201ELNS1_3gpuE5ELNS1_3repE0EEENS1_36merge_oddeven_config_static_selectorELNS0_4arch9wavefront6targetE0EEEvSL_: ; @_ZN7rocprim17ROCPRIM_400000_NS6detail17trampoline_kernelINS0_14default_configENS1_38merge_sort_block_merge_config_selectorIiNS0_10empty_typeEEEZZNS1_27merge_sort_block_merge_implIS3_N6thrust23THRUST_200600_302600_NS6detail15normal_iteratorINS9_10device_ptrIiEEEEPS5_jNS1_19radix_merge_compareILb0ELb0EiNS0_19identity_decomposerEEEEE10hipError_tT0_T1_T2_jT3_P12ihipStream_tbPNSt15iterator_traitsISK_E10value_typeEPNSQ_ISL_E10value_typeEPSM_NS1_7vsmem_tEENKUlT_SK_SL_SM_E_clIPiSE_SF_SF_EESJ_SZ_SK_SL_SM_EUlSZ_E1_NS1_11comp_targetILNS1_3genE10ELNS1_11target_archE1201ELNS1_3gpuE5ELNS1_3repE0EEENS1_36merge_oddeven_config_static_selectorELNS0_4arch9wavefront6targetE0EEEvSL_
; %bb.0:
	.section	.rodata,"a",@progbits
	.p2align	6, 0x0
	.amdhsa_kernel _ZN7rocprim17ROCPRIM_400000_NS6detail17trampoline_kernelINS0_14default_configENS1_38merge_sort_block_merge_config_selectorIiNS0_10empty_typeEEEZZNS1_27merge_sort_block_merge_implIS3_N6thrust23THRUST_200600_302600_NS6detail15normal_iteratorINS9_10device_ptrIiEEEEPS5_jNS1_19radix_merge_compareILb0ELb0EiNS0_19identity_decomposerEEEEE10hipError_tT0_T1_T2_jT3_P12ihipStream_tbPNSt15iterator_traitsISK_E10value_typeEPNSQ_ISL_E10value_typeEPSM_NS1_7vsmem_tEENKUlT_SK_SL_SM_E_clIPiSE_SF_SF_EESJ_SZ_SK_SL_SM_EUlSZ_E1_NS1_11comp_targetILNS1_3genE10ELNS1_11target_archE1201ELNS1_3gpuE5ELNS1_3repE0EEENS1_36merge_oddeven_config_static_selectorELNS0_4arch9wavefront6targetE0EEEvSL_
		.amdhsa_group_segment_fixed_size 0
		.amdhsa_private_segment_fixed_size 0
		.amdhsa_kernarg_size 48
		.amdhsa_user_sgpr_count 6
		.amdhsa_user_sgpr_private_segment_buffer 1
		.amdhsa_user_sgpr_dispatch_ptr 0
		.amdhsa_user_sgpr_queue_ptr 0
		.amdhsa_user_sgpr_kernarg_segment_ptr 1
		.amdhsa_user_sgpr_dispatch_id 0
		.amdhsa_user_sgpr_flat_scratch_init 0
		.amdhsa_user_sgpr_private_segment_size 0
		.amdhsa_wavefront_size32 1
		.amdhsa_uses_dynamic_stack 0
		.amdhsa_system_sgpr_private_segment_wavefront_offset 0
		.amdhsa_system_sgpr_workgroup_id_x 1
		.amdhsa_system_sgpr_workgroup_id_y 0
		.amdhsa_system_sgpr_workgroup_id_z 0
		.amdhsa_system_sgpr_workgroup_info 0
		.amdhsa_system_vgpr_workitem_id 0
		.amdhsa_next_free_vgpr 1
		.amdhsa_next_free_sgpr 1
		.amdhsa_reserve_vcc 0
		.amdhsa_reserve_flat_scratch 0
		.amdhsa_float_round_mode_32 0
		.amdhsa_float_round_mode_16_64 0
		.amdhsa_float_denorm_mode_32 3
		.amdhsa_float_denorm_mode_16_64 3
		.amdhsa_dx10_clamp 1
		.amdhsa_ieee_mode 1
		.amdhsa_fp16_overflow 0
		.amdhsa_workgroup_processor_mode 1
		.amdhsa_memory_ordered 1
		.amdhsa_forward_progress 1
		.amdhsa_shared_vgpr_count 0
		.amdhsa_exception_fp_ieee_invalid_op 0
		.amdhsa_exception_fp_denorm_src 0
		.amdhsa_exception_fp_ieee_div_zero 0
		.amdhsa_exception_fp_ieee_overflow 0
		.amdhsa_exception_fp_ieee_underflow 0
		.amdhsa_exception_fp_ieee_inexact 0
		.amdhsa_exception_int_div_zero 0
	.end_amdhsa_kernel
	.section	.text._ZN7rocprim17ROCPRIM_400000_NS6detail17trampoline_kernelINS0_14default_configENS1_38merge_sort_block_merge_config_selectorIiNS0_10empty_typeEEEZZNS1_27merge_sort_block_merge_implIS3_N6thrust23THRUST_200600_302600_NS6detail15normal_iteratorINS9_10device_ptrIiEEEEPS5_jNS1_19radix_merge_compareILb0ELb0EiNS0_19identity_decomposerEEEEE10hipError_tT0_T1_T2_jT3_P12ihipStream_tbPNSt15iterator_traitsISK_E10value_typeEPNSQ_ISL_E10value_typeEPSM_NS1_7vsmem_tEENKUlT_SK_SL_SM_E_clIPiSE_SF_SF_EESJ_SZ_SK_SL_SM_EUlSZ_E1_NS1_11comp_targetILNS1_3genE10ELNS1_11target_archE1201ELNS1_3gpuE5ELNS1_3repE0EEENS1_36merge_oddeven_config_static_selectorELNS0_4arch9wavefront6targetE0EEEvSL_,"axG",@progbits,_ZN7rocprim17ROCPRIM_400000_NS6detail17trampoline_kernelINS0_14default_configENS1_38merge_sort_block_merge_config_selectorIiNS0_10empty_typeEEEZZNS1_27merge_sort_block_merge_implIS3_N6thrust23THRUST_200600_302600_NS6detail15normal_iteratorINS9_10device_ptrIiEEEEPS5_jNS1_19radix_merge_compareILb0ELb0EiNS0_19identity_decomposerEEEEE10hipError_tT0_T1_T2_jT3_P12ihipStream_tbPNSt15iterator_traitsISK_E10value_typeEPNSQ_ISL_E10value_typeEPSM_NS1_7vsmem_tEENKUlT_SK_SL_SM_E_clIPiSE_SF_SF_EESJ_SZ_SK_SL_SM_EUlSZ_E1_NS1_11comp_targetILNS1_3genE10ELNS1_11target_archE1201ELNS1_3gpuE5ELNS1_3repE0EEENS1_36merge_oddeven_config_static_selectorELNS0_4arch9wavefront6targetE0EEEvSL_,comdat
.Lfunc_end36:
	.size	_ZN7rocprim17ROCPRIM_400000_NS6detail17trampoline_kernelINS0_14default_configENS1_38merge_sort_block_merge_config_selectorIiNS0_10empty_typeEEEZZNS1_27merge_sort_block_merge_implIS3_N6thrust23THRUST_200600_302600_NS6detail15normal_iteratorINS9_10device_ptrIiEEEEPS5_jNS1_19radix_merge_compareILb0ELb0EiNS0_19identity_decomposerEEEEE10hipError_tT0_T1_T2_jT3_P12ihipStream_tbPNSt15iterator_traitsISK_E10value_typeEPNSQ_ISL_E10value_typeEPSM_NS1_7vsmem_tEENKUlT_SK_SL_SM_E_clIPiSE_SF_SF_EESJ_SZ_SK_SL_SM_EUlSZ_E1_NS1_11comp_targetILNS1_3genE10ELNS1_11target_archE1201ELNS1_3gpuE5ELNS1_3repE0EEENS1_36merge_oddeven_config_static_selectorELNS0_4arch9wavefront6targetE0EEEvSL_, .Lfunc_end36-_ZN7rocprim17ROCPRIM_400000_NS6detail17trampoline_kernelINS0_14default_configENS1_38merge_sort_block_merge_config_selectorIiNS0_10empty_typeEEEZZNS1_27merge_sort_block_merge_implIS3_N6thrust23THRUST_200600_302600_NS6detail15normal_iteratorINS9_10device_ptrIiEEEEPS5_jNS1_19radix_merge_compareILb0ELb0EiNS0_19identity_decomposerEEEEE10hipError_tT0_T1_T2_jT3_P12ihipStream_tbPNSt15iterator_traitsISK_E10value_typeEPNSQ_ISL_E10value_typeEPSM_NS1_7vsmem_tEENKUlT_SK_SL_SM_E_clIPiSE_SF_SF_EESJ_SZ_SK_SL_SM_EUlSZ_E1_NS1_11comp_targetILNS1_3genE10ELNS1_11target_archE1201ELNS1_3gpuE5ELNS1_3repE0EEENS1_36merge_oddeven_config_static_selectorELNS0_4arch9wavefront6targetE0EEEvSL_
                                        ; -- End function
	.set _ZN7rocprim17ROCPRIM_400000_NS6detail17trampoline_kernelINS0_14default_configENS1_38merge_sort_block_merge_config_selectorIiNS0_10empty_typeEEEZZNS1_27merge_sort_block_merge_implIS3_N6thrust23THRUST_200600_302600_NS6detail15normal_iteratorINS9_10device_ptrIiEEEEPS5_jNS1_19radix_merge_compareILb0ELb0EiNS0_19identity_decomposerEEEEE10hipError_tT0_T1_T2_jT3_P12ihipStream_tbPNSt15iterator_traitsISK_E10value_typeEPNSQ_ISL_E10value_typeEPSM_NS1_7vsmem_tEENKUlT_SK_SL_SM_E_clIPiSE_SF_SF_EESJ_SZ_SK_SL_SM_EUlSZ_E1_NS1_11comp_targetILNS1_3genE10ELNS1_11target_archE1201ELNS1_3gpuE5ELNS1_3repE0EEENS1_36merge_oddeven_config_static_selectorELNS0_4arch9wavefront6targetE0EEEvSL_.num_vgpr, 0
	.set _ZN7rocprim17ROCPRIM_400000_NS6detail17trampoline_kernelINS0_14default_configENS1_38merge_sort_block_merge_config_selectorIiNS0_10empty_typeEEEZZNS1_27merge_sort_block_merge_implIS3_N6thrust23THRUST_200600_302600_NS6detail15normal_iteratorINS9_10device_ptrIiEEEEPS5_jNS1_19radix_merge_compareILb0ELb0EiNS0_19identity_decomposerEEEEE10hipError_tT0_T1_T2_jT3_P12ihipStream_tbPNSt15iterator_traitsISK_E10value_typeEPNSQ_ISL_E10value_typeEPSM_NS1_7vsmem_tEENKUlT_SK_SL_SM_E_clIPiSE_SF_SF_EESJ_SZ_SK_SL_SM_EUlSZ_E1_NS1_11comp_targetILNS1_3genE10ELNS1_11target_archE1201ELNS1_3gpuE5ELNS1_3repE0EEENS1_36merge_oddeven_config_static_selectorELNS0_4arch9wavefront6targetE0EEEvSL_.num_agpr, 0
	.set _ZN7rocprim17ROCPRIM_400000_NS6detail17trampoline_kernelINS0_14default_configENS1_38merge_sort_block_merge_config_selectorIiNS0_10empty_typeEEEZZNS1_27merge_sort_block_merge_implIS3_N6thrust23THRUST_200600_302600_NS6detail15normal_iteratorINS9_10device_ptrIiEEEEPS5_jNS1_19radix_merge_compareILb0ELb0EiNS0_19identity_decomposerEEEEE10hipError_tT0_T1_T2_jT3_P12ihipStream_tbPNSt15iterator_traitsISK_E10value_typeEPNSQ_ISL_E10value_typeEPSM_NS1_7vsmem_tEENKUlT_SK_SL_SM_E_clIPiSE_SF_SF_EESJ_SZ_SK_SL_SM_EUlSZ_E1_NS1_11comp_targetILNS1_3genE10ELNS1_11target_archE1201ELNS1_3gpuE5ELNS1_3repE0EEENS1_36merge_oddeven_config_static_selectorELNS0_4arch9wavefront6targetE0EEEvSL_.numbered_sgpr, 0
	.set _ZN7rocprim17ROCPRIM_400000_NS6detail17trampoline_kernelINS0_14default_configENS1_38merge_sort_block_merge_config_selectorIiNS0_10empty_typeEEEZZNS1_27merge_sort_block_merge_implIS3_N6thrust23THRUST_200600_302600_NS6detail15normal_iteratorINS9_10device_ptrIiEEEEPS5_jNS1_19radix_merge_compareILb0ELb0EiNS0_19identity_decomposerEEEEE10hipError_tT0_T1_T2_jT3_P12ihipStream_tbPNSt15iterator_traitsISK_E10value_typeEPNSQ_ISL_E10value_typeEPSM_NS1_7vsmem_tEENKUlT_SK_SL_SM_E_clIPiSE_SF_SF_EESJ_SZ_SK_SL_SM_EUlSZ_E1_NS1_11comp_targetILNS1_3genE10ELNS1_11target_archE1201ELNS1_3gpuE5ELNS1_3repE0EEENS1_36merge_oddeven_config_static_selectorELNS0_4arch9wavefront6targetE0EEEvSL_.num_named_barrier, 0
	.set _ZN7rocprim17ROCPRIM_400000_NS6detail17trampoline_kernelINS0_14default_configENS1_38merge_sort_block_merge_config_selectorIiNS0_10empty_typeEEEZZNS1_27merge_sort_block_merge_implIS3_N6thrust23THRUST_200600_302600_NS6detail15normal_iteratorINS9_10device_ptrIiEEEEPS5_jNS1_19radix_merge_compareILb0ELb0EiNS0_19identity_decomposerEEEEE10hipError_tT0_T1_T2_jT3_P12ihipStream_tbPNSt15iterator_traitsISK_E10value_typeEPNSQ_ISL_E10value_typeEPSM_NS1_7vsmem_tEENKUlT_SK_SL_SM_E_clIPiSE_SF_SF_EESJ_SZ_SK_SL_SM_EUlSZ_E1_NS1_11comp_targetILNS1_3genE10ELNS1_11target_archE1201ELNS1_3gpuE5ELNS1_3repE0EEENS1_36merge_oddeven_config_static_selectorELNS0_4arch9wavefront6targetE0EEEvSL_.private_seg_size, 0
	.set _ZN7rocprim17ROCPRIM_400000_NS6detail17trampoline_kernelINS0_14default_configENS1_38merge_sort_block_merge_config_selectorIiNS0_10empty_typeEEEZZNS1_27merge_sort_block_merge_implIS3_N6thrust23THRUST_200600_302600_NS6detail15normal_iteratorINS9_10device_ptrIiEEEEPS5_jNS1_19radix_merge_compareILb0ELb0EiNS0_19identity_decomposerEEEEE10hipError_tT0_T1_T2_jT3_P12ihipStream_tbPNSt15iterator_traitsISK_E10value_typeEPNSQ_ISL_E10value_typeEPSM_NS1_7vsmem_tEENKUlT_SK_SL_SM_E_clIPiSE_SF_SF_EESJ_SZ_SK_SL_SM_EUlSZ_E1_NS1_11comp_targetILNS1_3genE10ELNS1_11target_archE1201ELNS1_3gpuE5ELNS1_3repE0EEENS1_36merge_oddeven_config_static_selectorELNS0_4arch9wavefront6targetE0EEEvSL_.uses_vcc, 0
	.set _ZN7rocprim17ROCPRIM_400000_NS6detail17trampoline_kernelINS0_14default_configENS1_38merge_sort_block_merge_config_selectorIiNS0_10empty_typeEEEZZNS1_27merge_sort_block_merge_implIS3_N6thrust23THRUST_200600_302600_NS6detail15normal_iteratorINS9_10device_ptrIiEEEEPS5_jNS1_19radix_merge_compareILb0ELb0EiNS0_19identity_decomposerEEEEE10hipError_tT0_T1_T2_jT3_P12ihipStream_tbPNSt15iterator_traitsISK_E10value_typeEPNSQ_ISL_E10value_typeEPSM_NS1_7vsmem_tEENKUlT_SK_SL_SM_E_clIPiSE_SF_SF_EESJ_SZ_SK_SL_SM_EUlSZ_E1_NS1_11comp_targetILNS1_3genE10ELNS1_11target_archE1201ELNS1_3gpuE5ELNS1_3repE0EEENS1_36merge_oddeven_config_static_selectorELNS0_4arch9wavefront6targetE0EEEvSL_.uses_flat_scratch, 0
	.set _ZN7rocprim17ROCPRIM_400000_NS6detail17trampoline_kernelINS0_14default_configENS1_38merge_sort_block_merge_config_selectorIiNS0_10empty_typeEEEZZNS1_27merge_sort_block_merge_implIS3_N6thrust23THRUST_200600_302600_NS6detail15normal_iteratorINS9_10device_ptrIiEEEEPS5_jNS1_19radix_merge_compareILb0ELb0EiNS0_19identity_decomposerEEEEE10hipError_tT0_T1_T2_jT3_P12ihipStream_tbPNSt15iterator_traitsISK_E10value_typeEPNSQ_ISL_E10value_typeEPSM_NS1_7vsmem_tEENKUlT_SK_SL_SM_E_clIPiSE_SF_SF_EESJ_SZ_SK_SL_SM_EUlSZ_E1_NS1_11comp_targetILNS1_3genE10ELNS1_11target_archE1201ELNS1_3gpuE5ELNS1_3repE0EEENS1_36merge_oddeven_config_static_selectorELNS0_4arch9wavefront6targetE0EEEvSL_.has_dyn_sized_stack, 0
	.set _ZN7rocprim17ROCPRIM_400000_NS6detail17trampoline_kernelINS0_14default_configENS1_38merge_sort_block_merge_config_selectorIiNS0_10empty_typeEEEZZNS1_27merge_sort_block_merge_implIS3_N6thrust23THRUST_200600_302600_NS6detail15normal_iteratorINS9_10device_ptrIiEEEEPS5_jNS1_19radix_merge_compareILb0ELb0EiNS0_19identity_decomposerEEEEE10hipError_tT0_T1_T2_jT3_P12ihipStream_tbPNSt15iterator_traitsISK_E10value_typeEPNSQ_ISL_E10value_typeEPSM_NS1_7vsmem_tEENKUlT_SK_SL_SM_E_clIPiSE_SF_SF_EESJ_SZ_SK_SL_SM_EUlSZ_E1_NS1_11comp_targetILNS1_3genE10ELNS1_11target_archE1201ELNS1_3gpuE5ELNS1_3repE0EEENS1_36merge_oddeven_config_static_selectorELNS0_4arch9wavefront6targetE0EEEvSL_.has_recursion, 0
	.set _ZN7rocprim17ROCPRIM_400000_NS6detail17trampoline_kernelINS0_14default_configENS1_38merge_sort_block_merge_config_selectorIiNS0_10empty_typeEEEZZNS1_27merge_sort_block_merge_implIS3_N6thrust23THRUST_200600_302600_NS6detail15normal_iteratorINS9_10device_ptrIiEEEEPS5_jNS1_19radix_merge_compareILb0ELb0EiNS0_19identity_decomposerEEEEE10hipError_tT0_T1_T2_jT3_P12ihipStream_tbPNSt15iterator_traitsISK_E10value_typeEPNSQ_ISL_E10value_typeEPSM_NS1_7vsmem_tEENKUlT_SK_SL_SM_E_clIPiSE_SF_SF_EESJ_SZ_SK_SL_SM_EUlSZ_E1_NS1_11comp_targetILNS1_3genE10ELNS1_11target_archE1201ELNS1_3gpuE5ELNS1_3repE0EEENS1_36merge_oddeven_config_static_selectorELNS0_4arch9wavefront6targetE0EEEvSL_.has_indirect_call, 0
	.section	.AMDGPU.csdata,"",@progbits
; Kernel info:
; codeLenInByte = 0
; TotalNumSgprs: 0
; NumVgprs: 0
; ScratchSize: 0
; MemoryBound: 0
; FloatMode: 240
; IeeeMode: 1
; LDSByteSize: 0 bytes/workgroup (compile time only)
; SGPRBlocks: 0
; VGPRBlocks: 0
; NumSGPRsForWavesPerEU: 1
; NumVGPRsForWavesPerEU: 1
; Occupancy: 16
; WaveLimiterHint : 0
; COMPUTE_PGM_RSRC2:SCRATCH_EN: 0
; COMPUTE_PGM_RSRC2:USER_SGPR: 6
; COMPUTE_PGM_RSRC2:TRAP_HANDLER: 0
; COMPUTE_PGM_RSRC2:TGID_X_EN: 1
; COMPUTE_PGM_RSRC2:TGID_Y_EN: 0
; COMPUTE_PGM_RSRC2:TGID_Z_EN: 0
; COMPUTE_PGM_RSRC2:TIDIG_COMP_CNT: 0
	.section	.text._ZN7rocprim17ROCPRIM_400000_NS6detail17trampoline_kernelINS0_14default_configENS1_38merge_sort_block_merge_config_selectorIiNS0_10empty_typeEEEZZNS1_27merge_sort_block_merge_implIS3_N6thrust23THRUST_200600_302600_NS6detail15normal_iteratorINS9_10device_ptrIiEEEEPS5_jNS1_19radix_merge_compareILb0ELb0EiNS0_19identity_decomposerEEEEE10hipError_tT0_T1_T2_jT3_P12ihipStream_tbPNSt15iterator_traitsISK_E10value_typeEPNSQ_ISL_E10value_typeEPSM_NS1_7vsmem_tEENKUlT_SK_SL_SM_E_clIPiSE_SF_SF_EESJ_SZ_SK_SL_SM_EUlSZ_E1_NS1_11comp_targetILNS1_3genE5ELNS1_11target_archE942ELNS1_3gpuE9ELNS1_3repE0EEENS1_36merge_oddeven_config_static_selectorELNS0_4arch9wavefront6targetE0EEEvSL_,"axG",@progbits,_ZN7rocprim17ROCPRIM_400000_NS6detail17trampoline_kernelINS0_14default_configENS1_38merge_sort_block_merge_config_selectorIiNS0_10empty_typeEEEZZNS1_27merge_sort_block_merge_implIS3_N6thrust23THRUST_200600_302600_NS6detail15normal_iteratorINS9_10device_ptrIiEEEEPS5_jNS1_19radix_merge_compareILb0ELb0EiNS0_19identity_decomposerEEEEE10hipError_tT0_T1_T2_jT3_P12ihipStream_tbPNSt15iterator_traitsISK_E10value_typeEPNSQ_ISL_E10value_typeEPSM_NS1_7vsmem_tEENKUlT_SK_SL_SM_E_clIPiSE_SF_SF_EESJ_SZ_SK_SL_SM_EUlSZ_E1_NS1_11comp_targetILNS1_3genE5ELNS1_11target_archE942ELNS1_3gpuE9ELNS1_3repE0EEENS1_36merge_oddeven_config_static_selectorELNS0_4arch9wavefront6targetE0EEEvSL_,comdat
	.protected	_ZN7rocprim17ROCPRIM_400000_NS6detail17trampoline_kernelINS0_14default_configENS1_38merge_sort_block_merge_config_selectorIiNS0_10empty_typeEEEZZNS1_27merge_sort_block_merge_implIS3_N6thrust23THRUST_200600_302600_NS6detail15normal_iteratorINS9_10device_ptrIiEEEEPS5_jNS1_19radix_merge_compareILb0ELb0EiNS0_19identity_decomposerEEEEE10hipError_tT0_T1_T2_jT3_P12ihipStream_tbPNSt15iterator_traitsISK_E10value_typeEPNSQ_ISL_E10value_typeEPSM_NS1_7vsmem_tEENKUlT_SK_SL_SM_E_clIPiSE_SF_SF_EESJ_SZ_SK_SL_SM_EUlSZ_E1_NS1_11comp_targetILNS1_3genE5ELNS1_11target_archE942ELNS1_3gpuE9ELNS1_3repE0EEENS1_36merge_oddeven_config_static_selectorELNS0_4arch9wavefront6targetE0EEEvSL_ ; -- Begin function _ZN7rocprim17ROCPRIM_400000_NS6detail17trampoline_kernelINS0_14default_configENS1_38merge_sort_block_merge_config_selectorIiNS0_10empty_typeEEEZZNS1_27merge_sort_block_merge_implIS3_N6thrust23THRUST_200600_302600_NS6detail15normal_iteratorINS9_10device_ptrIiEEEEPS5_jNS1_19radix_merge_compareILb0ELb0EiNS0_19identity_decomposerEEEEE10hipError_tT0_T1_T2_jT3_P12ihipStream_tbPNSt15iterator_traitsISK_E10value_typeEPNSQ_ISL_E10value_typeEPSM_NS1_7vsmem_tEENKUlT_SK_SL_SM_E_clIPiSE_SF_SF_EESJ_SZ_SK_SL_SM_EUlSZ_E1_NS1_11comp_targetILNS1_3genE5ELNS1_11target_archE942ELNS1_3gpuE9ELNS1_3repE0EEENS1_36merge_oddeven_config_static_selectorELNS0_4arch9wavefront6targetE0EEEvSL_
	.globl	_ZN7rocprim17ROCPRIM_400000_NS6detail17trampoline_kernelINS0_14default_configENS1_38merge_sort_block_merge_config_selectorIiNS0_10empty_typeEEEZZNS1_27merge_sort_block_merge_implIS3_N6thrust23THRUST_200600_302600_NS6detail15normal_iteratorINS9_10device_ptrIiEEEEPS5_jNS1_19radix_merge_compareILb0ELb0EiNS0_19identity_decomposerEEEEE10hipError_tT0_T1_T2_jT3_P12ihipStream_tbPNSt15iterator_traitsISK_E10value_typeEPNSQ_ISL_E10value_typeEPSM_NS1_7vsmem_tEENKUlT_SK_SL_SM_E_clIPiSE_SF_SF_EESJ_SZ_SK_SL_SM_EUlSZ_E1_NS1_11comp_targetILNS1_3genE5ELNS1_11target_archE942ELNS1_3gpuE9ELNS1_3repE0EEENS1_36merge_oddeven_config_static_selectorELNS0_4arch9wavefront6targetE0EEEvSL_
	.p2align	8
	.type	_ZN7rocprim17ROCPRIM_400000_NS6detail17trampoline_kernelINS0_14default_configENS1_38merge_sort_block_merge_config_selectorIiNS0_10empty_typeEEEZZNS1_27merge_sort_block_merge_implIS3_N6thrust23THRUST_200600_302600_NS6detail15normal_iteratorINS9_10device_ptrIiEEEEPS5_jNS1_19radix_merge_compareILb0ELb0EiNS0_19identity_decomposerEEEEE10hipError_tT0_T1_T2_jT3_P12ihipStream_tbPNSt15iterator_traitsISK_E10value_typeEPNSQ_ISL_E10value_typeEPSM_NS1_7vsmem_tEENKUlT_SK_SL_SM_E_clIPiSE_SF_SF_EESJ_SZ_SK_SL_SM_EUlSZ_E1_NS1_11comp_targetILNS1_3genE5ELNS1_11target_archE942ELNS1_3gpuE9ELNS1_3repE0EEENS1_36merge_oddeven_config_static_selectorELNS0_4arch9wavefront6targetE0EEEvSL_,@function
_ZN7rocprim17ROCPRIM_400000_NS6detail17trampoline_kernelINS0_14default_configENS1_38merge_sort_block_merge_config_selectorIiNS0_10empty_typeEEEZZNS1_27merge_sort_block_merge_implIS3_N6thrust23THRUST_200600_302600_NS6detail15normal_iteratorINS9_10device_ptrIiEEEEPS5_jNS1_19radix_merge_compareILb0ELb0EiNS0_19identity_decomposerEEEEE10hipError_tT0_T1_T2_jT3_P12ihipStream_tbPNSt15iterator_traitsISK_E10value_typeEPNSQ_ISL_E10value_typeEPSM_NS1_7vsmem_tEENKUlT_SK_SL_SM_E_clIPiSE_SF_SF_EESJ_SZ_SK_SL_SM_EUlSZ_E1_NS1_11comp_targetILNS1_3genE5ELNS1_11target_archE942ELNS1_3gpuE9ELNS1_3repE0EEENS1_36merge_oddeven_config_static_selectorELNS0_4arch9wavefront6targetE0EEEvSL_: ; @_ZN7rocprim17ROCPRIM_400000_NS6detail17trampoline_kernelINS0_14default_configENS1_38merge_sort_block_merge_config_selectorIiNS0_10empty_typeEEEZZNS1_27merge_sort_block_merge_implIS3_N6thrust23THRUST_200600_302600_NS6detail15normal_iteratorINS9_10device_ptrIiEEEEPS5_jNS1_19radix_merge_compareILb0ELb0EiNS0_19identity_decomposerEEEEE10hipError_tT0_T1_T2_jT3_P12ihipStream_tbPNSt15iterator_traitsISK_E10value_typeEPNSQ_ISL_E10value_typeEPSM_NS1_7vsmem_tEENKUlT_SK_SL_SM_E_clIPiSE_SF_SF_EESJ_SZ_SK_SL_SM_EUlSZ_E1_NS1_11comp_targetILNS1_3genE5ELNS1_11target_archE942ELNS1_3gpuE9ELNS1_3repE0EEENS1_36merge_oddeven_config_static_selectorELNS0_4arch9wavefront6targetE0EEEvSL_
; %bb.0:
	.section	.rodata,"a",@progbits
	.p2align	6, 0x0
	.amdhsa_kernel _ZN7rocprim17ROCPRIM_400000_NS6detail17trampoline_kernelINS0_14default_configENS1_38merge_sort_block_merge_config_selectorIiNS0_10empty_typeEEEZZNS1_27merge_sort_block_merge_implIS3_N6thrust23THRUST_200600_302600_NS6detail15normal_iteratorINS9_10device_ptrIiEEEEPS5_jNS1_19radix_merge_compareILb0ELb0EiNS0_19identity_decomposerEEEEE10hipError_tT0_T1_T2_jT3_P12ihipStream_tbPNSt15iterator_traitsISK_E10value_typeEPNSQ_ISL_E10value_typeEPSM_NS1_7vsmem_tEENKUlT_SK_SL_SM_E_clIPiSE_SF_SF_EESJ_SZ_SK_SL_SM_EUlSZ_E1_NS1_11comp_targetILNS1_3genE5ELNS1_11target_archE942ELNS1_3gpuE9ELNS1_3repE0EEENS1_36merge_oddeven_config_static_selectorELNS0_4arch9wavefront6targetE0EEEvSL_
		.amdhsa_group_segment_fixed_size 0
		.amdhsa_private_segment_fixed_size 0
		.amdhsa_kernarg_size 48
		.amdhsa_user_sgpr_count 6
		.amdhsa_user_sgpr_private_segment_buffer 1
		.amdhsa_user_sgpr_dispatch_ptr 0
		.amdhsa_user_sgpr_queue_ptr 0
		.amdhsa_user_sgpr_kernarg_segment_ptr 1
		.amdhsa_user_sgpr_dispatch_id 0
		.amdhsa_user_sgpr_flat_scratch_init 0
		.amdhsa_user_sgpr_private_segment_size 0
		.amdhsa_wavefront_size32 1
		.amdhsa_uses_dynamic_stack 0
		.amdhsa_system_sgpr_private_segment_wavefront_offset 0
		.amdhsa_system_sgpr_workgroup_id_x 1
		.amdhsa_system_sgpr_workgroup_id_y 0
		.amdhsa_system_sgpr_workgroup_id_z 0
		.amdhsa_system_sgpr_workgroup_info 0
		.amdhsa_system_vgpr_workitem_id 0
		.amdhsa_next_free_vgpr 1
		.amdhsa_next_free_sgpr 1
		.amdhsa_reserve_vcc 0
		.amdhsa_reserve_flat_scratch 0
		.amdhsa_float_round_mode_32 0
		.amdhsa_float_round_mode_16_64 0
		.amdhsa_float_denorm_mode_32 3
		.amdhsa_float_denorm_mode_16_64 3
		.amdhsa_dx10_clamp 1
		.amdhsa_ieee_mode 1
		.amdhsa_fp16_overflow 0
		.amdhsa_workgroup_processor_mode 1
		.amdhsa_memory_ordered 1
		.amdhsa_forward_progress 1
		.amdhsa_shared_vgpr_count 0
		.amdhsa_exception_fp_ieee_invalid_op 0
		.amdhsa_exception_fp_denorm_src 0
		.amdhsa_exception_fp_ieee_div_zero 0
		.amdhsa_exception_fp_ieee_overflow 0
		.amdhsa_exception_fp_ieee_underflow 0
		.amdhsa_exception_fp_ieee_inexact 0
		.amdhsa_exception_int_div_zero 0
	.end_amdhsa_kernel
	.section	.text._ZN7rocprim17ROCPRIM_400000_NS6detail17trampoline_kernelINS0_14default_configENS1_38merge_sort_block_merge_config_selectorIiNS0_10empty_typeEEEZZNS1_27merge_sort_block_merge_implIS3_N6thrust23THRUST_200600_302600_NS6detail15normal_iteratorINS9_10device_ptrIiEEEEPS5_jNS1_19radix_merge_compareILb0ELb0EiNS0_19identity_decomposerEEEEE10hipError_tT0_T1_T2_jT3_P12ihipStream_tbPNSt15iterator_traitsISK_E10value_typeEPNSQ_ISL_E10value_typeEPSM_NS1_7vsmem_tEENKUlT_SK_SL_SM_E_clIPiSE_SF_SF_EESJ_SZ_SK_SL_SM_EUlSZ_E1_NS1_11comp_targetILNS1_3genE5ELNS1_11target_archE942ELNS1_3gpuE9ELNS1_3repE0EEENS1_36merge_oddeven_config_static_selectorELNS0_4arch9wavefront6targetE0EEEvSL_,"axG",@progbits,_ZN7rocprim17ROCPRIM_400000_NS6detail17trampoline_kernelINS0_14default_configENS1_38merge_sort_block_merge_config_selectorIiNS0_10empty_typeEEEZZNS1_27merge_sort_block_merge_implIS3_N6thrust23THRUST_200600_302600_NS6detail15normal_iteratorINS9_10device_ptrIiEEEEPS5_jNS1_19radix_merge_compareILb0ELb0EiNS0_19identity_decomposerEEEEE10hipError_tT0_T1_T2_jT3_P12ihipStream_tbPNSt15iterator_traitsISK_E10value_typeEPNSQ_ISL_E10value_typeEPSM_NS1_7vsmem_tEENKUlT_SK_SL_SM_E_clIPiSE_SF_SF_EESJ_SZ_SK_SL_SM_EUlSZ_E1_NS1_11comp_targetILNS1_3genE5ELNS1_11target_archE942ELNS1_3gpuE9ELNS1_3repE0EEENS1_36merge_oddeven_config_static_selectorELNS0_4arch9wavefront6targetE0EEEvSL_,comdat
.Lfunc_end37:
	.size	_ZN7rocprim17ROCPRIM_400000_NS6detail17trampoline_kernelINS0_14default_configENS1_38merge_sort_block_merge_config_selectorIiNS0_10empty_typeEEEZZNS1_27merge_sort_block_merge_implIS3_N6thrust23THRUST_200600_302600_NS6detail15normal_iteratorINS9_10device_ptrIiEEEEPS5_jNS1_19radix_merge_compareILb0ELb0EiNS0_19identity_decomposerEEEEE10hipError_tT0_T1_T2_jT3_P12ihipStream_tbPNSt15iterator_traitsISK_E10value_typeEPNSQ_ISL_E10value_typeEPSM_NS1_7vsmem_tEENKUlT_SK_SL_SM_E_clIPiSE_SF_SF_EESJ_SZ_SK_SL_SM_EUlSZ_E1_NS1_11comp_targetILNS1_3genE5ELNS1_11target_archE942ELNS1_3gpuE9ELNS1_3repE0EEENS1_36merge_oddeven_config_static_selectorELNS0_4arch9wavefront6targetE0EEEvSL_, .Lfunc_end37-_ZN7rocprim17ROCPRIM_400000_NS6detail17trampoline_kernelINS0_14default_configENS1_38merge_sort_block_merge_config_selectorIiNS0_10empty_typeEEEZZNS1_27merge_sort_block_merge_implIS3_N6thrust23THRUST_200600_302600_NS6detail15normal_iteratorINS9_10device_ptrIiEEEEPS5_jNS1_19radix_merge_compareILb0ELb0EiNS0_19identity_decomposerEEEEE10hipError_tT0_T1_T2_jT3_P12ihipStream_tbPNSt15iterator_traitsISK_E10value_typeEPNSQ_ISL_E10value_typeEPSM_NS1_7vsmem_tEENKUlT_SK_SL_SM_E_clIPiSE_SF_SF_EESJ_SZ_SK_SL_SM_EUlSZ_E1_NS1_11comp_targetILNS1_3genE5ELNS1_11target_archE942ELNS1_3gpuE9ELNS1_3repE0EEENS1_36merge_oddeven_config_static_selectorELNS0_4arch9wavefront6targetE0EEEvSL_
                                        ; -- End function
	.set _ZN7rocprim17ROCPRIM_400000_NS6detail17trampoline_kernelINS0_14default_configENS1_38merge_sort_block_merge_config_selectorIiNS0_10empty_typeEEEZZNS1_27merge_sort_block_merge_implIS3_N6thrust23THRUST_200600_302600_NS6detail15normal_iteratorINS9_10device_ptrIiEEEEPS5_jNS1_19radix_merge_compareILb0ELb0EiNS0_19identity_decomposerEEEEE10hipError_tT0_T1_T2_jT3_P12ihipStream_tbPNSt15iterator_traitsISK_E10value_typeEPNSQ_ISL_E10value_typeEPSM_NS1_7vsmem_tEENKUlT_SK_SL_SM_E_clIPiSE_SF_SF_EESJ_SZ_SK_SL_SM_EUlSZ_E1_NS1_11comp_targetILNS1_3genE5ELNS1_11target_archE942ELNS1_3gpuE9ELNS1_3repE0EEENS1_36merge_oddeven_config_static_selectorELNS0_4arch9wavefront6targetE0EEEvSL_.num_vgpr, 0
	.set _ZN7rocprim17ROCPRIM_400000_NS6detail17trampoline_kernelINS0_14default_configENS1_38merge_sort_block_merge_config_selectorIiNS0_10empty_typeEEEZZNS1_27merge_sort_block_merge_implIS3_N6thrust23THRUST_200600_302600_NS6detail15normal_iteratorINS9_10device_ptrIiEEEEPS5_jNS1_19radix_merge_compareILb0ELb0EiNS0_19identity_decomposerEEEEE10hipError_tT0_T1_T2_jT3_P12ihipStream_tbPNSt15iterator_traitsISK_E10value_typeEPNSQ_ISL_E10value_typeEPSM_NS1_7vsmem_tEENKUlT_SK_SL_SM_E_clIPiSE_SF_SF_EESJ_SZ_SK_SL_SM_EUlSZ_E1_NS1_11comp_targetILNS1_3genE5ELNS1_11target_archE942ELNS1_3gpuE9ELNS1_3repE0EEENS1_36merge_oddeven_config_static_selectorELNS0_4arch9wavefront6targetE0EEEvSL_.num_agpr, 0
	.set _ZN7rocprim17ROCPRIM_400000_NS6detail17trampoline_kernelINS0_14default_configENS1_38merge_sort_block_merge_config_selectorIiNS0_10empty_typeEEEZZNS1_27merge_sort_block_merge_implIS3_N6thrust23THRUST_200600_302600_NS6detail15normal_iteratorINS9_10device_ptrIiEEEEPS5_jNS1_19radix_merge_compareILb0ELb0EiNS0_19identity_decomposerEEEEE10hipError_tT0_T1_T2_jT3_P12ihipStream_tbPNSt15iterator_traitsISK_E10value_typeEPNSQ_ISL_E10value_typeEPSM_NS1_7vsmem_tEENKUlT_SK_SL_SM_E_clIPiSE_SF_SF_EESJ_SZ_SK_SL_SM_EUlSZ_E1_NS1_11comp_targetILNS1_3genE5ELNS1_11target_archE942ELNS1_3gpuE9ELNS1_3repE0EEENS1_36merge_oddeven_config_static_selectorELNS0_4arch9wavefront6targetE0EEEvSL_.numbered_sgpr, 0
	.set _ZN7rocprim17ROCPRIM_400000_NS6detail17trampoline_kernelINS0_14default_configENS1_38merge_sort_block_merge_config_selectorIiNS0_10empty_typeEEEZZNS1_27merge_sort_block_merge_implIS3_N6thrust23THRUST_200600_302600_NS6detail15normal_iteratorINS9_10device_ptrIiEEEEPS5_jNS1_19radix_merge_compareILb0ELb0EiNS0_19identity_decomposerEEEEE10hipError_tT0_T1_T2_jT3_P12ihipStream_tbPNSt15iterator_traitsISK_E10value_typeEPNSQ_ISL_E10value_typeEPSM_NS1_7vsmem_tEENKUlT_SK_SL_SM_E_clIPiSE_SF_SF_EESJ_SZ_SK_SL_SM_EUlSZ_E1_NS1_11comp_targetILNS1_3genE5ELNS1_11target_archE942ELNS1_3gpuE9ELNS1_3repE0EEENS1_36merge_oddeven_config_static_selectorELNS0_4arch9wavefront6targetE0EEEvSL_.num_named_barrier, 0
	.set _ZN7rocprim17ROCPRIM_400000_NS6detail17trampoline_kernelINS0_14default_configENS1_38merge_sort_block_merge_config_selectorIiNS0_10empty_typeEEEZZNS1_27merge_sort_block_merge_implIS3_N6thrust23THRUST_200600_302600_NS6detail15normal_iteratorINS9_10device_ptrIiEEEEPS5_jNS1_19radix_merge_compareILb0ELb0EiNS0_19identity_decomposerEEEEE10hipError_tT0_T1_T2_jT3_P12ihipStream_tbPNSt15iterator_traitsISK_E10value_typeEPNSQ_ISL_E10value_typeEPSM_NS1_7vsmem_tEENKUlT_SK_SL_SM_E_clIPiSE_SF_SF_EESJ_SZ_SK_SL_SM_EUlSZ_E1_NS1_11comp_targetILNS1_3genE5ELNS1_11target_archE942ELNS1_3gpuE9ELNS1_3repE0EEENS1_36merge_oddeven_config_static_selectorELNS0_4arch9wavefront6targetE0EEEvSL_.private_seg_size, 0
	.set _ZN7rocprim17ROCPRIM_400000_NS6detail17trampoline_kernelINS0_14default_configENS1_38merge_sort_block_merge_config_selectorIiNS0_10empty_typeEEEZZNS1_27merge_sort_block_merge_implIS3_N6thrust23THRUST_200600_302600_NS6detail15normal_iteratorINS9_10device_ptrIiEEEEPS5_jNS1_19radix_merge_compareILb0ELb0EiNS0_19identity_decomposerEEEEE10hipError_tT0_T1_T2_jT3_P12ihipStream_tbPNSt15iterator_traitsISK_E10value_typeEPNSQ_ISL_E10value_typeEPSM_NS1_7vsmem_tEENKUlT_SK_SL_SM_E_clIPiSE_SF_SF_EESJ_SZ_SK_SL_SM_EUlSZ_E1_NS1_11comp_targetILNS1_3genE5ELNS1_11target_archE942ELNS1_3gpuE9ELNS1_3repE0EEENS1_36merge_oddeven_config_static_selectorELNS0_4arch9wavefront6targetE0EEEvSL_.uses_vcc, 0
	.set _ZN7rocprim17ROCPRIM_400000_NS6detail17trampoline_kernelINS0_14default_configENS1_38merge_sort_block_merge_config_selectorIiNS0_10empty_typeEEEZZNS1_27merge_sort_block_merge_implIS3_N6thrust23THRUST_200600_302600_NS6detail15normal_iteratorINS9_10device_ptrIiEEEEPS5_jNS1_19radix_merge_compareILb0ELb0EiNS0_19identity_decomposerEEEEE10hipError_tT0_T1_T2_jT3_P12ihipStream_tbPNSt15iterator_traitsISK_E10value_typeEPNSQ_ISL_E10value_typeEPSM_NS1_7vsmem_tEENKUlT_SK_SL_SM_E_clIPiSE_SF_SF_EESJ_SZ_SK_SL_SM_EUlSZ_E1_NS1_11comp_targetILNS1_3genE5ELNS1_11target_archE942ELNS1_3gpuE9ELNS1_3repE0EEENS1_36merge_oddeven_config_static_selectorELNS0_4arch9wavefront6targetE0EEEvSL_.uses_flat_scratch, 0
	.set _ZN7rocprim17ROCPRIM_400000_NS6detail17trampoline_kernelINS0_14default_configENS1_38merge_sort_block_merge_config_selectorIiNS0_10empty_typeEEEZZNS1_27merge_sort_block_merge_implIS3_N6thrust23THRUST_200600_302600_NS6detail15normal_iteratorINS9_10device_ptrIiEEEEPS5_jNS1_19radix_merge_compareILb0ELb0EiNS0_19identity_decomposerEEEEE10hipError_tT0_T1_T2_jT3_P12ihipStream_tbPNSt15iterator_traitsISK_E10value_typeEPNSQ_ISL_E10value_typeEPSM_NS1_7vsmem_tEENKUlT_SK_SL_SM_E_clIPiSE_SF_SF_EESJ_SZ_SK_SL_SM_EUlSZ_E1_NS1_11comp_targetILNS1_3genE5ELNS1_11target_archE942ELNS1_3gpuE9ELNS1_3repE0EEENS1_36merge_oddeven_config_static_selectorELNS0_4arch9wavefront6targetE0EEEvSL_.has_dyn_sized_stack, 0
	.set _ZN7rocprim17ROCPRIM_400000_NS6detail17trampoline_kernelINS0_14default_configENS1_38merge_sort_block_merge_config_selectorIiNS0_10empty_typeEEEZZNS1_27merge_sort_block_merge_implIS3_N6thrust23THRUST_200600_302600_NS6detail15normal_iteratorINS9_10device_ptrIiEEEEPS5_jNS1_19radix_merge_compareILb0ELb0EiNS0_19identity_decomposerEEEEE10hipError_tT0_T1_T2_jT3_P12ihipStream_tbPNSt15iterator_traitsISK_E10value_typeEPNSQ_ISL_E10value_typeEPSM_NS1_7vsmem_tEENKUlT_SK_SL_SM_E_clIPiSE_SF_SF_EESJ_SZ_SK_SL_SM_EUlSZ_E1_NS1_11comp_targetILNS1_3genE5ELNS1_11target_archE942ELNS1_3gpuE9ELNS1_3repE0EEENS1_36merge_oddeven_config_static_selectorELNS0_4arch9wavefront6targetE0EEEvSL_.has_recursion, 0
	.set _ZN7rocprim17ROCPRIM_400000_NS6detail17trampoline_kernelINS0_14default_configENS1_38merge_sort_block_merge_config_selectorIiNS0_10empty_typeEEEZZNS1_27merge_sort_block_merge_implIS3_N6thrust23THRUST_200600_302600_NS6detail15normal_iteratorINS9_10device_ptrIiEEEEPS5_jNS1_19radix_merge_compareILb0ELb0EiNS0_19identity_decomposerEEEEE10hipError_tT0_T1_T2_jT3_P12ihipStream_tbPNSt15iterator_traitsISK_E10value_typeEPNSQ_ISL_E10value_typeEPSM_NS1_7vsmem_tEENKUlT_SK_SL_SM_E_clIPiSE_SF_SF_EESJ_SZ_SK_SL_SM_EUlSZ_E1_NS1_11comp_targetILNS1_3genE5ELNS1_11target_archE942ELNS1_3gpuE9ELNS1_3repE0EEENS1_36merge_oddeven_config_static_selectorELNS0_4arch9wavefront6targetE0EEEvSL_.has_indirect_call, 0
	.section	.AMDGPU.csdata,"",@progbits
; Kernel info:
; codeLenInByte = 0
; TotalNumSgprs: 0
; NumVgprs: 0
; ScratchSize: 0
; MemoryBound: 0
; FloatMode: 240
; IeeeMode: 1
; LDSByteSize: 0 bytes/workgroup (compile time only)
; SGPRBlocks: 0
; VGPRBlocks: 0
; NumSGPRsForWavesPerEU: 1
; NumVGPRsForWavesPerEU: 1
; Occupancy: 16
; WaveLimiterHint : 0
; COMPUTE_PGM_RSRC2:SCRATCH_EN: 0
; COMPUTE_PGM_RSRC2:USER_SGPR: 6
; COMPUTE_PGM_RSRC2:TRAP_HANDLER: 0
; COMPUTE_PGM_RSRC2:TGID_X_EN: 1
; COMPUTE_PGM_RSRC2:TGID_Y_EN: 0
; COMPUTE_PGM_RSRC2:TGID_Z_EN: 0
; COMPUTE_PGM_RSRC2:TIDIG_COMP_CNT: 0
	.section	.text._ZN7rocprim17ROCPRIM_400000_NS6detail17trampoline_kernelINS0_14default_configENS1_38merge_sort_block_merge_config_selectorIiNS0_10empty_typeEEEZZNS1_27merge_sort_block_merge_implIS3_N6thrust23THRUST_200600_302600_NS6detail15normal_iteratorINS9_10device_ptrIiEEEEPS5_jNS1_19radix_merge_compareILb0ELb0EiNS0_19identity_decomposerEEEEE10hipError_tT0_T1_T2_jT3_P12ihipStream_tbPNSt15iterator_traitsISK_E10value_typeEPNSQ_ISL_E10value_typeEPSM_NS1_7vsmem_tEENKUlT_SK_SL_SM_E_clIPiSE_SF_SF_EESJ_SZ_SK_SL_SM_EUlSZ_E1_NS1_11comp_targetILNS1_3genE4ELNS1_11target_archE910ELNS1_3gpuE8ELNS1_3repE0EEENS1_36merge_oddeven_config_static_selectorELNS0_4arch9wavefront6targetE0EEEvSL_,"axG",@progbits,_ZN7rocprim17ROCPRIM_400000_NS6detail17trampoline_kernelINS0_14default_configENS1_38merge_sort_block_merge_config_selectorIiNS0_10empty_typeEEEZZNS1_27merge_sort_block_merge_implIS3_N6thrust23THRUST_200600_302600_NS6detail15normal_iteratorINS9_10device_ptrIiEEEEPS5_jNS1_19radix_merge_compareILb0ELb0EiNS0_19identity_decomposerEEEEE10hipError_tT0_T1_T2_jT3_P12ihipStream_tbPNSt15iterator_traitsISK_E10value_typeEPNSQ_ISL_E10value_typeEPSM_NS1_7vsmem_tEENKUlT_SK_SL_SM_E_clIPiSE_SF_SF_EESJ_SZ_SK_SL_SM_EUlSZ_E1_NS1_11comp_targetILNS1_3genE4ELNS1_11target_archE910ELNS1_3gpuE8ELNS1_3repE0EEENS1_36merge_oddeven_config_static_selectorELNS0_4arch9wavefront6targetE0EEEvSL_,comdat
	.protected	_ZN7rocprim17ROCPRIM_400000_NS6detail17trampoline_kernelINS0_14default_configENS1_38merge_sort_block_merge_config_selectorIiNS0_10empty_typeEEEZZNS1_27merge_sort_block_merge_implIS3_N6thrust23THRUST_200600_302600_NS6detail15normal_iteratorINS9_10device_ptrIiEEEEPS5_jNS1_19radix_merge_compareILb0ELb0EiNS0_19identity_decomposerEEEEE10hipError_tT0_T1_T2_jT3_P12ihipStream_tbPNSt15iterator_traitsISK_E10value_typeEPNSQ_ISL_E10value_typeEPSM_NS1_7vsmem_tEENKUlT_SK_SL_SM_E_clIPiSE_SF_SF_EESJ_SZ_SK_SL_SM_EUlSZ_E1_NS1_11comp_targetILNS1_3genE4ELNS1_11target_archE910ELNS1_3gpuE8ELNS1_3repE0EEENS1_36merge_oddeven_config_static_selectorELNS0_4arch9wavefront6targetE0EEEvSL_ ; -- Begin function _ZN7rocprim17ROCPRIM_400000_NS6detail17trampoline_kernelINS0_14default_configENS1_38merge_sort_block_merge_config_selectorIiNS0_10empty_typeEEEZZNS1_27merge_sort_block_merge_implIS3_N6thrust23THRUST_200600_302600_NS6detail15normal_iteratorINS9_10device_ptrIiEEEEPS5_jNS1_19radix_merge_compareILb0ELb0EiNS0_19identity_decomposerEEEEE10hipError_tT0_T1_T2_jT3_P12ihipStream_tbPNSt15iterator_traitsISK_E10value_typeEPNSQ_ISL_E10value_typeEPSM_NS1_7vsmem_tEENKUlT_SK_SL_SM_E_clIPiSE_SF_SF_EESJ_SZ_SK_SL_SM_EUlSZ_E1_NS1_11comp_targetILNS1_3genE4ELNS1_11target_archE910ELNS1_3gpuE8ELNS1_3repE0EEENS1_36merge_oddeven_config_static_selectorELNS0_4arch9wavefront6targetE0EEEvSL_
	.globl	_ZN7rocprim17ROCPRIM_400000_NS6detail17trampoline_kernelINS0_14default_configENS1_38merge_sort_block_merge_config_selectorIiNS0_10empty_typeEEEZZNS1_27merge_sort_block_merge_implIS3_N6thrust23THRUST_200600_302600_NS6detail15normal_iteratorINS9_10device_ptrIiEEEEPS5_jNS1_19radix_merge_compareILb0ELb0EiNS0_19identity_decomposerEEEEE10hipError_tT0_T1_T2_jT3_P12ihipStream_tbPNSt15iterator_traitsISK_E10value_typeEPNSQ_ISL_E10value_typeEPSM_NS1_7vsmem_tEENKUlT_SK_SL_SM_E_clIPiSE_SF_SF_EESJ_SZ_SK_SL_SM_EUlSZ_E1_NS1_11comp_targetILNS1_3genE4ELNS1_11target_archE910ELNS1_3gpuE8ELNS1_3repE0EEENS1_36merge_oddeven_config_static_selectorELNS0_4arch9wavefront6targetE0EEEvSL_
	.p2align	8
	.type	_ZN7rocprim17ROCPRIM_400000_NS6detail17trampoline_kernelINS0_14default_configENS1_38merge_sort_block_merge_config_selectorIiNS0_10empty_typeEEEZZNS1_27merge_sort_block_merge_implIS3_N6thrust23THRUST_200600_302600_NS6detail15normal_iteratorINS9_10device_ptrIiEEEEPS5_jNS1_19radix_merge_compareILb0ELb0EiNS0_19identity_decomposerEEEEE10hipError_tT0_T1_T2_jT3_P12ihipStream_tbPNSt15iterator_traitsISK_E10value_typeEPNSQ_ISL_E10value_typeEPSM_NS1_7vsmem_tEENKUlT_SK_SL_SM_E_clIPiSE_SF_SF_EESJ_SZ_SK_SL_SM_EUlSZ_E1_NS1_11comp_targetILNS1_3genE4ELNS1_11target_archE910ELNS1_3gpuE8ELNS1_3repE0EEENS1_36merge_oddeven_config_static_selectorELNS0_4arch9wavefront6targetE0EEEvSL_,@function
_ZN7rocprim17ROCPRIM_400000_NS6detail17trampoline_kernelINS0_14default_configENS1_38merge_sort_block_merge_config_selectorIiNS0_10empty_typeEEEZZNS1_27merge_sort_block_merge_implIS3_N6thrust23THRUST_200600_302600_NS6detail15normal_iteratorINS9_10device_ptrIiEEEEPS5_jNS1_19radix_merge_compareILb0ELb0EiNS0_19identity_decomposerEEEEE10hipError_tT0_T1_T2_jT3_P12ihipStream_tbPNSt15iterator_traitsISK_E10value_typeEPNSQ_ISL_E10value_typeEPSM_NS1_7vsmem_tEENKUlT_SK_SL_SM_E_clIPiSE_SF_SF_EESJ_SZ_SK_SL_SM_EUlSZ_E1_NS1_11comp_targetILNS1_3genE4ELNS1_11target_archE910ELNS1_3gpuE8ELNS1_3repE0EEENS1_36merge_oddeven_config_static_selectorELNS0_4arch9wavefront6targetE0EEEvSL_: ; @_ZN7rocprim17ROCPRIM_400000_NS6detail17trampoline_kernelINS0_14default_configENS1_38merge_sort_block_merge_config_selectorIiNS0_10empty_typeEEEZZNS1_27merge_sort_block_merge_implIS3_N6thrust23THRUST_200600_302600_NS6detail15normal_iteratorINS9_10device_ptrIiEEEEPS5_jNS1_19radix_merge_compareILb0ELb0EiNS0_19identity_decomposerEEEEE10hipError_tT0_T1_T2_jT3_P12ihipStream_tbPNSt15iterator_traitsISK_E10value_typeEPNSQ_ISL_E10value_typeEPSM_NS1_7vsmem_tEENKUlT_SK_SL_SM_E_clIPiSE_SF_SF_EESJ_SZ_SK_SL_SM_EUlSZ_E1_NS1_11comp_targetILNS1_3genE4ELNS1_11target_archE910ELNS1_3gpuE8ELNS1_3repE0EEENS1_36merge_oddeven_config_static_selectorELNS0_4arch9wavefront6targetE0EEEvSL_
; %bb.0:
	.section	.rodata,"a",@progbits
	.p2align	6, 0x0
	.amdhsa_kernel _ZN7rocprim17ROCPRIM_400000_NS6detail17trampoline_kernelINS0_14default_configENS1_38merge_sort_block_merge_config_selectorIiNS0_10empty_typeEEEZZNS1_27merge_sort_block_merge_implIS3_N6thrust23THRUST_200600_302600_NS6detail15normal_iteratorINS9_10device_ptrIiEEEEPS5_jNS1_19radix_merge_compareILb0ELb0EiNS0_19identity_decomposerEEEEE10hipError_tT0_T1_T2_jT3_P12ihipStream_tbPNSt15iterator_traitsISK_E10value_typeEPNSQ_ISL_E10value_typeEPSM_NS1_7vsmem_tEENKUlT_SK_SL_SM_E_clIPiSE_SF_SF_EESJ_SZ_SK_SL_SM_EUlSZ_E1_NS1_11comp_targetILNS1_3genE4ELNS1_11target_archE910ELNS1_3gpuE8ELNS1_3repE0EEENS1_36merge_oddeven_config_static_selectorELNS0_4arch9wavefront6targetE0EEEvSL_
		.amdhsa_group_segment_fixed_size 0
		.amdhsa_private_segment_fixed_size 0
		.amdhsa_kernarg_size 48
		.amdhsa_user_sgpr_count 6
		.amdhsa_user_sgpr_private_segment_buffer 1
		.amdhsa_user_sgpr_dispatch_ptr 0
		.amdhsa_user_sgpr_queue_ptr 0
		.amdhsa_user_sgpr_kernarg_segment_ptr 1
		.amdhsa_user_sgpr_dispatch_id 0
		.amdhsa_user_sgpr_flat_scratch_init 0
		.amdhsa_user_sgpr_private_segment_size 0
		.amdhsa_wavefront_size32 1
		.amdhsa_uses_dynamic_stack 0
		.amdhsa_system_sgpr_private_segment_wavefront_offset 0
		.amdhsa_system_sgpr_workgroup_id_x 1
		.amdhsa_system_sgpr_workgroup_id_y 0
		.amdhsa_system_sgpr_workgroup_id_z 0
		.amdhsa_system_sgpr_workgroup_info 0
		.amdhsa_system_vgpr_workitem_id 0
		.amdhsa_next_free_vgpr 1
		.amdhsa_next_free_sgpr 1
		.amdhsa_reserve_vcc 0
		.amdhsa_reserve_flat_scratch 0
		.amdhsa_float_round_mode_32 0
		.amdhsa_float_round_mode_16_64 0
		.amdhsa_float_denorm_mode_32 3
		.amdhsa_float_denorm_mode_16_64 3
		.amdhsa_dx10_clamp 1
		.amdhsa_ieee_mode 1
		.amdhsa_fp16_overflow 0
		.amdhsa_workgroup_processor_mode 1
		.amdhsa_memory_ordered 1
		.amdhsa_forward_progress 1
		.amdhsa_shared_vgpr_count 0
		.amdhsa_exception_fp_ieee_invalid_op 0
		.amdhsa_exception_fp_denorm_src 0
		.amdhsa_exception_fp_ieee_div_zero 0
		.amdhsa_exception_fp_ieee_overflow 0
		.amdhsa_exception_fp_ieee_underflow 0
		.amdhsa_exception_fp_ieee_inexact 0
		.amdhsa_exception_int_div_zero 0
	.end_amdhsa_kernel
	.section	.text._ZN7rocprim17ROCPRIM_400000_NS6detail17trampoline_kernelINS0_14default_configENS1_38merge_sort_block_merge_config_selectorIiNS0_10empty_typeEEEZZNS1_27merge_sort_block_merge_implIS3_N6thrust23THRUST_200600_302600_NS6detail15normal_iteratorINS9_10device_ptrIiEEEEPS5_jNS1_19radix_merge_compareILb0ELb0EiNS0_19identity_decomposerEEEEE10hipError_tT0_T1_T2_jT3_P12ihipStream_tbPNSt15iterator_traitsISK_E10value_typeEPNSQ_ISL_E10value_typeEPSM_NS1_7vsmem_tEENKUlT_SK_SL_SM_E_clIPiSE_SF_SF_EESJ_SZ_SK_SL_SM_EUlSZ_E1_NS1_11comp_targetILNS1_3genE4ELNS1_11target_archE910ELNS1_3gpuE8ELNS1_3repE0EEENS1_36merge_oddeven_config_static_selectorELNS0_4arch9wavefront6targetE0EEEvSL_,"axG",@progbits,_ZN7rocprim17ROCPRIM_400000_NS6detail17trampoline_kernelINS0_14default_configENS1_38merge_sort_block_merge_config_selectorIiNS0_10empty_typeEEEZZNS1_27merge_sort_block_merge_implIS3_N6thrust23THRUST_200600_302600_NS6detail15normal_iteratorINS9_10device_ptrIiEEEEPS5_jNS1_19radix_merge_compareILb0ELb0EiNS0_19identity_decomposerEEEEE10hipError_tT0_T1_T2_jT3_P12ihipStream_tbPNSt15iterator_traitsISK_E10value_typeEPNSQ_ISL_E10value_typeEPSM_NS1_7vsmem_tEENKUlT_SK_SL_SM_E_clIPiSE_SF_SF_EESJ_SZ_SK_SL_SM_EUlSZ_E1_NS1_11comp_targetILNS1_3genE4ELNS1_11target_archE910ELNS1_3gpuE8ELNS1_3repE0EEENS1_36merge_oddeven_config_static_selectorELNS0_4arch9wavefront6targetE0EEEvSL_,comdat
.Lfunc_end38:
	.size	_ZN7rocprim17ROCPRIM_400000_NS6detail17trampoline_kernelINS0_14default_configENS1_38merge_sort_block_merge_config_selectorIiNS0_10empty_typeEEEZZNS1_27merge_sort_block_merge_implIS3_N6thrust23THRUST_200600_302600_NS6detail15normal_iteratorINS9_10device_ptrIiEEEEPS5_jNS1_19radix_merge_compareILb0ELb0EiNS0_19identity_decomposerEEEEE10hipError_tT0_T1_T2_jT3_P12ihipStream_tbPNSt15iterator_traitsISK_E10value_typeEPNSQ_ISL_E10value_typeEPSM_NS1_7vsmem_tEENKUlT_SK_SL_SM_E_clIPiSE_SF_SF_EESJ_SZ_SK_SL_SM_EUlSZ_E1_NS1_11comp_targetILNS1_3genE4ELNS1_11target_archE910ELNS1_3gpuE8ELNS1_3repE0EEENS1_36merge_oddeven_config_static_selectorELNS0_4arch9wavefront6targetE0EEEvSL_, .Lfunc_end38-_ZN7rocprim17ROCPRIM_400000_NS6detail17trampoline_kernelINS0_14default_configENS1_38merge_sort_block_merge_config_selectorIiNS0_10empty_typeEEEZZNS1_27merge_sort_block_merge_implIS3_N6thrust23THRUST_200600_302600_NS6detail15normal_iteratorINS9_10device_ptrIiEEEEPS5_jNS1_19radix_merge_compareILb0ELb0EiNS0_19identity_decomposerEEEEE10hipError_tT0_T1_T2_jT3_P12ihipStream_tbPNSt15iterator_traitsISK_E10value_typeEPNSQ_ISL_E10value_typeEPSM_NS1_7vsmem_tEENKUlT_SK_SL_SM_E_clIPiSE_SF_SF_EESJ_SZ_SK_SL_SM_EUlSZ_E1_NS1_11comp_targetILNS1_3genE4ELNS1_11target_archE910ELNS1_3gpuE8ELNS1_3repE0EEENS1_36merge_oddeven_config_static_selectorELNS0_4arch9wavefront6targetE0EEEvSL_
                                        ; -- End function
	.set _ZN7rocprim17ROCPRIM_400000_NS6detail17trampoline_kernelINS0_14default_configENS1_38merge_sort_block_merge_config_selectorIiNS0_10empty_typeEEEZZNS1_27merge_sort_block_merge_implIS3_N6thrust23THRUST_200600_302600_NS6detail15normal_iteratorINS9_10device_ptrIiEEEEPS5_jNS1_19radix_merge_compareILb0ELb0EiNS0_19identity_decomposerEEEEE10hipError_tT0_T1_T2_jT3_P12ihipStream_tbPNSt15iterator_traitsISK_E10value_typeEPNSQ_ISL_E10value_typeEPSM_NS1_7vsmem_tEENKUlT_SK_SL_SM_E_clIPiSE_SF_SF_EESJ_SZ_SK_SL_SM_EUlSZ_E1_NS1_11comp_targetILNS1_3genE4ELNS1_11target_archE910ELNS1_3gpuE8ELNS1_3repE0EEENS1_36merge_oddeven_config_static_selectorELNS0_4arch9wavefront6targetE0EEEvSL_.num_vgpr, 0
	.set _ZN7rocprim17ROCPRIM_400000_NS6detail17trampoline_kernelINS0_14default_configENS1_38merge_sort_block_merge_config_selectorIiNS0_10empty_typeEEEZZNS1_27merge_sort_block_merge_implIS3_N6thrust23THRUST_200600_302600_NS6detail15normal_iteratorINS9_10device_ptrIiEEEEPS5_jNS1_19radix_merge_compareILb0ELb0EiNS0_19identity_decomposerEEEEE10hipError_tT0_T1_T2_jT3_P12ihipStream_tbPNSt15iterator_traitsISK_E10value_typeEPNSQ_ISL_E10value_typeEPSM_NS1_7vsmem_tEENKUlT_SK_SL_SM_E_clIPiSE_SF_SF_EESJ_SZ_SK_SL_SM_EUlSZ_E1_NS1_11comp_targetILNS1_3genE4ELNS1_11target_archE910ELNS1_3gpuE8ELNS1_3repE0EEENS1_36merge_oddeven_config_static_selectorELNS0_4arch9wavefront6targetE0EEEvSL_.num_agpr, 0
	.set _ZN7rocprim17ROCPRIM_400000_NS6detail17trampoline_kernelINS0_14default_configENS1_38merge_sort_block_merge_config_selectorIiNS0_10empty_typeEEEZZNS1_27merge_sort_block_merge_implIS3_N6thrust23THRUST_200600_302600_NS6detail15normal_iteratorINS9_10device_ptrIiEEEEPS5_jNS1_19radix_merge_compareILb0ELb0EiNS0_19identity_decomposerEEEEE10hipError_tT0_T1_T2_jT3_P12ihipStream_tbPNSt15iterator_traitsISK_E10value_typeEPNSQ_ISL_E10value_typeEPSM_NS1_7vsmem_tEENKUlT_SK_SL_SM_E_clIPiSE_SF_SF_EESJ_SZ_SK_SL_SM_EUlSZ_E1_NS1_11comp_targetILNS1_3genE4ELNS1_11target_archE910ELNS1_3gpuE8ELNS1_3repE0EEENS1_36merge_oddeven_config_static_selectorELNS0_4arch9wavefront6targetE0EEEvSL_.numbered_sgpr, 0
	.set _ZN7rocprim17ROCPRIM_400000_NS6detail17trampoline_kernelINS0_14default_configENS1_38merge_sort_block_merge_config_selectorIiNS0_10empty_typeEEEZZNS1_27merge_sort_block_merge_implIS3_N6thrust23THRUST_200600_302600_NS6detail15normal_iteratorINS9_10device_ptrIiEEEEPS5_jNS1_19radix_merge_compareILb0ELb0EiNS0_19identity_decomposerEEEEE10hipError_tT0_T1_T2_jT3_P12ihipStream_tbPNSt15iterator_traitsISK_E10value_typeEPNSQ_ISL_E10value_typeEPSM_NS1_7vsmem_tEENKUlT_SK_SL_SM_E_clIPiSE_SF_SF_EESJ_SZ_SK_SL_SM_EUlSZ_E1_NS1_11comp_targetILNS1_3genE4ELNS1_11target_archE910ELNS1_3gpuE8ELNS1_3repE0EEENS1_36merge_oddeven_config_static_selectorELNS0_4arch9wavefront6targetE0EEEvSL_.num_named_barrier, 0
	.set _ZN7rocprim17ROCPRIM_400000_NS6detail17trampoline_kernelINS0_14default_configENS1_38merge_sort_block_merge_config_selectorIiNS0_10empty_typeEEEZZNS1_27merge_sort_block_merge_implIS3_N6thrust23THRUST_200600_302600_NS6detail15normal_iteratorINS9_10device_ptrIiEEEEPS5_jNS1_19radix_merge_compareILb0ELb0EiNS0_19identity_decomposerEEEEE10hipError_tT0_T1_T2_jT3_P12ihipStream_tbPNSt15iterator_traitsISK_E10value_typeEPNSQ_ISL_E10value_typeEPSM_NS1_7vsmem_tEENKUlT_SK_SL_SM_E_clIPiSE_SF_SF_EESJ_SZ_SK_SL_SM_EUlSZ_E1_NS1_11comp_targetILNS1_3genE4ELNS1_11target_archE910ELNS1_3gpuE8ELNS1_3repE0EEENS1_36merge_oddeven_config_static_selectorELNS0_4arch9wavefront6targetE0EEEvSL_.private_seg_size, 0
	.set _ZN7rocprim17ROCPRIM_400000_NS6detail17trampoline_kernelINS0_14default_configENS1_38merge_sort_block_merge_config_selectorIiNS0_10empty_typeEEEZZNS1_27merge_sort_block_merge_implIS3_N6thrust23THRUST_200600_302600_NS6detail15normal_iteratorINS9_10device_ptrIiEEEEPS5_jNS1_19radix_merge_compareILb0ELb0EiNS0_19identity_decomposerEEEEE10hipError_tT0_T1_T2_jT3_P12ihipStream_tbPNSt15iterator_traitsISK_E10value_typeEPNSQ_ISL_E10value_typeEPSM_NS1_7vsmem_tEENKUlT_SK_SL_SM_E_clIPiSE_SF_SF_EESJ_SZ_SK_SL_SM_EUlSZ_E1_NS1_11comp_targetILNS1_3genE4ELNS1_11target_archE910ELNS1_3gpuE8ELNS1_3repE0EEENS1_36merge_oddeven_config_static_selectorELNS0_4arch9wavefront6targetE0EEEvSL_.uses_vcc, 0
	.set _ZN7rocprim17ROCPRIM_400000_NS6detail17trampoline_kernelINS0_14default_configENS1_38merge_sort_block_merge_config_selectorIiNS0_10empty_typeEEEZZNS1_27merge_sort_block_merge_implIS3_N6thrust23THRUST_200600_302600_NS6detail15normal_iteratorINS9_10device_ptrIiEEEEPS5_jNS1_19radix_merge_compareILb0ELb0EiNS0_19identity_decomposerEEEEE10hipError_tT0_T1_T2_jT3_P12ihipStream_tbPNSt15iterator_traitsISK_E10value_typeEPNSQ_ISL_E10value_typeEPSM_NS1_7vsmem_tEENKUlT_SK_SL_SM_E_clIPiSE_SF_SF_EESJ_SZ_SK_SL_SM_EUlSZ_E1_NS1_11comp_targetILNS1_3genE4ELNS1_11target_archE910ELNS1_3gpuE8ELNS1_3repE0EEENS1_36merge_oddeven_config_static_selectorELNS0_4arch9wavefront6targetE0EEEvSL_.uses_flat_scratch, 0
	.set _ZN7rocprim17ROCPRIM_400000_NS6detail17trampoline_kernelINS0_14default_configENS1_38merge_sort_block_merge_config_selectorIiNS0_10empty_typeEEEZZNS1_27merge_sort_block_merge_implIS3_N6thrust23THRUST_200600_302600_NS6detail15normal_iteratorINS9_10device_ptrIiEEEEPS5_jNS1_19radix_merge_compareILb0ELb0EiNS0_19identity_decomposerEEEEE10hipError_tT0_T1_T2_jT3_P12ihipStream_tbPNSt15iterator_traitsISK_E10value_typeEPNSQ_ISL_E10value_typeEPSM_NS1_7vsmem_tEENKUlT_SK_SL_SM_E_clIPiSE_SF_SF_EESJ_SZ_SK_SL_SM_EUlSZ_E1_NS1_11comp_targetILNS1_3genE4ELNS1_11target_archE910ELNS1_3gpuE8ELNS1_3repE0EEENS1_36merge_oddeven_config_static_selectorELNS0_4arch9wavefront6targetE0EEEvSL_.has_dyn_sized_stack, 0
	.set _ZN7rocprim17ROCPRIM_400000_NS6detail17trampoline_kernelINS0_14default_configENS1_38merge_sort_block_merge_config_selectorIiNS0_10empty_typeEEEZZNS1_27merge_sort_block_merge_implIS3_N6thrust23THRUST_200600_302600_NS6detail15normal_iteratorINS9_10device_ptrIiEEEEPS5_jNS1_19radix_merge_compareILb0ELb0EiNS0_19identity_decomposerEEEEE10hipError_tT0_T1_T2_jT3_P12ihipStream_tbPNSt15iterator_traitsISK_E10value_typeEPNSQ_ISL_E10value_typeEPSM_NS1_7vsmem_tEENKUlT_SK_SL_SM_E_clIPiSE_SF_SF_EESJ_SZ_SK_SL_SM_EUlSZ_E1_NS1_11comp_targetILNS1_3genE4ELNS1_11target_archE910ELNS1_3gpuE8ELNS1_3repE0EEENS1_36merge_oddeven_config_static_selectorELNS0_4arch9wavefront6targetE0EEEvSL_.has_recursion, 0
	.set _ZN7rocprim17ROCPRIM_400000_NS6detail17trampoline_kernelINS0_14default_configENS1_38merge_sort_block_merge_config_selectorIiNS0_10empty_typeEEEZZNS1_27merge_sort_block_merge_implIS3_N6thrust23THRUST_200600_302600_NS6detail15normal_iteratorINS9_10device_ptrIiEEEEPS5_jNS1_19radix_merge_compareILb0ELb0EiNS0_19identity_decomposerEEEEE10hipError_tT0_T1_T2_jT3_P12ihipStream_tbPNSt15iterator_traitsISK_E10value_typeEPNSQ_ISL_E10value_typeEPSM_NS1_7vsmem_tEENKUlT_SK_SL_SM_E_clIPiSE_SF_SF_EESJ_SZ_SK_SL_SM_EUlSZ_E1_NS1_11comp_targetILNS1_3genE4ELNS1_11target_archE910ELNS1_3gpuE8ELNS1_3repE0EEENS1_36merge_oddeven_config_static_selectorELNS0_4arch9wavefront6targetE0EEEvSL_.has_indirect_call, 0
	.section	.AMDGPU.csdata,"",@progbits
; Kernel info:
; codeLenInByte = 0
; TotalNumSgprs: 0
; NumVgprs: 0
; ScratchSize: 0
; MemoryBound: 0
; FloatMode: 240
; IeeeMode: 1
; LDSByteSize: 0 bytes/workgroup (compile time only)
; SGPRBlocks: 0
; VGPRBlocks: 0
; NumSGPRsForWavesPerEU: 1
; NumVGPRsForWavesPerEU: 1
; Occupancy: 16
; WaveLimiterHint : 0
; COMPUTE_PGM_RSRC2:SCRATCH_EN: 0
; COMPUTE_PGM_RSRC2:USER_SGPR: 6
; COMPUTE_PGM_RSRC2:TRAP_HANDLER: 0
; COMPUTE_PGM_RSRC2:TGID_X_EN: 1
; COMPUTE_PGM_RSRC2:TGID_Y_EN: 0
; COMPUTE_PGM_RSRC2:TGID_Z_EN: 0
; COMPUTE_PGM_RSRC2:TIDIG_COMP_CNT: 0
	.section	.text._ZN7rocprim17ROCPRIM_400000_NS6detail17trampoline_kernelINS0_14default_configENS1_38merge_sort_block_merge_config_selectorIiNS0_10empty_typeEEEZZNS1_27merge_sort_block_merge_implIS3_N6thrust23THRUST_200600_302600_NS6detail15normal_iteratorINS9_10device_ptrIiEEEEPS5_jNS1_19radix_merge_compareILb0ELb0EiNS0_19identity_decomposerEEEEE10hipError_tT0_T1_T2_jT3_P12ihipStream_tbPNSt15iterator_traitsISK_E10value_typeEPNSQ_ISL_E10value_typeEPSM_NS1_7vsmem_tEENKUlT_SK_SL_SM_E_clIPiSE_SF_SF_EESJ_SZ_SK_SL_SM_EUlSZ_E1_NS1_11comp_targetILNS1_3genE3ELNS1_11target_archE908ELNS1_3gpuE7ELNS1_3repE0EEENS1_36merge_oddeven_config_static_selectorELNS0_4arch9wavefront6targetE0EEEvSL_,"axG",@progbits,_ZN7rocprim17ROCPRIM_400000_NS6detail17trampoline_kernelINS0_14default_configENS1_38merge_sort_block_merge_config_selectorIiNS0_10empty_typeEEEZZNS1_27merge_sort_block_merge_implIS3_N6thrust23THRUST_200600_302600_NS6detail15normal_iteratorINS9_10device_ptrIiEEEEPS5_jNS1_19radix_merge_compareILb0ELb0EiNS0_19identity_decomposerEEEEE10hipError_tT0_T1_T2_jT3_P12ihipStream_tbPNSt15iterator_traitsISK_E10value_typeEPNSQ_ISL_E10value_typeEPSM_NS1_7vsmem_tEENKUlT_SK_SL_SM_E_clIPiSE_SF_SF_EESJ_SZ_SK_SL_SM_EUlSZ_E1_NS1_11comp_targetILNS1_3genE3ELNS1_11target_archE908ELNS1_3gpuE7ELNS1_3repE0EEENS1_36merge_oddeven_config_static_selectorELNS0_4arch9wavefront6targetE0EEEvSL_,comdat
	.protected	_ZN7rocprim17ROCPRIM_400000_NS6detail17trampoline_kernelINS0_14default_configENS1_38merge_sort_block_merge_config_selectorIiNS0_10empty_typeEEEZZNS1_27merge_sort_block_merge_implIS3_N6thrust23THRUST_200600_302600_NS6detail15normal_iteratorINS9_10device_ptrIiEEEEPS5_jNS1_19radix_merge_compareILb0ELb0EiNS0_19identity_decomposerEEEEE10hipError_tT0_T1_T2_jT3_P12ihipStream_tbPNSt15iterator_traitsISK_E10value_typeEPNSQ_ISL_E10value_typeEPSM_NS1_7vsmem_tEENKUlT_SK_SL_SM_E_clIPiSE_SF_SF_EESJ_SZ_SK_SL_SM_EUlSZ_E1_NS1_11comp_targetILNS1_3genE3ELNS1_11target_archE908ELNS1_3gpuE7ELNS1_3repE0EEENS1_36merge_oddeven_config_static_selectorELNS0_4arch9wavefront6targetE0EEEvSL_ ; -- Begin function _ZN7rocprim17ROCPRIM_400000_NS6detail17trampoline_kernelINS0_14default_configENS1_38merge_sort_block_merge_config_selectorIiNS0_10empty_typeEEEZZNS1_27merge_sort_block_merge_implIS3_N6thrust23THRUST_200600_302600_NS6detail15normal_iteratorINS9_10device_ptrIiEEEEPS5_jNS1_19radix_merge_compareILb0ELb0EiNS0_19identity_decomposerEEEEE10hipError_tT0_T1_T2_jT3_P12ihipStream_tbPNSt15iterator_traitsISK_E10value_typeEPNSQ_ISL_E10value_typeEPSM_NS1_7vsmem_tEENKUlT_SK_SL_SM_E_clIPiSE_SF_SF_EESJ_SZ_SK_SL_SM_EUlSZ_E1_NS1_11comp_targetILNS1_3genE3ELNS1_11target_archE908ELNS1_3gpuE7ELNS1_3repE0EEENS1_36merge_oddeven_config_static_selectorELNS0_4arch9wavefront6targetE0EEEvSL_
	.globl	_ZN7rocprim17ROCPRIM_400000_NS6detail17trampoline_kernelINS0_14default_configENS1_38merge_sort_block_merge_config_selectorIiNS0_10empty_typeEEEZZNS1_27merge_sort_block_merge_implIS3_N6thrust23THRUST_200600_302600_NS6detail15normal_iteratorINS9_10device_ptrIiEEEEPS5_jNS1_19radix_merge_compareILb0ELb0EiNS0_19identity_decomposerEEEEE10hipError_tT0_T1_T2_jT3_P12ihipStream_tbPNSt15iterator_traitsISK_E10value_typeEPNSQ_ISL_E10value_typeEPSM_NS1_7vsmem_tEENKUlT_SK_SL_SM_E_clIPiSE_SF_SF_EESJ_SZ_SK_SL_SM_EUlSZ_E1_NS1_11comp_targetILNS1_3genE3ELNS1_11target_archE908ELNS1_3gpuE7ELNS1_3repE0EEENS1_36merge_oddeven_config_static_selectorELNS0_4arch9wavefront6targetE0EEEvSL_
	.p2align	8
	.type	_ZN7rocprim17ROCPRIM_400000_NS6detail17trampoline_kernelINS0_14default_configENS1_38merge_sort_block_merge_config_selectorIiNS0_10empty_typeEEEZZNS1_27merge_sort_block_merge_implIS3_N6thrust23THRUST_200600_302600_NS6detail15normal_iteratorINS9_10device_ptrIiEEEEPS5_jNS1_19radix_merge_compareILb0ELb0EiNS0_19identity_decomposerEEEEE10hipError_tT0_T1_T2_jT3_P12ihipStream_tbPNSt15iterator_traitsISK_E10value_typeEPNSQ_ISL_E10value_typeEPSM_NS1_7vsmem_tEENKUlT_SK_SL_SM_E_clIPiSE_SF_SF_EESJ_SZ_SK_SL_SM_EUlSZ_E1_NS1_11comp_targetILNS1_3genE3ELNS1_11target_archE908ELNS1_3gpuE7ELNS1_3repE0EEENS1_36merge_oddeven_config_static_selectorELNS0_4arch9wavefront6targetE0EEEvSL_,@function
_ZN7rocprim17ROCPRIM_400000_NS6detail17trampoline_kernelINS0_14default_configENS1_38merge_sort_block_merge_config_selectorIiNS0_10empty_typeEEEZZNS1_27merge_sort_block_merge_implIS3_N6thrust23THRUST_200600_302600_NS6detail15normal_iteratorINS9_10device_ptrIiEEEEPS5_jNS1_19radix_merge_compareILb0ELb0EiNS0_19identity_decomposerEEEEE10hipError_tT0_T1_T2_jT3_P12ihipStream_tbPNSt15iterator_traitsISK_E10value_typeEPNSQ_ISL_E10value_typeEPSM_NS1_7vsmem_tEENKUlT_SK_SL_SM_E_clIPiSE_SF_SF_EESJ_SZ_SK_SL_SM_EUlSZ_E1_NS1_11comp_targetILNS1_3genE3ELNS1_11target_archE908ELNS1_3gpuE7ELNS1_3repE0EEENS1_36merge_oddeven_config_static_selectorELNS0_4arch9wavefront6targetE0EEEvSL_: ; @_ZN7rocprim17ROCPRIM_400000_NS6detail17trampoline_kernelINS0_14default_configENS1_38merge_sort_block_merge_config_selectorIiNS0_10empty_typeEEEZZNS1_27merge_sort_block_merge_implIS3_N6thrust23THRUST_200600_302600_NS6detail15normal_iteratorINS9_10device_ptrIiEEEEPS5_jNS1_19radix_merge_compareILb0ELb0EiNS0_19identity_decomposerEEEEE10hipError_tT0_T1_T2_jT3_P12ihipStream_tbPNSt15iterator_traitsISK_E10value_typeEPNSQ_ISL_E10value_typeEPSM_NS1_7vsmem_tEENKUlT_SK_SL_SM_E_clIPiSE_SF_SF_EESJ_SZ_SK_SL_SM_EUlSZ_E1_NS1_11comp_targetILNS1_3genE3ELNS1_11target_archE908ELNS1_3gpuE7ELNS1_3repE0EEENS1_36merge_oddeven_config_static_selectorELNS0_4arch9wavefront6targetE0EEEvSL_
; %bb.0:
	.section	.rodata,"a",@progbits
	.p2align	6, 0x0
	.amdhsa_kernel _ZN7rocprim17ROCPRIM_400000_NS6detail17trampoline_kernelINS0_14default_configENS1_38merge_sort_block_merge_config_selectorIiNS0_10empty_typeEEEZZNS1_27merge_sort_block_merge_implIS3_N6thrust23THRUST_200600_302600_NS6detail15normal_iteratorINS9_10device_ptrIiEEEEPS5_jNS1_19radix_merge_compareILb0ELb0EiNS0_19identity_decomposerEEEEE10hipError_tT0_T1_T2_jT3_P12ihipStream_tbPNSt15iterator_traitsISK_E10value_typeEPNSQ_ISL_E10value_typeEPSM_NS1_7vsmem_tEENKUlT_SK_SL_SM_E_clIPiSE_SF_SF_EESJ_SZ_SK_SL_SM_EUlSZ_E1_NS1_11comp_targetILNS1_3genE3ELNS1_11target_archE908ELNS1_3gpuE7ELNS1_3repE0EEENS1_36merge_oddeven_config_static_selectorELNS0_4arch9wavefront6targetE0EEEvSL_
		.amdhsa_group_segment_fixed_size 0
		.amdhsa_private_segment_fixed_size 0
		.amdhsa_kernarg_size 48
		.amdhsa_user_sgpr_count 6
		.amdhsa_user_sgpr_private_segment_buffer 1
		.amdhsa_user_sgpr_dispatch_ptr 0
		.amdhsa_user_sgpr_queue_ptr 0
		.amdhsa_user_sgpr_kernarg_segment_ptr 1
		.amdhsa_user_sgpr_dispatch_id 0
		.amdhsa_user_sgpr_flat_scratch_init 0
		.amdhsa_user_sgpr_private_segment_size 0
		.amdhsa_wavefront_size32 1
		.amdhsa_uses_dynamic_stack 0
		.amdhsa_system_sgpr_private_segment_wavefront_offset 0
		.amdhsa_system_sgpr_workgroup_id_x 1
		.amdhsa_system_sgpr_workgroup_id_y 0
		.amdhsa_system_sgpr_workgroup_id_z 0
		.amdhsa_system_sgpr_workgroup_info 0
		.amdhsa_system_vgpr_workitem_id 0
		.amdhsa_next_free_vgpr 1
		.amdhsa_next_free_sgpr 1
		.amdhsa_reserve_vcc 0
		.amdhsa_reserve_flat_scratch 0
		.amdhsa_float_round_mode_32 0
		.amdhsa_float_round_mode_16_64 0
		.amdhsa_float_denorm_mode_32 3
		.amdhsa_float_denorm_mode_16_64 3
		.amdhsa_dx10_clamp 1
		.amdhsa_ieee_mode 1
		.amdhsa_fp16_overflow 0
		.amdhsa_workgroup_processor_mode 1
		.amdhsa_memory_ordered 1
		.amdhsa_forward_progress 1
		.amdhsa_shared_vgpr_count 0
		.amdhsa_exception_fp_ieee_invalid_op 0
		.amdhsa_exception_fp_denorm_src 0
		.amdhsa_exception_fp_ieee_div_zero 0
		.amdhsa_exception_fp_ieee_overflow 0
		.amdhsa_exception_fp_ieee_underflow 0
		.amdhsa_exception_fp_ieee_inexact 0
		.amdhsa_exception_int_div_zero 0
	.end_amdhsa_kernel
	.section	.text._ZN7rocprim17ROCPRIM_400000_NS6detail17trampoline_kernelINS0_14default_configENS1_38merge_sort_block_merge_config_selectorIiNS0_10empty_typeEEEZZNS1_27merge_sort_block_merge_implIS3_N6thrust23THRUST_200600_302600_NS6detail15normal_iteratorINS9_10device_ptrIiEEEEPS5_jNS1_19radix_merge_compareILb0ELb0EiNS0_19identity_decomposerEEEEE10hipError_tT0_T1_T2_jT3_P12ihipStream_tbPNSt15iterator_traitsISK_E10value_typeEPNSQ_ISL_E10value_typeEPSM_NS1_7vsmem_tEENKUlT_SK_SL_SM_E_clIPiSE_SF_SF_EESJ_SZ_SK_SL_SM_EUlSZ_E1_NS1_11comp_targetILNS1_3genE3ELNS1_11target_archE908ELNS1_3gpuE7ELNS1_3repE0EEENS1_36merge_oddeven_config_static_selectorELNS0_4arch9wavefront6targetE0EEEvSL_,"axG",@progbits,_ZN7rocprim17ROCPRIM_400000_NS6detail17trampoline_kernelINS0_14default_configENS1_38merge_sort_block_merge_config_selectorIiNS0_10empty_typeEEEZZNS1_27merge_sort_block_merge_implIS3_N6thrust23THRUST_200600_302600_NS6detail15normal_iteratorINS9_10device_ptrIiEEEEPS5_jNS1_19radix_merge_compareILb0ELb0EiNS0_19identity_decomposerEEEEE10hipError_tT0_T1_T2_jT3_P12ihipStream_tbPNSt15iterator_traitsISK_E10value_typeEPNSQ_ISL_E10value_typeEPSM_NS1_7vsmem_tEENKUlT_SK_SL_SM_E_clIPiSE_SF_SF_EESJ_SZ_SK_SL_SM_EUlSZ_E1_NS1_11comp_targetILNS1_3genE3ELNS1_11target_archE908ELNS1_3gpuE7ELNS1_3repE0EEENS1_36merge_oddeven_config_static_selectorELNS0_4arch9wavefront6targetE0EEEvSL_,comdat
.Lfunc_end39:
	.size	_ZN7rocprim17ROCPRIM_400000_NS6detail17trampoline_kernelINS0_14default_configENS1_38merge_sort_block_merge_config_selectorIiNS0_10empty_typeEEEZZNS1_27merge_sort_block_merge_implIS3_N6thrust23THRUST_200600_302600_NS6detail15normal_iteratorINS9_10device_ptrIiEEEEPS5_jNS1_19radix_merge_compareILb0ELb0EiNS0_19identity_decomposerEEEEE10hipError_tT0_T1_T2_jT3_P12ihipStream_tbPNSt15iterator_traitsISK_E10value_typeEPNSQ_ISL_E10value_typeEPSM_NS1_7vsmem_tEENKUlT_SK_SL_SM_E_clIPiSE_SF_SF_EESJ_SZ_SK_SL_SM_EUlSZ_E1_NS1_11comp_targetILNS1_3genE3ELNS1_11target_archE908ELNS1_3gpuE7ELNS1_3repE0EEENS1_36merge_oddeven_config_static_selectorELNS0_4arch9wavefront6targetE0EEEvSL_, .Lfunc_end39-_ZN7rocprim17ROCPRIM_400000_NS6detail17trampoline_kernelINS0_14default_configENS1_38merge_sort_block_merge_config_selectorIiNS0_10empty_typeEEEZZNS1_27merge_sort_block_merge_implIS3_N6thrust23THRUST_200600_302600_NS6detail15normal_iteratorINS9_10device_ptrIiEEEEPS5_jNS1_19radix_merge_compareILb0ELb0EiNS0_19identity_decomposerEEEEE10hipError_tT0_T1_T2_jT3_P12ihipStream_tbPNSt15iterator_traitsISK_E10value_typeEPNSQ_ISL_E10value_typeEPSM_NS1_7vsmem_tEENKUlT_SK_SL_SM_E_clIPiSE_SF_SF_EESJ_SZ_SK_SL_SM_EUlSZ_E1_NS1_11comp_targetILNS1_3genE3ELNS1_11target_archE908ELNS1_3gpuE7ELNS1_3repE0EEENS1_36merge_oddeven_config_static_selectorELNS0_4arch9wavefront6targetE0EEEvSL_
                                        ; -- End function
	.set _ZN7rocprim17ROCPRIM_400000_NS6detail17trampoline_kernelINS0_14default_configENS1_38merge_sort_block_merge_config_selectorIiNS0_10empty_typeEEEZZNS1_27merge_sort_block_merge_implIS3_N6thrust23THRUST_200600_302600_NS6detail15normal_iteratorINS9_10device_ptrIiEEEEPS5_jNS1_19radix_merge_compareILb0ELb0EiNS0_19identity_decomposerEEEEE10hipError_tT0_T1_T2_jT3_P12ihipStream_tbPNSt15iterator_traitsISK_E10value_typeEPNSQ_ISL_E10value_typeEPSM_NS1_7vsmem_tEENKUlT_SK_SL_SM_E_clIPiSE_SF_SF_EESJ_SZ_SK_SL_SM_EUlSZ_E1_NS1_11comp_targetILNS1_3genE3ELNS1_11target_archE908ELNS1_3gpuE7ELNS1_3repE0EEENS1_36merge_oddeven_config_static_selectorELNS0_4arch9wavefront6targetE0EEEvSL_.num_vgpr, 0
	.set _ZN7rocprim17ROCPRIM_400000_NS6detail17trampoline_kernelINS0_14default_configENS1_38merge_sort_block_merge_config_selectorIiNS0_10empty_typeEEEZZNS1_27merge_sort_block_merge_implIS3_N6thrust23THRUST_200600_302600_NS6detail15normal_iteratorINS9_10device_ptrIiEEEEPS5_jNS1_19radix_merge_compareILb0ELb0EiNS0_19identity_decomposerEEEEE10hipError_tT0_T1_T2_jT3_P12ihipStream_tbPNSt15iterator_traitsISK_E10value_typeEPNSQ_ISL_E10value_typeEPSM_NS1_7vsmem_tEENKUlT_SK_SL_SM_E_clIPiSE_SF_SF_EESJ_SZ_SK_SL_SM_EUlSZ_E1_NS1_11comp_targetILNS1_3genE3ELNS1_11target_archE908ELNS1_3gpuE7ELNS1_3repE0EEENS1_36merge_oddeven_config_static_selectorELNS0_4arch9wavefront6targetE0EEEvSL_.num_agpr, 0
	.set _ZN7rocprim17ROCPRIM_400000_NS6detail17trampoline_kernelINS0_14default_configENS1_38merge_sort_block_merge_config_selectorIiNS0_10empty_typeEEEZZNS1_27merge_sort_block_merge_implIS3_N6thrust23THRUST_200600_302600_NS6detail15normal_iteratorINS9_10device_ptrIiEEEEPS5_jNS1_19radix_merge_compareILb0ELb0EiNS0_19identity_decomposerEEEEE10hipError_tT0_T1_T2_jT3_P12ihipStream_tbPNSt15iterator_traitsISK_E10value_typeEPNSQ_ISL_E10value_typeEPSM_NS1_7vsmem_tEENKUlT_SK_SL_SM_E_clIPiSE_SF_SF_EESJ_SZ_SK_SL_SM_EUlSZ_E1_NS1_11comp_targetILNS1_3genE3ELNS1_11target_archE908ELNS1_3gpuE7ELNS1_3repE0EEENS1_36merge_oddeven_config_static_selectorELNS0_4arch9wavefront6targetE0EEEvSL_.numbered_sgpr, 0
	.set _ZN7rocprim17ROCPRIM_400000_NS6detail17trampoline_kernelINS0_14default_configENS1_38merge_sort_block_merge_config_selectorIiNS0_10empty_typeEEEZZNS1_27merge_sort_block_merge_implIS3_N6thrust23THRUST_200600_302600_NS6detail15normal_iteratorINS9_10device_ptrIiEEEEPS5_jNS1_19radix_merge_compareILb0ELb0EiNS0_19identity_decomposerEEEEE10hipError_tT0_T1_T2_jT3_P12ihipStream_tbPNSt15iterator_traitsISK_E10value_typeEPNSQ_ISL_E10value_typeEPSM_NS1_7vsmem_tEENKUlT_SK_SL_SM_E_clIPiSE_SF_SF_EESJ_SZ_SK_SL_SM_EUlSZ_E1_NS1_11comp_targetILNS1_3genE3ELNS1_11target_archE908ELNS1_3gpuE7ELNS1_3repE0EEENS1_36merge_oddeven_config_static_selectorELNS0_4arch9wavefront6targetE0EEEvSL_.num_named_barrier, 0
	.set _ZN7rocprim17ROCPRIM_400000_NS6detail17trampoline_kernelINS0_14default_configENS1_38merge_sort_block_merge_config_selectorIiNS0_10empty_typeEEEZZNS1_27merge_sort_block_merge_implIS3_N6thrust23THRUST_200600_302600_NS6detail15normal_iteratorINS9_10device_ptrIiEEEEPS5_jNS1_19radix_merge_compareILb0ELb0EiNS0_19identity_decomposerEEEEE10hipError_tT0_T1_T2_jT3_P12ihipStream_tbPNSt15iterator_traitsISK_E10value_typeEPNSQ_ISL_E10value_typeEPSM_NS1_7vsmem_tEENKUlT_SK_SL_SM_E_clIPiSE_SF_SF_EESJ_SZ_SK_SL_SM_EUlSZ_E1_NS1_11comp_targetILNS1_3genE3ELNS1_11target_archE908ELNS1_3gpuE7ELNS1_3repE0EEENS1_36merge_oddeven_config_static_selectorELNS0_4arch9wavefront6targetE0EEEvSL_.private_seg_size, 0
	.set _ZN7rocprim17ROCPRIM_400000_NS6detail17trampoline_kernelINS0_14default_configENS1_38merge_sort_block_merge_config_selectorIiNS0_10empty_typeEEEZZNS1_27merge_sort_block_merge_implIS3_N6thrust23THRUST_200600_302600_NS6detail15normal_iteratorINS9_10device_ptrIiEEEEPS5_jNS1_19radix_merge_compareILb0ELb0EiNS0_19identity_decomposerEEEEE10hipError_tT0_T1_T2_jT3_P12ihipStream_tbPNSt15iterator_traitsISK_E10value_typeEPNSQ_ISL_E10value_typeEPSM_NS1_7vsmem_tEENKUlT_SK_SL_SM_E_clIPiSE_SF_SF_EESJ_SZ_SK_SL_SM_EUlSZ_E1_NS1_11comp_targetILNS1_3genE3ELNS1_11target_archE908ELNS1_3gpuE7ELNS1_3repE0EEENS1_36merge_oddeven_config_static_selectorELNS0_4arch9wavefront6targetE0EEEvSL_.uses_vcc, 0
	.set _ZN7rocprim17ROCPRIM_400000_NS6detail17trampoline_kernelINS0_14default_configENS1_38merge_sort_block_merge_config_selectorIiNS0_10empty_typeEEEZZNS1_27merge_sort_block_merge_implIS3_N6thrust23THRUST_200600_302600_NS6detail15normal_iteratorINS9_10device_ptrIiEEEEPS5_jNS1_19radix_merge_compareILb0ELb0EiNS0_19identity_decomposerEEEEE10hipError_tT0_T1_T2_jT3_P12ihipStream_tbPNSt15iterator_traitsISK_E10value_typeEPNSQ_ISL_E10value_typeEPSM_NS1_7vsmem_tEENKUlT_SK_SL_SM_E_clIPiSE_SF_SF_EESJ_SZ_SK_SL_SM_EUlSZ_E1_NS1_11comp_targetILNS1_3genE3ELNS1_11target_archE908ELNS1_3gpuE7ELNS1_3repE0EEENS1_36merge_oddeven_config_static_selectorELNS0_4arch9wavefront6targetE0EEEvSL_.uses_flat_scratch, 0
	.set _ZN7rocprim17ROCPRIM_400000_NS6detail17trampoline_kernelINS0_14default_configENS1_38merge_sort_block_merge_config_selectorIiNS0_10empty_typeEEEZZNS1_27merge_sort_block_merge_implIS3_N6thrust23THRUST_200600_302600_NS6detail15normal_iteratorINS9_10device_ptrIiEEEEPS5_jNS1_19radix_merge_compareILb0ELb0EiNS0_19identity_decomposerEEEEE10hipError_tT0_T1_T2_jT3_P12ihipStream_tbPNSt15iterator_traitsISK_E10value_typeEPNSQ_ISL_E10value_typeEPSM_NS1_7vsmem_tEENKUlT_SK_SL_SM_E_clIPiSE_SF_SF_EESJ_SZ_SK_SL_SM_EUlSZ_E1_NS1_11comp_targetILNS1_3genE3ELNS1_11target_archE908ELNS1_3gpuE7ELNS1_3repE0EEENS1_36merge_oddeven_config_static_selectorELNS0_4arch9wavefront6targetE0EEEvSL_.has_dyn_sized_stack, 0
	.set _ZN7rocprim17ROCPRIM_400000_NS6detail17trampoline_kernelINS0_14default_configENS1_38merge_sort_block_merge_config_selectorIiNS0_10empty_typeEEEZZNS1_27merge_sort_block_merge_implIS3_N6thrust23THRUST_200600_302600_NS6detail15normal_iteratorINS9_10device_ptrIiEEEEPS5_jNS1_19radix_merge_compareILb0ELb0EiNS0_19identity_decomposerEEEEE10hipError_tT0_T1_T2_jT3_P12ihipStream_tbPNSt15iterator_traitsISK_E10value_typeEPNSQ_ISL_E10value_typeEPSM_NS1_7vsmem_tEENKUlT_SK_SL_SM_E_clIPiSE_SF_SF_EESJ_SZ_SK_SL_SM_EUlSZ_E1_NS1_11comp_targetILNS1_3genE3ELNS1_11target_archE908ELNS1_3gpuE7ELNS1_3repE0EEENS1_36merge_oddeven_config_static_selectorELNS0_4arch9wavefront6targetE0EEEvSL_.has_recursion, 0
	.set _ZN7rocprim17ROCPRIM_400000_NS6detail17trampoline_kernelINS0_14default_configENS1_38merge_sort_block_merge_config_selectorIiNS0_10empty_typeEEEZZNS1_27merge_sort_block_merge_implIS3_N6thrust23THRUST_200600_302600_NS6detail15normal_iteratorINS9_10device_ptrIiEEEEPS5_jNS1_19radix_merge_compareILb0ELb0EiNS0_19identity_decomposerEEEEE10hipError_tT0_T1_T2_jT3_P12ihipStream_tbPNSt15iterator_traitsISK_E10value_typeEPNSQ_ISL_E10value_typeEPSM_NS1_7vsmem_tEENKUlT_SK_SL_SM_E_clIPiSE_SF_SF_EESJ_SZ_SK_SL_SM_EUlSZ_E1_NS1_11comp_targetILNS1_3genE3ELNS1_11target_archE908ELNS1_3gpuE7ELNS1_3repE0EEENS1_36merge_oddeven_config_static_selectorELNS0_4arch9wavefront6targetE0EEEvSL_.has_indirect_call, 0
	.section	.AMDGPU.csdata,"",@progbits
; Kernel info:
; codeLenInByte = 0
; TotalNumSgprs: 0
; NumVgprs: 0
; ScratchSize: 0
; MemoryBound: 0
; FloatMode: 240
; IeeeMode: 1
; LDSByteSize: 0 bytes/workgroup (compile time only)
; SGPRBlocks: 0
; VGPRBlocks: 0
; NumSGPRsForWavesPerEU: 1
; NumVGPRsForWavesPerEU: 1
; Occupancy: 16
; WaveLimiterHint : 0
; COMPUTE_PGM_RSRC2:SCRATCH_EN: 0
; COMPUTE_PGM_RSRC2:USER_SGPR: 6
; COMPUTE_PGM_RSRC2:TRAP_HANDLER: 0
; COMPUTE_PGM_RSRC2:TGID_X_EN: 1
; COMPUTE_PGM_RSRC2:TGID_Y_EN: 0
; COMPUTE_PGM_RSRC2:TGID_Z_EN: 0
; COMPUTE_PGM_RSRC2:TIDIG_COMP_CNT: 0
	.section	.text._ZN7rocprim17ROCPRIM_400000_NS6detail17trampoline_kernelINS0_14default_configENS1_38merge_sort_block_merge_config_selectorIiNS0_10empty_typeEEEZZNS1_27merge_sort_block_merge_implIS3_N6thrust23THRUST_200600_302600_NS6detail15normal_iteratorINS9_10device_ptrIiEEEEPS5_jNS1_19radix_merge_compareILb0ELb0EiNS0_19identity_decomposerEEEEE10hipError_tT0_T1_T2_jT3_P12ihipStream_tbPNSt15iterator_traitsISK_E10value_typeEPNSQ_ISL_E10value_typeEPSM_NS1_7vsmem_tEENKUlT_SK_SL_SM_E_clIPiSE_SF_SF_EESJ_SZ_SK_SL_SM_EUlSZ_E1_NS1_11comp_targetILNS1_3genE2ELNS1_11target_archE906ELNS1_3gpuE6ELNS1_3repE0EEENS1_36merge_oddeven_config_static_selectorELNS0_4arch9wavefront6targetE0EEEvSL_,"axG",@progbits,_ZN7rocprim17ROCPRIM_400000_NS6detail17trampoline_kernelINS0_14default_configENS1_38merge_sort_block_merge_config_selectorIiNS0_10empty_typeEEEZZNS1_27merge_sort_block_merge_implIS3_N6thrust23THRUST_200600_302600_NS6detail15normal_iteratorINS9_10device_ptrIiEEEEPS5_jNS1_19radix_merge_compareILb0ELb0EiNS0_19identity_decomposerEEEEE10hipError_tT0_T1_T2_jT3_P12ihipStream_tbPNSt15iterator_traitsISK_E10value_typeEPNSQ_ISL_E10value_typeEPSM_NS1_7vsmem_tEENKUlT_SK_SL_SM_E_clIPiSE_SF_SF_EESJ_SZ_SK_SL_SM_EUlSZ_E1_NS1_11comp_targetILNS1_3genE2ELNS1_11target_archE906ELNS1_3gpuE6ELNS1_3repE0EEENS1_36merge_oddeven_config_static_selectorELNS0_4arch9wavefront6targetE0EEEvSL_,comdat
	.protected	_ZN7rocprim17ROCPRIM_400000_NS6detail17trampoline_kernelINS0_14default_configENS1_38merge_sort_block_merge_config_selectorIiNS0_10empty_typeEEEZZNS1_27merge_sort_block_merge_implIS3_N6thrust23THRUST_200600_302600_NS6detail15normal_iteratorINS9_10device_ptrIiEEEEPS5_jNS1_19radix_merge_compareILb0ELb0EiNS0_19identity_decomposerEEEEE10hipError_tT0_T1_T2_jT3_P12ihipStream_tbPNSt15iterator_traitsISK_E10value_typeEPNSQ_ISL_E10value_typeEPSM_NS1_7vsmem_tEENKUlT_SK_SL_SM_E_clIPiSE_SF_SF_EESJ_SZ_SK_SL_SM_EUlSZ_E1_NS1_11comp_targetILNS1_3genE2ELNS1_11target_archE906ELNS1_3gpuE6ELNS1_3repE0EEENS1_36merge_oddeven_config_static_selectorELNS0_4arch9wavefront6targetE0EEEvSL_ ; -- Begin function _ZN7rocprim17ROCPRIM_400000_NS6detail17trampoline_kernelINS0_14default_configENS1_38merge_sort_block_merge_config_selectorIiNS0_10empty_typeEEEZZNS1_27merge_sort_block_merge_implIS3_N6thrust23THRUST_200600_302600_NS6detail15normal_iteratorINS9_10device_ptrIiEEEEPS5_jNS1_19radix_merge_compareILb0ELb0EiNS0_19identity_decomposerEEEEE10hipError_tT0_T1_T2_jT3_P12ihipStream_tbPNSt15iterator_traitsISK_E10value_typeEPNSQ_ISL_E10value_typeEPSM_NS1_7vsmem_tEENKUlT_SK_SL_SM_E_clIPiSE_SF_SF_EESJ_SZ_SK_SL_SM_EUlSZ_E1_NS1_11comp_targetILNS1_3genE2ELNS1_11target_archE906ELNS1_3gpuE6ELNS1_3repE0EEENS1_36merge_oddeven_config_static_selectorELNS0_4arch9wavefront6targetE0EEEvSL_
	.globl	_ZN7rocprim17ROCPRIM_400000_NS6detail17trampoline_kernelINS0_14default_configENS1_38merge_sort_block_merge_config_selectorIiNS0_10empty_typeEEEZZNS1_27merge_sort_block_merge_implIS3_N6thrust23THRUST_200600_302600_NS6detail15normal_iteratorINS9_10device_ptrIiEEEEPS5_jNS1_19radix_merge_compareILb0ELb0EiNS0_19identity_decomposerEEEEE10hipError_tT0_T1_T2_jT3_P12ihipStream_tbPNSt15iterator_traitsISK_E10value_typeEPNSQ_ISL_E10value_typeEPSM_NS1_7vsmem_tEENKUlT_SK_SL_SM_E_clIPiSE_SF_SF_EESJ_SZ_SK_SL_SM_EUlSZ_E1_NS1_11comp_targetILNS1_3genE2ELNS1_11target_archE906ELNS1_3gpuE6ELNS1_3repE0EEENS1_36merge_oddeven_config_static_selectorELNS0_4arch9wavefront6targetE0EEEvSL_
	.p2align	8
	.type	_ZN7rocprim17ROCPRIM_400000_NS6detail17trampoline_kernelINS0_14default_configENS1_38merge_sort_block_merge_config_selectorIiNS0_10empty_typeEEEZZNS1_27merge_sort_block_merge_implIS3_N6thrust23THRUST_200600_302600_NS6detail15normal_iteratorINS9_10device_ptrIiEEEEPS5_jNS1_19radix_merge_compareILb0ELb0EiNS0_19identity_decomposerEEEEE10hipError_tT0_T1_T2_jT3_P12ihipStream_tbPNSt15iterator_traitsISK_E10value_typeEPNSQ_ISL_E10value_typeEPSM_NS1_7vsmem_tEENKUlT_SK_SL_SM_E_clIPiSE_SF_SF_EESJ_SZ_SK_SL_SM_EUlSZ_E1_NS1_11comp_targetILNS1_3genE2ELNS1_11target_archE906ELNS1_3gpuE6ELNS1_3repE0EEENS1_36merge_oddeven_config_static_selectorELNS0_4arch9wavefront6targetE0EEEvSL_,@function
_ZN7rocprim17ROCPRIM_400000_NS6detail17trampoline_kernelINS0_14default_configENS1_38merge_sort_block_merge_config_selectorIiNS0_10empty_typeEEEZZNS1_27merge_sort_block_merge_implIS3_N6thrust23THRUST_200600_302600_NS6detail15normal_iteratorINS9_10device_ptrIiEEEEPS5_jNS1_19radix_merge_compareILb0ELb0EiNS0_19identity_decomposerEEEEE10hipError_tT0_T1_T2_jT3_P12ihipStream_tbPNSt15iterator_traitsISK_E10value_typeEPNSQ_ISL_E10value_typeEPSM_NS1_7vsmem_tEENKUlT_SK_SL_SM_E_clIPiSE_SF_SF_EESJ_SZ_SK_SL_SM_EUlSZ_E1_NS1_11comp_targetILNS1_3genE2ELNS1_11target_archE906ELNS1_3gpuE6ELNS1_3repE0EEENS1_36merge_oddeven_config_static_selectorELNS0_4arch9wavefront6targetE0EEEvSL_: ; @_ZN7rocprim17ROCPRIM_400000_NS6detail17trampoline_kernelINS0_14default_configENS1_38merge_sort_block_merge_config_selectorIiNS0_10empty_typeEEEZZNS1_27merge_sort_block_merge_implIS3_N6thrust23THRUST_200600_302600_NS6detail15normal_iteratorINS9_10device_ptrIiEEEEPS5_jNS1_19radix_merge_compareILb0ELb0EiNS0_19identity_decomposerEEEEE10hipError_tT0_T1_T2_jT3_P12ihipStream_tbPNSt15iterator_traitsISK_E10value_typeEPNSQ_ISL_E10value_typeEPSM_NS1_7vsmem_tEENKUlT_SK_SL_SM_E_clIPiSE_SF_SF_EESJ_SZ_SK_SL_SM_EUlSZ_E1_NS1_11comp_targetILNS1_3genE2ELNS1_11target_archE906ELNS1_3gpuE6ELNS1_3repE0EEENS1_36merge_oddeven_config_static_selectorELNS0_4arch9wavefront6targetE0EEEvSL_
; %bb.0:
	.section	.rodata,"a",@progbits
	.p2align	6, 0x0
	.amdhsa_kernel _ZN7rocprim17ROCPRIM_400000_NS6detail17trampoline_kernelINS0_14default_configENS1_38merge_sort_block_merge_config_selectorIiNS0_10empty_typeEEEZZNS1_27merge_sort_block_merge_implIS3_N6thrust23THRUST_200600_302600_NS6detail15normal_iteratorINS9_10device_ptrIiEEEEPS5_jNS1_19radix_merge_compareILb0ELb0EiNS0_19identity_decomposerEEEEE10hipError_tT0_T1_T2_jT3_P12ihipStream_tbPNSt15iterator_traitsISK_E10value_typeEPNSQ_ISL_E10value_typeEPSM_NS1_7vsmem_tEENKUlT_SK_SL_SM_E_clIPiSE_SF_SF_EESJ_SZ_SK_SL_SM_EUlSZ_E1_NS1_11comp_targetILNS1_3genE2ELNS1_11target_archE906ELNS1_3gpuE6ELNS1_3repE0EEENS1_36merge_oddeven_config_static_selectorELNS0_4arch9wavefront6targetE0EEEvSL_
		.amdhsa_group_segment_fixed_size 0
		.amdhsa_private_segment_fixed_size 0
		.amdhsa_kernarg_size 48
		.amdhsa_user_sgpr_count 6
		.amdhsa_user_sgpr_private_segment_buffer 1
		.amdhsa_user_sgpr_dispatch_ptr 0
		.amdhsa_user_sgpr_queue_ptr 0
		.amdhsa_user_sgpr_kernarg_segment_ptr 1
		.amdhsa_user_sgpr_dispatch_id 0
		.amdhsa_user_sgpr_flat_scratch_init 0
		.amdhsa_user_sgpr_private_segment_size 0
		.amdhsa_wavefront_size32 1
		.amdhsa_uses_dynamic_stack 0
		.amdhsa_system_sgpr_private_segment_wavefront_offset 0
		.amdhsa_system_sgpr_workgroup_id_x 1
		.amdhsa_system_sgpr_workgroup_id_y 0
		.amdhsa_system_sgpr_workgroup_id_z 0
		.amdhsa_system_sgpr_workgroup_info 0
		.amdhsa_system_vgpr_workitem_id 0
		.amdhsa_next_free_vgpr 1
		.amdhsa_next_free_sgpr 1
		.amdhsa_reserve_vcc 0
		.amdhsa_reserve_flat_scratch 0
		.amdhsa_float_round_mode_32 0
		.amdhsa_float_round_mode_16_64 0
		.amdhsa_float_denorm_mode_32 3
		.amdhsa_float_denorm_mode_16_64 3
		.amdhsa_dx10_clamp 1
		.amdhsa_ieee_mode 1
		.amdhsa_fp16_overflow 0
		.amdhsa_workgroup_processor_mode 1
		.amdhsa_memory_ordered 1
		.amdhsa_forward_progress 1
		.amdhsa_shared_vgpr_count 0
		.amdhsa_exception_fp_ieee_invalid_op 0
		.amdhsa_exception_fp_denorm_src 0
		.amdhsa_exception_fp_ieee_div_zero 0
		.amdhsa_exception_fp_ieee_overflow 0
		.amdhsa_exception_fp_ieee_underflow 0
		.amdhsa_exception_fp_ieee_inexact 0
		.amdhsa_exception_int_div_zero 0
	.end_amdhsa_kernel
	.section	.text._ZN7rocprim17ROCPRIM_400000_NS6detail17trampoline_kernelINS0_14default_configENS1_38merge_sort_block_merge_config_selectorIiNS0_10empty_typeEEEZZNS1_27merge_sort_block_merge_implIS3_N6thrust23THRUST_200600_302600_NS6detail15normal_iteratorINS9_10device_ptrIiEEEEPS5_jNS1_19radix_merge_compareILb0ELb0EiNS0_19identity_decomposerEEEEE10hipError_tT0_T1_T2_jT3_P12ihipStream_tbPNSt15iterator_traitsISK_E10value_typeEPNSQ_ISL_E10value_typeEPSM_NS1_7vsmem_tEENKUlT_SK_SL_SM_E_clIPiSE_SF_SF_EESJ_SZ_SK_SL_SM_EUlSZ_E1_NS1_11comp_targetILNS1_3genE2ELNS1_11target_archE906ELNS1_3gpuE6ELNS1_3repE0EEENS1_36merge_oddeven_config_static_selectorELNS0_4arch9wavefront6targetE0EEEvSL_,"axG",@progbits,_ZN7rocprim17ROCPRIM_400000_NS6detail17trampoline_kernelINS0_14default_configENS1_38merge_sort_block_merge_config_selectorIiNS0_10empty_typeEEEZZNS1_27merge_sort_block_merge_implIS3_N6thrust23THRUST_200600_302600_NS6detail15normal_iteratorINS9_10device_ptrIiEEEEPS5_jNS1_19radix_merge_compareILb0ELb0EiNS0_19identity_decomposerEEEEE10hipError_tT0_T1_T2_jT3_P12ihipStream_tbPNSt15iterator_traitsISK_E10value_typeEPNSQ_ISL_E10value_typeEPSM_NS1_7vsmem_tEENKUlT_SK_SL_SM_E_clIPiSE_SF_SF_EESJ_SZ_SK_SL_SM_EUlSZ_E1_NS1_11comp_targetILNS1_3genE2ELNS1_11target_archE906ELNS1_3gpuE6ELNS1_3repE0EEENS1_36merge_oddeven_config_static_selectorELNS0_4arch9wavefront6targetE0EEEvSL_,comdat
.Lfunc_end40:
	.size	_ZN7rocprim17ROCPRIM_400000_NS6detail17trampoline_kernelINS0_14default_configENS1_38merge_sort_block_merge_config_selectorIiNS0_10empty_typeEEEZZNS1_27merge_sort_block_merge_implIS3_N6thrust23THRUST_200600_302600_NS6detail15normal_iteratorINS9_10device_ptrIiEEEEPS5_jNS1_19radix_merge_compareILb0ELb0EiNS0_19identity_decomposerEEEEE10hipError_tT0_T1_T2_jT3_P12ihipStream_tbPNSt15iterator_traitsISK_E10value_typeEPNSQ_ISL_E10value_typeEPSM_NS1_7vsmem_tEENKUlT_SK_SL_SM_E_clIPiSE_SF_SF_EESJ_SZ_SK_SL_SM_EUlSZ_E1_NS1_11comp_targetILNS1_3genE2ELNS1_11target_archE906ELNS1_3gpuE6ELNS1_3repE0EEENS1_36merge_oddeven_config_static_selectorELNS0_4arch9wavefront6targetE0EEEvSL_, .Lfunc_end40-_ZN7rocprim17ROCPRIM_400000_NS6detail17trampoline_kernelINS0_14default_configENS1_38merge_sort_block_merge_config_selectorIiNS0_10empty_typeEEEZZNS1_27merge_sort_block_merge_implIS3_N6thrust23THRUST_200600_302600_NS6detail15normal_iteratorINS9_10device_ptrIiEEEEPS5_jNS1_19radix_merge_compareILb0ELb0EiNS0_19identity_decomposerEEEEE10hipError_tT0_T1_T2_jT3_P12ihipStream_tbPNSt15iterator_traitsISK_E10value_typeEPNSQ_ISL_E10value_typeEPSM_NS1_7vsmem_tEENKUlT_SK_SL_SM_E_clIPiSE_SF_SF_EESJ_SZ_SK_SL_SM_EUlSZ_E1_NS1_11comp_targetILNS1_3genE2ELNS1_11target_archE906ELNS1_3gpuE6ELNS1_3repE0EEENS1_36merge_oddeven_config_static_selectorELNS0_4arch9wavefront6targetE0EEEvSL_
                                        ; -- End function
	.set _ZN7rocprim17ROCPRIM_400000_NS6detail17trampoline_kernelINS0_14default_configENS1_38merge_sort_block_merge_config_selectorIiNS0_10empty_typeEEEZZNS1_27merge_sort_block_merge_implIS3_N6thrust23THRUST_200600_302600_NS6detail15normal_iteratorINS9_10device_ptrIiEEEEPS5_jNS1_19radix_merge_compareILb0ELb0EiNS0_19identity_decomposerEEEEE10hipError_tT0_T1_T2_jT3_P12ihipStream_tbPNSt15iterator_traitsISK_E10value_typeEPNSQ_ISL_E10value_typeEPSM_NS1_7vsmem_tEENKUlT_SK_SL_SM_E_clIPiSE_SF_SF_EESJ_SZ_SK_SL_SM_EUlSZ_E1_NS1_11comp_targetILNS1_3genE2ELNS1_11target_archE906ELNS1_3gpuE6ELNS1_3repE0EEENS1_36merge_oddeven_config_static_selectorELNS0_4arch9wavefront6targetE0EEEvSL_.num_vgpr, 0
	.set _ZN7rocprim17ROCPRIM_400000_NS6detail17trampoline_kernelINS0_14default_configENS1_38merge_sort_block_merge_config_selectorIiNS0_10empty_typeEEEZZNS1_27merge_sort_block_merge_implIS3_N6thrust23THRUST_200600_302600_NS6detail15normal_iteratorINS9_10device_ptrIiEEEEPS5_jNS1_19radix_merge_compareILb0ELb0EiNS0_19identity_decomposerEEEEE10hipError_tT0_T1_T2_jT3_P12ihipStream_tbPNSt15iterator_traitsISK_E10value_typeEPNSQ_ISL_E10value_typeEPSM_NS1_7vsmem_tEENKUlT_SK_SL_SM_E_clIPiSE_SF_SF_EESJ_SZ_SK_SL_SM_EUlSZ_E1_NS1_11comp_targetILNS1_3genE2ELNS1_11target_archE906ELNS1_3gpuE6ELNS1_3repE0EEENS1_36merge_oddeven_config_static_selectorELNS0_4arch9wavefront6targetE0EEEvSL_.num_agpr, 0
	.set _ZN7rocprim17ROCPRIM_400000_NS6detail17trampoline_kernelINS0_14default_configENS1_38merge_sort_block_merge_config_selectorIiNS0_10empty_typeEEEZZNS1_27merge_sort_block_merge_implIS3_N6thrust23THRUST_200600_302600_NS6detail15normal_iteratorINS9_10device_ptrIiEEEEPS5_jNS1_19radix_merge_compareILb0ELb0EiNS0_19identity_decomposerEEEEE10hipError_tT0_T1_T2_jT3_P12ihipStream_tbPNSt15iterator_traitsISK_E10value_typeEPNSQ_ISL_E10value_typeEPSM_NS1_7vsmem_tEENKUlT_SK_SL_SM_E_clIPiSE_SF_SF_EESJ_SZ_SK_SL_SM_EUlSZ_E1_NS1_11comp_targetILNS1_3genE2ELNS1_11target_archE906ELNS1_3gpuE6ELNS1_3repE0EEENS1_36merge_oddeven_config_static_selectorELNS0_4arch9wavefront6targetE0EEEvSL_.numbered_sgpr, 0
	.set _ZN7rocprim17ROCPRIM_400000_NS6detail17trampoline_kernelINS0_14default_configENS1_38merge_sort_block_merge_config_selectorIiNS0_10empty_typeEEEZZNS1_27merge_sort_block_merge_implIS3_N6thrust23THRUST_200600_302600_NS6detail15normal_iteratorINS9_10device_ptrIiEEEEPS5_jNS1_19radix_merge_compareILb0ELb0EiNS0_19identity_decomposerEEEEE10hipError_tT0_T1_T2_jT3_P12ihipStream_tbPNSt15iterator_traitsISK_E10value_typeEPNSQ_ISL_E10value_typeEPSM_NS1_7vsmem_tEENKUlT_SK_SL_SM_E_clIPiSE_SF_SF_EESJ_SZ_SK_SL_SM_EUlSZ_E1_NS1_11comp_targetILNS1_3genE2ELNS1_11target_archE906ELNS1_3gpuE6ELNS1_3repE0EEENS1_36merge_oddeven_config_static_selectorELNS0_4arch9wavefront6targetE0EEEvSL_.num_named_barrier, 0
	.set _ZN7rocprim17ROCPRIM_400000_NS6detail17trampoline_kernelINS0_14default_configENS1_38merge_sort_block_merge_config_selectorIiNS0_10empty_typeEEEZZNS1_27merge_sort_block_merge_implIS3_N6thrust23THRUST_200600_302600_NS6detail15normal_iteratorINS9_10device_ptrIiEEEEPS5_jNS1_19radix_merge_compareILb0ELb0EiNS0_19identity_decomposerEEEEE10hipError_tT0_T1_T2_jT3_P12ihipStream_tbPNSt15iterator_traitsISK_E10value_typeEPNSQ_ISL_E10value_typeEPSM_NS1_7vsmem_tEENKUlT_SK_SL_SM_E_clIPiSE_SF_SF_EESJ_SZ_SK_SL_SM_EUlSZ_E1_NS1_11comp_targetILNS1_3genE2ELNS1_11target_archE906ELNS1_3gpuE6ELNS1_3repE0EEENS1_36merge_oddeven_config_static_selectorELNS0_4arch9wavefront6targetE0EEEvSL_.private_seg_size, 0
	.set _ZN7rocprim17ROCPRIM_400000_NS6detail17trampoline_kernelINS0_14default_configENS1_38merge_sort_block_merge_config_selectorIiNS0_10empty_typeEEEZZNS1_27merge_sort_block_merge_implIS3_N6thrust23THRUST_200600_302600_NS6detail15normal_iteratorINS9_10device_ptrIiEEEEPS5_jNS1_19radix_merge_compareILb0ELb0EiNS0_19identity_decomposerEEEEE10hipError_tT0_T1_T2_jT3_P12ihipStream_tbPNSt15iterator_traitsISK_E10value_typeEPNSQ_ISL_E10value_typeEPSM_NS1_7vsmem_tEENKUlT_SK_SL_SM_E_clIPiSE_SF_SF_EESJ_SZ_SK_SL_SM_EUlSZ_E1_NS1_11comp_targetILNS1_3genE2ELNS1_11target_archE906ELNS1_3gpuE6ELNS1_3repE0EEENS1_36merge_oddeven_config_static_selectorELNS0_4arch9wavefront6targetE0EEEvSL_.uses_vcc, 0
	.set _ZN7rocprim17ROCPRIM_400000_NS6detail17trampoline_kernelINS0_14default_configENS1_38merge_sort_block_merge_config_selectorIiNS0_10empty_typeEEEZZNS1_27merge_sort_block_merge_implIS3_N6thrust23THRUST_200600_302600_NS6detail15normal_iteratorINS9_10device_ptrIiEEEEPS5_jNS1_19radix_merge_compareILb0ELb0EiNS0_19identity_decomposerEEEEE10hipError_tT0_T1_T2_jT3_P12ihipStream_tbPNSt15iterator_traitsISK_E10value_typeEPNSQ_ISL_E10value_typeEPSM_NS1_7vsmem_tEENKUlT_SK_SL_SM_E_clIPiSE_SF_SF_EESJ_SZ_SK_SL_SM_EUlSZ_E1_NS1_11comp_targetILNS1_3genE2ELNS1_11target_archE906ELNS1_3gpuE6ELNS1_3repE0EEENS1_36merge_oddeven_config_static_selectorELNS0_4arch9wavefront6targetE0EEEvSL_.uses_flat_scratch, 0
	.set _ZN7rocprim17ROCPRIM_400000_NS6detail17trampoline_kernelINS0_14default_configENS1_38merge_sort_block_merge_config_selectorIiNS0_10empty_typeEEEZZNS1_27merge_sort_block_merge_implIS3_N6thrust23THRUST_200600_302600_NS6detail15normal_iteratorINS9_10device_ptrIiEEEEPS5_jNS1_19radix_merge_compareILb0ELb0EiNS0_19identity_decomposerEEEEE10hipError_tT0_T1_T2_jT3_P12ihipStream_tbPNSt15iterator_traitsISK_E10value_typeEPNSQ_ISL_E10value_typeEPSM_NS1_7vsmem_tEENKUlT_SK_SL_SM_E_clIPiSE_SF_SF_EESJ_SZ_SK_SL_SM_EUlSZ_E1_NS1_11comp_targetILNS1_3genE2ELNS1_11target_archE906ELNS1_3gpuE6ELNS1_3repE0EEENS1_36merge_oddeven_config_static_selectorELNS0_4arch9wavefront6targetE0EEEvSL_.has_dyn_sized_stack, 0
	.set _ZN7rocprim17ROCPRIM_400000_NS6detail17trampoline_kernelINS0_14default_configENS1_38merge_sort_block_merge_config_selectorIiNS0_10empty_typeEEEZZNS1_27merge_sort_block_merge_implIS3_N6thrust23THRUST_200600_302600_NS6detail15normal_iteratorINS9_10device_ptrIiEEEEPS5_jNS1_19radix_merge_compareILb0ELb0EiNS0_19identity_decomposerEEEEE10hipError_tT0_T1_T2_jT3_P12ihipStream_tbPNSt15iterator_traitsISK_E10value_typeEPNSQ_ISL_E10value_typeEPSM_NS1_7vsmem_tEENKUlT_SK_SL_SM_E_clIPiSE_SF_SF_EESJ_SZ_SK_SL_SM_EUlSZ_E1_NS1_11comp_targetILNS1_3genE2ELNS1_11target_archE906ELNS1_3gpuE6ELNS1_3repE0EEENS1_36merge_oddeven_config_static_selectorELNS0_4arch9wavefront6targetE0EEEvSL_.has_recursion, 0
	.set _ZN7rocprim17ROCPRIM_400000_NS6detail17trampoline_kernelINS0_14default_configENS1_38merge_sort_block_merge_config_selectorIiNS0_10empty_typeEEEZZNS1_27merge_sort_block_merge_implIS3_N6thrust23THRUST_200600_302600_NS6detail15normal_iteratorINS9_10device_ptrIiEEEEPS5_jNS1_19radix_merge_compareILb0ELb0EiNS0_19identity_decomposerEEEEE10hipError_tT0_T1_T2_jT3_P12ihipStream_tbPNSt15iterator_traitsISK_E10value_typeEPNSQ_ISL_E10value_typeEPSM_NS1_7vsmem_tEENKUlT_SK_SL_SM_E_clIPiSE_SF_SF_EESJ_SZ_SK_SL_SM_EUlSZ_E1_NS1_11comp_targetILNS1_3genE2ELNS1_11target_archE906ELNS1_3gpuE6ELNS1_3repE0EEENS1_36merge_oddeven_config_static_selectorELNS0_4arch9wavefront6targetE0EEEvSL_.has_indirect_call, 0
	.section	.AMDGPU.csdata,"",@progbits
; Kernel info:
; codeLenInByte = 0
; TotalNumSgprs: 0
; NumVgprs: 0
; ScratchSize: 0
; MemoryBound: 0
; FloatMode: 240
; IeeeMode: 1
; LDSByteSize: 0 bytes/workgroup (compile time only)
; SGPRBlocks: 0
; VGPRBlocks: 0
; NumSGPRsForWavesPerEU: 1
; NumVGPRsForWavesPerEU: 1
; Occupancy: 16
; WaveLimiterHint : 0
; COMPUTE_PGM_RSRC2:SCRATCH_EN: 0
; COMPUTE_PGM_RSRC2:USER_SGPR: 6
; COMPUTE_PGM_RSRC2:TRAP_HANDLER: 0
; COMPUTE_PGM_RSRC2:TGID_X_EN: 1
; COMPUTE_PGM_RSRC2:TGID_Y_EN: 0
; COMPUTE_PGM_RSRC2:TGID_Z_EN: 0
; COMPUTE_PGM_RSRC2:TIDIG_COMP_CNT: 0
	.section	.text._ZN7rocprim17ROCPRIM_400000_NS6detail17trampoline_kernelINS0_14default_configENS1_38merge_sort_block_merge_config_selectorIiNS0_10empty_typeEEEZZNS1_27merge_sort_block_merge_implIS3_N6thrust23THRUST_200600_302600_NS6detail15normal_iteratorINS9_10device_ptrIiEEEEPS5_jNS1_19radix_merge_compareILb0ELb0EiNS0_19identity_decomposerEEEEE10hipError_tT0_T1_T2_jT3_P12ihipStream_tbPNSt15iterator_traitsISK_E10value_typeEPNSQ_ISL_E10value_typeEPSM_NS1_7vsmem_tEENKUlT_SK_SL_SM_E_clIPiSE_SF_SF_EESJ_SZ_SK_SL_SM_EUlSZ_E1_NS1_11comp_targetILNS1_3genE9ELNS1_11target_archE1100ELNS1_3gpuE3ELNS1_3repE0EEENS1_36merge_oddeven_config_static_selectorELNS0_4arch9wavefront6targetE0EEEvSL_,"axG",@progbits,_ZN7rocprim17ROCPRIM_400000_NS6detail17trampoline_kernelINS0_14default_configENS1_38merge_sort_block_merge_config_selectorIiNS0_10empty_typeEEEZZNS1_27merge_sort_block_merge_implIS3_N6thrust23THRUST_200600_302600_NS6detail15normal_iteratorINS9_10device_ptrIiEEEEPS5_jNS1_19radix_merge_compareILb0ELb0EiNS0_19identity_decomposerEEEEE10hipError_tT0_T1_T2_jT3_P12ihipStream_tbPNSt15iterator_traitsISK_E10value_typeEPNSQ_ISL_E10value_typeEPSM_NS1_7vsmem_tEENKUlT_SK_SL_SM_E_clIPiSE_SF_SF_EESJ_SZ_SK_SL_SM_EUlSZ_E1_NS1_11comp_targetILNS1_3genE9ELNS1_11target_archE1100ELNS1_3gpuE3ELNS1_3repE0EEENS1_36merge_oddeven_config_static_selectorELNS0_4arch9wavefront6targetE0EEEvSL_,comdat
	.protected	_ZN7rocprim17ROCPRIM_400000_NS6detail17trampoline_kernelINS0_14default_configENS1_38merge_sort_block_merge_config_selectorIiNS0_10empty_typeEEEZZNS1_27merge_sort_block_merge_implIS3_N6thrust23THRUST_200600_302600_NS6detail15normal_iteratorINS9_10device_ptrIiEEEEPS5_jNS1_19radix_merge_compareILb0ELb0EiNS0_19identity_decomposerEEEEE10hipError_tT0_T1_T2_jT3_P12ihipStream_tbPNSt15iterator_traitsISK_E10value_typeEPNSQ_ISL_E10value_typeEPSM_NS1_7vsmem_tEENKUlT_SK_SL_SM_E_clIPiSE_SF_SF_EESJ_SZ_SK_SL_SM_EUlSZ_E1_NS1_11comp_targetILNS1_3genE9ELNS1_11target_archE1100ELNS1_3gpuE3ELNS1_3repE0EEENS1_36merge_oddeven_config_static_selectorELNS0_4arch9wavefront6targetE0EEEvSL_ ; -- Begin function _ZN7rocprim17ROCPRIM_400000_NS6detail17trampoline_kernelINS0_14default_configENS1_38merge_sort_block_merge_config_selectorIiNS0_10empty_typeEEEZZNS1_27merge_sort_block_merge_implIS3_N6thrust23THRUST_200600_302600_NS6detail15normal_iteratorINS9_10device_ptrIiEEEEPS5_jNS1_19radix_merge_compareILb0ELb0EiNS0_19identity_decomposerEEEEE10hipError_tT0_T1_T2_jT3_P12ihipStream_tbPNSt15iterator_traitsISK_E10value_typeEPNSQ_ISL_E10value_typeEPSM_NS1_7vsmem_tEENKUlT_SK_SL_SM_E_clIPiSE_SF_SF_EESJ_SZ_SK_SL_SM_EUlSZ_E1_NS1_11comp_targetILNS1_3genE9ELNS1_11target_archE1100ELNS1_3gpuE3ELNS1_3repE0EEENS1_36merge_oddeven_config_static_selectorELNS0_4arch9wavefront6targetE0EEEvSL_
	.globl	_ZN7rocprim17ROCPRIM_400000_NS6detail17trampoline_kernelINS0_14default_configENS1_38merge_sort_block_merge_config_selectorIiNS0_10empty_typeEEEZZNS1_27merge_sort_block_merge_implIS3_N6thrust23THRUST_200600_302600_NS6detail15normal_iteratorINS9_10device_ptrIiEEEEPS5_jNS1_19radix_merge_compareILb0ELb0EiNS0_19identity_decomposerEEEEE10hipError_tT0_T1_T2_jT3_P12ihipStream_tbPNSt15iterator_traitsISK_E10value_typeEPNSQ_ISL_E10value_typeEPSM_NS1_7vsmem_tEENKUlT_SK_SL_SM_E_clIPiSE_SF_SF_EESJ_SZ_SK_SL_SM_EUlSZ_E1_NS1_11comp_targetILNS1_3genE9ELNS1_11target_archE1100ELNS1_3gpuE3ELNS1_3repE0EEENS1_36merge_oddeven_config_static_selectorELNS0_4arch9wavefront6targetE0EEEvSL_
	.p2align	8
	.type	_ZN7rocprim17ROCPRIM_400000_NS6detail17trampoline_kernelINS0_14default_configENS1_38merge_sort_block_merge_config_selectorIiNS0_10empty_typeEEEZZNS1_27merge_sort_block_merge_implIS3_N6thrust23THRUST_200600_302600_NS6detail15normal_iteratorINS9_10device_ptrIiEEEEPS5_jNS1_19radix_merge_compareILb0ELb0EiNS0_19identity_decomposerEEEEE10hipError_tT0_T1_T2_jT3_P12ihipStream_tbPNSt15iterator_traitsISK_E10value_typeEPNSQ_ISL_E10value_typeEPSM_NS1_7vsmem_tEENKUlT_SK_SL_SM_E_clIPiSE_SF_SF_EESJ_SZ_SK_SL_SM_EUlSZ_E1_NS1_11comp_targetILNS1_3genE9ELNS1_11target_archE1100ELNS1_3gpuE3ELNS1_3repE0EEENS1_36merge_oddeven_config_static_selectorELNS0_4arch9wavefront6targetE0EEEvSL_,@function
_ZN7rocprim17ROCPRIM_400000_NS6detail17trampoline_kernelINS0_14default_configENS1_38merge_sort_block_merge_config_selectorIiNS0_10empty_typeEEEZZNS1_27merge_sort_block_merge_implIS3_N6thrust23THRUST_200600_302600_NS6detail15normal_iteratorINS9_10device_ptrIiEEEEPS5_jNS1_19radix_merge_compareILb0ELb0EiNS0_19identity_decomposerEEEEE10hipError_tT0_T1_T2_jT3_P12ihipStream_tbPNSt15iterator_traitsISK_E10value_typeEPNSQ_ISL_E10value_typeEPSM_NS1_7vsmem_tEENKUlT_SK_SL_SM_E_clIPiSE_SF_SF_EESJ_SZ_SK_SL_SM_EUlSZ_E1_NS1_11comp_targetILNS1_3genE9ELNS1_11target_archE1100ELNS1_3gpuE3ELNS1_3repE0EEENS1_36merge_oddeven_config_static_selectorELNS0_4arch9wavefront6targetE0EEEvSL_: ; @_ZN7rocprim17ROCPRIM_400000_NS6detail17trampoline_kernelINS0_14default_configENS1_38merge_sort_block_merge_config_selectorIiNS0_10empty_typeEEEZZNS1_27merge_sort_block_merge_implIS3_N6thrust23THRUST_200600_302600_NS6detail15normal_iteratorINS9_10device_ptrIiEEEEPS5_jNS1_19radix_merge_compareILb0ELb0EiNS0_19identity_decomposerEEEEE10hipError_tT0_T1_T2_jT3_P12ihipStream_tbPNSt15iterator_traitsISK_E10value_typeEPNSQ_ISL_E10value_typeEPSM_NS1_7vsmem_tEENKUlT_SK_SL_SM_E_clIPiSE_SF_SF_EESJ_SZ_SK_SL_SM_EUlSZ_E1_NS1_11comp_targetILNS1_3genE9ELNS1_11target_archE1100ELNS1_3gpuE3ELNS1_3repE0EEENS1_36merge_oddeven_config_static_selectorELNS0_4arch9wavefront6targetE0EEEvSL_
; %bb.0:
	.section	.rodata,"a",@progbits
	.p2align	6, 0x0
	.amdhsa_kernel _ZN7rocprim17ROCPRIM_400000_NS6detail17trampoline_kernelINS0_14default_configENS1_38merge_sort_block_merge_config_selectorIiNS0_10empty_typeEEEZZNS1_27merge_sort_block_merge_implIS3_N6thrust23THRUST_200600_302600_NS6detail15normal_iteratorINS9_10device_ptrIiEEEEPS5_jNS1_19radix_merge_compareILb0ELb0EiNS0_19identity_decomposerEEEEE10hipError_tT0_T1_T2_jT3_P12ihipStream_tbPNSt15iterator_traitsISK_E10value_typeEPNSQ_ISL_E10value_typeEPSM_NS1_7vsmem_tEENKUlT_SK_SL_SM_E_clIPiSE_SF_SF_EESJ_SZ_SK_SL_SM_EUlSZ_E1_NS1_11comp_targetILNS1_3genE9ELNS1_11target_archE1100ELNS1_3gpuE3ELNS1_3repE0EEENS1_36merge_oddeven_config_static_selectorELNS0_4arch9wavefront6targetE0EEEvSL_
		.amdhsa_group_segment_fixed_size 0
		.amdhsa_private_segment_fixed_size 0
		.amdhsa_kernarg_size 48
		.amdhsa_user_sgpr_count 6
		.amdhsa_user_sgpr_private_segment_buffer 1
		.amdhsa_user_sgpr_dispatch_ptr 0
		.amdhsa_user_sgpr_queue_ptr 0
		.amdhsa_user_sgpr_kernarg_segment_ptr 1
		.amdhsa_user_sgpr_dispatch_id 0
		.amdhsa_user_sgpr_flat_scratch_init 0
		.amdhsa_user_sgpr_private_segment_size 0
		.amdhsa_wavefront_size32 1
		.amdhsa_uses_dynamic_stack 0
		.amdhsa_system_sgpr_private_segment_wavefront_offset 0
		.amdhsa_system_sgpr_workgroup_id_x 1
		.amdhsa_system_sgpr_workgroup_id_y 0
		.amdhsa_system_sgpr_workgroup_id_z 0
		.amdhsa_system_sgpr_workgroup_info 0
		.amdhsa_system_vgpr_workitem_id 0
		.amdhsa_next_free_vgpr 1
		.amdhsa_next_free_sgpr 1
		.amdhsa_reserve_vcc 0
		.amdhsa_reserve_flat_scratch 0
		.amdhsa_float_round_mode_32 0
		.amdhsa_float_round_mode_16_64 0
		.amdhsa_float_denorm_mode_32 3
		.amdhsa_float_denorm_mode_16_64 3
		.amdhsa_dx10_clamp 1
		.amdhsa_ieee_mode 1
		.amdhsa_fp16_overflow 0
		.amdhsa_workgroup_processor_mode 1
		.amdhsa_memory_ordered 1
		.amdhsa_forward_progress 1
		.amdhsa_shared_vgpr_count 0
		.amdhsa_exception_fp_ieee_invalid_op 0
		.amdhsa_exception_fp_denorm_src 0
		.amdhsa_exception_fp_ieee_div_zero 0
		.amdhsa_exception_fp_ieee_overflow 0
		.amdhsa_exception_fp_ieee_underflow 0
		.amdhsa_exception_fp_ieee_inexact 0
		.amdhsa_exception_int_div_zero 0
	.end_amdhsa_kernel
	.section	.text._ZN7rocprim17ROCPRIM_400000_NS6detail17trampoline_kernelINS0_14default_configENS1_38merge_sort_block_merge_config_selectorIiNS0_10empty_typeEEEZZNS1_27merge_sort_block_merge_implIS3_N6thrust23THRUST_200600_302600_NS6detail15normal_iteratorINS9_10device_ptrIiEEEEPS5_jNS1_19radix_merge_compareILb0ELb0EiNS0_19identity_decomposerEEEEE10hipError_tT0_T1_T2_jT3_P12ihipStream_tbPNSt15iterator_traitsISK_E10value_typeEPNSQ_ISL_E10value_typeEPSM_NS1_7vsmem_tEENKUlT_SK_SL_SM_E_clIPiSE_SF_SF_EESJ_SZ_SK_SL_SM_EUlSZ_E1_NS1_11comp_targetILNS1_3genE9ELNS1_11target_archE1100ELNS1_3gpuE3ELNS1_3repE0EEENS1_36merge_oddeven_config_static_selectorELNS0_4arch9wavefront6targetE0EEEvSL_,"axG",@progbits,_ZN7rocprim17ROCPRIM_400000_NS6detail17trampoline_kernelINS0_14default_configENS1_38merge_sort_block_merge_config_selectorIiNS0_10empty_typeEEEZZNS1_27merge_sort_block_merge_implIS3_N6thrust23THRUST_200600_302600_NS6detail15normal_iteratorINS9_10device_ptrIiEEEEPS5_jNS1_19radix_merge_compareILb0ELb0EiNS0_19identity_decomposerEEEEE10hipError_tT0_T1_T2_jT3_P12ihipStream_tbPNSt15iterator_traitsISK_E10value_typeEPNSQ_ISL_E10value_typeEPSM_NS1_7vsmem_tEENKUlT_SK_SL_SM_E_clIPiSE_SF_SF_EESJ_SZ_SK_SL_SM_EUlSZ_E1_NS1_11comp_targetILNS1_3genE9ELNS1_11target_archE1100ELNS1_3gpuE3ELNS1_3repE0EEENS1_36merge_oddeven_config_static_selectorELNS0_4arch9wavefront6targetE0EEEvSL_,comdat
.Lfunc_end41:
	.size	_ZN7rocprim17ROCPRIM_400000_NS6detail17trampoline_kernelINS0_14default_configENS1_38merge_sort_block_merge_config_selectorIiNS0_10empty_typeEEEZZNS1_27merge_sort_block_merge_implIS3_N6thrust23THRUST_200600_302600_NS6detail15normal_iteratorINS9_10device_ptrIiEEEEPS5_jNS1_19radix_merge_compareILb0ELb0EiNS0_19identity_decomposerEEEEE10hipError_tT0_T1_T2_jT3_P12ihipStream_tbPNSt15iterator_traitsISK_E10value_typeEPNSQ_ISL_E10value_typeEPSM_NS1_7vsmem_tEENKUlT_SK_SL_SM_E_clIPiSE_SF_SF_EESJ_SZ_SK_SL_SM_EUlSZ_E1_NS1_11comp_targetILNS1_3genE9ELNS1_11target_archE1100ELNS1_3gpuE3ELNS1_3repE0EEENS1_36merge_oddeven_config_static_selectorELNS0_4arch9wavefront6targetE0EEEvSL_, .Lfunc_end41-_ZN7rocprim17ROCPRIM_400000_NS6detail17trampoline_kernelINS0_14default_configENS1_38merge_sort_block_merge_config_selectorIiNS0_10empty_typeEEEZZNS1_27merge_sort_block_merge_implIS3_N6thrust23THRUST_200600_302600_NS6detail15normal_iteratorINS9_10device_ptrIiEEEEPS5_jNS1_19radix_merge_compareILb0ELb0EiNS0_19identity_decomposerEEEEE10hipError_tT0_T1_T2_jT3_P12ihipStream_tbPNSt15iterator_traitsISK_E10value_typeEPNSQ_ISL_E10value_typeEPSM_NS1_7vsmem_tEENKUlT_SK_SL_SM_E_clIPiSE_SF_SF_EESJ_SZ_SK_SL_SM_EUlSZ_E1_NS1_11comp_targetILNS1_3genE9ELNS1_11target_archE1100ELNS1_3gpuE3ELNS1_3repE0EEENS1_36merge_oddeven_config_static_selectorELNS0_4arch9wavefront6targetE0EEEvSL_
                                        ; -- End function
	.set _ZN7rocprim17ROCPRIM_400000_NS6detail17trampoline_kernelINS0_14default_configENS1_38merge_sort_block_merge_config_selectorIiNS0_10empty_typeEEEZZNS1_27merge_sort_block_merge_implIS3_N6thrust23THRUST_200600_302600_NS6detail15normal_iteratorINS9_10device_ptrIiEEEEPS5_jNS1_19radix_merge_compareILb0ELb0EiNS0_19identity_decomposerEEEEE10hipError_tT0_T1_T2_jT3_P12ihipStream_tbPNSt15iterator_traitsISK_E10value_typeEPNSQ_ISL_E10value_typeEPSM_NS1_7vsmem_tEENKUlT_SK_SL_SM_E_clIPiSE_SF_SF_EESJ_SZ_SK_SL_SM_EUlSZ_E1_NS1_11comp_targetILNS1_3genE9ELNS1_11target_archE1100ELNS1_3gpuE3ELNS1_3repE0EEENS1_36merge_oddeven_config_static_selectorELNS0_4arch9wavefront6targetE0EEEvSL_.num_vgpr, 0
	.set _ZN7rocprim17ROCPRIM_400000_NS6detail17trampoline_kernelINS0_14default_configENS1_38merge_sort_block_merge_config_selectorIiNS0_10empty_typeEEEZZNS1_27merge_sort_block_merge_implIS3_N6thrust23THRUST_200600_302600_NS6detail15normal_iteratorINS9_10device_ptrIiEEEEPS5_jNS1_19radix_merge_compareILb0ELb0EiNS0_19identity_decomposerEEEEE10hipError_tT0_T1_T2_jT3_P12ihipStream_tbPNSt15iterator_traitsISK_E10value_typeEPNSQ_ISL_E10value_typeEPSM_NS1_7vsmem_tEENKUlT_SK_SL_SM_E_clIPiSE_SF_SF_EESJ_SZ_SK_SL_SM_EUlSZ_E1_NS1_11comp_targetILNS1_3genE9ELNS1_11target_archE1100ELNS1_3gpuE3ELNS1_3repE0EEENS1_36merge_oddeven_config_static_selectorELNS0_4arch9wavefront6targetE0EEEvSL_.num_agpr, 0
	.set _ZN7rocprim17ROCPRIM_400000_NS6detail17trampoline_kernelINS0_14default_configENS1_38merge_sort_block_merge_config_selectorIiNS0_10empty_typeEEEZZNS1_27merge_sort_block_merge_implIS3_N6thrust23THRUST_200600_302600_NS6detail15normal_iteratorINS9_10device_ptrIiEEEEPS5_jNS1_19radix_merge_compareILb0ELb0EiNS0_19identity_decomposerEEEEE10hipError_tT0_T1_T2_jT3_P12ihipStream_tbPNSt15iterator_traitsISK_E10value_typeEPNSQ_ISL_E10value_typeEPSM_NS1_7vsmem_tEENKUlT_SK_SL_SM_E_clIPiSE_SF_SF_EESJ_SZ_SK_SL_SM_EUlSZ_E1_NS1_11comp_targetILNS1_3genE9ELNS1_11target_archE1100ELNS1_3gpuE3ELNS1_3repE0EEENS1_36merge_oddeven_config_static_selectorELNS0_4arch9wavefront6targetE0EEEvSL_.numbered_sgpr, 0
	.set _ZN7rocprim17ROCPRIM_400000_NS6detail17trampoline_kernelINS0_14default_configENS1_38merge_sort_block_merge_config_selectorIiNS0_10empty_typeEEEZZNS1_27merge_sort_block_merge_implIS3_N6thrust23THRUST_200600_302600_NS6detail15normal_iteratorINS9_10device_ptrIiEEEEPS5_jNS1_19radix_merge_compareILb0ELb0EiNS0_19identity_decomposerEEEEE10hipError_tT0_T1_T2_jT3_P12ihipStream_tbPNSt15iterator_traitsISK_E10value_typeEPNSQ_ISL_E10value_typeEPSM_NS1_7vsmem_tEENKUlT_SK_SL_SM_E_clIPiSE_SF_SF_EESJ_SZ_SK_SL_SM_EUlSZ_E1_NS1_11comp_targetILNS1_3genE9ELNS1_11target_archE1100ELNS1_3gpuE3ELNS1_3repE0EEENS1_36merge_oddeven_config_static_selectorELNS0_4arch9wavefront6targetE0EEEvSL_.num_named_barrier, 0
	.set _ZN7rocprim17ROCPRIM_400000_NS6detail17trampoline_kernelINS0_14default_configENS1_38merge_sort_block_merge_config_selectorIiNS0_10empty_typeEEEZZNS1_27merge_sort_block_merge_implIS3_N6thrust23THRUST_200600_302600_NS6detail15normal_iteratorINS9_10device_ptrIiEEEEPS5_jNS1_19radix_merge_compareILb0ELb0EiNS0_19identity_decomposerEEEEE10hipError_tT0_T1_T2_jT3_P12ihipStream_tbPNSt15iterator_traitsISK_E10value_typeEPNSQ_ISL_E10value_typeEPSM_NS1_7vsmem_tEENKUlT_SK_SL_SM_E_clIPiSE_SF_SF_EESJ_SZ_SK_SL_SM_EUlSZ_E1_NS1_11comp_targetILNS1_3genE9ELNS1_11target_archE1100ELNS1_3gpuE3ELNS1_3repE0EEENS1_36merge_oddeven_config_static_selectorELNS0_4arch9wavefront6targetE0EEEvSL_.private_seg_size, 0
	.set _ZN7rocprim17ROCPRIM_400000_NS6detail17trampoline_kernelINS0_14default_configENS1_38merge_sort_block_merge_config_selectorIiNS0_10empty_typeEEEZZNS1_27merge_sort_block_merge_implIS3_N6thrust23THRUST_200600_302600_NS6detail15normal_iteratorINS9_10device_ptrIiEEEEPS5_jNS1_19radix_merge_compareILb0ELb0EiNS0_19identity_decomposerEEEEE10hipError_tT0_T1_T2_jT3_P12ihipStream_tbPNSt15iterator_traitsISK_E10value_typeEPNSQ_ISL_E10value_typeEPSM_NS1_7vsmem_tEENKUlT_SK_SL_SM_E_clIPiSE_SF_SF_EESJ_SZ_SK_SL_SM_EUlSZ_E1_NS1_11comp_targetILNS1_3genE9ELNS1_11target_archE1100ELNS1_3gpuE3ELNS1_3repE0EEENS1_36merge_oddeven_config_static_selectorELNS0_4arch9wavefront6targetE0EEEvSL_.uses_vcc, 0
	.set _ZN7rocprim17ROCPRIM_400000_NS6detail17trampoline_kernelINS0_14default_configENS1_38merge_sort_block_merge_config_selectorIiNS0_10empty_typeEEEZZNS1_27merge_sort_block_merge_implIS3_N6thrust23THRUST_200600_302600_NS6detail15normal_iteratorINS9_10device_ptrIiEEEEPS5_jNS1_19radix_merge_compareILb0ELb0EiNS0_19identity_decomposerEEEEE10hipError_tT0_T1_T2_jT3_P12ihipStream_tbPNSt15iterator_traitsISK_E10value_typeEPNSQ_ISL_E10value_typeEPSM_NS1_7vsmem_tEENKUlT_SK_SL_SM_E_clIPiSE_SF_SF_EESJ_SZ_SK_SL_SM_EUlSZ_E1_NS1_11comp_targetILNS1_3genE9ELNS1_11target_archE1100ELNS1_3gpuE3ELNS1_3repE0EEENS1_36merge_oddeven_config_static_selectorELNS0_4arch9wavefront6targetE0EEEvSL_.uses_flat_scratch, 0
	.set _ZN7rocprim17ROCPRIM_400000_NS6detail17trampoline_kernelINS0_14default_configENS1_38merge_sort_block_merge_config_selectorIiNS0_10empty_typeEEEZZNS1_27merge_sort_block_merge_implIS3_N6thrust23THRUST_200600_302600_NS6detail15normal_iteratorINS9_10device_ptrIiEEEEPS5_jNS1_19radix_merge_compareILb0ELb0EiNS0_19identity_decomposerEEEEE10hipError_tT0_T1_T2_jT3_P12ihipStream_tbPNSt15iterator_traitsISK_E10value_typeEPNSQ_ISL_E10value_typeEPSM_NS1_7vsmem_tEENKUlT_SK_SL_SM_E_clIPiSE_SF_SF_EESJ_SZ_SK_SL_SM_EUlSZ_E1_NS1_11comp_targetILNS1_3genE9ELNS1_11target_archE1100ELNS1_3gpuE3ELNS1_3repE0EEENS1_36merge_oddeven_config_static_selectorELNS0_4arch9wavefront6targetE0EEEvSL_.has_dyn_sized_stack, 0
	.set _ZN7rocprim17ROCPRIM_400000_NS6detail17trampoline_kernelINS0_14default_configENS1_38merge_sort_block_merge_config_selectorIiNS0_10empty_typeEEEZZNS1_27merge_sort_block_merge_implIS3_N6thrust23THRUST_200600_302600_NS6detail15normal_iteratorINS9_10device_ptrIiEEEEPS5_jNS1_19radix_merge_compareILb0ELb0EiNS0_19identity_decomposerEEEEE10hipError_tT0_T1_T2_jT3_P12ihipStream_tbPNSt15iterator_traitsISK_E10value_typeEPNSQ_ISL_E10value_typeEPSM_NS1_7vsmem_tEENKUlT_SK_SL_SM_E_clIPiSE_SF_SF_EESJ_SZ_SK_SL_SM_EUlSZ_E1_NS1_11comp_targetILNS1_3genE9ELNS1_11target_archE1100ELNS1_3gpuE3ELNS1_3repE0EEENS1_36merge_oddeven_config_static_selectorELNS0_4arch9wavefront6targetE0EEEvSL_.has_recursion, 0
	.set _ZN7rocprim17ROCPRIM_400000_NS6detail17trampoline_kernelINS0_14default_configENS1_38merge_sort_block_merge_config_selectorIiNS0_10empty_typeEEEZZNS1_27merge_sort_block_merge_implIS3_N6thrust23THRUST_200600_302600_NS6detail15normal_iteratorINS9_10device_ptrIiEEEEPS5_jNS1_19radix_merge_compareILb0ELb0EiNS0_19identity_decomposerEEEEE10hipError_tT0_T1_T2_jT3_P12ihipStream_tbPNSt15iterator_traitsISK_E10value_typeEPNSQ_ISL_E10value_typeEPSM_NS1_7vsmem_tEENKUlT_SK_SL_SM_E_clIPiSE_SF_SF_EESJ_SZ_SK_SL_SM_EUlSZ_E1_NS1_11comp_targetILNS1_3genE9ELNS1_11target_archE1100ELNS1_3gpuE3ELNS1_3repE0EEENS1_36merge_oddeven_config_static_selectorELNS0_4arch9wavefront6targetE0EEEvSL_.has_indirect_call, 0
	.section	.AMDGPU.csdata,"",@progbits
; Kernel info:
; codeLenInByte = 0
; TotalNumSgprs: 0
; NumVgprs: 0
; ScratchSize: 0
; MemoryBound: 0
; FloatMode: 240
; IeeeMode: 1
; LDSByteSize: 0 bytes/workgroup (compile time only)
; SGPRBlocks: 0
; VGPRBlocks: 0
; NumSGPRsForWavesPerEU: 1
; NumVGPRsForWavesPerEU: 1
; Occupancy: 16
; WaveLimiterHint : 0
; COMPUTE_PGM_RSRC2:SCRATCH_EN: 0
; COMPUTE_PGM_RSRC2:USER_SGPR: 6
; COMPUTE_PGM_RSRC2:TRAP_HANDLER: 0
; COMPUTE_PGM_RSRC2:TGID_X_EN: 1
; COMPUTE_PGM_RSRC2:TGID_Y_EN: 0
; COMPUTE_PGM_RSRC2:TGID_Z_EN: 0
; COMPUTE_PGM_RSRC2:TIDIG_COMP_CNT: 0
	.section	.text._ZN7rocprim17ROCPRIM_400000_NS6detail17trampoline_kernelINS0_14default_configENS1_38merge_sort_block_merge_config_selectorIiNS0_10empty_typeEEEZZNS1_27merge_sort_block_merge_implIS3_N6thrust23THRUST_200600_302600_NS6detail15normal_iteratorINS9_10device_ptrIiEEEEPS5_jNS1_19radix_merge_compareILb0ELb0EiNS0_19identity_decomposerEEEEE10hipError_tT0_T1_T2_jT3_P12ihipStream_tbPNSt15iterator_traitsISK_E10value_typeEPNSQ_ISL_E10value_typeEPSM_NS1_7vsmem_tEENKUlT_SK_SL_SM_E_clIPiSE_SF_SF_EESJ_SZ_SK_SL_SM_EUlSZ_E1_NS1_11comp_targetILNS1_3genE8ELNS1_11target_archE1030ELNS1_3gpuE2ELNS1_3repE0EEENS1_36merge_oddeven_config_static_selectorELNS0_4arch9wavefront6targetE0EEEvSL_,"axG",@progbits,_ZN7rocprim17ROCPRIM_400000_NS6detail17trampoline_kernelINS0_14default_configENS1_38merge_sort_block_merge_config_selectorIiNS0_10empty_typeEEEZZNS1_27merge_sort_block_merge_implIS3_N6thrust23THRUST_200600_302600_NS6detail15normal_iteratorINS9_10device_ptrIiEEEEPS5_jNS1_19radix_merge_compareILb0ELb0EiNS0_19identity_decomposerEEEEE10hipError_tT0_T1_T2_jT3_P12ihipStream_tbPNSt15iterator_traitsISK_E10value_typeEPNSQ_ISL_E10value_typeEPSM_NS1_7vsmem_tEENKUlT_SK_SL_SM_E_clIPiSE_SF_SF_EESJ_SZ_SK_SL_SM_EUlSZ_E1_NS1_11comp_targetILNS1_3genE8ELNS1_11target_archE1030ELNS1_3gpuE2ELNS1_3repE0EEENS1_36merge_oddeven_config_static_selectorELNS0_4arch9wavefront6targetE0EEEvSL_,comdat
	.protected	_ZN7rocprim17ROCPRIM_400000_NS6detail17trampoline_kernelINS0_14default_configENS1_38merge_sort_block_merge_config_selectorIiNS0_10empty_typeEEEZZNS1_27merge_sort_block_merge_implIS3_N6thrust23THRUST_200600_302600_NS6detail15normal_iteratorINS9_10device_ptrIiEEEEPS5_jNS1_19radix_merge_compareILb0ELb0EiNS0_19identity_decomposerEEEEE10hipError_tT0_T1_T2_jT3_P12ihipStream_tbPNSt15iterator_traitsISK_E10value_typeEPNSQ_ISL_E10value_typeEPSM_NS1_7vsmem_tEENKUlT_SK_SL_SM_E_clIPiSE_SF_SF_EESJ_SZ_SK_SL_SM_EUlSZ_E1_NS1_11comp_targetILNS1_3genE8ELNS1_11target_archE1030ELNS1_3gpuE2ELNS1_3repE0EEENS1_36merge_oddeven_config_static_selectorELNS0_4arch9wavefront6targetE0EEEvSL_ ; -- Begin function _ZN7rocprim17ROCPRIM_400000_NS6detail17trampoline_kernelINS0_14default_configENS1_38merge_sort_block_merge_config_selectorIiNS0_10empty_typeEEEZZNS1_27merge_sort_block_merge_implIS3_N6thrust23THRUST_200600_302600_NS6detail15normal_iteratorINS9_10device_ptrIiEEEEPS5_jNS1_19radix_merge_compareILb0ELb0EiNS0_19identity_decomposerEEEEE10hipError_tT0_T1_T2_jT3_P12ihipStream_tbPNSt15iterator_traitsISK_E10value_typeEPNSQ_ISL_E10value_typeEPSM_NS1_7vsmem_tEENKUlT_SK_SL_SM_E_clIPiSE_SF_SF_EESJ_SZ_SK_SL_SM_EUlSZ_E1_NS1_11comp_targetILNS1_3genE8ELNS1_11target_archE1030ELNS1_3gpuE2ELNS1_3repE0EEENS1_36merge_oddeven_config_static_selectorELNS0_4arch9wavefront6targetE0EEEvSL_
	.globl	_ZN7rocprim17ROCPRIM_400000_NS6detail17trampoline_kernelINS0_14default_configENS1_38merge_sort_block_merge_config_selectorIiNS0_10empty_typeEEEZZNS1_27merge_sort_block_merge_implIS3_N6thrust23THRUST_200600_302600_NS6detail15normal_iteratorINS9_10device_ptrIiEEEEPS5_jNS1_19radix_merge_compareILb0ELb0EiNS0_19identity_decomposerEEEEE10hipError_tT0_T1_T2_jT3_P12ihipStream_tbPNSt15iterator_traitsISK_E10value_typeEPNSQ_ISL_E10value_typeEPSM_NS1_7vsmem_tEENKUlT_SK_SL_SM_E_clIPiSE_SF_SF_EESJ_SZ_SK_SL_SM_EUlSZ_E1_NS1_11comp_targetILNS1_3genE8ELNS1_11target_archE1030ELNS1_3gpuE2ELNS1_3repE0EEENS1_36merge_oddeven_config_static_selectorELNS0_4arch9wavefront6targetE0EEEvSL_
	.p2align	8
	.type	_ZN7rocprim17ROCPRIM_400000_NS6detail17trampoline_kernelINS0_14default_configENS1_38merge_sort_block_merge_config_selectorIiNS0_10empty_typeEEEZZNS1_27merge_sort_block_merge_implIS3_N6thrust23THRUST_200600_302600_NS6detail15normal_iteratorINS9_10device_ptrIiEEEEPS5_jNS1_19radix_merge_compareILb0ELb0EiNS0_19identity_decomposerEEEEE10hipError_tT0_T1_T2_jT3_P12ihipStream_tbPNSt15iterator_traitsISK_E10value_typeEPNSQ_ISL_E10value_typeEPSM_NS1_7vsmem_tEENKUlT_SK_SL_SM_E_clIPiSE_SF_SF_EESJ_SZ_SK_SL_SM_EUlSZ_E1_NS1_11comp_targetILNS1_3genE8ELNS1_11target_archE1030ELNS1_3gpuE2ELNS1_3repE0EEENS1_36merge_oddeven_config_static_selectorELNS0_4arch9wavefront6targetE0EEEvSL_,@function
_ZN7rocprim17ROCPRIM_400000_NS6detail17trampoline_kernelINS0_14default_configENS1_38merge_sort_block_merge_config_selectorIiNS0_10empty_typeEEEZZNS1_27merge_sort_block_merge_implIS3_N6thrust23THRUST_200600_302600_NS6detail15normal_iteratorINS9_10device_ptrIiEEEEPS5_jNS1_19radix_merge_compareILb0ELb0EiNS0_19identity_decomposerEEEEE10hipError_tT0_T1_T2_jT3_P12ihipStream_tbPNSt15iterator_traitsISK_E10value_typeEPNSQ_ISL_E10value_typeEPSM_NS1_7vsmem_tEENKUlT_SK_SL_SM_E_clIPiSE_SF_SF_EESJ_SZ_SK_SL_SM_EUlSZ_E1_NS1_11comp_targetILNS1_3genE8ELNS1_11target_archE1030ELNS1_3gpuE2ELNS1_3repE0EEENS1_36merge_oddeven_config_static_selectorELNS0_4arch9wavefront6targetE0EEEvSL_: ; @_ZN7rocprim17ROCPRIM_400000_NS6detail17trampoline_kernelINS0_14default_configENS1_38merge_sort_block_merge_config_selectorIiNS0_10empty_typeEEEZZNS1_27merge_sort_block_merge_implIS3_N6thrust23THRUST_200600_302600_NS6detail15normal_iteratorINS9_10device_ptrIiEEEEPS5_jNS1_19radix_merge_compareILb0ELb0EiNS0_19identity_decomposerEEEEE10hipError_tT0_T1_T2_jT3_P12ihipStream_tbPNSt15iterator_traitsISK_E10value_typeEPNSQ_ISL_E10value_typeEPSM_NS1_7vsmem_tEENKUlT_SK_SL_SM_E_clIPiSE_SF_SF_EESJ_SZ_SK_SL_SM_EUlSZ_E1_NS1_11comp_targetILNS1_3genE8ELNS1_11target_archE1030ELNS1_3gpuE2ELNS1_3repE0EEENS1_36merge_oddeven_config_static_selectorELNS0_4arch9wavefront6targetE0EEEvSL_
; %bb.0:
	s_load_dword s7, s[4:5], 0x20
	s_waitcnt lgkmcnt(0)
	s_lshr_b32 s0, s7, 8
	s_cmp_lg_u32 s6, s0
	s_cselect_b32 s13, -1, 0
	s_cmp_eq_u32 s6, s0
	s_cselect_b32 s12, -1, 0
	s_lshl_b32 s2, s6, 8
	s_sub_i32 s0, s7, s2
	v_cmp_gt_u32_e64 s1, s0, v0
	s_or_b32 s0, s13, s1
	s_and_saveexec_b32 s3, s0
	s_cbranch_execz .LBB42_20
; %bb.1:
	s_load_dwordx4 s[8:11], s[4:5], 0x0
	s_mov_b32 s3, 0
	v_lshlrev_b32_e32 v1, 2, v0
	s_lshl_b64 s[14:15], s[2:3], 2
	s_load_dword s5, s[4:5], 0x24
	v_add_nc_u32_e32 v0, s2, v0
	s_waitcnt lgkmcnt(0)
	s_add_u32 s14, s8, s14
	s_addc_u32 s15, s9, s15
	global_load_dword v2, v1, s[14:15]
	s_lshr_b32 s0, s5, 8
	s_sub_i32 s4, 0, s0
	s_and_b32 s4, s6, s4
	s_and_b32 s0, s4, s0
	s_lshl_b32 s6, s4, 8
	s_sub_i32 s4, 0, s5
	s_cmp_eq_u32 s0, 0
	s_cselect_b32 s0, -1, 0
	s_and_b32 s14, s0, exec_lo
	s_cselect_b32 s4, s5, s4
	s_add_i32 s4, s4, s6
	s_cmp_gt_u32 s7, s4
	s_cbranch_scc1 .LBB42_3
; %bb.2:
	v_cmp_gt_u32_e32 vcc_lo, s7, v0
	s_or_b32 s3, vcc_lo, s13
	s_and_b32 s3, s3, exec_lo
	s_cbranch_execz .LBB42_4
	s_branch .LBB42_18
.LBB42_3:
.LBB42_4:
	s_min_u32 s2, s4, s7
	s_and_b32 vcc_lo, exec_lo, s12
	s_add_i32 s13, s6, s2
	s_min_u32 s6, s6, s2
	v_subrev_nc_u32_e32 v0, s13, v0
	s_add_i32 s5, s2, s5
	s_min_u32 s5, s5, s7
	v_add_nc_u32_e32 v3, s6, v0
	s_cbranch_vccz .LBB42_12
; %bb.5:
                                        ; implicit-def: $vgpr0
	s_and_saveexec_b32 s6, s1
	s_cbranch_execz .LBB42_11
; %bb.6:
	v_mov_b32_e32 v4, s2
	s_cmp_ge_u32 s4, s5
	s_cbranch_scc1 .LBB42_10
; %bb.7:
	v_mov_b32_e32 v5, s5
	v_mov_b32_e32 v4, s2
	;; [unrolled: 1-line block ×3, first 2 shown]
	s_mov_b32 s1, 0
	.p2align	6
.LBB42_8:                               ; =>This Inner Loop Header: Depth=1
	v_add_nc_u32_e32 v0, v4, v5
	v_lshrrev_b32_e32 v0, 1, v0
	v_lshlrev_b64 v[6:7], 2, v[0:1]
	v_add_co_u32 v6, vcc_lo, s8, v6
	v_add_co_ci_u32_e64 v7, null, s9, v7, vcc_lo
	global_load_dword v6, v[6:7], off
	s_waitcnt vmcnt(0)
	v_cmp_gt_i32_e32 vcc_lo, v2, v6
	v_cndmask_b32_e64 v7, 0, 1, vcc_lo
	v_cmp_le_i32_e32 vcc_lo, v6, v2
	v_cndmask_b32_e64 v6, 0, 1, vcc_lo
	v_cndmask_b32_e64 v6, v6, v7, s0
	v_add_nc_u32_e32 v7, 1, v0
	v_and_b32_e32 v6, 1, v6
	v_cmp_eq_u32_e32 vcc_lo, 1, v6
	v_cndmask_b32_e32 v5, v0, v5, vcc_lo
	v_cndmask_b32_e32 v4, v4, v7, vcc_lo
	v_cmp_ge_u32_e32 vcc_lo, v4, v5
	s_or_b32 s1, vcc_lo, s1
	s_andn2_b32 exec_lo, exec_lo, s1
	s_cbranch_execnz .LBB42_8
; %bb.9:
	s_or_b32 exec_lo, exec_lo, s1
.LBB42_10:
	v_add_nc_u32_e32 v0, v4, v3
	s_or_b32 s3, s3, exec_lo
.LBB42_11:
	s_or_b32 exec_lo, exec_lo, s6
	s_branch .LBB42_18
.LBB42_12:
                                        ; implicit-def: $vgpr0
	s_cbranch_execz .LBB42_18
; %bb.13:
	v_mov_b32_e32 v4, s2
	s_cmp_ge_u32 s4, s5
	s_cbranch_scc1 .LBB42_17
; %bb.14:
	v_mov_b32_e32 v5, s5
	v_mov_b32_e32 v4, s2
	;; [unrolled: 1-line block ×3, first 2 shown]
	s_mov_b32 s1, 0
	.p2align	6
.LBB42_15:                              ; =>This Inner Loop Header: Depth=1
	v_add_nc_u32_e32 v0, v4, v5
	v_lshrrev_b32_e32 v0, 1, v0
	v_lshlrev_b64 v[6:7], 2, v[0:1]
	v_add_co_u32 v6, vcc_lo, s8, v6
	v_add_co_ci_u32_e64 v7, null, s9, v7, vcc_lo
	global_load_dword v6, v[6:7], off
	s_waitcnt vmcnt(0)
	v_cmp_gt_i32_e32 vcc_lo, v2, v6
	v_cndmask_b32_e64 v7, 0, 1, vcc_lo
	v_cmp_le_i32_e32 vcc_lo, v6, v2
	v_cndmask_b32_e64 v6, 0, 1, vcc_lo
	v_cndmask_b32_e64 v6, v6, v7, s0
	v_add_nc_u32_e32 v7, 1, v0
	v_and_b32_e32 v6, 1, v6
	v_cmp_eq_u32_e32 vcc_lo, 1, v6
	v_cndmask_b32_e32 v5, v0, v5, vcc_lo
	v_cndmask_b32_e32 v4, v4, v7, vcc_lo
	v_cmp_ge_u32_e32 vcc_lo, v4, v5
	s_or_b32 s1, vcc_lo, s1
	s_andn2_b32 exec_lo, exec_lo, s1
	s_cbranch_execnz .LBB42_15
; %bb.16:
	s_or_b32 exec_lo, exec_lo, s1
.LBB42_17:
	v_add_nc_u32_e32 v0, v4, v3
	s_mov_b32 s3, -1
.LBB42_18:
	s_and_b32 exec_lo, exec_lo, s3
	s_cbranch_execz .LBB42_20
; %bb.19:
	v_mov_b32_e32 v1, 0
	v_lshlrev_b64 v[0:1], 2, v[0:1]
	v_add_co_u32 v0, vcc_lo, s10, v0
	v_add_co_ci_u32_e64 v1, null, s11, v1, vcc_lo
	s_waitcnt vmcnt(0)
	global_store_dword v[0:1], v2, off
.LBB42_20:
	s_endpgm
	.section	.rodata,"a",@progbits
	.p2align	6, 0x0
	.amdhsa_kernel _ZN7rocprim17ROCPRIM_400000_NS6detail17trampoline_kernelINS0_14default_configENS1_38merge_sort_block_merge_config_selectorIiNS0_10empty_typeEEEZZNS1_27merge_sort_block_merge_implIS3_N6thrust23THRUST_200600_302600_NS6detail15normal_iteratorINS9_10device_ptrIiEEEEPS5_jNS1_19radix_merge_compareILb0ELb0EiNS0_19identity_decomposerEEEEE10hipError_tT0_T1_T2_jT3_P12ihipStream_tbPNSt15iterator_traitsISK_E10value_typeEPNSQ_ISL_E10value_typeEPSM_NS1_7vsmem_tEENKUlT_SK_SL_SM_E_clIPiSE_SF_SF_EESJ_SZ_SK_SL_SM_EUlSZ_E1_NS1_11comp_targetILNS1_3genE8ELNS1_11target_archE1030ELNS1_3gpuE2ELNS1_3repE0EEENS1_36merge_oddeven_config_static_selectorELNS0_4arch9wavefront6targetE0EEEvSL_
		.amdhsa_group_segment_fixed_size 0
		.amdhsa_private_segment_fixed_size 0
		.amdhsa_kernarg_size 48
		.amdhsa_user_sgpr_count 6
		.amdhsa_user_sgpr_private_segment_buffer 1
		.amdhsa_user_sgpr_dispatch_ptr 0
		.amdhsa_user_sgpr_queue_ptr 0
		.amdhsa_user_sgpr_kernarg_segment_ptr 1
		.amdhsa_user_sgpr_dispatch_id 0
		.amdhsa_user_sgpr_flat_scratch_init 0
		.amdhsa_user_sgpr_private_segment_size 0
		.amdhsa_wavefront_size32 1
		.amdhsa_uses_dynamic_stack 0
		.amdhsa_system_sgpr_private_segment_wavefront_offset 0
		.amdhsa_system_sgpr_workgroup_id_x 1
		.amdhsa_system_sgpr_workgroup_id_y 0
		.amdhsa_system_sgpr_workgroup_id_z 0
		.amdhsa_system_sgpr_workgroup_info 0
		.amdhsa_system_vgpr_workitem_id 0
		.amdhsa_next_free_vgpr 8
		.amdhsa_next_free_sgpr 16
		.amdhsa_reserve_vcc 1
		.amdhsa_reserve_flat_scratch 0
		.amdhsa_float_round_mode_32 0
		.amdhsa_float_round_mode_16_64 0
		.amdhsa_float_denorm_mode_32 3
		.amdhsa_float_denorm_mode_16_64 3
		.amdhsa_dx10_clamp 1
		.amdhsa_ieee_mode 1
		.amdhsa_fp16_overflow 0
		.amdhsa_workgroup_processor_mode 1
		.amdhsa_memory_ordered 1
		.amdhsa_forward_progress 1
		.amdhsa_shared_vgpr_count 0
		.amdhsa_exception_fp_ieee_invalid_op 0
		.amdhsa_exception_fp_denorm_src 0
		.amdhsa_exception_fp_ieee_div_zero 0
		.amdhsa_exception_fp_ieee_overflow 0
		.amdhsa_exception_fp_ieee_underflow 0
		.amdhsa_exception_fp_ieee_inexact 0
		.amdhsa_exception_int_div_zero 0
	.end_amdhsa_kernel
	.section	.text._ZN7rocprim17ROCPRIM_400000_NS6detail17trampoline_kernelINS0_14default_configENS1_38merge_sort_block_merge_config_selectorIiNS0_10empty_typeEEEZZNS1_27merge_sort_block_merge_implIS3_N6thrust23THRUST_200600_302600_NS6detail15normal_iteratorINS9_10device_ptrIiEEEEPS5_jNS1_19radix_merge_compareILb0ELb0EiNS0_19identity_decomposerEEEEE10hipError_tT0_T1_T2_jT3_P12ihipStream_tbPNSt15iterator_traitsISK_E10value_typeEPNSQ_ISL_E10value_typeEPSM_NS1_7vsmem_tEENKUlT_SK_SL_SM_E_clIPiSE_SF_SF_EESJ_SZ_SK_SL_SM_EUlSZ_E1_NS1_11comp_targetILNS1_3genE8ELNS1_11target_archE1030ELNS1_3gpuE2ELNS1_3repE0EEENS1_36merge_oddeven_config_static_selectorELNS0_4arch9wavefront6targetE0EEEvSL_,"axG",@progbits,_ZN7rocprim17ROCPRIM_400000_NS6detail17trampoline_kernelINS0_14default_configENS1_38merge_sort_block_merge_config_selectorIiNS0_10empty_typeEEEZZNS1_27merge_sort_block_merge_implIS3_N6thrust23THRUST_200600_302600_NS6detail15normal_iteratorINS9_10device_ptrIiEEEEPS5_jNS1_19radix_merge_compareILb0ELb0EiNS0_19identity_decomposerEEEEE10hipError_tT0_T1_T2_jT3_P12ihipStream_tbPNSt15iterator_traitsISK_E10value_typeEPNSQ_ISL_E10value_typeEPSM_NS1_7vsmem_tEENKUlT_SK_SL_SM_E_clIPiSE_SF_SF_EESJ_SZ_SK_SL_SM_EUlSZ_E1_NS1_11comp_targetILNS1_3genE8ELNS1_11target_archE1030ELNS1_3gpuE2ELNS1_3repE0EEENS1_36merge_oddeven_config_static_selectorELNS0_4arch9wavefront6targetE0EEEvSL_,comdat
.Lfunc_end42:
	.size	_ZN7rocprim17ROCPRIM_400000_NS6detail17trampoline_kernelINS0_14default_configENS1_38merge_sort_block_merge_config_selectorIiNS0_10empty_typeEEEZZNS1_27merge_sort_block_merge_implIS3_N6thrust23THRUST_200600_302600_NS6detail15normal_iteratorINS9_10device_ptrIiEEEEPS5_jNS1_19radix_merge_compareILb0ELb0EiNS0_19identity_decomposerEEEEE10hipError_tT0_T1_T2_jT3_P12ihipStream_tbPNSt15iterator_traitsISK_E10value_typeEPNSQ_ISL_E10value_typeEPSM_NS1_7vsmem_tEENKUlT_SK_SL_SM_E_clIPiSE_SF_SF_EESJ_SZ_SK_SL_SM_EUlSZ_E1_NS1_11comp_targetILNS1_3genE8ELNS1_11target_archE1030ELNS1_3gpuE2ELNS1_3repE0EEENS1_36merge_oddeven_config_static_selectorELNS0_4arch9wavefront6targetE0EEEvSL_, .Lfunc_end42-_ZN7rocprim17ROCPRIM_400000_NS6detail17trampoline_kernelINS0_14default_configENS1_38merge_sort_block_merge_config_selectorIiNS0_10empty_typeEEEZZNS1_27merge_sort_block_merge_implIS3_N6thrust23THRUST_200600_302600_NS6detail15normal_iteratorINS9_10device_ptrIiEEEEPS5_jNS1_19radix_merge_compareILb0ELb0EiNS0_19identity_decomposerEEEEE10hipError_tT0_T1_T2_jT3_P12ihipStream_tbPNSt15iterator_traitsISK_E10value_typeEPNSQ_ISL_E10value_typeEPSM_NS1_7vsmem_tEENKUlT_SK_SL_SM_E_clIPiSE_SF_SF_EESJ_SZ_SK_SL_SM_EUlSZ_E1_NS1_11comp_targetILNS1_3genE8ELNS1_11target_archE1030ELNS1_3gpuE2ELNS1_3repE0EEENS1_36merge_oddeven_config_static_selectorELNS0_4arch9wavefront6targetE0EEEvSL_
                                        ; -- End function
	.set _ZN7rocprim17ROCPRIM_400000_NS6detail17trampoline_kernelINS0_14default_configENS1_38merge_sort_block_merge_config_selectorIiNS0_10empty_typeEEEZZNS1_27merge_sort_block_merge_implIS3_N6thrust23THRUST_200600_302600_NS6detail15normal_iteratorINS9_10device_ptrIiEEEEPS5_jNS1_19radix_merge_compareILb0ELb0EiNS0_19identity_decomposerEEEEE10hipError_tT0_T1_T2_jT3_P12ihipStream_tbPNSt15iterator_traitsISK_E10value_typeEPNSQ_ISL_E10value_typeEPSM_NS1_7vsmem_tEENKUlT_SK_SL_SM_E_clIPiSE_SF_SF_EESJ_SZ_SK_SL_SM_EUlSZ_E1_NS1_11comp_targetILNS1_3genE8ELNS1_11target_archE1030ELNS1_3gpuE2ELNS1_3repE0EEENS1_36merge_oddeven_config_static_selectorELNS0_4arch9wavefront6targetE0EEEvSL_.num_vgpr, 8
	.set _ZN7rocprim17ROCPRIM_400000_NS6detail17trampoline_kernelINS0_14default_configENS1_38merge_sort_block_merge_config_selectorIiNS0_10empty_typeEEEZZNS1_27merge_sort_block_merge_implIS3_N6thrust23THRUST_200600_302600_NS6detail15normal_iteratorINS9_10device_ptrIiEEEEPS5_jNS1_19radix_merge_compareILb0ELb0EiNS0_19identity_decomposerEEEEE10hipError_tT0_T1_T2_jT3_P12ihipStream_tbPNSt15iterator_traitsISK_E10value_typeEPNSQ_ISL_E10value_typeEPSM_NS1_7vsmem_tEENKUlT_SK_SL_SM_E_clIPiSE_SF_SF_EESJ_SZ_SK_SL_SM_EUlSZ_E1_NS1_11comp_targetILNS1_3genE8ELNS1_11target_archE1030ELNS1_3gpuE2ELNS1_3repE0EEENS1_36merge_oddeven_config_static_selectorELNS0_4arch9wavefront6targetE0EEEvSL_.num_agpr, 0
	.set _ZN7rocprim17ROCPRIM_400000_NS6detail17trampoline_kernelINS0_14default_configENS1_38merge_sort_block_merge_config_selectorIiNS0_10empty_typeEEEZZNS1_27merge_sort_block_merge_implIS3_N6thrust23THRUST_200600_302600_NS6detail15normal_iteratorINS9_10device_ptrIiEEEEPS5_jNS1_19radix_merge_compareILb0ELb0EiNS0_19identity_decomposerEEEEE10hipError_tT0_T1_T2_jT3_P12ihipStream_tbPNSt15iterator_traitsISK_E10value_typeEPNSQ_ISL_E10value_typeEPSM_NS1_7vsmem_tEENKUlT_SK_SL_SM_E_clIPiSE_SF_SF_EESJ_SZ_SK_SL_SM_EUlSZ_E1_NS1_11comp_targetILNS1_3genE8ELNS1_11target_archE1030ELNS1_3gpuE2ELNS1_3repE0EEENS1_36merge_oddeven_config_static_selectorELNS0_4arch9wavefront6targetE0EEEvSL_.numbered_sgpr, 16
	.set _ZN7rocprim17ROCPRIM_400000_NS6detail17trampoline_kernelINS0_14default_configENS1_38merge_sort_block_merge_config_selectorIiNS0_10empty_typeEEEZZNS1_27merge_sort_block_merge_implIS3_N6thrust23THRUST_200600_302600_NS6detail15normal_iteratorINS9_10device_ptrIiEEEEPS5_jNS1_19radix_merge_compareILb0ELb0EiNS0_19identity_decomposerEEEEE10hipError_tT0_T1_T2_jT3_P12ihipStream_tbPNSt15iterator_traitsISK_E10value_typeEPNSQ_ISL_E10value_typeEPSM_NS1_7vsmem_tEENKUlT_SK_SL_SM_E_clIPiSE_SF_SF_EESJ_SZ_SK_SL_SM_EUlSZ_E1_NS1_11comp_targetILNS1_3genE8ELNS1_11target_archE1030ELNS1_3gpuE2ELNS1_3repE0EEENS1_36merge_oddeven_config_static_selectorELNS0_4arch9wavefront6targetE0EEEvSL_.num_named_barrier, 0
	.set _ZN7rocprim17ROCPRIM_400000_NS6detail17trampoline_kernelINS0_14default_configENS1_38merge_sort_block_merge_config_selectorIiNS0_10empty_typeEEEZZNS1_27merge_sort_block_merge_implIS3_N6thrust23THRUST_200600_302600_NS6detail15normal_iteratorINS9_10device_ptrIiEEEEPS5_jNS1_19radix_merge_compareILb0ELb0EiNS0_19identity_decomposerEEEEE10hipError_tT0_T1_T2_jT3_P12ihipStream_tbPNSt15iterator_traitsISK_E10value_typeEPNSQ_ISL_E10value_typeEPSM_NS1_7vsmem_tEENKUlT_SK_SL_SM_E_clIPiSE_SF_SF_EESJ_SZ_SK_SL_SM_EUlSZ_E1_NS1_11comp_targetILNS1_3genE8ELNS1_11target_archE1030ELNS1_3gpuE2ELNS1_3repE0EEENS1_36merge_oddeven_config_static_selectorELNS0_4arch9wavefront6targetE0EEEvSL_.private_seg_size, 0
	.set _ZN7rocprim17ROCPRIM_400000_NS6detail17trampoline_kernelINS0_14default_configENS1_38merge_sort_block_merge_config_selectorIiNS0_10empty_typeEEEZZNS1_27merge_sort_block_merge_implIS3_N6thrust23THRUST_200600_302600_NS6detail15normal_iteratorINS9_10device_ptrIiEEEEPS5_jNS1_19radix_merge_compareILb0ELb0EiNS0_19identity_decomposerEEEEE10hipError_tT0_T1_T2_jT3_P12ihipStream_tbPNSt15iterator_traitsISK_E10value_typeEPNSQ_ISL_E10value_typeEPSM_NS1_7vsmem_tEENKUlT_SK_SL_SM_E_clIPiSE_SF_SF_EESJ_SZ_SK_SL_SM_EUlSZ_E1_NS1_11comp_targetILNS1_3genE8ELNS1_11target_archE1030ELNS1_3gpuE2ELNS1_3repE0EEENS1_36merge_oddeven_config_static_selectorELNS0_4arch9wavefront6targetE0EEEvSL_.uses_vcc, 1
	.set _ZN7rocprim17ROCPRIM_400000_NS6detail17trampoline_kernelINS0_14default_configENS1_38merge_sort_block_merge_config_selectorIiNS0_10empty_typeEEEZZNS1_27merge_sort_block_merge_implIS3_N6thrust23THRUST_200600_302600_NS6detail15normal_iteratorINS9_10device_ptrIiEEEEPS5_jNS1_19radix_merge_compareILb0ELb0EiNS0_19identity_decomposerEEEEE10hipError_tT0_T1_T2_jT3_P12ihipStream_tbPNSt15iterator_traitsISK_E10value_typeEPNSQ_ISL_E10value_typeEPSM_NS1_7vsmem_tEENKUlT_SK_SL_SM_E_clIPiSE_SF_SF_EESJ_SZ_SK_SL_SM_EUlSZ_E1_NS1_11comp_targetILNS1_3genE8ELNS1_11target_archE1030ELNS1_3gpuE2ELNS1_3repE0EEENS1_36merge_oddeven_config_static_selectorELNS0_4arch9wavefront6targetE0EEEvSL_.uses_flat_scratch, 0
	.set _ZN7rocprim17ROCPRIM_400000_NS6detail17trampoline_kernelINS0_14default_configENS1_38merge_sort_block_merge_config_selectorIiNS0_10empty_typeEEEZZNS1_27merge_sort_block_merge_implIS3_N6thrust23THRUST_200600_302600_NS6detail15normal_iteratorINS9_10device_ptrIiEEEEPS5_jNS1_19radix_merge_compareILb0ELb0EiNS0_19identity_decomposerEEEEE10hipError_tT0_T1_T2_jT3_P12ihipStream_tbPNSt15iterator_traitsISK_E10value_typeEPNSQ_ISL_E10value_typeEPSM_NS1_7vsmem_tEENKUlT_SK_SL_SM_E_clIPiSE_SF_SF_EESJ_SZ_SK_SL_SM_EUlSZ_E1_NS1_11comp_targetILNS1_3genE8ELNS1_11target_archE1030ELNS1_3gpuE2ELNS1_3repE0EEENS1_36merge_oddeven_config_static_selectorELNS0_4arch9wavefront6targetE0EEEvSL_.has_dyn_sized_stack, 0
	.set _ZN7rocprim17ROCPRIM_400000_NS6detail17trampoline_kernelINS0_14default_configENS1_38merge_sort_block_merge_config_selectorIiNS0_10empty_typeEEEZZNS1_27merge_sort_block_merge_implIS3_N6thrust23THRUST_200600_302600_NS6detail15normal_iteratorINS9_10device_ptrIiEEEEPS5_jNS1_19radix_merge_compareILb0ELb0EiNS0_19identity_decomposerEEEEE10hipError_tT0_T1_T2_jT3_P12ihipStream_tbPNSt15iterator_traitsISK_E10value_typeEPNSQ_ISL_E10value_typeEPSM_NS1_7vsmem_tEENKUlT_SK_SL_SM_E_clIPiSE_SF_SF_EESJ_SZ_SK_SL_SM_EUlSZ_E1_NS1_11comp_targetILNS1_3genE8ELNS1_11target_archE1030ELNS1_3gpuE2ELNS1_3repE0EEENS1_36merge_oddeven_config_static_selectorELNS0_4arch9wavefront6targetE0EEEvSL_.has_recursion, 0
	.set _ZN7rocprim17ROCPRIM_400000_NS6detail17trampoline_kernelINS0_14default_configENS1_38merge_sort_block_merge_config_selectorIiNS0_10empty_typeEEEZZNS1_27merge_sort_block_merge_implIS3_N6thrust23THRUST_200600_302600_NS6detail15normal_iteratorINS9_10device_ptrIiEEEEPS5_jNS1_19radix_merge_compareILb0ELb0EiNS0_19identity_decomposerEEEEE10hipError_tT0_T1_T2_jT3_P12ihipStream_tbPNSt15iterator_traitsISK_E10value_typeEPNSQ_ISL_E10value_typeEPSM_NS1_7vsmem_tEENKUlT_SK_SL_SM_E_clIPiSE_SF_SF_EESJ_SZ_SK_SL_SM_EUlSZ_E1_NS1_11comp_targetILNS1_3genE8ELNS1_11target_archE1030ELNS1_3gpuE2ELNS1_3repE0EEENS1_36merge_oddeven_config_static_selectorELNS0_4arch9wavefront6targetE0EEEvSL_.has_indirect_call, 0
	.section	.AMDGPU.csdata,"",@progbits
; Kernel info:
; codeLenInByte = 624
; TotalNumSgprs: 18
; NumVgprs: 8
; ScratchSize: 0
; MemoryBound: 0
; FloatMode: 240
; IeeeMode: 1
; LDSByteSize: 0 bytes/workgroup (compile time only)
; SGPRBlocks: 0
; VGPRBlocks: 0
; NumSGPRsForWavesPerEU: 18
; NumVGPRsForWavesPerEU: 8
; Occupancy: 16
; WaveLimiterHint : 0
; COMPUTE_PGM_RSRC2:SCRATCH_EN: 0
; COMPUTE_PGM_RSRC2:USER_SGPR: 6
; COMPUTE_PGM_RSRC2:TRAP_HANDLER: 0
; COMPUTE_PGM_RSRC2:TGID_X_EN: 1
; COMPUTE_PGM_RSRC2:TGID_Y_EN: 0
; COMPUTE_PGM_RSRC2:TGID_Z_EN: 0
; COMPUTE_PGM_RSRC2:TIDIG_COMP_CNT: 0
	.section	.text._ZN7rocprim17ROCPRIM_400000_NS6detail17trampoline_kernelINS0_14default_configENS1_38merge_sort_block_merge_config_selectorIiNS0_10empty_typeEEEZZNS1_27merge_sort_block_merge_implIS3_N6thrust23THRUST_200600_302600_NS6detail15normal_iteratorINS9_10device_ptrIiEEEEPS5_jNS1_19radix_merge_compareILb0ELb0EiNS0_19identity_decomposerEEEEE10hipError_tT0_T1_T2_jT3_P12ihipStream_tbPNSt15iterator_traitsISK_E10value_typeEPNSQ_ISL_E10value_typeEPSM_NS1_7vsmem_tEENKUlT_SK_SL_SM_E_clISE_PiSF_SF_EESJ_SZ_SK_SL_SM_EUlSZ_E_NS1_11comp_targetILNS1_3genE0ELNS1_11target_archE4294967295ELNS1_3gpuE0ELNS1_3repE0EEENS1_48merge_mergepath_partition_config_static_selectorELNS0_4arch9wavefront6targetE0EEEvSL_,"axG",@progbits,_ZN7rocprim17ROCPRIM_400000_NS6detail17trampoline_kernelINS0_14default_configENS1_38merge_sort_block_merge_config_selectorIiNS0_10empty_typeEEEZZNS1_27merge_sort_block_merge_implIS3_N6thrust23THRUST_200600_302600_NS6detail15normal_iteratorINS9_10device_ptrIiEEEEPS5_jNS1_19radix_merge_compareILb0ELb0EiNS0_19identity_decomposerEEEEE10hipError_tT0_T1_T2_jT3_P12ihipStream_tbPNSt15iterator_traitsISK_E10value_typeEPNSQ_ISL_E10value_typeEPSM_NS1_7vsmem_tEENKUlT_SK_SL_SM_E_clISE_PiSF_SF_EESJ_SZ_SK_SL_SM_EUlSZ_E_NS1_11comp_targetILNS1_3genE0ELNS1_11target_archE4294967295ELNS1_3gpuE0ELNS1_3repE0EEENS1_48merge_mergepath_partition_config_static_selectorELNS0_4arch9wavefront6targetE0EEEvSL_,comdat
	.protected	_ZN7rocprim17ROCPRIM_400000_NS6detail17trampoline_kernelINS0_14default_configENS1_38merge_sort_block_merge_config_selectorIiNS0_10empty_typeEEEZZNS1_27merge_sort_block_merge_implIS3_N6thrust23THRUST_200600_302600_NS6detail15normal_iteratorINS9_10device_ptrIiEEEEPS5_jNS1_19radix_merge_compareILb0ELb0EiNS0_19identity_decomposerEEEEE10hipError_tT0_T1_T2_jT3_P12ihipStream_tbPNSt15iterator_traitsISK_E10value_typeEPNSQ_ISL_E10value_typeEPSM_NS1_7vsmem_tEENKUlT_SK_SL_SM_E_clISE_PiSF_SF_EESJ_SZ_SK_SL_SM_EUlSZ_E_NS1_11comp_targetILNS1_3genE0ELNS1_11target_archE4294967295ELNS1_3gpuE0ELNS1_3repE0EEENS1_48merge_mergepath_partition_config_static_selectorELNS0_4arch9wavefront6targetE0EEEvSL_ ; -- Begin function _ZN7rocprim17ROCPRIM_400000_NS6detail17trampoline_kernelINS0_14default_configENS1_38merge_sort_block_merge_config_selectorIiNS0_10empty_typeEEEZZNS1_27merge_sort_block_merge_implIS3_N6thrust23THRUST_200600_302600_NS6detail15normal_iteratorINS9_10device_ptrIiEEEEPS5_jNS1_19radix_merge_compareILb0ELb0EiNS0_19identity_decomposerEEEEE10hipError_tT0_T1_T2_jT3_P12ihipStream_tbPNSt15iterator_traitsISK_E10value_typeEPNSQ_ISL_E10value_typeEPSM_NS1_7vsmem_tEENKUlT_SK_SL_SM_E_clISE_PiSF_SF_EESJ_SZ_SK_SL_SM_EUlSZ_E_NS1_11comp_targetILNS1_3genE0ELNS1_11target_archE4294967295ELNS1_3gpuE0ELNS1_3repE0EEENS1_48merge_mergepath_partition_config_static_selectorELNS0_4arch9wavefront6targetE0EEEvSL_
	.globl	_ZN7rocprim17ROCPRIM_400000_NS6detail17trampoline_kernelINS0_14default_configENS1_38merge_sort_block_merge_config_selectorIiNS0_10empty_typeEEEZZNS1_27merge_sort_block_merge_implIS3_N6thrust23THRUST_200600_302600_NS6detail15normal_iteratorINS9_10device_ptrIiEEEEPS5_jNS1_19radix_merge_compareILb0ELb0EiNS0_19identity_decomposerEEEEE10hipError_tT0_T1_T2_jT3_P12ihipStream_tbPNSt15iterator_traitsISK_E10value_typeEPNSQ_ISL_E10value_typeEPSM_NS1_7vsmem_tEENKUlT_SK_SL_SM_E_clISE_PiSF_SF_EESJ_SZ_SK_SL_SM_EUlSZ_E_NS1_11comp_targetILNS1_3genE0ELNS1_11target_archE4294967295ELNS1_3gpuE0ELNS1_3repE0EEENS1_48merge_mergepath_partition_config_static_selectorELNS0_4arch9wavefront6targetE0EEEvSL_
	.p2align	8
	.type	_ZN7rocprim17ROCPRIM_400000_NS6detail17trampoline_kernelINS0_14default_configENS1_38merge_sort_block_merge_config_selectorIiNS0_10empty_typeEEEZZNS1_27merge_sort_block_merge_implIS3_N6thrust23THRUST_200600_302600_NS6detail15normal_iteratorINS9_10device_ptrIiEEEEPS5_jNS1_19radix_merge_compareILb0ELb0EiNS0_19identity_decomposerEEEEE10hipError_tT0_T1_T2_jT3_P12ihipStream_tbPNSt15iterator_traitsISK_E10value_typeEPNSQ_ISL_E10value_typeEPSM_NS1_7vsmem_tEENKUlT_SK_SL_SM_E_clISE_PiSF_SF_EESJ_SZ_SK_SL_SM_EUlSZ_E_NS1_11comp_targetILNS1_3genE0ELNS1_11target_archE4294967295ELNS1_3gpuE0ELNS1_3repE0EEENS1_48merge_mergepath_partition_config_static_selectorELNS0_4arch9wavefront6targetE0EEEvSL_,@function
_ZN7rocprim17ROCPRIM_400000_NS6detail17trampoline_kernelINS0_14default_configENS1_38merge_sort_block_merge_config_selectorIiNS0_10empty_typeEEEZZNS1_27merge_sort_block_merge_implIS3_N6thrust23THRUST_200600_302600_NS6detail15normal_iteratorINS9_10device_ptrIiEEEEPS5_jNS1_19radix_merge_compareILb0ELb0EiNS0_19identity_decomposerEEEEE10hipError_tT0_T1_T2_jT3_P12ihipStream_tbPNSt15iterator_traitsISK_E10value_typeEPNSQ_ISL_E10value_typeEPSM_NS1_7vsmem_tEENKUlT_SK_SL_SM_E_clISE_PiSF_SF_EESJ_SZ_SK_SL_SM_EUlSZ_E_NS1_11comp_targetILNS1_3genE0ELNS1_11target_archE4294967295ELNS1_3gpuE0ELNS1_3repE0EEENS1_48merge_mergepath_partition_config_static_selectorELNS0_4arch9wavefront6targetE0EEEvSL_: ; @_ZN7rocprim17ROCPRIM_400000_NS6detail17trampoline_kernelINS0_14default_configENS1_38merge_sort_block_merge_config_selectorIiNS0_10empty_typeEEEZZNS1_27merge_sort_block_merge_implIS3_N6thrust23THRUST_200600_302600_NS6detail15normal_iteratorINS9_10device_ptrIiEEEEPS5_jNS1_19radix_merge_compareILb0ELb0EiNS0_19identity_decomposerEEEEE10hipError_tT0_T1_T2_jT3_P12ihipStream_tbPNSt15iterator_traitsISK_E10value_typeEPNSQ_ISL_E10value_typeEPSM_NS1_7vsmem_tEENKUlT_SK_SL_SM_E_clISE_PiSF_SF_EESJ_SZ_SK_SL_SM_EUlSZ_E_NS1_11comp_targetILNS1_3genE0ELNS1_11target_archE4294967295ELNS1_3gpuE0ELNS1_3repE0EEENS1_48merge_mergepath_partition_config_static_selectorELNS0_4arch9wavefront6targetE0EEEvSL_
; %bb.0:
	.section	.rodata,"a",@progbits
	.p2align	6, 0x0
	.amdhsa_kernel _ZN7rocprim17ROCPRIM_400000_NS6detail17trampoline_kernelINS0_14default_configENS1_38merge_sort_block_merge_config_selectorIiNS0_10empty_typeEEEZZNS1_27merge_sort_block_merge_implIS3_N6thrust23THRUST_200600_302600_NS6detail15normal_iteratorINS9_10device_ptrIiEEEEPS5_jNS1_19radix_merge_compareILb0ELb0EiNS0_19identity_decomposerEEEEE10hipError_tT0_T1_T2_jT3_P12ihipStream_tbPNSt15iterator_traitsISK_E10value_typeEPNSQ_ISL_E10value_typeEPSM_NS1_7vsmem_tEENKUlT_SK_SL_SM_E_clISE_PiSF_SF_EESJ_SZ_SK_SL_SM_EUlSZ_E_NS1_11comp_targetILNS1_3genE0ELNS1_11target_archE4294967295ELNS1_3gpuE0ELNS1_3repE0EEENS1_48merge_mergepath_partition_config_static_selectorELNS0_4arch9wavefront6targetE0EEEvSL_
		.amdhsa_group_segment_fixed_size 0
		.amdhsa_private_segment_fixed_size 0
		.amdhsa_kernarg_size 40
		.amdhsa_user_sgpr_count 6
		.amdhsa_user_sgpr_private_segment_buffer 1
		.amdhsa_user_sgpr_dispatch_ptr 0
		.amdhsa_user_sgpr_queue_ptr 0
		.amdhsa_user_sgpr_kernarg_segment_ptr 1
		.amdhsa_user_sgpr_dispatch_id 0
		.amdhsa_user_sgpr_flat_scratch_init 0
		.amdhsa_user_sgpr_private_segment_size 0
		.amdhsa_wavefront_size32 1
		.amdhsa_uses_dynamic_stack 0
		.amdhsa_system_sgpr_private_segment_wavefront_offset 0
		.amdhsa_system_sgpr_workgroup_id_x 1
		.amdhsa_system_sgpr_workgroup_id_y 0
		.amdhsa_system_sgpr_workgroup_id_z 0
		.amdhsa_system_sgpr_workgroup_info 0
		.amdhsa_system_vgpr_workitem_id 0
		.amdhsa_next_free_vgpr 1
		.amdhsa_next_free_sgpr 1
		.amdhsa_reserve_vcc 0
		.amdhsa_reserve_flat_scratch 0
		.amdhsa_float_round_mode_32 0
		.amdhsa_float_round_mode_16_64 0
		.amdhsa_float_denorm_mode_32 3
		.amdhsa_float_denorm_mode_16_64 3
		.amdhsa_dx10_clamp 1
		.amdhsa_ieee_mode 1
		.amdhsa_fp16_overflow 0
		.amdhsa_workgroup_processor_mode 1
		.amdhsa_memory_ordered 1
		.amdhsa_forward_progress 1
		.amdhsa_shared_vgpr_count 0
		.amdhsa_exception_fp_ieee_invalid_op 0
		.amdhsa_exception_fp_denorm_src 0
		.amdhsa_exception_fp_ieee_div_zero 0
		.amdhsa_exception_fp_ieee_overflow 0
		.amdhsa_exception_fp_ieee_underflow 0
		.amdhsa_exception_fp_ieee_inexact 0
		.amdhsa_exception_int_div_zero 0
	.end_amdhsa_kernel
	.section	.text._ZN7rocprim17ROCPRIM_400000_NS6detail17trampoline_kernelINS0_14default_configENS1_38merge_sort_block_merge_config_selectorIiNS0_10empty_typeEEEZZNS1_27merge_sort_block_merge_implIS3_N6thrust23THRUST_200600_302600_NS6detail15normal_iteratorINS9_10device_ptrIiEEEEPS5_jNS1_19radix_merge_compareILb0ELb0EiNS0_19identity_decomposerEEEEE10hipError_tT0_T1_T2_jT3_P12ihipStream_tbPNSt15iterator_traitsISK_E10value_typeEPNSQ_ISL_E10value_typeEPSM_NS1_7vsmem_tEENKUlT_SK_SL_SM_E_clISE_PiSF_SF_EESJ_SZ_SK_SL_SM_EUlSZ_E_NS1_11comp_targetILNS1_3genE0ELNS1_11target_archE4294967295ELNS1_3gpuE0ELNS1_3repE0EEENS1_48merge_mergepath_partition_config_static_selectorELNS0_4arch9wavefront6targetE0EEEvSL_,"axG",@progbits,_ZN7rocprim17ROCPRIM_400000_NS6detail17trampoline_kernelINS0_14default_configENS1_38merge_sort_block_merge_config_selectorIiNS0_10empty_typeEEEZZNS1_27merge_sort_block_merge_implIS3_N6thrust23THRUST_200600_302600_NS6detail15normal_iteratorINS9_10device_ptrIiEEEEPS5_jNS1_19radix_merge_compareILb0ELb0EiNS0_19identity_decomposerEEEEE10hipError_tT0_T1_T2_jT3_P12ihipStream_tbPNSt15iterator_traitsISK_E10value_typeEPNSQ_ISL_E10value_typeEPSM_NS1_7vsmem_tEENKUlT_SK_SL_SM_E_clISE_PiSF_SF_EESJ_SZ_SK_SL_SM_EUlSZ_E_NS1_11comp_targetILNS1_3genE0ELNS1_11target_archE4294967295ELNS1_3gpuE0ELNS1_3repE0EEENS1_48merge_mergepath_partition_config_static_selectorELNS0_4arch9wavefront6targetE0EEEvSL_,comdat
.Lfunc_end43:
	.size	_ZN7rocprim17ROCPRIM_400000_NS6detail17trampoline_kernelINS0_14default_configENS1_38merge_sort_block_merge_config_selectorIiNS0_10empty_typeEEEZZNS1_27merge_sort_block_merge_implIS3_N6thrust23THRUST_200600_302600_NS6detail15normal_iteratorINS9_10device_ptrIiEEEEPS5_jNS1_19radix_merge_compareILb0ELb0EiNS0_19identity_decomposerEEEEE10hipError_tT0_T1_T2_jT3_P12ihipStream_tbPNSt15iterator_traitsISK_E10value_typeEPNSQ_ISL_E10value_typeEPSM_NS1_7vsmem_tEENKUlT_SK_SL_SM_E_clISE_PiSF_SF_EESJ_SZ_SK_SL_SM_EUlSZ_E_NS1_11comp_targetILNS1_3genE0ELNS1_11target_archE4294967295ELNS1_3gpuE0ELNS1_3repE0EEENS1_48merge_mergepath_partition_config_static_selectorELNS0_4arch9wavefront6targetE0EEEvSL_, .Lfunc_end43-_ZN7rocprim17ROCPRIM_400000_NS6detail17trampoline_kernelINS0_14default_configENS1_38merge_sort_block_merge_config_selectorIiNS0_10empty_typeEEEZZNS1_27merge_sort_block_merge_implIS3_N6thrust23THRUST_200600_302600_NS6detail15normal_iteratorINS9_10device_ptrIiEEEEPS5_jNS1_19radix_merge_compareILb0ELb0EiNS0_19identity_decomposerEEEEE10hipError_tT0_T1_T2_jT3_P12ihipStream_tbPNSt15iterator_traitsISK_E10value_typeEPNSQ_ISL_E10value_typeEPSM_NS1_7vsmem_tEENKUlT_SK_SL_SM_E_clISE_PiSF_SF_EESJ_SZ_SK_SL_SM_EUlSZ_E_NS1_11comp_targetILNS1_3genE0ELNS1_11target_archE4294967295ELNS1_3gpuE0ELNS1_3repE0EEENS1_48merge_mergepath_partition_config_static_selectorELNS0_4arch9wavefront6targetE0EEEvSL_
                                        ; -- End function
	.set _ZN7rocprim17ROCPRIM_400000_NS6detail17trampoline_kernelINS0_14default_configENS1_38merge_sort_block_merge_config_selectorIiNS0_10empty_typeEEEZZNS1_27merge_sort_block_merge_implIS3_N6thrust23THRUST_200600_302600_NS6detail15normal_iteratorINS9_10device_ptrIiEEEEPS5_jNS1_19radix_merge_compareILb0ELb0EiNS0_19identity_decomposerEEEEE10hipError_tT0_T1_T2_jT3_P12ihipStream_tbPNSt15iterator_traitsISK_E10value_typeEPNSQ_ISL_E10value_typeEPSM_NS1_7vsmem_tEENKUlT_SK_SL_SM_E_clISE_PiSF_SF_EESJ_SZ_SK_SL_SM_EUlSZ_E_NS1_11comp_targetILNS1_3genE0ELNS1_11target_archE4294967295ELNS1_3gpuE0ELNS1_3repE0EEENS1_48merge_mergepath_partition_config_static_selectorELNS0_4arch9wavefront6targetE0EEEvSL_.num_vgpr, 0
	.set _ZN7rocprim17ROCPRIM_400000_NS6detail17trampoline_kernelINS0_14default_configENS1_38merge_sort_block_merge_config_selectorIiNS0_10empty_typeEEEZZNS1_27merge_sort_block_merge_implIS3_N6thrust23THRUST_200600_302600_NS6detail15normal_iteratorINS9_10device_ptrIiEEEEPS5_jNS1_19radix_merge_compareILb0ELb0EiNS0_19identity_decomposerEEEEE10hipError_tT0_T1_T2_jT3_P12ihipStream_tbPNSt15iterator_traitsISK_E10value_typeEPNSQ_ISL_E10value_typeEPSM_NS1_7vsmem_tEENKUlT_SK_SL_SM_E_clISE_PiSF_SF_EESJ_SZ_SK_SL_SM_EUlSZ_E_NS1_11comp_targetILNS1_3genE0ELNS1_11target_archE4294967295ELNS1_3gpuE0ELNS1_3repE0EEENS1_48merge_mergepath_partition_config_static_selectorELNS0_4arch9wavefront6targetE0EEEvSL_.num_agpr, 0
	.set _ZN7rocprim17ROCPRIM_400000_NS6detail17trampoline_kernelINS0_14default_configENS1_38merge_sort_block_merge_config_selectorIiNS0_10empty_typeEEEZZNS1_27merge_sort_block_merge_implIS3_N6thrust23THRUST_200600_302600_NS6detail15normal_iteratorINS9_10device_ptrIiEEEEPS5_jNS1_19radix_merge_compareILb0ELb0EiNS0_19identity_decomposerEEEEE10hipError_tT0_T1_T2_jT3_P12ihipStream_tbPNSt15iterator_traitsISK_E10value_typeEPNSQ_ISL_E10value_typeEPSM_NS1_7vsmem_tEENKUlT_SK_SL_SM_E_clISE_PiSF_SF_EESJ_SZ_SK_SL_SM_EUlSZ_E_NS1_11comp_targetILNS1_3genE0ELNS1_11target_archE4294967295ELNS1_3gpuE0ELNS1_3repE0EEENS1_48merge_mergepath_partition_config_static_selectorELNS0_4arch9wavefront6targetE0EEEvSL_.numbered_sgpr, 0
	.set _ZN7rocprim17ROCPRIM_400000_NS6detail17trampoline_kernelINS0_14default_configENS1_38merge_sort_block_merge_config_selectorIiNS0_10empty_typeEEEZZNS1_27merge_sort_block_merge_implIS3_N6thrust23THRUST_200600_302600_NS6detail15normal_iteratorINS9_10device_ptrIiEEEEPS5_jNS1_19radix_merge_compareILb0ELb0EiNS0_19identity_decomposerEEEEE10hipError_tT0_T1_T2_jT3_P12ihipStream_tbPNSt15iterator_traitsISK_E10value_typeEPNSQ_ISL_E10value_typeEPSM_NS1_7vsmem_tEENKUlT_SK_SL_SM_E_clISE_PiSF_SF_EESJ_SZ_SK_SL_SM_EUlSZ_E_NS1_11comp_targetILNS1_3genE0ELNS1_11target_archE4294967295ELNS1_3gpuE0ELNS1_3repE0EEENS1_48merge_mergepath_partition_config_static_selectorELNS0_4arch9wavefront6targetE0EEEvSL_.num_named_barrier, 0
	.set _ZN7rocprim17ROCPRIM_400000_NS6detail17trampoline_kernelINS0_14default_configENS1_38merge_sort_block_merge_config_selectorIiNS0_10empty_typeEEEZZNS1_27merge_sort_block_merge_implIS3_N6thrust23THRUST_200600_302600_NS6detail15normal_iteratorINS9_10device_ptrIiEEEEPS5_jNS1_19radix_merge_compareILb0ELb0EiNS0_19identity_decomposerEEEEE10hipError_tT0_T1_T2_jT3_P12ihipStream_tbPNSt15iterator_traitsISK_E10value_typeEPNSQ_ISL_E10value_typeEPSM_NS1_7vsmem_tEENKUlT_SK_SL_SM_E_clISE_PiSF_SF_EESJ_SZ_SK_SL_SM_EUlSZ_E_NS1_11comp_targetILNS1_3genE0ELNS1_11target_archE4294967295ELNS1_3gpuE0ELNS1_3repE0EEENS1_48merge_mergepath_partition_config_static_selectorELNS0_4arch9wavefront6targetE0EEEvSL_.private_seg_size, 0
	.set _ZN7rocprim17ROCPRIM_400000_NS6detail17trampoline_kernelINS0_14default_configENS1_38merge_sort_block_merge_config_selectorIiNS0_10empty_typeEEEZZNS1_27merge_sort_block_merge_implIS3_N6thrust23THRUST_200600_302600_NS6detail15normal_iteratorINS9_10device_ptrIiEEEEPS5_jNS1_19radix_merge_compareILb0ELb0EiNS0_19identity_decomposerEEEEE10hipError_tT0_T1_T2_jT3_P12ihipStream_tbPNSt15iterator_traitsISK_E10value_typeEPNSQ_ISL_E10value_typeEPSM_NS1_7vsmem_tEENKUlT_SK_SL_SM_E_clISE_PiSF_SF_EESJ_SZ_SK_SL_SM_EUlSZ_E_NS1_11comp_targetILNS1_3genE0ELNS1_11target_archE4294967295ELNS1_3gpuE0ELNS1_3repE0EEENS1_48merge_mergepath_partition_config_static_selectorELNS0_4arch9wavefront6targetE0EEEvSL_.uses_vcc, 0
	.set _ZN7rocprim17ROCPRIM_400000_NS6detail17trampoline_kernelINS0_14default_configENS1_38merge_sort_block_merge_config_selectorIiNS0_10empty_typeEEEZZNS1_27merge_sort_block_merge_implIS3_N6thrust23THRUST_200600_302600_NS6detail15normal_iteratorINS9_10device_ptrIiEEEEPS5_jNS1_19radix_merge_compareILb0ELb0EiNS0_19identity_decomposerEEEEE10hipError_tT0_T1_T2_jT3_P12ihipStream_tbPNSt15iterator_traitsISK_E10value_typeEPNSQ_ISL_E10value_typeEPSM_NS1_7vsmem_tEENKUlT_SK_SL_SM_E_clISE_PiSF_SF_EESJ_SZ_SK_SL_SM_EUlSZ_E_NS1_11comp_targetILNS1_3genE0ELNS1_11target_archE4294967295ELNS1_3gpuE0ELNS1_3repE0EEENS1_48merge_mergepath_partition_config_static_selectorELNS0_4arch9wavefront6targetE0EEEvSL_.uses_flat_scratch, 0
	.set _ZN7rocprim17ROCPRIM_400000_NS6detail17trampoline_kernelINS0_14default_configENS1_38merge_sort_block_merge_config_selectorIiNS0_10empty_typeEEEZZNS1_27merge_sort_block_merge_implIS3_N6thrust23THRUST_200600_302600_NS6detail15normal_iteratorINS9_10device_ptrIiEEEEPS5_jNS1_19radix_merge_compareILb0ELb0EiNS0_19identity_decomposerEEEEE10hipError_tT0_T1_T2_jT3_P12ihipStream_tbPNSt15iterator_traitsISK_E10value_typeEPNSQ_ISL_E10value_typeEPSM_NS1_7vsmem_tEENKUlT_SK_SL_SM_E_clISE_PiSF_SF_EESJ_SZ_SK_SL_SM_EUlSZ_E_NS1_11comp_targetILNS1_3genE0ELNS1_11target_archE4294967295ELNS1_3gpuE0ELNS1_3repE0EEENS1_48merge_mergepath_partition_config_static_selectorELNS0_4arch9wavefront6targetE0EEEvSL_.has_dyn_sized_stack, 0
	.set _ZN7rocprim17ROCPRIM_400000_NS6detail17trampoline_kernelINS0_14default_configENS1_38merge_sort_block_merge_config_selectorIiNS0_10empty_typeEEEZZNS1_27merge_sort_block_merge_implIS3_N6thrust23THRUST_200600_302600_NS6detail15normal_iteratorINS9_10device_ptrIiEEEEPS5_jNS1_19radix_merge_compareILb0ELb0EiNS0_19identity_decomposerEEEEE10hipError_tT0_T1_T2_jT3_P12ihipStream_tbPNSt15iterator_traitsISK_E10value_typeEPNSQ_ISL_E10value_typeEPSM_NS1_7vsmem_tEENKUlT_SK_SL_SM_E_clISE_PiSF_SF_EESJ_SZ_SK_SL_SM_EUlSZ_E_NS1_11comp_targetILNS1_3genE0ELNS1_11target_archE4294967295ELNS1_3gpuE0ELNS1_3repE0EEENS1_48merge_mergepath_partition_config_static_selectorELNS0_4arch9wavefront6targetE0EEEvSL_.has_recursion, 0
	.set _ZN7rocprim17ROCPRIM_400000_NS6detail17trampoline_kernelINS0_14default_configENS1_38merge_sort_block_merge_config_selectorIiNS0_10empty_typeEEEZZNS1_27merge_sort_block_merge_implIS3_N6thrust23THRUST_200600_302600_NS6detail15normal_iteratorINS9_10device_ptrIiEEEEPS5_jNS1_19radix_merge_compareILb0ELb0EiNS0_19identity_decomposerEEEEE10hipError_tT0_T1_T2_jT3_P12ihipStream_tbPNSt15iterator_traitsISK_E10value_typeEPNSQ_ISL_E10value_typeEPSM_NS1_7vsmem_tEENKUlT_SK_SL_SM_E_clISE_PiSF_SF_EESJ_SZ_SK_SL_SM_EUlSZ_E_NS1_11comp_targetILNS1_3genE0ELNS1_11target_archE4294967295ELNS1_3gpuE0ELNS1_3repE0EEENS1_48merge_mergepath_partition_config_static_selectorELNS0_4arch9wavefront6targetE0EEEvSL_.has_indirect_call, 0
	.section	.AMDGPU.csdata,"",@progbits
; Kernel info:
; codeLenInByte = 0
; TotalNumSgprs: 0
; NumVgprs: 0
; ScratchSize: 0
; MemoryBound: 0
; FloatMode: 240
; IeeeMode: 1
; LDSByteSize: 0 bytes/workgroup (compile time only)
; SGPRBlocks: 0
; VGPRBlocks: 0
; NumSGPRsForWavesPerEU: 1
; NumVGPRsForWavesPerEU: 1
; Occupancy: 16
; WaveLimiterHint : 0
; COMPUTE_PGM_RSRC2:SCRATCH_EN: 0
; COMPUTE_PGM_RSRC2:USER_SGPR: 6
; COMPUTE_PGM_RSRC2:TRAP_HANDLER: 0
; COMPUTE_PGM_RSRC2:TGID_X_EN: 1
; COMPUTE_PGM_RSRC2:TGID_Y_EN: 0
; COMPUTE_PGM_RSRC2:TGID_Z_EN: 0
; COMPUTE_PGM_RSRC2:TIDIG_COMP_CNT: 0
	.section	.text._ZN7rocprim17ROCPRIM_400000_NS6detail17trampoline_kernelINS0_14default_configENS1_38merge_sort_block_merge_config_selectorIiNS0_10empty_typeEEEZZNS1_27merge_sort_block_merge_implIS3_N6thrust23THRUST_200600_302600_NS6detail15normal_iteratorINS9_10device_ptrIiEEEEPS5_jNS1_19radix_merge_compareILb0ELb0EiNS0_19identity_decomposerEEEEE10hipError_tT0_T1_T2_jT3_P12ihipStream_tbPNSt15iterator_traitsISK_E10value_typeEPNSQ_ISL_E10value_typeEPSM_NS1_7vsmem_tEENKUlT_SK_SL_SM_E_clISE_PiSF_SF_EESJ_SZ_SK_SL_SM_EUlSZ_E_NS1_11comp_targetILNS1_3genE10ELNS1_11target_archE1201ELNS1_3gpuE5ELNS1_3repE0EEENS1_48merge_mergepath_partition_config_static_selectorELNS0_4arch9wavefront6targetE0EEEvSL_,"axG",@progbits,_ZN7rocprim17ROCPRIM_400000_NS6detail17trampoline_kernelINS0_14default_configENS1_38merge_sort_block_merge_config_selectorIiNS0_10empty_typeEEEZZNS1_27merge_sort_block_merge_implIS3_N6thrust23THRUST_200600_302600_NS6detail15normal_iteratorINS9_10device_ptrIiEEEEPS5_jNS1_19radix_merge_compareILb0ELb0EiNS0_19identity_decomposerEEEEE10hipError_tT0_T1_T2_jT3_P12ihipStream_tbPNSt15iterator_traitsISK_E10value_typeEPNSQ_ISL_E10value_typeEPSM_NS1_7vsmem_tEENKUlT_SK_SL_SM_E_clISE_PiSF_SF_EESJ_SZ_SK_SL_SM_EUlSZ_E_NS1_11comp_targetILNS1_3genE10ELNS1_11target_archE1201ELNS1_3gpuE5ELNS1_3repE0EEENS1_48merge_mergepath_partition_config_static_selectorELNS0_4arch9wavefront6targetE0EEEvSL_,comdat
	.protected	_ZN7rocprim17ROCPRIM_400000_NS6detail17trampoline_kernelINS0_14default_configENS1_38merge_sort_block_merge_config_selectorIiNS0_10empty_typeEEEZZNS1_27merge_sort_block_merge_implIS3_N6thrust23THRUST_200600_302600_NS6detail15normal_iteratorINS9_10device_ptrIiEEEEPS5_jNS1_19radix_merge_compareILb0ELb0EiNS0_19identity_decomposerEEEEE10hipError_tT0_T1_T2_jT3_P12ihipStream_tbPNSt15iterator_traitsISK_E10value_typeEPNSQ_ISL_E10value_typeEPSM_NS1_7vsmem_tEENKUlT_SK_SL_SM_E_clISE_PiSF_SF_EESJ_SZ_SK_SL_SM_EUlSZ_E_NS1_11comp_targetILNS1_3genE10ELNS1_11target_archE1201ELNS1_3gpuE5ELNS1_3repE0EEENS1_48merge_mergepath_partition_config_static_selectorELNS0_4arch9wavefront6targetE0EEEvSL_ ; -- Begin function _ZN7rocprim17ROCPRIM_400000_NS6detail17trampoline_kernelINS0_14default_configENS1_38merge_sort_block_merge_config_selectorIiNS0_10empty_typeEEEZZNS1_27merge_sort_block_merge_implIS3_N6thrust23THRUST_200600_302600_NS6detail15normal_iteratorINS9_10device_ptrIiEEEEPS5_jNS1_19radix_merge_compareILb0ELb0EiNS0_19identity_decomposerEEEEE10hipError_tT0_T1_T2_jT3_P12ihipStream_tbPNSt15iterator_traitsISK_E10value_typeEPNSQ_ISL_E10value_typeEPSM_NS1_7vsmem_tEENKUlT_SK_SL_SM_E_clISE_PiSF_SF_EESJ_SZ_SK_SL_SM_EUlSZ_E_NS1_11comp_targetILNS1_3genE10ELNS1_11target_archE1201ELNS1_3gpuE5ELNS1_3repE0EEENS1_48merge_mergepath_partition_config_static_selectorELNS0_4arch9wavefront6targetE0EEEvSL_
	.globl	_ZN7rocprim17ROCPRIM_400000_NS6detail17trampoline_kernelINS0_14default_configENS1_38merge_sort_block_merge_config_selectorIiNS0_10empty_typeEEEZZNS1_27merge_sort_block_merge_implIS3_N6thrust23THRUST_200600_302600_NS6detail15normal_iteratorINS9_10device_ptrIiEEEEPS5_jNS1_19radix_merge_compareILb0ELb0EiNS0_19identity_decomposerEEEEE10hipError_tT0_T1_T2_jT3_P12ihipStream_tbPNSt15iterator_traitsISK_E10value_typeEPNSQ_ISL_E10value_typeEPSM_NS1_7vsmem_tEENKUlT_SK_SL_SM_E_clISE_PiSF_SF_EESJ_SZ_SK_SL_SM_EUlSZ_E_NS1_11comp_targetILNS1_3genE10ELNS1_11target_archE1201ELNS1_3gpuE5ELNS1_3repE0EEENS1_48merge_mergepath_partition_config_static_selectorELNS0_4arch9wavefront6targetE0EEEvSL_
	.p2align	8
	.type	_ZN7rocprim17ROCPRIM_400000_NS6detail17trampoline_kernelINS0_14default_configENS1_38merge_sort_block_merge_config_selectorIiNS0_10empty_typeEEEZZNS1_27merge_sort_block_merge_implIS3_N6thrust23THRUST_200600_302600_NS6detail15normal_iteratorINS9_10device_ptrIiEEEEPS5_jNS1_19radix_merge_compareILb0ELb0EiNS0_19identity_decomposerEEEEE10hipError_tT0_T1_T2_jT3_P12ihipStream_tbPNSt15iterator_traitsISK_E10value_typeEPNSQ_ISL_E10value_typeEPSM_NS1_7vsmem_tEENKUlT_SK_SL_SM_E_clISE_PiSF_SF_EESJ_SZ_SK_SL_SM_EUlSZ_E_NS1_11comp_targetILNS1_3genE10ELNS1_11target_archE1201ELNS1_3gpuE5ELNS1_3repE0EEENS1_48merge_mergepath_partition_config_static_selectorELNS0_4arch9wavefront6targetE0EEEvSL_,@function
_ZN7rocprim17ROCPRIM_400000_NS6detail17trampoline_kernelINS0_14default_configENS1_38merge_sort_block_merge_config_selectorIiNS0_10empty_typeEEEZZNS1_27merge_sort_block_merge_implIS3_N6thrust23THRUST_200600_302600_NS6detail15normal_iteratorINS9_10device_ptrIiEEEEPS5_jNS1_19radix_merge_compareILb0ELb0EiNS0_19identity_decomposerEEEEE10hipError_tT0_T1_T2_jT3_P12ihipStream_tbPNSt15iterator_traitsISK_E10value_typeEPNSQ_ISL_E10value_typeEPSM_NS1_7vsmem_tEENKUlT_SK_SL_SM_E_clISE_PiSF_SF_EESJ_SZ_SK_SL_SM_EUlSZ_E_NS1_11comp_targetILNS1_3genE10ELNS1_11target_archE1201ELNS1_3gpuE5ELNS1_3repE0EEENS1_48merge_mergepath_partition_config_static_selectorELNS0_4arch9wavefront6targetE0EEEvSL_: ; @_ZN7rocprim17ROCPRIM_400000_NS6detail17trampoline_kernelINS0_14default_configENS1_38merge_sort_block_merge_config_selectorIiNS0_10empty_typeEEEZZNS1_27merge_sort_block_merge_implIS3_N6thrust23THRUST_200600_302600_NS6detail15normal_iteratorINS9_10device_ptrIiEEEEPS5_jNS1_19radix_merge_compareILb0ELb0EiNS0_19identity_decomposerEEEEE10hipError_tT0_T1_T2_jT3_P12ihipStream_tbPNSt15iterator_traitsISK_E10value_typeEPNSQ_ISL_E10value_typeEPSM_NS1_7vsmem_tEENKUlT_SK_SL_SM_E_clISE_PiSF_SF_EESJ_SZ_SK_SL_SM_EUlSZ_E_NS1_11comp_targetILNS1_3genE10ELNS1_11target_archE1201ELNS1_3gpuE5ELNS1_3repE0EEENS1_48merge_mergepath_partition_config_static_selectorELNS0_4arch9wavefront6targetE0EEEvSL_
; %bb.0:
	.section	.rodata,"a",@progbits
	.p2align	6, 0x0
	.amdhsa_kernel _ZN7rocprim17ROCPRIM_400000_NS6detail17trampoline_kernelINS0_14default_configENS1_38merge_sort_block_merge_config_selectorIiNS0_10empty_typeEEEZZNS1_27merge_sort_block_merge_implIS3_N6thrust23THRUST_200600_302600_NS6detail15normal_iteratorINS9_10device_ptrIiEEEEPS5_jNS1_19radix_merge_compareILb0ELb0EiNS0_19identity_decomposerEEEEE10hipError_tT0_T1_T2_jT3_P12ihipStream_tbPNSt15iterator_traitsISK_E10value_typeEPNSQ_ISL_E10value_typeEPSM_NS1_7vsmem_tEENKUlT_SK_SL_SM_E_clISE_PiSF_SF_EESJ_SZ_SK_SL_SM_EUlSZ_E_NS1_11comp_targetILNS1_3genE10ELNS1_11target_archE1201ELNS1_3gpuE5ELNS1_3repE0EEENS1_48merge_mergepath_partition_config_static_selectorELNS0_4arch9wavefront6targetE0EEEvSL_
		.amdhsa_group_segment_fixed_size 0
		.amdhsa_private_segment_fixed_size 0
		.amdhsa_kernarg_size 40
		.amdhsa_user_sgpr_count 6
		.amdhsa_user_sgpr_private_segment_buffer 1
		.amdhsa_user_sgpr_dispatch_ptr 0
		.amdhsa_user_sgpr_queue_ptr 0
		.amdhsa_user_sgpr_kernarg_segment_ptr 1
		.amdhsa_user_sgpr_dispatch_id 0
		.amdhsa_user_sgpr_flat_scratch_init 0
		.amdhsa_user_sgpr_private_segment_size 0
		.amdhsa_wavefront_size32 1
		.amdhsa_uses_dynamic_stack 0
		.amdhsa_system_sgpr_private_segment_wavefront_offset 0
		.amdhsa_system_sgpr_workgroup_id_x 1
		.amdhsa_system_sgpr_workgroup_id_y 0
		.amdhsa_system_sgpr_workgroup_id_z 0
		.amdhsa_system_sgpr_workgroup_info 0
		.amdhsa_system_vgpr_workitem_id 0
		.amdhsa_next_free_vgpr 1
		.amdhsa_next_free_sgpr 1
		.amdhsa_reserve_vcc 0
		.amdhsa_reserve_flat_scratch 0
		.amdhsa_float_round_mode_32 0
		.amdhsa_float_round_mode_16_64 0
		.amdhsa_float_denorm_mode_32 3
		.amdhsa_float_denorm_mode_16_64 3
		.amdhsa_dx10_clamp 1
		.amdhsa_ieee_mode 1
		.amdhsa_fp16_overflow 0
		.amdhsa_workgroup_processor_mode 1
		.amdhsa_memory_ordered 1
		.amdhsa_forward_progress 1
		.amdhsa_shared_vgpr_count 0
		.amdhsa_exception_fp_ieee_invalid_op 0
		.amdhsa_exception_fp_denorm_src 0
		.amdhsa_exception_fp_ieee_div_zero 0
		.amdhsa_exception_fp_ieee_overflow 0
		.amdhsa_exception_fp_ieee_underflow 0
		.amdhsa_exception_fp_ieee_inexact 0
		.amdhsa_exception_int_div_zero 0
	.end_amdhsa_kernel
	.section	.text._ZN7rocprim17ROCPRIM_400000_NS6detail17trampoline_kernelINS0_14default_configENS1_38merge_sort_block_merge_config_selectorIiNS0_10empty_typeEEEZZNS1_27merge_sort_block_merge_implIS3_N6thrust23THRUST_200600_302600_NS6detail15normal_iteratorINS9_10device_ptrIiEEEEPS5_jNS1_19radix_merge_compareILb0ELb0EiNS0_19identity_decomposerEEEEE10hipError_tT0_T1_T2_jT3_P12ihipStream_tbPNSt15iterator_traitsISK_E10value_typeEPNSQ_ISL_E10value_typeEPSM_NS1_7vsmem_tEENKUlT_SK_SL_SM_E_clISE_PiSF_SF_EESJ_SZ_SK_SL_SM_EUlSZ_E_NS1_11comp_targetILNS1_3genE10ELNS1_11target_archE1201ELNS1_3gpuE5ELNS1_3repE0EEENS1_48merge_mergepath_partition_config_static_selectorELNS0_4arch9wavefront6targetE0EEEvSL_,"axG",@progbits,_ZN7rocprim17ROCPRIM_400000_NS6detail17trampoline_kernelINS0_14default_configENS1_38merge_sort_block_merge_config_selectorIiNS0_10empty_typeEEEZZNS1_27merge_sort_block_merge_implIS3_N6thrust23THRUST_200600_302600_NS6detail15normal_iteratorINS9_10device_ptrIiEEEEPS5_jNS1_19radix_merge_compareILb0ELb0EiNS0_19identity_decomposerEEEEE10hipError_tT0_T1_T2_jT3_P12ihipStream_tbPNSt15iterator_traitsISK_E10value_typeEPNSQ_ISL_E10value_typeEPSM_NS1_7vsmem_tEENKUlT_SK_SL_SM_E_clISE_PiSF_SF_EESJ_SZ_SK_SL_SM_EUlSZ_E_NS1_11comp_targetILNS1_3genE10ELNS1_11target_archE1201ELNS1_3gpuE5ELNS1_3repE0EEENS1_48merge_mergepath_partition_config_static_selectorELNS0_4arch9wavefront6targetE0EEEvSL_,comdat
.Lfunc_end44:
	.size	_ZN7rocprim17ROCPRIM_400000_NS6detail17trampoline_kernelINS0_14default_configENS1_38merge_sort_block_merge_config_selectorIiNS0_10empty_typeEEEZZNS1_27merge_sort_block_merge_implIS3_N6thrust23THRUST_200600_302600_NS6detail15normal_iteratorINS9_10device_ptrIiEEEEPS5_jNS1_19radix_merge_compareILb0ELb0EiNS0_19identity_decomposerEEEEE10hipError_tT0_T1_T2_jT3_P12ihipStream_tbPNSt15iterator_traitsISK_E10value_typeEPNSQ_ISL_E10value_typeEPSM_NS1_7vsmem_tEENKUlT_SK_SL_SM_E_clISE_PiSF_SF_EESJ_SZ_SK_SL_SM_EUlSZ_E_NS1_11comp_targetILNS1_3genE10ELNS1_11target_archE1201ELNS1_3gpuE5ELNS1_3repE0EEENS1_48merge_mergepath_partition_config_static_selectorELNS0_4arch9wavefront6targetE0EEEvSL_, .Lfunc_end44-_ZN7rocprim17ROCPRIM_400000_NS6detail17trampoline_kernelINS0_14default_configENS1_38merge_sort_block_merge_config_selectorIiNS0_10empty_typeEEEZZNS1_27merge_sort_block_merge_implIS3_N6thrust23THRUST_200600_302600_NS6detail15normal_iteratorINS9_10device_ptrIiEEEEPS5_jNS1_19radix_merge_compareILb0ELb0EiNS0_19identity_decomposerEEEEE10hipError_tT0_T1_T2_jT3_P12ihipStream_tbPNSt15iterator_traitsISK_E10value_typeEPNSQ_ISL_E10value_typeEPSM_NS1_7vsmem_tEENKUlT_SK_SL_SM_E_clISE_PiSF_SF_EESJ_SZ_SK_SL_SM_EUlSZ_E_NS1_11comp_targetILNS1_3genE10ELNS1_11target_archE1201ELNS1_3gpuE5ELNS1_3repE0EEENS1_48merge_mergepath_partition_config_static_selectorELNS0_4arch9wavefront6targetE0EEEvSL_
                                        ; -- End function
	.set _ZN7rocprim17ROCPRIM_400000_NS6detail17trampoline_kernelINS0_14default_configENS1_38merge_sort_block_merge_config_selectorIiNS0_10empty_typeEEEZZNS1_27merge_sort_block_merge_implIS3_N6thrust23THRUST_200600_302600_NS6detail15normal_iteratorINS9_10device_ptrIiEEEEPS5_jNS1_19radix_merge_compareILb0ELb0EiNS0_19identity_decomposerEEEEE10hipError_tT0_T1_T2_jT3_P12ihipStream_tbPNSt15iterator_traitsISK_E10value_typeEPNSQ_ISL_E10value_typeEPSM_NS1_7vsmem_tEENKUlT_SK_SL_SM_E_clISE_PiSF_SF_EESJ_SZ_SK_SL_SM_EUlSZ_E_NS1_11comp_targetILNS1_3genE10ELNS1_11target_archE1201ELNS1_3gpuE5ELNS1_3repE0EEENS1_48merge_mergepath_partition_config_static_selectorELNS0_4arch9wavefront6targetE0EEEvSL_.num_vgpr, 0
	.set _ZN7rocprim17ROCPRIM_400000_NS6detail17trampoline_kernelINS0_14default_configENS1_38merge_sort_block_merge_config_selectorIiNS0_10empty_typeEEEZZNS1_27merge_sort_block_merge_implIS3_N6thrust23THRUST_200600_302600_NS6detail15normal_iteratorINS9_10device_ptrIiEEEEPS5_jNS1_19radix_merge_compareILb0ELb0EiNS0_19identity_decomposerEEEEE10hipError_tT0_T1_T2_jT3_P12ihipStream_tbPNSt15iterator_traitsISK_E10value_typeEPNSQ_ISL_E10value_typeEPSM_NS1_7vsmem_tEENKUlT_SK_SL_SM_E_clISE_PiSF_SF_EESJ_SZ_SK_SL_SM_EUlSZ_E_NS1_11comp_targetILNS1_3genE10ELNS1_11target_archE1201ELNS1_3gpuE5ELNS1_3repE0EEENS1_48merge_mergepath_partition_config_static_selectorELNS0_4arch9wavefront6targetE0EEEvSL_.num_agpr, 0
	.set _ZN7rocprim17ROCPRIM_400000_NS6detail17trampoline_kernelINS0_14default_configENS1_38merge_sort_block_merge_config_selectorIiNS0_10empty_typeEEEZZNS1_27merge_sort_block_merge_implIS3_N6thrust23THRUST_200600_302600_NS6detail15normal_iteratorINS9_10device_ptrIiEEEEPS5_jNS1_19radix_merge_compareILb0ELb0EiNS0_19identity_decomposerEEEEE10hipError_tT0_T1_T2_jT3_P12ihipStream_tbPNSt15iterator_traitsISK_E10value_typeEPNSQ_ISL_E10value_typeEPSM_NS1_7vsmem_tEENKUlT_SK_SL_SM_E_clISE_PiSF_SF_EESJ_SZ_SK_SL_SM_EUlSZ_E_NS1_11comp_targetILNS1_3genE10ELNS1_11target_archE1201ELNS1_3gpuE5ELNS1_3repE0EEENS1_48merge_mergepath_partition_config_static_selectorELNS0_4arch9wavefront6targetE0EEEvSL_.numbered_sgpr, 0
	.set _ZN7rocprim17ROCPRIM_400000_NS6detail17trampoline_kernelINS0_14default_configENS1_38merge_sort_block_merge_config_selectorIiNS0_10empty_typeEEEZZNS1_27merge_sort_block_merge_implIS3_N6thrust23THRUST_200600_302600_NS6detail15normal_iteratorINS9_10device_ptrIiEEEEPS5_jNS1_19radix_merge_compareILb0ELb0EiNS0_19identity_decomposerEEEEE10hipError_tT0_T1_T2_jT3_P12ihipStream_tbPNSt15iterator_traitsISK_E10value_typeEPNSQ_ISL_E10value_typeEPSM_NS1_7vsmem_tEENKUlT_SK_SL_SM_E_clISE_PiSF_SF_EESJ_SZ_SK_SL_SM_EUlSZ_E_NS1_11comp_targetILNS1_3genE10ELNS1_11target_archE1201ELNS1_3gpuE5ELNS1_3repE0EEENS1_48merge_mergepath_partition_config_static_selectorELNS0_4arch9wavefront6targetE0EEEvSL_.num_named_barrier, 0
	.set _ZN7rocprim17ROCPRIM_400000_NS6detail17trampoline_kernelINS0_14default_configENS1_38merge_sort_block_merge_config_selectorIiNS0_10empty_typeEEEZZNS1_27merge_sort_block_merge_implIS3_N6thrust23THRUST_200600_302600_NS6detail15normal_iteratorINS9_10device_ptrIiEEEEPS5_jNS1_19radix_merge_compareILb0ELb0EiNS0_19identity_decomposerEEEEE10hipError_tT0_T1_T2_jT3_P12ihipStream_tbPNSt15iterator_traitsISK_E10value_typeEPNSQ_ISL_E10value_typeEPSM_NS1_7vsmem_tEENKUlT_SK_SL_SM_E_clISE_PiSF_SF_EESJ_SZ_SK_SL_SM_EUlSZ_E_NS1_11comp_targetILNS1_3genE10ELNS1_11target_archE1201ELNS1_3gpuE5ELNS1_3repE0EEENS1_48merge_mergepath_partition_config_static_selectorELNS0_4arch9wavefront6targetE0EEEvSL_.private_seg_size, 0
	.set _ZN7rocprim17ROCPRIM_400000_NS6detail17trampoline_kernelINS0_14default_configENS1_38merge_sort_block_merge_config_selectorIiNS0_10empty_typeEEEZZNS1_27merge_sort_block_merge_implIS3_N6thrust23THRUST_200600_302600_NS6detail15normal_iteratorINS9_10device_ptrIiEEEEPS5_jNS1_19radix_merge_compareILb0ELb0EiNS0_19identity_decomposerEEEEE10hipError_tT0_T1_T2_jT3_P12ihipStream_tbPNSt15iterator_traitsISK_E10value_typeEPNSQ_ISL_E10value_typeEPSM_NS1_7vsmem_tEENKUlT_SK_SL_SM_E_clISE_PiSF_SF_EESJ_SZ_SK_SL_SM_EUlSZ_E_NS1_11comp_targetILNS1_3genE10ELNS1_11target_archE1201ELNS1_3gpuE5ELNS1_3repE0EEENS1_48merge_mergepath_partition_config_static_selectorELNS0_4arch9wavefront6targetE0EEEvSL_.uses_vcc, 0
	.set _ZN7rocprim17ROCPRIM_400000_NS6detail17trampoline_kernelINS0_14default_configENS1_38merge_sort_block_merge_config_selectorIiNS0_10empty_typeEEEZZNS1_27merge_sort_block_merge_implIS3_N6thrust23THRUST_200600_302600_NS6detail15normal_iteratorINS9_10device_ptrIiEEEEPS5_jNS1_19radix_merge_compareILb0ELb0EiNS0_19identity_decomposerEEEEE10hipError_tT0_T1_T2_jT3_P12ihipStream_tbPNSt15iterator_traitsISK_E10value_typeEPNSQ_ISL_E10value_typeEPSM_NS1_7vsmem_tEENKUlT_SK_SL_SM_E_clISE_PiSF_SF_EESJ_SZ_SK_SL_SM_EUlSZ_E_NS1_11comp_targetILNS1_3genE10ELNS1_11target_archE1201ELNS1_3gpuE5ELNS1_3repE0EEENS1_48merge_mergepath_partition_config_static_selectorELNS0_4arch9wavefront6targetE0EEEvSL_.uses_flat_scratch, 0
	.set _ZN7rocprim17ROCPRIM_400000_NS6detail17trampoline_kernelINS0_14default_configENS1_38merge_sort_block_merge_config_selectorIiNS0_10empty_typeEEEZZNS1_27merge_sort_block_merge_implIS3_N6thrust23THRUST_200600_302600_NS6detail15normal_iteratorINS9_10device_ptrIiEEEEPS5_jNS1_19radix_merge_compareILb0ELb0EiNS0_19identity_decomposerEEEEE10hipError_tT0_T1_T2_jT3_P12ihipStream_tbPNSt15iterator_traitsISK_E10value_typeEPNSQ_ISL_E10value_typeEPSM_NS1_7vsmem_tEENKUlT_SK_SL_SM_E_clISE_PiSF_SF_EESJ_SZ_SK_SL_SM_EUlSZ_E_NS1_11comp_targetILNS1_3genE10ELNS1_11target_archE1201ELNS1_3gpuE5ELNS1_3repE0EEENS1_48merge_mergepath_partition_config_static_selectorELNS0_4arch9wavefront6targetE0EEEvSL_.has_dyn_sized_stack, 0
	.set _ZN7rocprim17ROCPRIM_400000_NS6detail17trampoline_kernelINS0_14default_configENS1_38merge_sort_block_merge_config_selectorIiNS0_10empty_typeEEEZZNS1_27merge_sort_block_merge_implIS3_N6thrust23THRUST_200600_302600_NS6detail15normal_iteratorINS9_10device_ptrIiEEEEPS5_jNS1_19radix_merge_compareILb0ELb0EiNS0_19identity_decomposerEEEEE10hipError_tT0_T1_T2_jT3_P12ihipStream_tbPNSt15iterator_traitsISK_E10value_typeEPNSQ_ISL_E10value_typeEPSM_NS1_7vsmem_tEENKUlT_SK_SL_SM_E_clISE_PiSF_SF_EESJ_SZ_SK_SL_SM_EUlSZ_E_NS1_11comp_targetILNS1_3genE10ELNS1_11target_archE1201ELNS1_3gpuE5ELNS1_3repE0EEENS1_48merge_mergepath_partition_config_static_selectorELNS0_4arch9wavefront6targetE0EEEvSL_.has_recursion, 0
	.set _ZN7rocprim17ROCPRIM_400000_NS6detail17trampoline_kernelINS0_14default_configENS1_38merge_sort_block_merge_config_selectorIiNS0_10empty_typeEEEZZNS1_27merge_sort_block_merge_implIS3_N6thrust23THRUST_200600_302600_NS6detail15normal_iteratorINS9_10device_ptrIiEEEEPS5_jNS1_19radix_merge_compareILb0ELb0EiNS0_19identity_decomposerEEEEE10hipError_tT0_T1_T2_jT3_P12ihipStream_tbPNSt15iterator_traitsISK_E10value_typeEPNSQ_ISL_E10value_typeEPSM_NS1_7vsmem_tEENKUlT_SK_SL_SM_E_clISE_PiSF_SF_EESJ_SZ_SK_SL_SM_EUlSZ_E_NS1_11comp_targetILNS1_3genE10ELNS1_11target_archE1201ELNS1_3gpuE5ELNS1_3repE0EEENS1_48merge_mergepath_partition_config_static_selectorELNS0_4arch9wavefront6targetE0EEEvSL_.has_indirect_call, 0
	.section	.AMDGPU.csdata,"",@progbits
; Kernel info:
; codeLenInByte = 0
; TotalNumSgprs: 0
; NumVgprs: 0
; ScratchSize: 0
; MemoryBound: 0
; FloatMode: 240
; IeeeMode: 1
; LDSByteSize: 0 bytes/workgroup (compile time only)
; SGPRBlocks: 0
; VGPRBlocks: 0
; NumSGPRsForWavesPerEU: 1
; NumVGPRsForWavesPerEU: 1
; Occupancy: 16
; WaveLimiterHint : 0
; COMPUTE_PGM_RSRC2:SCRATCH_EN: 0
; COMPUTE_PGM_RSRC2:USER_SGPR: 6
; COMPUTE_PGM_RSRC2:TRAP_HANDLER: 0
; COMPUTE_PGM_RSRC2:TGID_X_EN: 1
; COMPUTE_PGM_RSRC2:TGID_Y_EN: 0
; COMPUTE_PGM_RSRC2:TGID_Z_EN: 0
; COMPUTE_PGM_RSRC2:TIDIG_COMP_CNT: 0
	.section	.text._ZN7rocprim17ROCPRIM_400000_NS6detail17trampoline_kernelINS0_14default_configENS1_38merge_sort_block_merge_config_selectorIiNS0_10empty_typeEEEZZNS1_27merge_sort_block_merge_implIS3_N6thrust23THRUST_200600_302600_NS6detail15normal_iteratorINS9_10device_ptrIiEEEEPS5_jNS1_19radix_merge_compareILb0ELb0EiNS0_19identity_decomposerEEEEE10hipError_tT0_T1_T2_jT3_P12ihipStream_tbPNSt15iterator_traitsISK_E10value_typeEPNSQ_ISL_E10value_typeEPSM_NS1_7vsmem_tEENKUlT_SK_SL_SM_E_clISE_PiSF_SF_EESJ_SZ_SK_SL_SM_EUlSZ_E_NS1_11comp_targetILNS1_3genE5ELNS1_11target_archE942ELNS1_3gpuE9ELNS1_3repE0EEENS1_48merge_mergepath_partition_config_static_selectorELNS0_4arch9wavefront6targetE0EEEvSL_,"axG",@progbits,_ZN7rocprim17ROCPRIM_400000_NS6detail17trampoline_kernelINS0_14default_configENS1_38merge_sort_block_merge_config_selectorIiNS0_10empty_typeEEEZZNS1_27merge_sort_block_merge_implIS3_N6thrust23THRUST_200600_302600_NS6detail15normal_iteratorINS9_10device_ptrIiEEEEPS5_jNS1_19radix_merge_compareILb0ELb0EiNS0_19identity_decomposerEEEEE10hipError_tT0_T1_T2_jT3_P12ihipStream_tbPNSt15iterator_traitsISK_E10value_typeEPNSQ_ISL_E10value_typeEPSM_NS1_7vsmem_tEENKUlT_SK_SL_SM_E_clISE_PiSF_SF_EESJ_SZ_SK_SL_SM_EUlSZ_E_NS1_11comp_targetILNS1_3genE5ELNS1_11target_archE942ELNS1_3gpuE9ELNS1_3repE0EEENS1_48merge_mergepath_partition_config_static_selectorELNS0_4arch9wavefront6targetE0EEEvSL_,comdat
	.protected	_ZN7rocprim17ROCPRIM_400000_NS6detail17trampoline_kernelINS0_14default_configENS1_38merge_sort_block_merge_config_selectorIiNS0_10empty_typeEEEZZNS1_27merge_sort_block_merge_implIS3_N6thrust23THRUST_200600_302600_NS6detail15normal_iteratorINS9_10device_ptrIiEEEEPS5_jNS1_19radix_merge_compareILb0ELb0EiNS0_19identity_decomposerEEEEE10hipError_tT0_T1_T2_jT3_P12ihipStream_tbPNSt15iterator_traitsISK_E10value_typeEPNSQ_ISL_E10value_typeEPSM_NS1_7vsmem_tEENKUlT_SK_SL_SM_E_clISE_PiSF_SF_EESJ_SZ_SK_SL_SM_EUlSZ_E_NS1_11comp_targetILNS1_3genE5ELNS1_11target_archE942ELNS1_3gpuE9ELNS1_3repE0EEENS1_48merge_mergepath_partition_config_static_selectorELNS0_4arch9wavefront6targetE0EEEvSL_ ; -- Begin function _ZN7rocprim17ROCPRIM_400000_NS6detail17trampoline_kernelINS0_14default_configENS1_38merge_sort_block_merge_config_selectorIiNS0_10empty_typeEEEZZNS1_27merge_sort_block_merge_implIS3_N6thrust23THRUST_200600_302600_NS6detail15normal_iteratorINS9_10device_ptrIiEEEEPS5_jNS1_19radix_merge_compareILb0ELb0EiNS0_19identity_decomposerEEEEE10hipError_tT0_T1_T2_jT3_P12ihipStream_tbPNSt15iterator_traitsISK_E10value_typeEPNSQ_ISL_E10value_typeEPSM_NS1_7vsmem_tEENKUlT_SK_SL_SM_E_clISE_PiSF_SF_EESJ_SZ_SK_SL_SM_EUlSZ_E_NS1_11comp_targetILNS1_3genE5ELNS1_11target_archE942ELNS1_3gpuE9ELNS1_3repE0EEENS1_48merge_mergepath_partition_config_static_selectorELNS0_4arch9wavefront6targetE0EEEvSL_
	.globl	_ZN7rocprim17ROCPRIM_400000_NS6detail17trampoline_kernelINS0_14default_configENS1_38merge_sort_block_merge_config_selectorIiNS0_10empty_typeEEEZZNS1_27merge_sort_block_merge_implIS3_N6thrust23THRUST_200600_302600_NS6detail15normal_iteratorINS9_10device_ptrIiEEEEPS5_jNS1_19radix_merge_compareILb0ELb0EiNS0_19identity_decomposerEEEEE10hipError_tT0_T1_T2_jT3_P12ihipStream_tbPNSt15iterator_traitsISK_E10value_typeEPNSQ_ISL_E10value_typeEPSM_NS1_7vsmem_tEENKUlT_SK_SL_SM_E_clISE_PiSF_SF_EESJ_SZ_SK_SL_SM_EUlSZ_E_NS1_11comp_targetILNS1_3genE5ELNS1_11target_archE942ELNS1_3gpuE9ELNS1_3repE0EEENS1_48merge_mergepath_partition_config_static_selectorELNS0_4arch9wavefront6targetE0EEEvSL_
	.p2align	8
	.type	_ZN7rocprim17ROCPRIM_400000_NS6detail17trampoline_kernelINS0_14default_configENS1_38merge_sort_block_merge_config_selectorIiNS0_10empty_typeEEEZZNS1_27merge_sort_block_merge_implIS3_N6thrust23THRUST_200600_302600_NS6detail15normal_iteratorINS9_10device_ptrIiEEEEPS5_jNS1_19radix_merge_compareILb0ELb0EiNS0_19identity_decomposerEEEEE10hipError_tT0_T1_T2_jT3_P12ihipStream_tbPNSt15iterator_traitsISK_E10value_typeEPNSQ_ISL_E10value_typeEPSM_NS1_7vsmem_tEENKUlT_SK_SL_SM_E_clISE_PiSF_SF_EESJ_SZ_SK_SL_SM_EUlSZ_E_NS1_11comp_targetILNS1_3genE5ELNS1_11target_archE942ELNS1_3gpuE9ELNS1_3repE0EEENS1_48merge_mergepath_partition_config_static_selectorELNS0_4arch9wavefront6targetE0EEEvSL_,@function
_ZN7rocprim17ROCPRIM_400000_NS6detail17trampoline_kernelINS0_14default_configENS1_38merge_sort_block_merge_config_selectorIiNS0_10empty_typeEEEZZNS1_27merge_sort_block_merge_implIS3_N6thrust23THRUST_200600_302600_NS6detail15normal_iteratorINS9_10device_ptrIiEEEEPS5_jNS1_19radix_merge_compareILb0ELb0EiNS0_19identity_decomposerEEEEE10hipError_tT0_T1_T2_jT3_P12ihipStream_tbPNSt15iterator_traitsISK_E10value_typeEPNSQ_ISL_E10value_typeEPSM_NS1_7vsmem_tEENKUlT_SK_SL_SM_E_clISE_PiSF_SF_EESJ_SZ_SK_SL_SM_EUlSZ_E_NS1_11comp_targetILNS1_3genE5ELNS1_11target_archE942ELNS1_3gpuE9ELNS1_3repE0EEENS1_48merge_mergepath_partition_config_static_selectorELNS0_4arch9wavefront6targetE0EEEvSL_: ; @_ZN7rocprim17ROCPRIM_400000_NS6detail17trampoline_kernelINS0_14default_configENS1_38merge_sort_block_merge_config_selectorIiNS0_10empty_typeEEEZZNS1_27merge_sort_block_merge_implIS3_N6thrust23THRUST_200600_302600_NS6detail15normal_iteratorINS9_10device_ptrIiEEEEPS5_jNS1_19radix_merge_compareILb0ELb0EiNS0_19identity_decomposerEEEEE10hipError_tT0_T1_T2_jT3_P12ihipStream_tbPNSt15iterator_traitsISK_E10value_typeEPNSQ_ISL_E10value_typeEPSM_NS1_7vsmem_tEENKUlT_SK_SL_SM_E_clISE_PiSF_SF_EESJ_SZ_SK_SL_SM_EUlSZ_E_NS1_11comp_targetILNS1_3genE5ELNS1_11target_archE942ELNS1_3gpuE9ELNS1_3repE0EEENS1_48merge_mergepath_partition_config_static_selectorELNS0_4arch9wavefront6targetE0EEEvSL_
; %bb.0:
	.section	.rodata,"a",@progbits
	.p2align	6, 0x0
	.amdhsa_kernel _ZN7rocprim17ROCPRIM_400000_NS6detail17trampoline_kernelINS0_14default_configENS1_38merge_sort_block_merge_config_selectorIiNS0_10empty_typeEEEZZNS1_27merge_sort_block_merge_implIS3_N6thrust23THRUST_200600_302600_NS6detail15normal_iteratorINS9_10device_ptrIiEEEEPS5_jNS1_19radix_merge_compareILb0ELb0EiNS0_19identity_decomposerEEEEE10hipError_tT0_T1_T2_jT3_P12ihipStream_tbPNSt15iterator_traitsISK_E10value_typeEPNSQ_ISL_E10value_typeEPSM_NS1_7vsmem_tEENKUlT_SK_SL_SM_E_clISE_PiSF_SF_EESJ_SZ_SK_SL_SM_EUlSZ_E_NS1_11comp_targetILNS1_3genE5ELNS1_11target_archE942ELNS1_3gpuE9ELNS1_3repE0EEENS1_48merge_mergepath_partition_config_static_selectorELNS0_4arch9wavefront6targetE0EEEvSL_
		.amdhsa_group_segment_fixed_size 0
		.amdhsa_private_segment_fixed_size 0
		.amdhsa_kernarg_size 40
		.amdhsa_user_sgpr_count 6
		.amdhsa_user_sgpr_private_segment_buffer 1
		.amdhsa_user_sgpr_dispatch_ptr 0
		.amdhsa_user_sgpr_queue_ptr 0
		.amdhsa_user_sgpr_kernarg_segment_ptr 1
		.amdhsa_user_sgpr_dispatch_id 0
		.amdhsa_user_sgpr_flat_scratch_init 0
		.amdhsa_user_sgpr_private_segment_size 0
		.amdhsa_wavefront_size32 1
		.amdhsa_uses_dynamic_stack 0
		.amdhsa_system_sgpr_private_segment_wavefront_offset 0
		.amdhsa_system_sgpr_workgroup_id_x 1
		.amdhsa_system_sgpr_workgroup_id_y 0
		.amdhsa_system_sgpr_workgroup_id_z 0
		.amdhsa_system_sgpr_workgroup_info 0
		.amdhsa_system_vgpr_workitem_id 0
		.amdhsa_next_free_vgpr 1
		.amdhsa_next_free_sgpr 1
		.amdhsa_reserve_vcc 0
		.amdhsa_reserve_flat_scratch 0
		.amdhsa_float_round_mode_32 0
		.amdhsa_float_round_mode_16_64 0
		.amdhsa_float_denorm_mode_32 3
		.amdhsa_float_denorm_mode_16_64 3
		.amdhsa_dx10_clamp 1
		.amdhsa_ieee_mode 1
		.amdhsa_fp16_overflow 0
		.amdhsa_workgroup_processor_mode 1
		.amdhsa_memory_ordered 1
		.amdhsa_forward_progress 1
		.amdhsa_shared_vgpr_count 0
		.amdhsa_exception_fp_ieee_invalid_op 0
		.amdhsa_exception_fp_denorm_src 0
		.amdhsa_exception_fp_ieee_div_zero 0
		.amdhsa_exception_fp_ieee_overflow 0
		.amdhsa_exception_fp_ieee_underflow 0
		.amdhsa_exception_fp_ieee_inexact 0
		.amdhsa_exception_int_div_zero 0
	.end_amdhsa_kernel
	.section	.text._ZN7rocprim17ROCPRIM_400000_NS6detail17trampoline_kernelINS0_14default_configENS1_38merge_sort_block_merge_config_selectorIiNS0_10empty_typeEEEZZNS1_27merge_sort_block_merge_implIS3_N6thrust23THRUST_200600_302600_NS6detail15normal_iteratorINS9_10device_ptrIiEEEEPS5_jNS1_19radix_merge_compareILb0ELb0EiNS0_19identity_decomposerEEEEE10hipError_tT0_T1_T2_jT3_P12ihipStream_tbPNSt15iterator_traitsISK_E10value_typeEPNSQ_ISL_E10value_typeEPSM_NS1_7vsmem_tEENKUlT_SK_SL_SM_E_clISE_PiSF_SF_EESJ_SZ_SK_SL_SM_EUlSZ_E_NS1_11comp_targetILNS1_3genE5ELNS1_11target_archE942ELNS1_3gpuE9ELNS1_3repE0EEENS1_48merge_mergepath_partition_config_static_selectorELNS0_4arch9wavefront6targetE0EEEvSL_,"axG",@progbits,_ZN7rocprim17ROCPRIM_400000_NS6detail17trampoline_kernelINS0_14default_configENS1_38merge_sort_block_merge_config_selectorIiNS0_10empty_typeEEEZZNS1_27merge_sort_block_merge_implIS3_N6thrust23THRUST_200600_302600_NS6detail15normal_iteratorINS9_10device_ptrIiEEEEPS5_jNS1_19radix_merge_compareILb0ELb0EiNS0_19identity_decomposerEEEEE10hipError_tT0_T1_T2_jT3_P12ihipStream_tbPNSt15iterator_traitsISK_E10value_typeEPNSQ_ISL_E10value_typeEPSM_NS1_7vsmem_tEENKUlT_SK_SL_SM_E_clISE_PiSF_SF_EESJ_SZ_SK_SL_SM_EUlSZ_E_NS1_11comp_targetILNS1_3genE5ELNS1_11target_archE942ELNS1_3gpuE9ELNS1_3repE0EEENS1_48merge_mergepath_partition_config_static_selectorELNS0_4arch9wavefront6targetE0EEEvSL_,comdat
.Lfunc_end45:
	.size	_ZN7rocprim17ROCPRIM_400000_NS6detail17trampoline_kernelINS0_14default_configENS1_38merge_sort_block_merge_config_selectorIiNS0_10empty_typeEEEZZNS1_27merge_sort_block_merge_implIS3_N6thrust23THRUST_200600_302600_NS6detail15normal_iteratorINS9_10device_ptrIiEEEEPS5_jNS1_19radix_merge_compareILb0ELb0EiNS0_19identity_decomposerEEEEE10hipError_tT0_T1_T2_jT3_P12ihipStream_tbPNSt15iterator_traitsISK_E10value_typeEPNSQ_ISL_E10value_typeEPSM_NS1_7vsmem_tEENKUlT_SK_SL_SM_E_clISE_PiSF_SF_EESJ_SZ_SK_SL_SM_EUlSZ_E_NS1_11comp_targetILNS1_3genE5ELNS1_11target_archE942ELNS1_3gpuE9ELNS1_3repE0EEENS1_48merge_mergepath_partition_config_static_selectorELNS0_4arch9wavefront6targetE0EEEvSL_, .Lfunc_end45-_ZN7rocprim17ROCPRIM_400000_NS6detail17trampoline_kernelINS0_14default_configENS1_38merge_sort_block_merge_config_selectorIiNS0_10empty_typeEEEZZNS1_27merge_sort_block_merge_implIS3_N6thrust23THRUST_200600_302600_NS6detail15normal_iteratorINS9_10device_ptrIiEEEEPS5_jNS1_19radix_merge_compareILb0ELb0EiNS0_19identity_decomposerEEEEE10hipError_tT0_T1_T2_jT3_P12ihipStream_tbPNSt15iterator_traitsISK_E10value_typeEPNSQ_ISL_E10value_typeEPSM_NS1_7vsmem_tEENKUlT_SK_SL_SM_E_clISE_PiSF_SF_EESJ_SZ_SK_SL_SM_EUlSZ_E_NS1_11comp_targetILNS1_3genE5ELNS1_11target_archE942ELNS1_3gpuE9ELNS1_3repE0EEENS1_48merge_mergepath_partition_config_static_selectorELNS0_4arch9wavefront6targetE0EEEvSL_
                                        ; -- End function
	.set _ZN7rocprim17ROCPRIM_400000_NS6detail17trampoline_kernelINS0_14default_configENS1_38merge_sort_block_merge_config_selectorIiNS0_10empty_typeEEEZZNS1_27merge_sort_block_merge_implIS3_N6thrust23THRUST_200600_302600_NS6detail15normal_iteratorINS9_10device_ptrIiEEEEPS5_jNS1_19radix_merge_compareILb0ELb0EiNS0_19identity_decomposerEEEEE10hipError_tT0_T1_T2_jT3_P12ihipStream_tbPNSt15iterator_traitsISK_E10value_typeEPNSQ_ISL_E10value_typeEPSM_NS1_7vsmem_tEENKUlT_SK_SL_SM_E_clISE_PiSF_SF_EESJ_SZ_SK_SL_SM_EUlSZ_E_NS1_11comp_targetILNS1_3genE5ELNS1_11target_archE942ELNS1_3gpuE9ELNS1_3repE0EEENS1_48merge_mergepath_partition_config_static_selectorELNS0_4arch9wavefront6targetE0EEEvSL_.num_vgpr, 0
	.set _ZN7rocprim17ROCPRIM_400000_NS6detail17trampoline_kernelINS0_14default_configENS1_38merge_sort_block_merge_config_selectorIiNS0_10empty_typeEEEZZNS1_27merge_sort_block_merge_implIS3_N6thrust23THRUST_200600_302600_NS6detail15normal_iteratorINS9_10device_ptrIiEEEEPS5_jNS1_19radix_merge_compareILb0ELb0EiNS0_19identity_decomposerEEEEE10hipError_tT0_T1_T2_jT3_P12ihipStream_tbPNSt15iterator_traitsISK_E10value_typeEPNSQ_ISL_E10value_typeEPSM_NS1_7vsmem_tEENKUlT_SK_SL_SM_E_clISE_PiSF_SF_EESJ_SZ_SK_SL_SM_EUlSZ_E_NS1_11comp_targetILNS1_3genE5ELNS1_11target_archE942ELNS1_3gpuE9ELNS1_3repE0EEENS1_48merge_mergepath_partition_config_static_selectorELNS0_4arch9wavefront6targetE0EEEvSL_.num_agpr, 0
	.set _ZN7rocprim17ROCPRIM_400000_NS6detail17trampoline_kernelINS0_14default_configENS1_38merge_sort_block_merge_config_selectorIiNS0_10empty_typeEEEZZNS1_27merge_sort_block_merge_implIS3_N6thrust23THRUST_200600_302600_NS6detail15normal_iteratorINS9_10device_ptrIiEEEEPS5_jNS1_19radix_merge_compareILb0ELb0EiNS0_19identity_decomposerEEEEE10hipError_tT0_T1_T2_jT3_P12ihipStream_tbPNSt15iterator_traitsISK_E10value_typeEPNSQ_ISL_E10value_typeEPSM_NS1_7vsmem_tEENKUlT_SK_SL_SM_E_clISE_PiSF_SF_EESJ_SZ_SK_SL_SM_EUlSZ_E_NS1_11comp_targetILNS1_3genE5ELNS1_11target_archE942ELNS1_3gpuE9ELNS1_3repE0EEENS1_48merge_mergepath_partition_config_static_selectorELNS0_4arch9wavefront6targetE0EEEvSL_.numbered_sgpr, 0
	.set _ZN7rocprim17ROCPRIM_400000_NS6detail17trampoline_kernelINS0_14default_configENS1_38merge_sort_block_merge_config_selectorIiNS0_10empty_typeEEEZZNS1_27merge_sort_block_merge_implIS3_N6thrust23THRUST_200600_302600_NS6detail15normal_iteratorINS9_10device_ptrIiEEEEPS5_jNS1_19radix_merge_compareILb0ELb0EiNS0_19identity_decomposerEEEEE10hipError_tT0_T1_T2_jT3_P12ihipStream_tbPNSt15iterator_traitsISK_E10value_typeEPNSQ_ISL_E10value_typeEPSM_NS1_7vsmem_tEENKUlT_SK_SL_SM_E_clISE_PiSF_SF_EESJ_SZ_SK_SL_SM_EUlSZ_E_NS1_11comp_targetILNS1_3genE5ELNS1_11target_archE942ELNS1_3gpuE9ELNS1_3repE0EEENS1_48merge_mergepath_partition_config_static_selectorELNS0_4arch9wavefront6targetE0EEEvSL_.num_named_barrier, 0
	.set _ZN7rocprim17ROCPRIM_400000_NS6detail17trampoline_kernelINS0_14default_configENS1_38merge_sort_block_merge_config_selectorIiNS0_10empty_typeEEEZZNS1_27merge_sort_block_merge_implIS3_N6thrust23THRUST_200600_302600_NS6detail15normal_iteratorINS9_10device_ptrIiEEEEPS5_jNS1_19radix_merge_compareILb0ELb0EiNS0_19identity_decomposerEEEEE10hipError_tT0_T1_T2_jT3_P12ihipStream_tbPNSt15iterator_traitsISK_E10value_typeEPNSQ_ISL_E10value_typeEPSM_NS1_7vsmem_tEENKUlT_SK_SL_SM_E_clISE_PiSF_SF_EESJ_SZ_SK_SL_SM_EUlSZ_E_NS1_11comp_targetILNS1_3genE5ELNS1_11target_archE942ELNS1_3gpuE9ELNS1_3repE0EEENS1_48merge_mergepath_partition_config_static_selectorELNS0_4arch9wavefront6targetE0EEEvSL_.private_seg_size, 0
	.set _ZN7rocprim17ROCPRIM_400000_NS6detail17trampoline_kernelINS0_14default_configENS1_38merge_sort_block_merge_config_selectorIiNS0_10empty_typeEEEZZNS1_27merge_sort_block_merge_implIS3_N6thrust23THRUST_200600_302600_NS6detail15normal_iteratorINS9_10device_ptrIiEEEEPS5_jNS1_19radix_merge_compareILb0ELb0EiNS0_19identity_decomposerEEEEE10hipError_tT0_T1_T2_jT3_P12ihipStream_tbPNSt15iterator_traitsISK_E10value_typeEPNSQ_ISL_E10value_typeEPSM_NS1_7vsmem_tEENKUlT_SK_SL_SM_E_clISE_PiSF_SF_EESJ_SZ_SK_SL_SM_EUlSZ_E_NS1_11comp_targetILNS1_3genE5ELNS1_11target_archE942ELNS1_3gpuE9ELNS1_3repE0EEENS1_48merge_mergepath_partition_config_static_selectorELNS0_4arch9wavefront6targetE0EEEvSL_.uses_vcc, 0
	.set _ZN7rocprim17ROCPRIM_400000_NS6detail17trampoline_kernelINS0_14default_configENS1_38merge_sort_block_merge_config_selectorIiNS0_10empty_typeEEEZZNS1_27merge_sort_block_merge_implIS3_N6thrust23THRUST_200600_302600_NS6detail15normal_iteratorINS9_10device_ptrIiEEEEPS5_jNS1_19radix_merge_compareILb0ELb0EiNS0_19identity_decomposerEEEEE10hipError_tT0_T1_T2_jT3_P12ihipStream_tbPNSt15iterator_traitsISK_E10value_typeEPNSQ_ISL_E10value_typeEPSM_NS1_7vsmem_tEENKUlT_SK_SL_SM_E_clISE_PiSF_SF_EESJ_SZ_SK_SL_SM_EUlSZ_E_NS1_11comp_targetILNS1_3genE5ELNS1_11target_archE942ELNS1_3gpuE9ELNS1_3repE0EEENS1_48merge_mergepath_partition_config_static_selectorELNS0_4arch9wavefront6targetE0EEEvSL_.uses_flat_scratch, 0
	.set _ZN7rocprim17ROCPRIM_400000_NS6detail17trampoline_kernelINS0_14default_configENS1_38merge_sort_block_merge_config_selectorIiNS0_10empty_typeEEEZZNS1_27merge_sort_block_merge_implIS3_N6thrust23THRUST_200600_302600_NS6detail15normal_iteratorINS9_10device_ptrIiEEEEPS5_jNS1_19radix_merge_compareILb0ELb0EiNS0_19identity_decomposerEEEEE10hipError_tT0_T1_T2_jT3_P12ihipStream_tbPNSt15iterator_traitsISK_E10value_typeEPNSQ_ISL_E10value_typeEPSM_NS1_7vsmem_tEENKUlT_SK_SL_SM_E_clISE_PiSF_SF_EESJ_SZ_SK_SL_SM_EUlSZ_E_NS1_11comp_targetILNS1_3genE5ELNS1_11target_archE942ELNS1_3gpuE9ELNS1_3repE0EEENS1_48merge_mergepath_partition_config_static_selectorELNS0_4arch9wavefront6targetE0EEEvSL_.has_dyn_sized_stack, 0
	.set _ZN7rocprim17ROCPRIM_400000_NS6detail17trampoline_kernelINS0_14default_configENS1_38merge_sort_block_merge_config_selectorIiNS0_10empty_typeEEEZZNS1_27merge_sort_block_merge_implIS3_N6thrust23THRUST_200600_302600_NS6detail15normal_iteratorINS9_10device_ptrIiEEEEPS5_jNS1_19radix_merge_compareILb0ELb0EiNS0_19identity_decomposerEEEEE10hipError_tT0_T1_T2_jT3_P12ihipStream_tbPNSt15iterator_traitsISK_E10value_typeEPNSQ_ISL_E10value_typeEPSM_NS1_7vsmem_tEENKUlT_SK_SL_SM_E_clISE_PiSF_SF_EESJ_SZ_SK_SL_SM_EUlSZ_E_NS1_11comp_targetILNS1_3genE5ELNS1_11target_archE942ELNS1_3gpuE9ELNS1_3repE0EEENS1_48merge_mergepath_partition_config_static_selectorELNS0_4arch9wavefront6targetE0EEEvSL_.has_recursion, 0
	.set _ZN7rocprim17ROCPRIM_400000_NS6detail17trampoline_kernelINS0_14default_configENS1_38merge_sort_block_merge_config_selectorIiNS0_10empty_typeEEEZZNS1_27merge_sort_block_merge_implIS3_N6thrust23THRUST_200600_302600_NS6detail15normal_iteratorINS9_10device_ptrIiEEEEPS5_jNS1_19radix_merge_compareILb0ELb0EiNS0_19identity_decomposerEEEEE10hipError_tT0_T1_T2_jT3_P12ihipStream_tbPNSt15iterator_traitsISK_E10value_typeEPNSQ_ISL_E10value_typeEPSM_NS1_7vsmem_tEENKUlT_SK_SL_SM_E_clISE_PiSF_SF_EESJ_SZ_SK_SL_SM_EUlSZ_E_NS1_11comp_targetILNS1_3genE5ELNS1_11target_archE942ELNS1_3gpuE9ELNS1_3repE0EEENS1_48merge_mergepath_partition_config_static_selectorELNS0_4arch9wavefront6targetE0EEEvSL_.has_indirect_call, 0
	.section	.AMDGPU.csdata,"",@progbits
; Kernel info:
; codeLenInByte = 0
; TotalNumSgprs: 0
; NumVgprs: 0
; ScratchSize: 0
; MemoryBound: 0
; FloatMode: 240
; IeeeMode: 1
; LDSByteSize: 0 bytes/workgroup (compile time only)
; SGPRBlocks: 0
; VGPRBlocks: 0
; NumSGPRsForWavesPerEU: 1
; NumVGPRsForWavesPerEU: 1
; Occupancy: 16
; WaveLimiterHint : 0
; COMPUTE_PGM_RSRC2:SCRATCH_EN: 0
; COMPUTE_PGM_RSRC2:USER_SGPR: 6
; COMPUTE_PGM_RSRC2:TRAP_HANDLER: 0
; COMPUTE_PGM_RSRC2:TGID_X_EN: 1
; COMPUTE_PGM_RSRC2:TGID_Y_EN: 0
; COMPUTE_PGM_RSRC2:TGID_Z_EN: 0
; COMPUTE_PGM_RSRC2:TIDIG_COMP_CNT: 0
	.section	.text._ZN7rocprim17ROCPRIM_400000_NS6detail17trampoline_kernelINS0_14default_configENS1_38merge_sort_block_merge_config_selectorIiNS0_10empty_typeEEEZZNS1_27merge_sort_block_merge_implIS3_N6thrust23THRUST_200600_302600_NS6detail15normal_iteratorINS9_10device_ptrIiEEEEPS5_jNS1_19radix_merge_compareILb0ELb0EiNS0_19identity_decomposerEEEEE10hipError_tT0_T1_T2_jT3_P12ihipStream_tbPNSt15iterator_traitsISK_E10value_typeEPNSQ_ISL_E10value_typeEPSM_NS1_7vsmem_tEENKUlT_SK_SL_SM_E_clISE_PiSF_SF_EESJ_SZ_SK_SL_SM_EUlSZ_E_NS1_11comp_targetILNS1_3genE4ELNS1_11target_archE910ELNS1_3gpuE8ELNS1_3repE0EEENS1_48merge_mergepath_partition_config_static_selectorELNS0_4arch9wavefront6targetE0EEEvSL_,"axG",@progbits,_ZN7rocprim17ROCPRIM_400000_NS6detail17trampoline_kernelINS0_14default_configENS1_38merge_sort_block_merge_config_selectorIiNS0_10empty_typeEEEZZNS1_27merge_sort_block_merge_implIS3_N6thrust23THRUST_200600_302600_NS6detail15normal_iteratorINS9_10device_ptrIiEEEEPS5_jNS1_19radix_merge_compareILb0ELb0EiNS0_19identity_decomposerEEEEE10hipError_tT0_T1_T2_jT3_P12ihipStream_tbPNSt15iterator_traitsISK_E10value_typeEPNSQ_ISL_E10value_typeEPSM_NS1_7vsmem_tEENKUlT_SK_SL_SM_E_clISE_PiSF_SF_EESJ_SZ_SK_SL_SM_EUlSZ_E_NS1_11comp_targetILNS1_3genE4ELNS1_11target_archE910ELNS1_3gpuE8ELNS1_3repE0EEENS1_48merge_mergepath_partition_config_static_selectorELNS0_4arch9wavefront6targetE0EEEvSL_,comdat
	.protected	_ZN7rocprim17ROCPRIM_400000_NS6detail17trampoline_kernelINS0_14default_configENS1_38merge_sort_block_merge_config_selectorIiNS0_10empty_typeEEEZZNS1_27merge_sort_block_merge_implIS3_N6thrust23THRUST_200600_302600_NS6detail15normal_iteratorINS9_10device_ptrIiEEEEPS5_jNS1_19radix_merge_compareILb0ELb0EiNS0_19identity_decomposerEEEEE10hipError_tT0_T1_T2_jT3_P12ihipStream_tbPNSt15iterator_traitsISK_E10value_typeEPNSQ_ISL_E10value_typeEPSM_NS1_7vsmem_tEENKUlT_SK_SL_SM_E_clISE_PiSF_SF_EESJ_SZ_SK_SL_SM_EUlSZ_E_NS1_11comp_targetILNS1_3genE4ELNS1_11target_archE910ELNS1_3gpuE8ELNS1_3repE0EEENS1_48merge_mergepath_partition_config_static_selectorELNS0_4arch9wavefront6targetE0EEEvSL_ ; -- Begin function _ZN7rocprim17ROCPRIM_400000_NS6detail17trampoline_kernelINS0_14default_configENS1_38merge_sort_block_merge_config_selectorIiNS0_10empty_typeEEEZZNS1_27merge_sort_block_merge_implIS3_N6thrust23THRUST_200600_302600_NS6detail15normal_iteratorINS9_10device_ptrIiEEEEPS5_jNS1_19radix_merge_compareILb0ELb0EiNS0_19identity_decomposerEEEEE10hipError_tT0_T1_T2_jT3_P12ihipStream_tbPNSt15iterator_traitsISK_E10value_typeEPNSQ_ISL_E10value_typeEPSM_NS1_7vsmem_tEENKUlT_SK_SL_SM_E_clISE_PiSF_SF_EESJ_SZ_SK_SL_SM_EUlSZ_E_NS1_11comp_targetILNS1_3genE4ELNS1_11target_archE910ELNS1_3gpuE8ELNS1_3repE0EEENS1_48merge_mergepath_partition_config_static_selectorELNS0_4arch9wavefront6targetE0EEEvSL_
	.globl	_ZN7rocprim17ROCPRIM_400000_NS6detail17trampoline_kernelINS0_14default_configENS1_38merge_sort_block_merge_config_selectorIiNS0_10empty_typeEEEZZNS1_27merge_sort_block_merge_implIS3_N6thrust23THRUST_200600_302600_NS6detail15normal_iteratorINS9_10device_ptrIiEEEEPS5_jNS1_19radix_merge_compareILb0ELb0EiNS0_19identity_decomposerEEEEE10hipError_tT0_T1_T2_jT3_P12ihipStream_tbPNSt15iterator_traitsISK_E10value_typeEPNSQ_ISL_E10value_typeEPSM_NS1_7vsmem_tEENKUlT_SK_SL_SM_E_clISE_PiSF_SF_EESJ_SZ_SK_SL_SM_EUlSZ_E_NS1_11comp_targetILNS1_3genE4ELNS1_11target_archE910ELNS1_3gpuE8ELNS1_3repE0EEENS1_48merge_mergepath_partition_config_static_selectorELNS0_4arch9wavefront6targetE0EEEvSL_
	.p2align	8
	.type	_ZN7rocprim17ROCPRIM_400000_NS6detail17trampoline_kernelINS0_14default_configENS1_38merge_sort_block_merge_config_selectorIiNS0_10empty_typeEEEZZNS1_27merge_sort_block_merge_implIS3_N6thrust23THRUST_200600_302600_NS6detail15normal_iteratorINS9_10device_ptrIiEEEEPS5_jNS1_19radix_merge_compareILb0ELb0EiNS0_19identity_decomposerEEEEE10hipError_tT0_T1_T2_jT3_P12ihipStream_tbPNSt15iterator_traitsISK_E10value_typeEPNSQ_ISL_E10value_typeEPSM_NS1_7vsmem_tEENKUlT_SK_SL_SM_E_clISE_PiSF_SF_EESJ_SZ_SK_SL_SM_EUlSZ_E_NS1_11comp_targetILNS1_3genE4ELNS1_11target_archE910ELNS1_3gpuE8ELNS1_3repE0EEENS1_48merge_mergepath_partition_config_static_selectorELNS0_4arch9wavefront6targetE0EEEvSL_,@function
_ZN7rocprim17ROCPRIM_400000_NS6detail17trampoline_kernelINS0_14default_configENS1_38merge_sort_block_merge_config_selectorIiNS0_10empty_typeEEEZZNS1_27merge_sort_block_merge_implIS3_N6thrust23THRUST_200600_302600_NS6detail15normal_iteratorINS9_10device_ptrIiEEEEPS5_jNS1_19radix_merge_compareILb0ELb0EiNS0_19identity_decomposerEEEEE10hipError_tT0_T1_T2_jT3_P12ihipStream_tbPNSt15iterator_traitsISK_E10value_typeEPNSQ_ISL_E10value_typeEPSM_NS1_7vsmem_tEENKUlT_SK_SL_SM_E_clISE_PiSF_SF_EESJ_SZ_SK_SL_SM_EUlSZ_E_NS1_11comp_targetILNS1_3genE4ELNS1_11target_archE910ELNS1_3gpuE8ELNS1_3repE0EEENS1_48merge_mergepath_partition_config_static_selectorELNS0_4arch9wavefront6targetE0EEEvSL_: ; @_ZN7rocprim17ROCPRIM_400000_NS6detail17trampoline_kernelINS0_14default_configENS1_38merge_sort_block_merge_config_selectorIiNS0_10empty_typeEEEZZNS1_27merge_sort_block_merge_implIS3_N6thrust23THRUST_200600_302600_NS6detail15normal_iteratorINS9_10device_ptrIiEEEEPS5_jNS1_19radix_merge_compareILb0ELb0EiNS0_19identity_decomposerEEEEE10hipError_tT0_T1_T2_jT3_P12ihipStream_tbPNSt15iterator_traitsISK_E10value_typeEPNSQ_ISL_E10value_typeEPSM_NS1_7vsmem_tEENKUlT_SK_SL_SM_E_clISE_PiSF_SF_EESJ_SZ_SK_SL_SM_EUlSZ_E_NS1_11comp_targetILNS1_3genE4ELNS1_11target_archE910ELNS1_3gpuE8ELNS1_3repE0EEENS1_48merge_mergepath_partition_config_static_selectorELNS0_4arch9wavefront6targetE0EEEvSL_
; %bb.0:
	.section	.rodata,"a",@progbits
	.p2align	6, 0x0
	.amdhsa_kernel _ZN7rocprim17ROCPRIM_400000_NS6detail17trampoline_kernelINS0_14default_configENS1_38merge_sort_block_merge_config_selectorIiNS0_10empty_typeEEEZZNS1_27merge_sort_block_merge_implIS3_N6thrust23THRUST_200600_302600_NS6detail15normal_iteratorINS9_10device_ptrIiEEEEPS5_jNS1_19radix_merge_compareILb0ELb0EiNS0_19identity_decomposerEEEEE10hipError_tT0_T1_T2_jT3_P12ihipStream_tbPNSt15iterator_traitsISK_E10value_typeEPNSQ_ISL_E10value_typeEPSM_NS1_7vsmem_tEENKUlT_SK_SL_SM_E_clISE_PiSF_SF_EESJ_SZ_SK_SL_SM_EUlSZ_E_NS1_11comp_targetILNS1_3genE4ELNS1_11target_archE910ELNS1_3gpuE8ELNS1_3repE0EEENS1_48merge_mergepath_partition_config_static_selectorELNS0_4arch9wavefront6targetE0EEEvSL_
		.amdhsa_group_segment_fixed_size 0
		.amdhsa_private_segment_fixed_size 0
		.amdhsa_kernarg_size 40
		.amdhsa_user_sgpr_count 6
		.amdhsa_user_sgpr_private_segment_buffer 1
		.amdhsa_user_sgpr_dispatch_ptr 0
		.amdhsa_user_sgpr_queue_ptr 0
		.amdhsa_user_sgpr_kernarg_segment_ptr 1
		.amdhsa_user_sgpr_dispatch_id 0
		.amdhsa_user_sgpr_flat_scratch_init 0
		.amdhsa_user_sgpr_private_segment_size 0
		.amdhsa_wavefront_size32 1
		.amdhsa_uses_dynamic_stack 0
		.amdhsa_system_sgpr_private_segment_wavefront_offset 0
		.amdhsa_system_sgpr_workgroup_id_x 1
		.amdhsa_system_sgpr_workgroup_id_y 0
		.amdhsa_system_sgpr_workgroup_id_z 0
		.amdhsa_system_sgpr_workgroup_info 0
		.amdhsa_system_vgpr_workitem_id 0
		.amdhsa_next_free_vgpr 1
		.amdhsa_next_free_sgpr 1
		.amdhsa_reserve_vcc 0
		.amdhsa_reserve_flat_scratch 0
		.amdhsa_float_round_mode_32 0
		.amdhsa_float_round_mode_16_64 0
		.amdhsa_float_denorm_mode_32 3
		.amdhsa_float_denorm_mode_16_64 3
		.amdhsa_dx10_clamp 1
		.amdhsa_ieee_mode 1
		.amdhsa_fp16_overflow 0
		.amdhsa_workgroup_processor_mode 1
		.amdhsa_memory_ordered 1
		.amdhsa_forward_progress 1
		.amdhsa_shared_vgpr_count 0
		.amdhsa_exception_fp_ieee_invalid_op 0
		.amdhsa_exception_fp_denorm_src 0
		.amdhsa_exception_fp_ieee_div_zero 0
		.amdhsa_exception_fp_ieee_overflow 0
		.amdhsa_exception_fp_ieee_underflow 0
		.amdhsa_exception_fp_ieee_inexact 0
		.amdhsa_exception_int_div_zero 0
	.end_amdhsa_kernel
	.section	.text._ZN7rocprim17ROCPRIM_400000_NS6detail17trampoline_kernelINS0_14default_configENS1_38merge_sort_block_merge_config_selectorIiNS0_10empty_typeEEEZZNS1_27merge_sort_block_merge_implIS3_N6thrust23THRUST_200600_302600_NS6detail15normal_iteratorINS9_10device_ptrIiEEEEPS5_jNS1_19radix_merge_compareILb0ELb0EiNS0_19identity_decomposerEEEEE10hipError_tT0_T1_T2_jT3_P12ihipStream_tbPNSt15iterator_traitsISK_E10value_typeEPNSQ_ISL_E10value_typeEPSM_NS1_7vsmem_tEENKUlT_SK_SL_SM_E_clISE_PiSF_SF_EESJ_SZ_SK_SL_SM_EUlSZ_E_NS1_11comp_targetILNS1_3genE4ELNS1_11target_archE910ELNS1_3gpuE8ELNS1_3repE0EEENS1_48merge_mergepath_partition_config_static_selectorELNS0_4arch9wavefront6targetE0EEEvSL_,"axG",@progbits,_ZN7rocprim17ROCPRIM_400000_NS6detail17trampoline_kernelINS0_14default_configENS1_38merge_sort_block_merge_config_selectorIiNS0_10empty_typeEEEZZNS1_27merge_sort_block_merge_implIS3_N6thrust23THRUST_200600_302600_NS6detail15normal_iteratorINS9_10device_ptrIiEEEEPS5_jNS1_19radix_merge_compareILb0ELb0EiNS0_19identity_decomposerEEEEE10hipError_tT0_T1_T2_jT3_P12ihipStream_tbPNSt15iterator_traitsISK_E10value_typeEPNSQ_ISL_E10value_typeEPSM_NS1_7vsmem_tEENKUlT_SK_SL_SM_E_clISE_PiSF_SF_EESJ_SZ_SK_SL_SM_EUlSZ_E_NS1_11comp_targetILNS1_3genE4ELNS1_11target_archE910ELNS1_3gpuE8ELNS1_3repE0EEENS1_48merge_mergepath_partition_config_static_selectorELNS0_4arch9wavefront6targetE0EEEvSL_,comdat
.Lfunc_end46:
	.size	_ZN7rocprim17ROCPRIM_400000_NS6detail17trampoline_kernelINS0_14default_configENS1_38merge_sort_block_merge_config_selectorIiNS0_10empty_typeEEEZZNS1_27merge_sort_block_merge_implIS3_N6thrust23THRUST_200600_302600_NS6detail15normal_iteratorINS9_10device_ptrIiEEEEPS5_jNS1_19radix_merge_compareILb0ELb0EiNS0_19identity_decomposerEEEEE10hipError_tT0_T1_T2_jT3_P12ihipStream_tbPNSt15iterator_traitsISK_E10value_typeEPNSQ_ISL_E10value_typeEPSM_NS1_7vsmem_tEENKUlT_SK_SL_SM_E_clISE_PiSF_SF_EESJ_SZ_SK_SL_SM_EUlSZ_E_NS1_11comp_targetILNS1_3genE4ELNS1_11target_archE910ELNS1_3gpuE8ELNS1_3repE0EEENS1_48merge_mergepath_partition_config_static_selectorELNS0_4arch9wavefront6targetE0EEEvSL_, .Lfunc_end46-_ZN7rocprim17ROCPRIM_400000_NS6detail17trampoline_kernelINS0_14default_configENS1_38merge_sort_block_merge_config_selectorIiNS0_10empty_typeEEEZZNS1_27merge_sort_block_merge_implIS3_N6thrust23THRUST_200600_302600_NS6detail15normal_iteratorINS9_10device_ptrIiEEEEPS5_jNS1_19radix_merge_compareILb0ELb0EiNS0_19identity_decomposerEEEEE10hipError_tT0_T1_T2_jT3_P12ihipStream_tbPNSt15iterator_traitsISK_E10value_typeEPNSQ_ISL_E10value_typeEPSM_NS1_7vsmem_tEENKUlT_SK_SL_SM_E_clISE_PiSF_SF_EESJ_SZ_SK_SL_SM_EUlSZ_E_NS1_11comp_targetILNS1_3genE4ELNS1_11target_archE910ELNS1_3gpuE8ELNS1_3repE0EEENS1_48merge_mergepath_partition_config_static_selectorELNS0_4arch9wavefront6targetE0EEEvSL_
                                        ; -- End function
	.set _ZN7rocprim17ROCPRIM_400000_NS6detail17trampoline_kernelINS0_14default_configENS1_38merge_sort_block_merge_config_selectorIiNS0_10empty_typeEEEZZNS1_27merge_sort_block_merge_implIS3_N6thrust23THRUST_200600_302600_NS6detail15normal_iteratorINS9_10device_ptrIiEEEEPS5_jNS1_19radix_merge_compareILb0ELb0EiNS0_19identity_decomposerEEEEE10hipError_tT0_T1_T2_jT3_P12ihipStream_tbPNSt15iterator_traitsISK_E10value_typeEPNSQ_ISL_E10value_typeEPSM_NS1_7vsmem_tEENKUlT_SK_SL_SM_E_clISE_PiSF_SF_EESJ_SZ_SK_SL_SM_EUlSZ_E_NS1_11comp_targetILNS1_3genE4ELNS1_11target_archE910ELNS1_3gpuE8ELNS1_3repE0EEENS1_48merge_mergepath_partition_config_static_selectorELNS0_4arch9wavefront6targetE0EEEvSL_.num_vgpr, 0
	.set _ZN7rocprim17ROCPRIM_400000_NS6detail17trampoline_kernelINS0_14default_configENS1_38merge_sort_block_merge_config_selectorIiNS0_10empty_typeEEEZZNS1_27merge_sort_block_merge_implIS3_N6thrust23THRUST_200600_302600_NS6detail15normal_iteratorINS9_10device_ptrIiEEEEPS5_jNS1_19radix_merge_compareILb0ELb0EiNS0_19identity_decomposerEEEEE10hipError_tT0_T1_T2_jT3_P12ihipStream_tbPNSt15iterator_traitsISK_E10value_typeEPNSQ_ISL_E10value_typeEPSM_NS1_7vsmem_tEENKUlT_SK_SL_SM_E_clISE_PiSF_SF_EESJ_SZ_SK_SL_SM_EUlSZ_E_NS1_11comp_targetILNS1_3genE4ELNS1_11target_archE910ELNS1_3gpuE8ELNS1_3repE0EEENS1_48merge_mergepath_partition_config_static_selectorELNS0_4arch9wavefront6targetE0EEEvSL_.num_agpr, 0
	.set _ZN7rocprim17ROCPRIM_400000_NS6detail17trampoline_kernelINS0_14default_configENS1_38merge_sort_block_merge_config_selectorIiNS0_10empty_typeEEEZZNS1_27merge_sort_block_merge_implIS3_N6thrust23THRUST_200600_302600_NS6detail15normal_iteratorINS9_10device_ptrIiEEEEPS5_jNS1_19radix_merge_compareILb0ELb0EiNS0_19identity_decomposerEEEEE10hipError_tT0_T1_T2_jT3_P12ihipStream_tbPNSt15iterator_traitsISK_E10value_typeEPNSQ_ISL_E10value_typeEPSM_NS1_7vsmem_tEENKUlT_SK_SL_SM_E_clISE_PiSF_SF_EESJ_SZ_SK_SL_SM_EUlSZ_E_NS1_11comp_targetILNS1_3genE4ELNS1_11target_archE910ELNS1_3gpuE8ELNS1_3repE0EEENS1_48merge_mergepath_partition_config_static_selectorELNS0_4arch9wavefront6targetE0EEEvSL_.numbered_sgpr, 0
	.set _ZN7rocprim17ROCPRIM_400000_NS6detail17trampoline_kernelINS0_14default_configENS1_38merge_sort_block_merge_config_selectorIiNS0_10empty_typeEEEZZNS1_27merge_sort_block_merge_implIS3_N6thrust23THRUST_200600_302600_NS6detail15normal_iteratorINS9_10device_ptrIiEEEEPS5_jNS1_19radix_merge_compareILb0ELb0EiNS0_19identity_decomposerEEEEE10hipError_tT0_T1_T2_jT3_P12ihipStream_tbPNSt15iterator_traitsISK_E10value_typeEPNSQ_ISL_E10value_typeEPSM_NS1_7vsmem_tEENKUlT_SK_SL_SM_E_clISE_PiSF_SF_EESJ_SZ_SK_SL_SM_EUlSZ_E_NS1_11comp_targetILNS1_3genE4ELNS1_11target_archE910ELNS1_3gpuE8ELNS1_3repE0EEENS1_48merge_mergepath_partition_config_static_selectorELNS0_4arch9wavefront6targetE0EEEvSL_.num_named_barrier, 0
	.set _ZN7rocprim17ROCPRIM_400000_NS6detail17trampoline_kernelINS0_14default_configENS1_38merge_sort_block_merge_config_selectorIiNS0_10empty_typeEEEZZNS1_27merge_sort_block_merge_implIS3_N6thrust23THRUST_200600_302600_NS6detail15normal_iteratorINS9_10device_ptrIiEEEEPS5_jNS1_19radix_merge_compareILb0ELb0EiNS0_19identity_decomposerEEEEE10hipError_tT0_T1_T2_jT3_P12ihipStream_tbPNSt15iterator_traitsISK_E10value_typeEPNSQ_ISL_E10value_typeEPSM_NS1_7vsmem_tEENKUlT_SK_SL_SM_E_clISE_PiSF_SF_EESJ_SZ_SK_SL_SM_EUlSZ_E_NS1_11comp_targetILNS1_3genE4ELNS1_11target_archE910ELNS1_3gpuE8ELNS1_3repE0EEENS1_48merge_mergepath_partition_config_static_selectorELNS0_4arch9wavefront6targetE0EEEvSL_.private_seg_size, 0
	.set _ZN7rocprim17ROCPRIM_400000_NS6detail17trampoline_kernelINS0_14default_configENS1_38merge_sort_block_merge_config_selectorIiNS0_10empty_typeEEEZZNS1_27merge_sort_block_merge_implIS3_N6thrust23THRUST_200600_302600_NS6detail15normal_iteratorINS9_10device_ptrIiEEEEPS5_jNS1_19radix_merge_compareILb0ELb0EiNS0_19identity_decomposerEEEEE10hipError_tT0_T1_T2_jT3_P12ihipStream_tbPNSt15iterator_traitsISK_E10value_typeEPNSQ_ISL_E10value_typeEPSM_NS1_7vsmem_tEENKUlT_SK_SL_SM_E_clISE_PiSF_SF_EESJ_SZ_SK_SL_SM_EUlSZ_E_NS1_11comp_targetILNS1_3genE4ELNS1_11target_archE910ELNS1_3gpuE8ELNS1_3repE0EEENS1_48merge_mergepath_partition_config_static_selectorELNS0_4arch9wavefront6targetE0EEEvSL_.uses_vcc, 0
	.set _ZN7rocprim17ROCPRIM_400000_NS6detail17trampoline_kernelINS0_14default_configENS1_38merge_sort_block_merge_config_selectorIiNS0_10empty_typeEEEZZNS1_27merge_sort_block_merge_implIS3_N6thrust23THRUST_200600_302600_NS6detail15normal_iteratorINS9_10device_ptrIiEEEEPS5_jNS1_19radix_merge_compareILb0ELb0EiNS0_19identity_decomposerEEEEE10hipError_tT0_T1_T2_jT3_P12ihipStream_tbPNSt15iterator_traitsISK_E10value_typeEPNSQ_ISL_E10value_typeEPSM_NS1_7vsmem_tEENKUlT_SK_SL_SM_E_clISE_PiSF_SF_EESJ_SZ_SK_SL_SM_EUlSZ_E_NS1_11comp_targetILNS1_3genE4ELNS1_11target_archE910ELNS1_3gpuE8ELNS1_3repE0EEENS1_48merge_mergepath_partition_config_static_selectorELNS0_4arch9wavefront6targetE0EEEvSL_.uses_flat_scratch, 0
	.set _ZN7rocprim17ROCPRIM_400000_NS6detail17trampoline_kernelINS0_14default_configENS1_38merge_sort_block_merge_config_selectorIiNS0_10empty_typeEEEZZNS1_27merge_sort_block_merge_implIS3_N6thrust23THRUST_200600_302600_NS6detail15normal_iteratorINS9_10device_ptrIiEEEEPS5_jNS1_19radix_merge_compareILb0ELb0EiNS0_19identity_decomposerEEEEE10hipError_tT0_T1_T2_jT3_P12ihipStream_tbPNSt15iterator_traitsISK_E10value_typeEPNSQ_ISL_E10value_typeEPSM_NS1_7vsmem_tEENKUlT_SK_SL_SM_E_clISE_PiSF_SF_EESJ_SZ_SK_SL_SM_EUlSZ_E_NS1_11comp_targetILNS1_3genE4ELNS1_11target_archE910ELNS1_3gpuE8ELNS1_3repE0EEENS1_48merge_mergepath_partition_config_static_selectorELNS0_4arch9wavefront6targetE0EEEvSL_.has_dyn_sized_stack, 0
	.set _ZN7rocprim17ROCPRIM_400000_NS6detail17trampoline_kernelINS0_14default_configENS1_38merge_sort_block_merge_config_selectorIiNS0_10empty_typeEEEZZNS1_27merge_sort_block_merge_implIS3_N6thrust23THRUST_200600_302600_NS6detail15normal_iteratorINS9_10device_ptrIiEEEEPS5_jNS1_19radix_merge_compareILb0ELb0EiNS0_19identity_decomposerEEEEE10hipError_tT0_T1_T2_jT3_P12ihipStream_tbPNSt15iterator_traitsISK_E10value_typeEPNSQ_ISL_E10value_typeEPSM_NS1_7vsmem_tEENKUlT_SK_SL_SM_E_clISE_PiSF_SF_EESJ_SZ_SK_SL_SM_EUlSZ_E_NS1_11comp_targetILNS1_3genE4ELNS1_11target_archE910ELNS1_3gpuE8ELNS1_3repE0EEENS1_48merge_mergepath_partition_config_static_selectorELNS0_4arch9wavefront6targetE0EEEvSL_.has_recursion, 0
	.set _ZN7rocprim17ROCPRIM_400000_NS6detail17trampoline_kernelINS0_14default_configENS1_38merge_sort_block_merge_config_selectorIiNS0_10empty_typeEEEZZNS1_27merge_sort_block_merge_implIS3_N6thrust23THRUST_200600_302600_NS6detail15normal_iteratorINS9_10device_ptrIiEEEEPS5_jNS1_19radix_merge_compareILb0ELb0EiNS0_19identity_decomposerEEEEE10hipError_tT0_T1_T2_jT3_P12ihipStream_tbPNSt15iterator_traitsISK_E10value_typeEPNSQ_ISL_E10value_typeEPSM_NS1_7vsmem_tEENKUlT_SK_SL_SM_E_clISE_PiSF_SF_EESJ_SZ_SK_SL_SM_EUlSZ_E_NS1_11comp_targetILNS1_3genE4ELNS1_11target_archE910ELNS1_3gpuE8ELNS1_3repE0EEENS1_48merge_mergepath_partition_config_static_selectorELNS0_4arch9wavefront6targetE0EEEvSL_.has_indirect_call, 0
	.section	.AMDGPU.csdata,"",@progbits
; Kernel info:
; codeLenInByte = 0
; TotalNumSgprs: 0
; NumVgprs: 0
; ScratchSize: 0
; MemoryBound: 0
; FloatMode: 240
; IeeeMode: 1
; LDSByteSize: 0 bytes/workgroup (compile time only)
; SGPRBlocks: 0
; VGPRBlocks: 0
; NumSGPRsForWavesPerEU: 1
; NumVGPRsForWavesPerEU: 1
; Occupancy: 16
; WaveLimiterHint : 0
; COMPUTE_PGM_RSRC2:SCRATCH_EN: 0
; COMPUTE_PGM_RSRC2:USER_SGPR: 6
; COMPUTE_PGM_RSRC2:TRAP_HANDLER: 0
; COMPUTE_PGM_RSRC2:TGID_X_EN: 1
; COMPUTE_PGM_RSRC2:TGID_Y_EN: 0
; COMPUTE_PGM_RSRC2:TGID_Z_EN: 0
; COMPUTE_PGM_RSRC2:TIDIG_COMP_CNT: 0
	.section	.text._ZN7rocprim17ROCPRIM_400000_NS6detail17trampoline_kernelINS0_14default_configENS1_38merge_sort_block_merge_config_selectorIiNS0_10empty_typeEEEZZNS1_27merge_sort_block_merge_implIS3_N6thrust23THRUST_200600_302600_NS6detail15normal_iteratorINS9_10device_ptrIiEEEEPS5_jNS1_19radix_merge_compareILb0ELb0EiNS0_19identity_decomposerEEEEE10hipError_tT0_T1_T2_jT3_P12ihipStream_tbPNSt15iterator_traitsISK_E10value_typeEPNSQ_ISL_E10value_typeEPSM_NS1_7vsmem_tEENKUlT_SK_SL_SM_E_clISE_PiSF_SF_EESJ_SZ_SK_SL_SM_EUlSZ_E_NS1_11comp_targetILNS1_3genE3ELNS1_11target_archE908ELNS1_3gpuE7ELNS1_3repE0EEENS1_48merge_mergepath_partition_config_static_selectorELNS0_4arch9wavefront6targetE0EEEvSL_,"axG",@progbits,_ZN7rocprim17ROCPRIM_400000_NS6detail17trampoline_kernelINS0_14default_configENS1_38merge_sort_block_merge_config_selectorIiNS0_10empty_typeEEEZZNS1_27merge_sort_block_merge_implIS3_N6thrust23THRUST_200600_302600_NS6detail15normal_iteratorINS9_10device_ptrIiEEEEPS5_jNS1_19radix_merge_compareILb0ELb0EiNS0_19identity_decomposerEEEEE10hipError_tT0_T1_T2_jT3_P12ihipStream_tbPNSt15iterator_traitsISK_E10value_typeEPNSQ_ISL_E10value_typeEPSM_NS1_7vsmem_tEENKUlT_SK_SL_SM_E_clISE_PiSF_SF_EESJ_SZ_SK_SL_SM_EUlSZ_E_NS1_11comp_targetILNS1_3genE3ELNS1_11target_archE908ELNS1_3gpuE7ELNS1_3repE0EEENS1_48merge_mergepath_partition_config_static_selectorELNS0_4arch9wavefront6targetE0EEEvSL_,comdat
	.protected	_ZN7rocprim17ROCPRIM_400000_NS6detail17trampoline_kernelINS0_14default_configENS1_38merge_sort_block_merge_config_selectorIiNS0_10empty_typeEEEZZNS1_27merge_sort_block_merge_implIS3_N6thrust23THRUST_200600_302600_NS6detail15normal_iteratorINS9_10device_ptrIiEEEEPS5_jNS1_19radix_merge_compareILb0ELb0EiNS0_19identity_decomposerEEEEE10hipError_tT0_T1_T2_jT3_P12ihipStream_tbPNSt15iterator_traitsISK_E10value_typeEPNSQ_ISL_E10value_typeEPSM_NS1_7vsmem_tEENKUlT_SK_SL_SM_E_clISE_PiSF_SF_EESJ_SZ_SK_SL_SM_EUlSZ_E_NS1_11comp_targetILNS1_3genE3ELNS1_11target_archE908ELNS1_3gpuE7ELNS1_3repE0EEENS1_48merge_mergepath_partition_config_static_selectorELNS0_4arch9wavefront6targetE0EEEvSL_ ; -- Begin function _ZN7rocprim17ROCPRIM_400000_NS6detail17trampoline_kernelINS0_14default_configENS1_38merge_sort_block_merge_config_selectorIiNS0_10empty_typeEEEZZNS1_27merge_sort_block_merge_implIS3_N6thrust23THRUST_200600_302600_NS6detail15normal_iteratorINS9_10device_ptrIiEEEEPS5_jNS1_19radix_merge_compareILb0ELb0EiNS0_19identity_decomposerEEEEE10hipError_tT0_T1_T2_jT3_P12ihipStream_tbPNSt15iterator_traitsISK_E10value_typeEPNSQ_ISL_E10value_typeEPSM_NS1_7vsmem_tEENKUlT_SK_SL_SM_E_clISE_PiSF_SF_EESJ_SZ_SK_SL_SM_EUlSZ_E_NS1_11comp_targetILNS1_3genE3ELNS1_11target_archE908ELNS1_3gpuE7ELNS1_3repE0EEENS1_48merge_mergepath_partition_config_static_selectorELNS0_4arch9wavefront6targetE0EEEvSL_
	.globl	_ZN7rocprim17ROCPRIM_400000_NS6detail17trampoline_kernelINS0_14default_configENS1_38merge_sort_block_merge_config_selectorIiNS0_10empty_typeEEEZZNS1_27merge_sort_block_merge_implIS3_N6thrust23THRUST_200600_302600_NS6detail15normal_iteratorINS9_10device_ptrIiEEEEPS5_jNS1_19radix_merge_compareILb0ELb0EiNS0_19identity_decomposerEEEEE10hipError_tT0_T1_T2_jT3_P12ihipStream_tbPNSt15iterator_traitsISK_E10value_typeEPNSQ_ISL_E10value_typeEPSM_NS1_7vsmem_tEENKUlT_SK_SL_SM_E_clISE_PiSF_SF_EESJ_SZ_SK_SL_SM_EUlSZ_E_NS1_11comp_targetILNS1_3genE3ELNS1_11target_archE908ELNS1_3gpuE7ELNS1_3repE0EEENS1_48merge_mergepath_partition_config_static_selectorELNS0_4arch9wavefront6targetE0EEEvSL_
	.p2align	8
	.type	_ZN7rocprim17ROCPRIM_400000_NS6detail17trampoline_kernelINS0_14default_configENS1_38merge_sort_block_merge_config_selectorIiNS0_10empty_typeEEEZZNS1_27merge_sort_block_merge_implIS3_N6thrust23THRUST_200600_302600_NS6detail15normal_iteratorINS9_10device_ptrIiEEEEPS5_jNS1_19radix_merge_compareILb0ELb0EiNS0_19identity_decomposerEEEEE10hipError_tT0_T1_T2_jT3_P12ihipStream_tbPNSt15iterator_traitsISK_E10value_typeEPNSQ_ISL_E10value_typeEPSM_NS1_7vsmem_tEENKUlT_SK_SL_SM_E_clISE_PiSF_SF_EESJ_SZ_SK_SL_SM_EUlSZ_E_NS1_11comp_targetILNS1_3genE3ELNS1_11target_archE908ELNS1_3gpuE7ELNS1_3repE0EEENS1_48merge_mergepath_partition_config_static_selectorELNS0_4arch9wavefront6targetE0EEEvSL_,@function
_ZN7rocprim17ROCPRIM_400000_NS6detail17trampoline_kernelINS0_14default_configENS1_38merge_sort_block_merge_config_selectorIiNS0_10empty_typeEEEZZNS1_27merge_sort_block_merge_implIS3_N6thrust23THRUST_200600_302600_NS6detail15normal_iteratorINS9_10device_ptrIiEEEEPS5_jNS1_19radix_merge_compareILb0ELb0EiNS0_19identity_decomposerEEEEE10hipError_tT0_T1_T2_jT3_P12ihipStream_tbPNSt15iterator_traitsISK_E10value_typeEPNSQ_ISL_E10value_typeEPSM_NS1_7vsmem_tEENKUlT_SK_SL_SM_E_clISE_PiSF_SF_EESJ_SZ_SK_SL_SM_EUlSZ_E_NS1_11comp_targetILNS1_3genE3ELNS1_11target_archE908ELNS1_3gpuE7ELNS1_3repE0EEENS1_48merge_mergepath_partition_config_static_selectorELNS0_4arch9wavefront6targetE0EEEvSL_: ; @_ZN7rocprim17ROCPRIM_400000_NS6detail17trampoline_kernelINS0_14default_configENS1_38merge_sort_block_merge_config_selectorIiNS0_10empty_typeEEEZZNS1_27merge_sort_block_merge_implIS3_N6thrust23THRUST_200600_302600_NS6detail15normal_iteratorINS9_10device_ptrIiEEEEPS5_jNS1_19radix_merge_compareILb0ELb0EiNS0_19identity_decomposerEEEEE10hipError_tT0_T1_T2_jT3_P12ihipStream_tbPNSt15iterator_traitsISK_E10value_typeEPNSQ_ISL_E10value_typeEPSM_NS1_7vsmem_tEENKUlT_SK_SL_SM_E_clISE_PiSF_SF_EESJ_SZ_SK_SL_SM_EUlSZ_E_NS1_11comp_targetILNS1_3genE3ELNS1_11target_archE908ELNS1_3gpuE7ELNS1_3repE0EEENS1_48merge_mergepath_partition_config_static_selectorELNS0_4arch9wavefront6targetE0EEEvSL_
; %bb.0:
	.section	.rodata,"a",@progbits
	.p2align	6, 0x0
	.amdhsa_kernel _ZN7rocprim17ROCPRIM_400000_NS6detail17trampoline_kernelINS0_14default_configENS1_38merge_sort_block_merge_config_selectorIiNS0_10empty_typeEEEZZNS1_27merge_sort_block_merge_implIS3_N6thrust23THRUST_200600_302600_NS6detail15normal_iteratorINS9_10device_ptrIiEEEEPS5_jNS1_19radix_merge_compareILb0ELb0EiNS0_19identity_decomposerEEEEE10hipError_tT0_T1_T2_jT3_P12ihipStream_tbPNSt15iterator_traitsISK_E10value_typeEPNSQ_ISL_E10value_typeEPSM_NS1_7vsmem_tEENKUlT_SK_SL_SM_E_clISE_PiSF_SF_EESJ_SZ_SK_SL_SM_EUlSZ_E_NS1_11comp_targetILNS1_3genE3ELNS1_11target_archE908ELNS1_3gpuE7ELNS1_3repE0EEENS1_48merge_mergepath_partition_config_static_selectorELNS0_4arch9wavefront6targetE0EEEvSL_
		.amdhsa_group_segment_fixed_size 0
		.amdhsa_private_segment_fixed_size 0
		.amdhsa_kernarg_size 40
		.amdhsa_user_sgpr_count 6
		.amdhsa_user_sgpr_private_segment_buffer 1
		.amdhsa_user_sgpr_dispatch_ptr 0
		.amdhsa_user_sgpr_queue_ptr 0
		.amdhsa_user_sgpr_kernarg_segment_ptr 1
		.amdhsa_user_sgpr_dispatch_id 0
		.amdhsa_user_sgpr_flat_scratch_init 0
		.amdhsa_user_sgpr_private_segment_size 0
		.amdhsa_wavefront_size32 1
		.amdhsa_uses_dynamic_stack 0
		.amdhsa_system_sgpr_private_segment_wavefront_offset 0
		.amdhsa_system_sgpr_workgroup_id_x 1
		.amdhsa_system_sgpr_workgroup_id_y 0
		.amdhsa_system_sgpr_workgroup_id_z 0
		.amdhsa_system_sgpr_workgroup_info 0
		.amdhsa_system_vgpr_workitem_id 0
		.amdhsa_next_free_vgpr 1
		.amdhsa_next_free_sgpr 1
		.amdhsa_reserve_vcc 0
		.amdhsa_reserve_flat_scratch 0
		.amdhsa_float_round_mode_32 0
		.amdhsa_float_round_mode_16_64 0
		.amdhsa_float_denorm_mode_32 3
		.amdhsa_float_denorm_mode_16_64 3
		.amdhsa_dx10_clamp 1
		.amdhsa_ieee_mode 1
		.amdhsa_fp16_overflow 0
		.amdhsa_workgroup_processor_mode 1
		.amdhsa_memory_ordered 1
		.amdhsa_forward_progress 1
		.amdhsa_shared_vgpr_count 0
		.amdhsa_exception_fp_ieee_invalid_op 0
		.amdhsa_exception_fp_denorm_src 0
		.amdhsa_exception_fp_ieee_div_zero 0
		.amdhsa_exception_fp_ieee_overflow 0
		.amdhsa_exception_fp_ieee_underflow 0
		.amdhsa_exception_fp_ieee_inexact 0
		.amdhsa_exception_int_div_zero 0
	.end_amdhsa_kernel
	.section	.text._ZN7rocprim17ROCPRIM_400000_NS6detail17trampoline_kernelINS0_14default_configENS1_38merge_sort_block_merge_config_selectorIiNS0_10empty_typeEEEZZNS1_27merge_sort_block_merge_implIS3_N6thrust23THRUST_200600_302600_NS6detail15normal_iteratorINS9_10device_ptrIiEEEEPS5_jNS1_19radix_merge_compareILb0ELb0EiNS0_19identity_decomposerEEEEE10hipError_tT0_T1_T2_jT3_P12ihipStream_tbPNSt15iterator_traitsISK_E10value_typeEPNSQ_ISL_E10value_typeEPSM_NS1_7vsmem_tEENKUlT_SK_SL_SM_E_clISE_PiSF_SF_EESJ_SZ_SK_SL_SM_EUlSZ_E_NS1_11comp_targetILNS1_3genE3ELNS1_11target_archE908ELNS1_3gpuE7ELNS1_3repE0EEENS1_48merge_mergepath_partition_config_static_selectorELNS0_4arch9wavefront6targetE0EEEvSL_,"axG",@progbits,_ZN7rocprim17ROCPRIM_400000_NS6detail17trampoline_kernelINS0_14default_configENS1_38merge_sort_block_merge_config_selectorIiNS0_10empty_typeEEEZZNS1_27merge_sort_block_merge_implIS3_N6thrust23THRUST_200600_302600_NS6detail15normal_iteratorINS9_10device_ptrIiEEEEPS5_jNS1_19radix_merge_compareILb0ELb0EiNS0_19identity_decomposerEEEEE10hipError_tT0_T1_T2_jT3_P12ihipStream_tbPNSt15iterator_traitsISK_E10value_typeEPNSQ_ISL_E10value_typeEPSM_NS1_7vsmem_tEENKUlT_SK_SL_SM_E_clISE_PiSF_SF_EESJ_SZ_SK_SL_SM_EUlSZ_E_NS1_11comp_targetILNS1_3genE3ELNS1_11target_archE908ELNS1_3gpuE7ELNS1_3repE0EEENS1_48merge_mergepath_partition_config_static_selectorELNS0_4arch9wavefront6targetE0EEEvSL_,comdat
.Lfunc_end47:
	.size	_ZN7rocprim17ROCPRIM_400000_NS6detail17trampoline_kernelINS0_14default_configENS1_38merge_sort_block_merge_config_selectorIiNS0_10empty_typeEEEZZNS1_27merge_sort_block_merge_implIS3_N6thrust23THRUST_200600_302600_NS6detail15normal_iteratorINS9_10device_ptrIiEEEEPS5_jNS1_19radix_merge_compareILb0ELb0EiNS0_19identity_decomposerEEEEE10hipError_tT0_T1_T2_jT3_P12ihipStream_tbPNSt15iterator_traitsISK_E10value_typeEPNSQ_ISL_E10value_typeEPSM_NS1_7vsmem_tEENKUlT_SK_SL_SM_E_clISE_PiSF_SF_EESJ_SZ_SK_SL_SM_EUlSZ_E_NS1_11comp_targetILNS1_3genE3ELNS1_11target_archE908ELNS1_3gpuE7ELNS1_3repE0EEENS1_48merge_mergepath_partition_config_static_selectorELNS0_4arch9wavefront6targetE0EEEvSL_, .Lfunc_end47-_ZN7rocprim17ROCPRIM_400000_NS6detail17trampoline_kernelINS0_14default_configENS1_38merge_sort_block_merge_config_selectorIiNS0_10empty_typeEEEZZNS1_27merge_sort_block_merge_implIS3_N6thrust23THRUST_200600_302600_NS6detail15normal_iteratorINS9_10device_ptrIiEEEEPS5_jNS1_19radix_merge_compareILb0ELb0EiNS0_19identity_decomposerEEEEE10hipError_tT0_T1_T2_jT3_P12ihipStream_tbPNSt15iterator_traitsISK_E10value_typeEPNSQ_ISL_E10value_typeEPSM_NS1_7vsmem_tEENKUlT_SK_SL_SM_E_clISE_PiSF_SF_EESJ_SZ_SK_SL_SM_EUlSZ_E_NS1_11comp_targetILNS1_3genE3ELNS1_11target_archE908ELNS1_3gpuE7ELNS1_3repE0EEENS1_48merge_mergepath_partition_config_static_selectorELNS0_4arch9wavefront6targetE0EEEvSL_
                                        ; -- End function
	.set _ZN7rocprim17ROCPRIM_400000_NS6detail17trampoline_kernelINS0_14default_configENS1_38merge_sort_block_merge_config_selectorIiNS0_10empty_typeEEEZZNS1_27merge_sort_block_merge_implIS3_N6thrust23THRUST_200600_302600_NS6detail15normal_iteratorINS9_10device_ptrIiEEEEPS5_jNS1_19radix_merge_compareILb0ELb0EiNS0_19identity_decomposerEEEEE10hipError_tT0_T1_T2_jT3_P12ihipStream_tbPNSt15iterator_traitsISK_E10value_typeEPNSQ_ISL_E10value_typeEPSM_NS1_7vsmem_tEENKUlT_SK_SL_SM_E_clISE_PiSF_SF_EESJ_SZ_SK_SL_SM_EUlSZ_E_NS1_11comp_targetILNS1_3genE3ELNS1_11target_archE908ELNS1_3gpuE7ELNS1_3repE0EEENS1_48merge_mergepath_partition_config_static_selectorELNS0_4arch9wavefront6targetE0EEEvSL_.num_vgpr, 0
	.set _ZN7rocprim17ROCPRIM_400000_NS6detail17trampoline_kernelINS0_14default_configENS1_38merge_sort_block_merge_config_selectorIiNS0_10empty_typeEEEZZNS1_27merge_sort_block_merge_implIS3_N6thrust23THRUST_200600_302600_NS6detail15normal_iteratorINS9_10device_ptrIiEEEEPS5_jNS1_19radix_merge_compareILb0ELb0EiNS0_19identity_decomposerEEEEE10hipError_tT0_T1_T2_jT3_P12ihipStream_tbPNSt15iterator_traitsISK_E10value_typeEPNSQ_ISL_E10value_typeEPSM_NS1_7vsmem_tEENKUlT_SK_SL_SM_E_clISE_PiSF_SF_EESJ_SZ_SK_SL_SM_EUlSZ_E_NS1_11comp_targetILNS1_3genE3ELNS1_11target_archE908ELNS1_3gpuE7ELNS1_3repE0EEENS1_48merge_mergepath_partition_config_static_selectorELNS0_4arch9wavefront6targetE0EEEvSL_.num_agpr, 0
	.set _ZN7rocprim17ROCPRIM_400000_NS6detail17trampoline_kernelINS0_14default_configENS1_38merge_sort_block_merge_config_selectorIiNS0_10empty_typeEEEZZNS1_27merge_sort_block_merge_implIS3_N6thrust23THRUST_200600_302600_NS6detail15normal_iteratorINS9_10device_ptrIiEEEEPS5_jNS1_19radix_merge_compareILb0ELb0EiNS0_19identity_decomposerEEEEE10hipError_tT0_T1_T2_jT3_P12ihipStream_tbPNSt15iterator_traitsISK_E10value_typeEPNSQ_ISL_E10value_typeEPSM_NS1_7vsmem_tEENKUlT_SK_SL_SM_E_clISE_PiSF_SF_EESJ_SZ_SK_SL_SM_EUlSZ_E_NS1_11comp_targetILNS1_3genE3ELNS1_11target_archE908ELNS1_3gpuE7ELNS1_3repE0EEENS1_48merge_mergepath_partition_config_static_selectorELNS0_4arch9wavefront6targetE0EEEvSL_.numbered_sgpr, 0
	.set _ZN7rocprim17ROCPRIM_400000_NS6detail17trampoline_kernelINS0_14default_configENS1_38merge_sort_block_merge_config_selectorIiNS0_10empty_typeEEEZZNS1_27merge_sort_block_merge_implIS3_N6thrust23THRUST_200600_302600_NS6detail15normal_iteratorINS9_10device_ptrIiEEEEPS5_jNS1_19radix_merge_compareILb0ELb0EiNS0_19identity_decomposerEEEEE10hipError_tT0_T1_T2_jT3_P12ihipStream_tbPNSt15iterator_traitsISK_E10value_typeEPNSQ_ISL_E10value_typeEPSM_NS1_7vsmem_tEENKUlT_SK_SL_SM_E_clISE_PiSF_SF_EESJ_SZ_SK_SL_SM_EUlSZ_E_NS1_11comp_targetILNS1_3genE3ELNS1_11target_archE908ELNS1_3gpuE7ELNS1_3repE0EEENS1_48merge_mergepath_partition_config_static_selectorELNS0_4arch9wavefront6targetE0EEEvSL_.num_named_barrier, 0
	.set _ZN7rocprim17ROCPRIM_400000_NS6detail17trampoline_kernelINS0_14default_configENS1_38merge_sort_block_merge_config_selectorIiNS0_10empty_typeEEEZZNS1_27merge_sort_block_merge_implIS3_N6thrust23THRUST_200600_302600_NS6detail15normal_iteratorINS9_10device_ptrIiEEEEPS5_jNS1_19radix_merge_compareILb0ELb0EiNS0_19identity_decomposerEEEEE10hipError_tT0_T1_T2_jT3_P12ihipStream_tbPNSt15iterator_traitsISK_E10value_typeEPNSQ_ISL_E10value_typeEPSM_NS1_7vsmem_tEENKUlT_SK_SL_SM_E_clISE_PiSF_SF_EESJ_SZ_SK_SL_SM_EUlSZ_E_NS1_11comp_targetILNS1_3genE3ELNS1_11target_archE908ELNS1_3gpuE7ELNS1_3repE0EEENS1_48merge_mergepath_partition_config_static_selectorELNS0_4arch9wavefront6targetE0EEEvSL_.private_seg_size, 0
	.set _ZN7rocprim17ROCPRIM_400000_NS6detail17trampoline_kernelINS0_14default_configENS1_38merge_sort_block_merge_config_selectorIiNS0_10empty_typeEEEZZNS1_27merge_sort_block_merge_implIS3_N6thrust23THRUST_200600_302600_NS6detail15normal_iteratorINS9_10device_ptrIiEEEEPS5_jNS1_19radix_merge_compareILb0ELb0EiNS0_19identity_decomposerEEEEE10hipError_tT0_T1_T2_jT3_P12ihipStream_tbPNSt15iterator_traitsISK_E10value_typeEPNSQ_ISL_E10value_typeEPSM_NS1_7vsmem_tEENKUlT_SK_SL_SM_E_clISE_PiSF_SF_EESJ_SZ_SK_SL_SM_EUlSZ_E_NS1_11comp_targetILNS1_3genE3ELNS1_11target_archE908ELNS1_3gpuE7ELNS1_3repE0EEENS1_48merge_mergepath_partition_config_static_selectorELNS0_4arch9wavefront6targetE0EEEvSL_.uses_vcc, 0
	.set _ZN7rocprim17ROCPRIM_400000_NS6detail17trampoline_kernelINS0_14default_configENS1_38merge_sort_block_merge_config_selectorIiNS0_10empty_typeEEEZZNS1_27merge_sort_block_merge_implIS3_N6thrust23THRUST_200600_302600_NS6detail15normal_iteratorINS9_10device_ptrIiEEEEPS5_jNS1_19radix_merge_compareILb0ELb0EiNS0_19identity_decomposerEEEEE10hipError_tT0_T1_T2_jT3_P12ihipStream_tbPNSt15iterator_traitsISK_E10value_typeEPNSQ_ISL_E10value_typeEPSM_NS1_7vsmem_tEENKUlT_SK_SL_SM_E_clISE_PiSF_SF_EESJ_SZ_SK_SL_SM_EUlSZ_E_NS1_11comp_targetILNS1_3genE3ELNS1_11target_archE908ELNS1_3gpuE7ELNS1_3repE0EEENS1_48merge_mergepath_partition_config_static_selectorELNS0_4arch9wavefront6targetE0EEEvSL_.uses_flat_scratch, 0
	.set _ZN7rocprim17ROCPRIM_400000_NS6detail17trampoline_kernelINS0_14default_configENS1_38merge_sort_block_merge_config_selectorIiNS0_10empty_typeEEEZZNS1_27merge_sort_block_merge_implIS3_N6thrust23THRUST_200600_302600_NS6detail15normal_iteratorINS9_10device_ptrIiEEEEPS5_jNS1_19radix_merge_compareILb0ELb0EiNS0_19identity_decomposerEEEEE10hipError_tT0_T1_T2_jT3_P12ihipStream_tbPNSt15iterator_traitsISK_E10value_typeEPNSQ_ISL_E10value_typeEPSM_NS1_7vsmem_tEENKUlT_SK_SL_SM_E_clISE_PiSF_SF_EESJ_SZ_SK_SL_SM_EUlSZ_E_NS1_11comp_targetILNS1_3genE3ELNS1_11target_archE908ELNS1_3gpuE7ELNS1_3repE0EEENS1_48merge_mergepath_partition_config_static_selectorELNS0_4arch9wavefront6targetE0EEEvSL_.has_dyn_sized_stack, 0
	.set _ZN7rocprim17ROCPRIM_400000_NS6detail17trampoline_kernelINS0_14default_configENS1_38merge_sort_block_merge_config_selectorIiNS0_10empty_typeEEEZZNS1_27merge_sort_block_merge_implIS3_N6thrust23THRUST_200600_302600_NS6detail15normal_iteratorINS9_10device_ptrIiEEEEPS5_jNS1_19radix_merge_compareILb0ELb0EiNS0_19identity_decomposerEEEEE10hipError_tT0_T1_T2_jT3_P12ihipStream_tbPNSt15iterator_traitsISK_E10value_typeEPNSQ_ISL_E10value_typeEPSM_NS1_7vsmem_tEENKUlT_SK_SL_SM_E_clISE_PiSF_SF_EESJ_SZ_SK_SL_SM_EUlSZ_E_NS1_11comp_targetILNS1_3genE3ELNS1_11target_archE908ELNS1_3gpuE7ELNS1_3repE0EEENS1_48merge_mergepath_partition_config_static_selectorELNS0_4arch9wavefront6targetE0EEEvSL_.has_recursion, 0
	.set _ZN7rocprim17ROCPRIM_400000_NS6detail17trampoline_kernelINS0_14default_configENS1_38merge_sort_block_merge_config_selectorIiNS0_10empty_typeEEEZZNS1_27merge_sort_block_merge_implIS3_N6thrust23THRUST_200600_302600_NS6detail15normal_iteratorINS9_10device_ptrIiEEEEPS5_jNS1_19radix_merge_compareILb0ELb0EiNS0_19identity_decomposerEEEEE10hipError_tT0_T1_T2_jT3_P12ihipStream_tbPNSt15iterator_traitsISK_E10value_typeEPNSQ_ISL_E10value_typeEPSM_NS1_7vsmem_tEENKUlT_SK_SL_SM_E_clISE_PiSF_SF_EESJ_SZ_SK_SL_SM_EUlSZ_E_NS1_11comp_targetILNS1_3genE3ELNS1_11target_archE908ELNS1_3gpuE7ELNS1_3repE0EEENS1_48merge_mergepath_partition_config_static_selectorELNS0_4arch9wavefront6targetE0EEEvSL_.has_indirect_call, 0
	.section	.AMDGPU.csdata,"",@progbits
; Kernel info:
; codeLenInByte = 0
; TotalNumSgprs: 0
; NumVgprs: 0
; ScratchSize: 0
; MemoryBound: 0
; FloatMode: 240
; IeeeMode: 1
; LDSByteSize: 0 bytes/workgroup (compile time only)
; SGPRBlocks: 0
; VGPRBlocks: 0
; NumSGPRsForWavesPerEU: 1
; NumVGPRsForWavesPerEU: 1
; Occupancy: 16
; WaveLimiterHint : 0
; COMPUTE_PGM_RSRC2:SCRATCH_EN: 0
; COMPUTE_PGM_RSRC2:USER_SGPR: 6
; COMPUTE_PGM_RSRC2:TRAP_HANDLER: 0
; COMPUTE_PGM_RSRC2:TGID_X_EN: 1
; COMPUTE_PGM_RSRC2:TGID_Y_EN: 0
; COMPUTE_PGM_RSRC2:TGID_Z_EN: 0
; COMPUTE_PGM_RSRC2:TIDIG_COMP_CNT: 0
	.section	.text._ZN7rocprim17ROCPRIM_400000_NS6detail17trampoline_kernelINS0_14default_configENS1_38merge_sort_block_merge_config_selectorIiNS0_10empty_typeEEEZZNS1_27merge_sort_block_merge_implIS3_N6thrust23THRUST_200600_302600_NS6detail15normal_iteratorINS9_10device_ptrIiEEEEPS5_jNS1_19radix_merge_compareILb0ELb0EiNS0_19identity_decomposerEEEEE10hipError_tT0_T1_T2_jT3_P12ihipStream_tbPNSt15iterator_traitsISK_E10value_typeEPNSQ_ISL_E10value_typeEPSM_NS1_7vsmem_tEENKUlT_SK_SL_SM_E_clISE_PiSF_SF_EESJ_SZ_SK_SL_SM_EUlSZ_E_NS1_11comp_targetILNS1_3genE2ELNS1_11target_archE906ELNS1_3gpuE6ELNS1_3repE0EEENS1_48merge_mergepath_partition_config_static_selectorELNS0_4arch9wavefront6targetE0EEEvSL_,"axG",@progbits,_ZN7rocprim17ROCPRIM_400000_NS6detail17trampoline_kernelINS0_14default_configENS1_38merge_sort_block_merge_config_selectorIiNS0_10empty_typeEEEZZNS1_27merge_sort_block_merge_implIS3_N6thrust23THRUST_200600_302600_NS6detail15normal_iteratorINS9_10device_ptrIiEEEEPS5_jNS1_19radix_merge_compareILb0ELb0EiNS0_19identity_decomposerEEEEE10hipError_tT0_T1_T2_jT3_P12ihipStream_tbPNSt15iterator_traitsISK_E10value_typeEPNSQ_ISL_E10value_typeEPSM_NS1_7vsmem_tEENKUlT_SK_SL_SM_E_clISE_PiSF_SF_EESJ_SZ_SK_SL_SM_EUlSZ_E_NS1_11comp_targetILNS1_3genE2ELNS1_11target_archE906ELNS1_3gpuE6ELNS1_3repE0EEENS1_48merge_mergepath_partition_config_static_selectorELNS0_4arch9wavefront6targetE0EEEvSL_,comdat
	.protected	_ZN7rocprim17ROCPRIM_400000_NS6detail17trampoline_kernelINS0_14default_configENS1_38merge_sort_block_merge_config_selectorIiNS0_10empty_typeEEEZZNS1_27merge_sort_block_merge_implIS3_N6thrust23THRUST_200600_302600_NS6detail15normal_iteratorINS9_10device_ptrIiEEEEPS5_jNS1_19radix_merge_compareILb0ELb0EiNS0_19identity_decomposerEEEEE10hipError_tT0_T1_T2_jT3_P12ihipStream_tbPNSt15iterator_traitsISK_E10value_typeEPNSQ_ISL_E10value_typeEPSM_NS1_7vsmem_tEENKUlT_SK_SL_SM_E_clISE_PiSF_SF_EESJ_SZ_SK_SL_SM_EUlSZ_E_NS1_11comp_targetILNS1_3genE2ELNS1_11target_archE906ELNS1_3gpuE6ELNS1_3repE0EEENS1_48merge_mergepath_partition_config_static_selectorELNS0_4arch9wavefront6targetE0EEEvSL_ ; -- Begin function _ZN7rocprim17ROCPRIM_400000_NS6detail17trampoline_kernelINS0_14default_configENS1_38merge_sort_block_merge_config_selectorIiNS0_10empty_typeEEEZZNS1_27merge_sort_block_merge_implIS3_N6thrust23THRUST_200600_302600_NS6detail15normal_iteratorINS9_10device_ptrIiEEEEPS5_jNS1_19radix_merge_compareILb0ELb0EiNS0_19identity_decomposerEEEEE10hipError_tT0_T1_T2_jT3_P12ihipStream_tbPNSt15iterator_traitsISK_E10value_typeEPNSQ_ISL_E10value_typeEPSM_NS1_7vsmem_tEENKUlT_SK_SL_SM_E_clISE_PiSF_SF_EESJ_SZ_SK_SL_SM_EUlSZ_E_NS1_11comp_targetILNS1_3genE2ELNS1_11target_archE906ELNS1_3gpuE6ELNS1_3repE0EEENS1_48merge_mergepath_partition_config_static_selectorELNS0_4arch9wavefront6targetE0EEEvSL_
	.globl	_ZN7rocprim17ROCPRIM_400000_NS6detail17trampoline_kernelINS0_14default_configENS1_38merge_sort_block_merge_config_selectorIiNS0_10empty_typeEEEZZNS1_27merge_sort_block_merge_implIS3_N6thrust23THRUST_200600_302600_NS6detail15normal_iteratorINS9_10device_ptrIiEEEEPS5_jNS1_19radix_merge_compareILb0ELb0EiNS0_19identity_decomposerEEEEE10hipError_tT0_T1_T2_jT3_P12ihipStream_tbPNSt15iterator_traitsISK_E10value_typeEPNSQ_ISL_E10value_typeEPSM_NS1_7vsmem_tEENKUlT_SK_SL_SM_E_clISE_PiSF_SF_EESJ_SZ_SK_SL_SM_EUlSZ_E_NS1_11comp_targetILNS1_3genE2ELNS1_11target_archE906ELNS1_3gpuE6ELNS1_3repE0EEENS1_48merge_mergepath_partition_config_static_selectorELNS0_4arch9wavefront6targetE0EEEvSL_
	.p2align	8
	.type	_ZN7rocprim17ROCPRIM_400000_NS6detail17trampoline_kernelINS0_14default_configENS1_38merge_sort_block_merge_config_selectorIiNS0_10empty_typeEEEZZNS1_27merge_sort_block_merge_implIS3_N6thrust23THRUST_200600_302600_NS6detail15normal_iteratorINS9_10device_ptrIiEEEEPS5_jNS1_19radix_merge_compareILb0ELb0EiNS0_19identity_decomposerEEEEE10hipError_tT0_T1_T2_jT3_P12ihipStream_tbPNSt15iterator_traitsISK_E10value_typeEPNSQ_ISL_E10value_typeEPSM_NS1_7vsmem_tEENKUlT_SK_SL_SM_E_clISE_PiSF_SF_EESJ_SZ_SK_SL_SM_EUlSZ_E_NS1_11comp_targetILNS1_3genE2ELNS1_11target_archE906ELNS1_3gpuE6ELNS1_3repE0EEENS1_48merge_mergepath_partition_config_static_selectorELNS0_4arch9wavefront6targetE0EEEvSL_,@function
_ZN7rocprim17ROCPRIM_400000_NS6detail17trampoline_kernelINS0_14default_configENS1_38merge_sort_block_merge_config_selectorIiNS0_10empty_typeEEEZZNS1_27merge_sort_block_merge_implIS3_N6thrust23THRUST_200600_302600_NS6detail15normal_iteratorINS9_10device_ptrIiEEEEPS5_jNS1_19radix_merge_compareILb0ELb0EiNS0_19identity_decomposerEEEEE10hipError_tT0_T1_T2_jT3_P12ihipStream_tbPNSt15iterator_traitsISK_E10value_typeEPNSQ_ISL_E10value_typeEPSM_NS1_7vsmem_tEENKUlT_SK_SL_SM_E_clISE_PiSF_SF_EESJ_SZ_SK_SL_SM_EUlSZ_E_NS1_11comp_targetILNS1_3genE2ELNS1_11target_archE906ELNS1_3gpuE6ELNS1_3repE0EEENS1_48merge_mergepath_partition_config_static_selectorELNS0_4arch9wavefront6targetE0EEEvSL_: ; @_ZN7rocprim17ROCPRIM_400000_NS6detail17trampoline_kernelINS0_14default_configENS1_38merge_sort_block_merge_config_selectorIiNS0_10empty_typeEEEZZNS1_27merge_sort_block_merge_implIS3_N6thrust23THRUST_200600_302600_NS6detail15normal_iteratorINS9_10device_ptrIiEEEEPS5_jNS1_19radix_merge_compareILb0ELb0EiNS0_19identity_decomposerEEEEE10hipError_tT0_T1_T2_jT3_P12ihipStream_tbPNSt15iterator_traitsISK_E10value_typeEPNSQ_ISL_E10value_typeEPSM_NS1_7vsmem_tEENKUlT_SK_SL_SM_E_clISE_PiSF_SF_EESJ_SZ_SK_SL_SM_EUlSZ_E_NS1_11comp_targetILNS1_3genE2ELNS1_11target_archE906ELNS1_3gpuE6ELNS1_3repE0EEENS1_48merge_mergepath_partition_config_static_selectorELNS0_4arch9wavefront6targetE0EEEvSL_
; %bb.0:
	.section	.rodata,"a",@progbits
	.p2align	6, 0x0
	.amdhsa_kernel _ZN7rocprim17ROCPRIM_400000_NS6detail17trampoline_kernelINS0_14default_configENS1_38merge_sort_block_merge_config_selectorIiNS0_10empty_typeEEEZZNS1_27merge_sort_block_merge_implIS3_N6thrust23THRUST_200600_302600_NS6detail15normal_iteratorINS9_10device_ptrIiEEEEPS5_jNS1_19radix_merge_compareILb0ELb0EiNS0_19identity_decomposerEEEEE10hipError_tT0_T1_T2_jT3_P12ihipStream_tbPNSt15iterator_traitsISK_E10value_typeEPNSQ_ISL_E10value_typeEPSM_NS1_7vsmem_tEENKUlT_SK_SL_SM_E_clISE_PiSF_SF_EESJ_SZ_SK_SL_SM_EUlSZ_E_NS1_11comp_targetILNS1_3genE2ELNS1_11target_archE906ELNS1_3gpuE6ELNS1_3repE0EEENS1_48merge_mergepath_partition_config_static_selectorELNS0_4arch9wavefront6targetE0EEEvSL_
		.amdhsa_group_segment_fixed_size 0
		.amdhsa_private_segment_fixed_size 0
		.amdhsa_kernarg_size 40
		.amdhsa_user_sgpr_count 6
		.amdhsa_user_sgpr_private_segment_buffer 1
		.amdhsa_user_sgpr_dispatch_ptr 0
		.amdhsa_user_sgpr_queue_ptr 0
		.amdhsa_user_sgpr_kernarg_segment_ptr 1
		.amdhsa_user_sgpr_dispatch_id 0
		.amdhsa_user_sgpr_flat_scratch_init 0
		.amdhsa_user_sgpr_private_segment_size 0
		.amdhsa_wavefront_size32 1
		.amdhsa_uses_dynamic_stack 0
		.amdhsa_system_sgpr_private_segment_wavefront_offset 0
		.amdhsa_system_sgpr_workgroup_id_x 1
		.amdhsa_system_sgpr_workgroup_id_y 0
		.amdhsa_system_sgpr_workgroup_id_z 0
		.amdhsa_system_sgpr_workgroup_info 0
		.amdhsa_system_vgpr_workitem_id 0
		.amdhsa_next_free_vgpr 1
		.amdhsa_next_free_sgpr 1
		.amdhsa_reserve_vcc 0
		.amdhsa_reserve_flat_scratch 0
		.amdhsa_float_round_mode_32 0
		.amdhsa_float_round_mode_16_64 0
		.amdhsa_float_denorm_mode_32 3
		.amdhsa_float_denorm_mode_16_64 3
		.amdhsa_dx10_clamp 1
		.amdhsa_ieee_mode 1
		.amdhsa_fp16_overflow 0
		.amdhsa_workgroup_processor_mode 1
		.amdhsa_memory_ordered 1
		.amdhsa_forward_progress 1
		.amdhsa_shared_vgpr_count 0
		.amdhsa_exception_fp_ieee_invalid_op 0
		.amdhsa_exception_fp_denorm_src 0
		.amdhsa_exception_fp_ieee_div_zero 0
		.amdhsa_exception_fp_ieee_overflow 0
		.amdhsa_exception_fp_ieee_underflow 0
		.amdhsa_exception_fp_ieee_inexact 0
		.amdhsa_exception_int_div_zero 0
	.end_amdhsa_kernel
	.section	.text._ZN7rocprim17ROCPRIM_400000_NS6detail17trampoline_kernelINS0_14default_configENS1_38merge_sort_block_merge_config_selectorIiNS0_10empty_typeEEEZZNS1_27merge_sort_block_merge_implIS3_N6thrust23THRUST_200600_302600_NS6detail15normal_iteratorINS9_10device_ptrIiEEEEPS5_jNS1_19radix_merge_compareILb0ELb0EiNS0_19identity_decomposerEEEEE10hipError_tT0_T1_T2_jT3_P12ihipStream_tbPNSt15iterator_traitsISK_E10value_typeEPNSQ_ISL_E10value_typeEPSM_NS1_7vsmem_tEENKUlT_SK_SL_SM_E_clISE_PiSF_SF_EESJ_SZ_SK_SL_SM_EUlSZ_E_NS1_11comp_targetILNS1_3genE2ELNS1_11target_archE906ELNS1_3gpuE6ELNS1_3repE0EEENS1_48merge_mergepath_partition_config_static_selectorELNS0_4arch9wavefront6targetE0EEEvSL_,"axG",@progbits,_ZN7rocprim17ROCPRIM_400000_NS6detail17trampoline_kernelINS0_14default_configENS1_38merge_sort_block_merge_config_selectorIiNS0_10empty_typeEEEZZNS1_27merge_sort_block_merge_implIS3_N6thrust23THRUST_200600_302600_NS6detail15normal_iteratorINS9_10device_ptrIiEEEEPS5_jNS1_19radix_merge_compareILb0ELb0EiNS0_19identity_decomposerEEEEE10hipError_tT0_T1_T2_jT3_P12ihipStream_tbPNSt15iterator_traitsISK_E10value_typeEPNSQ_ISL_E10value_typeEPSM_NS1_7vsmem_tEENKUlT_SK_SL_SM_E_clISE_PiSF_SF_EESJ_SZ_SK_SL_SM_EUlSZ_E_NS1_11comp_targetILNS1_3genE2ELNS1_11target_archE906ELNS1_3gpuE6ELNS1_3repE0EEENS1_48merge_mergepath_partition_config_static_selectorELNS0_4arch9wavefront6targetE0EEEvSL_,comdat
.Lfunc_end48:
	.size	_ZN7rocprim17ROCPRIM_400000_NS6detail17trampoline_kernelINS0_14default_configENS1_38merge_sort_block_merge_config_selectorIiNS0_10empty_typeEEEZZNS1_27merge_sort_block_merge_implIS3_N6thrust23THRUST_200600_302600_NS6detail15normal_iteratorINS9_10device_ptrIiEEEEPS5_jNS1_19radix_merge_compareILb0ELb0EiNS0_19identity_decomposerEEEEE10hipError_tT0_T1_T2_jT3_P12ihipStream_tbPNSt15iterator_traitsISK_E10value_typeEPNSQ_ISL_E10value_typeEPSM_NS1_7vsmem_tEENKUlT_SK_SL_SM_E_clISE_PiSF_SF_EESJ_SZ_SK_SL_SM_EUlSZ_E_NS1_11comp_targetILNS1_3genE2ELNS1_11target_archE906ELNS1_3gpuE6ELNS1_3repE0EEENS1_48merge_mergepath_partition_config_static_selectorELNS0_4arch9wavefront6targetE0EEEvSL_, .Lfunc_end48-_ZN7rocprim17ROCPRIM_400000_NS6detail17trampoline_kernelINS0_14default_configENS1_38merge_sort_block_merge_config_selectorIiNS0_10empty_typeEEEZZNS1_27merge_sort_block_merge_implIS3_N6thrust23THRUST_200600_302600_NS6detail15normal_iteratorINS9_10device_ptrIiEEEEPS5_jNS1_19radix_merge_compareILb0ELb0EiNS0_19identity_decomposerEEEEE10hipError_tT0_T1_T2_jT3_P12ihipStream_tbPNSt15iterator_traitsISK_E10value_typeEPNSQ_ISL_E10value_typeEPSM_NS1_7vsmem_tEENKUlT_SK_SL_SM_E_clISE_PiSF_SF_EESJ_SZ_SK_SL_SM_EUlSZ_E_NS1_11comp_targetILNS1_3genE2ELNS1_11target_archE906ELNS1_3gpuE6ELNS1_3repE0EEENS1_48merge_mergepath_partition_config_static_selectorELNS0_4arch9wavefront6targetE0EEEvSL_
                                        ; -- End function
	.set _ZN7rocprim17ROCPRIM_400000_NS6detail17trampoline_kernelINS0_14default_configENS1_38merge_sort_block_merge_config_selectorIiNS0_10empty_typeEEEZZNS1_27merge_sort_block_merge_implIS3_N6thrust23THRUST_200600_302600_NS6detail15normal_iteratorINS9_10device_ptrIiEEEEPS5_jNS1_19radix_merge_compareILb0ELb0EiNS0_19identity_decomposerEEEEE10hipError_tT0_T1_T2_jT3_P12ihipStream_tbPNSt15iterator_traitsISK_E10value_typeEPNSQ_ISL_E10value_typeEPSM_NS1_7vsmem_tEENKUlT_SK_SL_SM_E_clISE_PiSF_SF_EESJ_SZ_SK_SL_SM_EUlSZ_E_NS1_11comp_targetILNS1_3genE2ELNS1_11target_archE906ELNS1_3gpuE6ELNS1_3repE0EEENS1_48merge_mergepath_partition_config_static_selectorELNS0_4arch9wavefront6targetE0EEEvSL_.num_vgpr, 0
	.set _ZN7rocprim17ROCPRIM_400000_NS6detail17trampoline_kernelINS0_14default_configENS1_38merge_sort_block_merge_config_selectorIiNS0_10empty_typeEEEZZNS1_27merge_sort_block_merge_implIS3_N6thrust23THRUST_200600_302600_NS6detail15normal_iteratorINS9_10device_ptrIiEEEEPS5_jNS1_19radix_merge_compareILb0ELb0EiNS0_19identity_decomposerEEEEE10hipError_tT0_T1_T2_jT3_P12ihipStream_tbPNSt15iterator_traitsISK_E10value_typeEPNSQ_ISL_E10value_typeEPSM_NS1_7vsmem_tEENKUlT_SK_SL_SM_E_clISE_PiSF_SF_EESJ_SZ_SK_SL_SM_EUlSZ_E_NS1_11comp_targetILNS1_3genE2ELNS1_11target_archE906ELNS1_3gpuE6ELNS1_3repE0EEENS1_48merge_mergepath_partition_config_static_selectorELNS0_4arch9wavefront6targetE0EEEvSL_.num_agpr, 0
	.set _ZN7rocprim17ROCPRIM_400000_NS6detail17trampoline_kernelINS0_14default_configENS1_38merge_sort_block_merge_config_selectorIiNS0_10empty_typeEEEZZNS1_27merge_sort_block_merge_implIS3_N6thrust23THRUST_200600_302600_NS6detail15normal_iteratorINS9_10device_ptrIiEEEEPS5_jNS1_19radix_merge_compareILb0ELb0EiNS0_19identity_decomposerEEEEE10hipError_tT0_T1_T2_jT3_P12ihipStream_tbPNSt15iterator_traitsISK_E10value_typeEPNSQ_ISL_E10value_typeEPSM_NS1_7vsmem_tEENKUlT_SK_SL_SM_E_clISE_PiSF_SF_EESJ_SZ_SK_SL_SM_EUlSZ_E_NS1_11comp_targetILNS1_3genE2ELNS1_11target_archE906ELNS1_3gpuE6ELNS1_3repE0EEENS1_48merge_mergepath_partition_config_static_selectorELNS0_4arch9wavefront6targetE0EEEvSL_.numbered_sgpr, 0
	.set _ZN7rocprim17ROCPRIM_400000_NS6detail17trampoline_kernelINS0_14default_configENS1_38merge_sort_block_merge_config_selectorIiNS0_10empty_typeEEEZZNS1_27merge_sort_block_merge_implIS3_N6thrust23THRUST_200600_302600_NS6detail15normal_iteratorINS9_10device_ptrIiEEEEPS5_jNS1_19radix_merge_compareILb0ELb0EiNS0_19identity_decomposerEEEEE10hipError_tT0_T1_T2_jT3_P12ihipStream_tbPNSt15iterator_traitsISK_E10value_typeEPNSQ_ISL_E10value_typeEPSM_NS1_7vsmem_tEENKUlT_SK_SL_SM_E_clISE_PiSF_SF_EESJ_SZ_SK_SL_SM_EUlSZ_E_NS1_11comp_targetILNS1_3genE2ELNS1_11target_archE906ELNS1_3gpuE6ELNS1_3repE0EEENS1_48merge_mergepath_partition_config_static_selectorELNS0_4arch9wavefront6targetE0EEEvSL_.num_named_barrier, 0
	.set _ZN7rocprim17ROCPRIM_400000_NS6detail17trampoline_kernelINS0_14default_configENS1_38merge_sort_block_merge_config_selectorIiNS0_10empty_typeEEEZZNS1_27merge_sort_block_merge_implIS3_N6thrust23THRUST_200600_302600_NS6detail15normal_iteratorINS9_10device_ptrIiEEEEPS5_jNS1_19radix_merge_compareILb0ELb0EiNS0_19identity_decomposerEEEEE10hipError_tT0_T1_T2_jT3_P12ihipStream_tbPNSt15iterator_traitsISK_E10value_typeEPNSQ_ISL_E10value_typeEPSM_NS1_7vsmem_tEENKUlT_SK_SL_SM_E_clISE_PiSF_SF_EESJ_SZ_SK_SL_SM_EUlSZ_E_NS1_11comp_targetILNS1_3genE2ELNS1_11target_archE906ELNS1_3gpuE6ELNS1_3repE0EEENS1_48merge_mergepath_partition_config_static_selectorELNS0_4arch9wavefront6targetE0EEEvSL_.private_seg_size, 0
	.set _ZN7rocprim17ROCPRIM_400000_NS6detail17trampoline_kernelINS0_14default_configENS1_38merge_sort_block_merge_config_selectorIiNS0_10empty_typeEEEZZNS1_27merge_sort_block_merge_implIS3_N6thrust23THRUST_200600_302600_NS6detail15normal_iteratorINS9_10device_ptrIiEEEEPS5_jNS1_19radix_merge_compareILb0ELb0EiNS0_19identity_decomposerEEEEE10hipError_tT0_T1_T2_jT3_P12ihipStream_tbPNSt15iterator_traitsISK_E10value_typeEPNSQ_ISL_E10value_typeEPSM_NS1_7vsmem_tEENKUlT_SK_SL_SM_E_clISE_PiSF_SF_EESJ_SZ_SK_SL_SM_EUlSZ_E_NS1_11comp_targetILNS1_3genE2ELNS1_11target_archE906ELNS1_3gpuE6ELNS1_3repE0EEENS1_48merge_mergepath_partition_config_static_selectorELNS0_4arch9wavefront6targetE0EEEvSL_.uses_vcc, 0
	.set _ZN7rocprim17ROCPRIM_400000_NS6detail17trampoline_kernelINS0_14default_configENS1_38merge_sort_block_merge_config_selectorIiNS0_10empty_typeEEEZZNS1_27merge_sort_block_merge_implIS3_N6thrust23THRUST_200600_302600_NS6detail15normal_iteratorINS9_10device_ptrIiEEEEPS5_jNS1_19radix_merge_compareILb0ELb0EiNS0_19identity_decomposerEEEEE10hipError_tT0_T1_T2_jT3_P12ihipStream_tbPNSt15iterator_traitsISK_E10value_typeEPNSQ_ISL_E10value_typeEPSM_NS1_7vsmem_tEENKUlT_SK_SL_SM_E_clISE_PiSF_SF_EESJ_SZ_SK_SL_SM_EUlSZ_E_NS1_11comp_targetILNS1_3genE2ELNS1_11target_archE906ELNS1_3gpuE6ELNS1_3repE0EEENS1_48merge_mergepath_partition_config_static_selectorELNS0_4arch9wavefront6targetE0EEEvSL_.uses_flat_scratch, 0
	.set _ZN7rocprim17ROCPRIM_400000_NS6detail17trampoline_kernelINS0_14default_configENS1_38merge_sort_block_merge_config_selectorIiNS0_10empty_typeEEEZZNS1_27merge_sort_block_merge_implIS3_N6thrust23THRUST_200600_302600_NS6detail15normal_iteratorINS9_10device_ptrIiEEEEPS5_jNS1_19radix_merge_compareILb0ELb0EiNS0_19identity_decomposerEEEEE10hipError_tT0_T1_T2_jT3_P12ihipStream_tbPNSt15iterator_traitsISK_E10value_typeEPNSQ_ISL_E10value_typeEPSM_NS1_7vsmem_tEENKUlT_SK_SL_SM_E_clISE_PiSF_SF_EESJ_SZ_SK_SL_SM_EUlSZ_E_NS1_11comp_targetILNS1_3genE2ELNS1_11target_archE906ELNS1_3gpuE6ELNS1_3repE0EEENS1_48merge_mergepath_partition_config_static_selectorELNS0_4arch9wavefront6targetE0EEEvSL_.has_dyn_sized_stack, 0
	.set _ZN7rocprim17ROCPRIM_400000_NS6detail17trampoline_kernelINS0_14default_configENS1_38merge_sort_block_merge_config_selectorIiNS0_10empty_typeEEEZZNS1_27merge_sort_block_merge_implIS3_N6thrust23THRUST_200600_302600_NS6detail15normal_iteratorINS9_10device_ptrIiEEEEPS5_jNS1_19radix_merge_compareILb0ELb0EiNS0_19identity_decomposerEEEEE10hipError_tT0_T1_T2_jT3_P12ihipStream_tbPNSt15iterator_traitsISK_E10value_typeEPNSQ_ISL_E10value_typeEPSM_NS1_7vsmem_tEENKUlT_SK_SL_SM_E_clISE_PiSF_SF_EESJ_SZ_SK_SL_SM_EUlSZ_E_NS1_11comp_targetILNS1_3genE2ELNS1_11target_archE906ELNS1_3gpuE6ELNS1_3repE0EEENS1_48merge_mergepath_partition_config_static_selectorELNS0_4arch9wavefront6targetE0EEEvSL_.has_recursion, 0
	.set _ZN7rocprim17ROCPRIM_400000_NS6detail17trampoline_kernelINS0_14default_configENS1_38merge_sort_block_merge_config_selectorIiNS0_10empty_typeEEEZZNS1_27merge_sort_block_merge_implIS3_N6thrust23THRUST_200600_302600_NS6detail15normal_iteratorINS9_10device_ptrIiEEEEPS5_jNS1_19radix_merge_compareILb0ELb0EiNS0_19identity_decomposerEEEEE10hipError_tT0_T1_T2_jT3_P12ihipStream_tbPNSt15iterator_traitsISK_E10value_typeEPNSQ_ISL_E10value_typeEPSM_NS1_7vsmem_tEENKUlT_SK_SL_SM_E_clISE_PiSF_SF_EESJ_SZ_SK_SL_SM_EUlSZ_E_NS1_11comp_targetILNS1_3genE2ELNS1_11target_archE906ELNS1_3gpuE6ELNS1_3repE0EEENS1_48merge_mergepath_partition_config_static_selectorELNS0_4arch9wavefront6targetE0EEEvSL_.has_indirect_call, 0
	.section	.AMDGPU.csdata,"",@progbits
; Kernel info:
; codeLenInByte = 0
; TotalNumSgprs: 0
; NumVgprs: 0
; ScratchSize: 0
; MemoryBound: 0
; FloatMode: 240
; IeeeMode: 1
; LDSByteSize: 0 bytes/workgroup (compile time only)
; SGPRBlocks: 0
; VGPRBlocks: 0
; NumSGPRsForWavesPerEU: 1
; NumVGPRsForWavesPerEU: 1
; Occupancy: 16
; WaveLimiterHint : 0
; COMPUTE_PGM_RSRC2:SCRATCH_EN: 0
; COMPUTE_PGM_RSRC2:USER_SGPR: 6
; COMPUTE_PGM_RSRC2:TRAP_HANDLER: 0
; COMPUTE_PGM_RSRC2:TGID_X_EN: 1
; COMPUTE_PGM_RSRC2:TGID_Y_EN: 0
; COMPUTE_PGM_RSRC2:TGID_Z_EN: 0
; COMPUTE_PGM_RSRC2:TIDIG_COMP_CNT: 0
	.section	.text._ZN7rocprim17ROCPRIM_400000_NS6detail17trampoline_kernelINS0_14default_configENS1_38merge_sort_block_merge_config_selectorIiNS0_10empty_typeEEEZZNS1_27merge_sort_block_merge_implIS3_N6thrust23THRUST_200600_302600_NS6detail15normal_iteratorINS9_10device_ptrIiEEEEPS5_jNS1_19radix_merge_compareILb0ELb0EiNS0_19identity_decomposerEEEEE10hipError_tT0_T1_T2_jT3_P12ihipStream_tbPNSt15iterator_traitsISK_E10value_typeEPNSQ_ISL_E10value_typeEPSM_NS1_7vsmem_tEENKUlT_SK_SL_SM_E_clISE_PiSF_SF_EESJ_SZ_SK_SL_SM_EUlSZ_E_NS1_11comp_targetILNS1_3genE9ELNS1_11target_archE1100ELNS1_3gpuE3ELNS1_3repE0EEENS1_48merge_mergepath_partition_config_static_selectorELNS0_4arch9wavefront6targetE0EEEvSL_,"axG",@progbits,_ZN7rocprim17ROCPRIM_400000_NS6detail17trampoline_kernelINS0_14default_configENS1_38merge_sort_block_merge_config_selectorIiNS0_10empty_typeEEEZZNS1_27merge_sort_block_merge_implIS3_N6thrust23THRUST_200600_302600_NS6detail15normal_iteratorINS9_10device_ptrIiEEEEPS5_jNS1_19radix_merge_compareILb0ELb0EiNS0_19identity_decomposerEEEEE10hipError_tT0_T1_T2_jT3_P12ihipStream_tbPNSt15iterator_traitsISK_E10value_typeEPNSQ_ISL_E10value_typeEPSM_NS1_7vsmem_tEENKUlT_SK_SL_SM_E_clISE_PiSF_SF_EESJ_SZ_SK_SL_SM_EUlSZ_E_NS1_11comp_targetILNS1_3genE9ELNS1_11target_archE1100ELNS1_3gpuE3ELNS1_3repE0EEENS1_48merge_mergepath_partition_config_static_selectorELNS0_4arch9wavefront6targetE0EEEvSL_,comdat
	.protected	_ZN7rocprim17ROCPRIM_400000_NS6detail17trampoline_kernelINS0_14default_configENS1_38merge_sort_block_merge_config_selectorIiNS0_10empty_typeEEEZZNS1_27merge_sort_block_merge_implIS3_N6thrust23THRUST_200600_302600_NS6detail15normal_iteratorINS9_10device_ptrIiEEEEPS5_jNS1_19radix_merge_compareILb0ELb0EiNS0_19identity_decomposerEEEEE10hipError_tT0_T1_T2_jT3_P12ihipStream_tbPNSt15iterator_traitsISK_E10value_typeEPNSQ_ISL_E10value_typeEPSM_NS1_7vsmem_tEENKUlT_SK_SL_SM_E_clISE_PiSF_SF_EESJ_SZ_SK_SL_SM_EUlSZ_E_NS1_11comp_targetILNS1_3genE9ELNS1_11target_archE1100ELNS1_3gpuE3ELNS1_3repE0EEENS1_48merge_mergepath_partition_config_static_selectorELNS0_4arch9wavefront6targetE0EEEvSL_ ; -- Begin function _ZN7rocprim17ROCPRIM_400000_NS6detail17trampoline_kernelINS0_14default_configENS1_38merge_sort_block_merge_config_selectorIiNS0_10empty_typeEEEZZNS1_27merge_sort_block_merge_implIS3_N6thrust23THRUST_200600_302600_NS6detail15normal_iteratorINS9_10device_ptrIiEEEEPS5_jNS1_19radix_merge_compareILb0ELb0EiNS0_19identity_decomposerEEEEE10hipError_tT0_T1_T2_jT3_P12ihipStream_tbPNSt15iterator_traitsISK_E10value_typeEPNSQ_ISL_E10value_typeEPSM_NS1_7vsmem_tEENKUlT_SK_SL_SM_E_clISE_PiSF_SF_EESJ_SZ_SK_SL_SM_EUlSZ_E_NS1_11comp_targetILNS1_3genE9ELNS1_11target_archE1100ELNS1_3gpuE3ELNS1_3repE0EEENS1_48merge_mergepath_partition_config_static_selectorELNS0_4arch9wavefront6targetE0EEEvSL_
	.globl	_ZN7rocprim17ROCPRIM_400000_NS6detail17trampoline_kernelINS0_14default_configENS1_38merge_sort_block_merge_config_selectorIiNS0_10empty_typeEEEZZNS1_27merge_sort_block_merge_implIS3_N6thrust23THRUST_200600_302600_NS6detail15normal_iteratorINS9_10device_ptrIiEEEEPS5_jNS1_19radix_merge_compareILb0ELb0EiNS0_19identity_decomposerEEEEE10hipError_tT0_T1_T2_jT3_P12ihipStream_tbPNSt15iterator_traitsISK_E10value_typeEPNSQ_ISL_E10value_typeEPSM_NS1_7vsmem_tEENKUlT_SK_SL_SM_E_clISE_PiSF_SF_EESJ_SZ_SK_SL_SM_EUlSZ_E_NS1_11comp_targetILNS1_3genE9ELNS1_11target_archE1100ELNS1_3gpuE3ELNS1_3repE0EEENS1_48merge_mergepath_partition_config_static_selectorELNS0_4arch9wavefront6targetE0EEEvSL_
	.p2align	8
	.type	_ZN7rocprim17ROCPRIM_400000_NS6detail17trampoline_kernelINS0_14default_configENS1_38merge_sort_block_merge_config_selectorIiNS0_10empty_typeEEEZZNS1_27merge_sort_block_merge_implIS3_N6thrust23THRUST_200600_302600_NS6detail15normal_iteratorINS9_10device_ptrIiEEEEPS5_jNS1_19radix_merge_compareILb0ELb0EiNS0_19identity_decomposerEEEEE10hipError_tT0_T1_T2_jT3_P12ihipStream_tbPNSt15iterator_traitsISK_E10value_typeEPNSQ_ISL_E10value_typeEPSM_NS1_7vsmem_tEENKUlT_SK_SL_SM_E_clISE_PiSF_SF_EESJ_SZ_SK_SL_SM_EUlSZ_E_NS1_11comp_targetILNS1_3genE9ELNS1_11target_archE1100ELNS1_3gpuE3ELNS1_3repE0EEENS1_48merge_mergepath_partition_config_static_selectorELNS0_4arch9wavefront6targetE0EEEvSL_,@function
_ZN7rocprim17ROCPRIM_400000_NS6detail17trampoline_kernelINS0_14default_configENS1_38merge_sort_block_merge_config_selectorIiNS0_10empty_typeEEEZZNS1_27merge_sort_block_merge_implIS3_N6thrust23THRUST_200600_302600_NS6detail15normal_iteratorINS9_10device_ptrIiEEEEPS5_jNS1_19radix_merge_compareILb0ELb0EiNS0_19identity_decomposerEEEEE10hipError_tT0_T1_T2_jT3_P12ihipStream_tbPNSt15iterator_traitsISK_E10value_typeEPNSQ_ISL_E10value_typeEPSM_NS1_7vsmem_tEENKUlT_SK_SL_SM_E_clISE_PiSF_SF_EESJ_SZ_SK_SL_SM_EUlSZ_E_NS1_11comp_targetILNS1_3genE9ELNS1_11target_archE1100ELNS1_3gpuE3ELNS1_3repE0EEENS1_48merge_mergepath_partition_config_static_selectorELNS0_4arch9wavefront6targetE0EEEvSL_: ; @_ZN7rocprim17ROCPRIM_400000_NS6detail17trampoline_kernelINS0_14default_configENS1_38merge_sort_block_merge_config_selectorIiNS0_10empty_typeEEEZZNS1_27merge_sort_block_merge_implIS3_N6thrust23THRUST_200600_302600_NS6detail15normal_iteratorINS9_10device_ptrIiEEEEPS5_jNS1_19radix_merge_compareILb0ELb0EiNS0_19identity_decomposerEEEEE10hipError_tT0_T1_T2_jT3_P12ihipStream_tbPNSt15iterator_traitsISK_E10value_typeEPNSQ_ISL_E10value_typeEPSM_NS1_7vsmem_tEENKUlT_SK_SL_SM_E_clISE_PiSF_SF_EESJ_SZ_SK_SL_SM_EUlSZ_E_NS1_11comp_targetILNS1_3genE9ELNS1_11target_archE1100ELNS1_3gpuE3ELNS1_3repE0EEENS1_48merge_mergepath_partition_config_static_selectorELNS0_4arch9wavefront6targetE0EEEvSL_
; %bb.0:
	.section	.rodata,"a",@progbits
	.p2align	6, 0x0
	.amdhsa_kernel _ZN7rocprim17ROCPRIM_400000_NS6detail17trampoline_kernelINS0_14default_configENS1_38merge_sort_block_merge_config_selectorIiNS0_10empty_typeEEEZZNS1_27merge_sort_block_merge_implIS3_N6thrust23THRUST_200600_302600_NS6detail15normal_iteratorINS9_10device_ptrIiEEEEPS5_jNS1_19radix_merge_compareILb0ELb0EiNS0_19identity_decomposerEEEEE10hipError_tT0_T1_T2_jT3_P12ihipStream_tbPNSt15iterator_traitsISK_E10value_typeEPNSQ_ISL_E10value_typeEPSM_NS1_7vsmem_tEENKUlT_SK_SL_SM_E_clISE_PiSF_SF_EESJ_SZ_SK_SL_SM_EUlSZ_E_NS1_11comp_targetILNS1_3genE9ELNS1_11target_archE1100ELNS1_3gpuE3ELNS1_3repE0EEENS1_48merge_mergepath_partition_config_static_selectorELNS0_4arch9wavefront6targetE0EEEvSL_
		.amdhsa_group_segment_fixed_size 0
		.amdhsa_private_segment_fixed_size 0
		.amdhsa_kernarg_size 40
		.amdhsa_user_sgpr_count 6
		.amdhsa_user_sgpr_private_segment_buffer 1
		.amdhsa_user_sgpr_dispatch_ptr 0
		.amdhsa_user_sgpr_queue_ptr 0
		.amdhsa_user_sgpr_kernarg_segment_ptr 1
		.amdhsa_user_sgpr_dispatch_id 0
		.amdhsa_user_sgpr_flat_scratch_init 0
		.amdhsa_user_sgpr_private_segment_size 0
		.amdhsa_wavefront_size32 1
		.amdhsa_uses_dynamic_stack 0
		.amdhsa_system_sgpr_private_segment_wavefront_offset 0
		.amdhsa_system_sgpr_workgroup_id_x 1
		.amdhsa_system_sgpr_workgroup_id_y 0
		.amdhsa_system_sgpr_workgroup_id_z 0
		.amdhsa_system_sgpr_workgroup_info 0
		.amdhsa_system_vgpr_workitem_id 0
		.amdhsa_next_free_vgpr 1
		.amdhsa_next_free_sgpr 1
		.amdhsa_reserve_vcc 0
		.amdhsa_reserve_flat_scratch 0
		.amdhsa_float_round_mode_32 0
		.amdhsa_float_round_mode_16_64 0
		.amdhsa_float_denorm_mode_32 3
		.amdhsa_float_denorm_mode_16_64 3
		.amdhsa_dx10_clamp 1
		.amdhsa_ieee_mode 1
		.amdhsa_fp16_overflow 0
		.amdhsa_workgroup_processor_mode 1
		.amdhsa_memory_ordered 1
		.amdhsa_forward_progress 1
		.amdhsa_shared_vgpr_count 0
		.amdhsa_exception_fp_ieee_invalid_op 0
		.amdhsa_exception_fp_denorm_src 0
		.amdhsa_exception_fp_ieee_div_zero 0
		.amdhsa_exception_fp_ieee_overflow 0
		.amdhsa_exception_fp_ieee_underflow 0
		.amdhsa_exception_fp_ieee_inexact 0
		.amdhsa_exception_int_div_zero 0
	.end_amdhsa_kernel
	.section	.text._ZN7rocprim17ROCPRIM_400000_NS6detail17trampoline_kernelINS0_14default_configENS1_38merge_sort_block_merge_config_selectorIiNS0_10empty_typeEEEZZNS1_27merge_sort_block_merge_implIS3_N6thrust23THRUST_200600_302600_NS6detail15normal_iteratorINS9_10device_ptrIiEEEEPS5_jNS1_19radix_merge_compareILb0ELb0EiNS0_19identity_decomposerEEEEE10hipError_tT0_T1_T2_jT3_P12ihipStream_tbPNSt15iterator_traitsISK_E10value_typeEPNSQ_ISL_E10value_typeEPSM_NS1_7vsmem_tEENKUlT_SK_SL_SM_E_clISE_PiSF_SF_EESJ_SZ_SK_SL_SM_EUlSZ_E_NS1_11comp_targetILNS1_3genE9ELNS1_11target_archE1100ELNS1_3gpuE3ELNS1_3repE0EEENS1_48merge_mergepath_partition_config_static_selectorELNS0_4arch9wavefront6targetE0EEEvSL_,"axG",@progbits,_ZN7rocprim17ROCPRIM_400000_NS6detail17trampoline_kernelINS0_14default_configENS1_38merge_sort_block_merge_config_selectorIiNS0_10empty_typeEEEZZNS1_27merge_sort_block_merge_implIS3_N6thrust23THRUST_200600_302600_NS6detail15normal_iteratorINS9_10device_ptrIiEEEEPS5_jNS1_19radix_merge_compareILb0ELb0EiNS0_19identity_decomposerEEEEE10hipError_tT0_T1_T2_jT3_P12ihipStream_tbPNSt15iterator_traitsISK_E10value_typeEPNSQ_ISL_E10value_typeEPSM_NS1_7vsmem_tEENKUlT_SK_SL_SM_E_clISE_PiSF_SF_EESJ_SZ_SK_SL_SM_EUlSZ_E_NS1_11comp_targetILNS1_3genE9ELNS1_11target_archE1100ELNS1_3gpuE3ELNS1_3repE0EEENS1_48merge_mergepath_partition_config_static_selectorELNS0_4arch9wavefront6targetE0EEEvSL_,comdat
.Lfunc_end49:
	.size	_ZN7rocprim17ROCPRIM_400000_NS6detail17trampoline_kernelINS0_14default_configENS1_38merge_sort_block_merge_config_selectorIiNS0_10empty_typeEEEZZNS1_27merge_sort_block_merge_implIS3_N6thrust23THRUST_200600_302600_NS6detail15normal_iteratorINS9_10device_ptrIiEEEEPS5_jNS1_19radix_merge_compareILb0ELb0EiNS0_19identity_decomposerEEEEE10hipError_tT0_T1_T2_jT3_P12ihipStream_tbPNSt15iterator_traitsISK_E10value_typeEPNSQ_ISL_E10value_typeEPSM_NS1_7vsmem_tEENKUlT_SK_SL_SM_E_clISE_PiSF_SF_EESJ_SZ_SK_SL_SM_EUlSZ_E_NS1_11comp_targetILNS1_3genE9ELNS1_11target_archE1100ELNS1_3gpuE3ELNS1_3repE0EEENS1_48merge_mergepath_partition_config_static_selectorELNS0_4arch9wavefront6targetE0EEEvSL_, .Lfunc_end49-_ZN7rocprim17ROCPRIM_400000_NS6detail17trampoline_kernelINS0_14default_configENS1_38merge_sort_block_merge_config_selectorIiNS0_10empty_typeEEEZZNS1_27merge_sort_block_merge_implIS3_N6thrust23THRUST_200600_302600_NS6detail15normal_iteratorINS9_10device_ptrIiEEEEPS5_jNS1_19radix_merge_compareILb0ELb0EiNS0_19identity_decomposerEEEEE10hipError_tT0_T1_T2_jT3_P12ihipStream_tbPNSt15iterator_traitsISK_E10value_typeEPNSQ_ISL_E10value_typeEPSM_NS1_7vsmem_tEENKUlT_SK_SL_SM_E_clISE_PiSF_SF_EESJ_SZ_SK_SL_SM_EUlSZ_E_NS1_11comp_targetILNS1_3genE9ELNS1_11target_archE1100ELNS1_3gpuE3ELNS1_3repE0EEENS1_48merge_mergepath_partition_config_static_selectorELNS0_4arch9wavefront6targetE0EEEvSL_
                                        ; -- End function
	.set _ZN7rocprim17ROCPRIM_400000_NS6detail17trampoline_kernelINS0_14default_configENS1_38merge_sort_block_merge_config_selectorIiNS0_10empty_typeEEEZZNS1_27merge_sort_block_merge_implIS3_N6thrust23THRUST_200600_302600_NS6detail15normal_iteratorINS9_10device_ptrIiEEEEPS5_jNS1_19radix_merge_compareILb0ELb0EiNS0_19identity_decomposerEEEEE10hipError_tT0_T1_T2_jT3_P12ihipStream_tbPNSt15iterator_traitsISK_E10value_typeEPNSQ_ISL_E10value_typeEPSM_NS1_7vsmem_tEENKUlT_SK_SL_SM_E_clISE_PiSF_SF_EESJ_SZ_SK_SL_SM_EUlSZ_E_NS1_11comp_targetILNS1_3genE9ELNS1_11target_archE1100ELNS1_3gpuE3ELNS1_3repE0EEENS1_48merge_mergepath_partition_config_static_selectorELNS0_4arch9wavefront6targetE0EEEvSL_.num_vgpr, 0
	.set _ZN7rocprim17ROCPRIM_400000_NS6detail17trampoline_kernelINS0_14default_configENS1_38merge_sort_block_merge_config_selectorIiNS0_10empty_typeEEEZZNS1_27merge_sort_block_merge_implIS3_N6thrust23THRUST_200600_302600_NS6detail15normal_iteratorINS9_10device_ptrIiEEEEPS5_jNS1_19radix_merge_compareILb0ELb0EiNS0_19identity_decomposerEEEEE10hipError_tT0_T1_T2_jT3_P12ihipStream_tbPNSt15iterator_traitsISK_E10value_typeEPNSQ_ISL_E10value_typeEPSM_NS1_7vsmem_tEENKUlT_SK_SL_SM_E_clISE_PiSF_SF_EESJ_SZ_SK_SL_SM_EUlSZ_E_NS1_11comp_targetILNS1_3genE9ELNS1_11target_archE1100ELNS1_3gpuE3ELNS1_3repE0EEENS1_48merge_mergepath_partition_config_static_selectorELNS0_4arch9wavefront6targetE0EEEvSL_.num_agpr, 0
	.set _ZN7rocprim17ROCPRIM_400000_NS6detail17trampoline_kernelINS0_14default_configENS1_38merge_sort_block_merge_config_selectorIiNS0_10empty_typeEEEZZNS1_27merge_sort_block_merge_implIS3_N6thrust23THRUST_200600_302600_NS6detail15normal_iteratorINS9_10device_ptrIiEEEEPS5_jNS1_19radix_merge_compareILb0ELb0EiNS0_19identity_decomposerEEEEE10hipError_tT0_T1_T2_jT3_P12ihipStream_tbPNSt15iterator_traitsISK_E10value_typeEPNSQ_ISL_E10value_typeEPSM_NS1_7vsmem_tEENKUlT_SK_SL_SM_E_clISE_PiSF_SF_EESJ_SZ_SK_SL_SM_EUlSZ_E_NS1_11comp_targetILNS1_3genE9ELNS1_11target_archE1100ELNS1_3gpuE3ELNS1_3repE0EEENS1_48merge_mergepath_partition_config_static_selectorELNS0_4arch9wavefront6targetE0EEEvSL_.numbered_sgpr, 0
	.set _ZN7rocprim17ROCPRIM_400000_NS6detail17trampoline_kernelINS0_14default_configENS1_38merge_sort_block_merge_config_selectorIiNS0_10empty_typeEEEZZNS1_27merge_sort_block_merge_implIS3_N6thrust23THRUST_200600_302600_NS6detail15normal_iteratorINS9_10device_ptrIiEEEEPS5_jNS1_19radix_merge_compareILb0ELb0EiNS0_19identity_decomposerEEEEE10hipError_tT0_T1_T2_jT3_P12ihipStream_tbPNSt15iterator_traitsISK_E10value_typeEPNSQ_ISL_E10value_typeEPSM_NS1_7vsmem_tEENKUlT_SK_SL_SM_E_clISE_PiSF_SF_EESJ_SZ_SK_SL_SM_EUlSZ_E_NS1_11comp_targetILNS1_3genE9ELNS1_11target_archE1100ELNS1_3gpuE3ELNS1_3repE0EEENS1_48merge_mergepath_partition_config_static_selectorELNS0_4arch9wavefront6targetE0EEEvSL_.num_named_barrier, 0
	.set _ZN7rocprim17ROCPRIM_400000_NS6detail17trampoline_kernelINS0_14default_configENS1_38merge_sort_block_merge_config_selectorIiNS0_10empty_typeEEEZZNS1_27merge_sort_block_merge_implIS3_N6thrust23THRUST_200600_302600_NS6detail15normal_iteratorINS9_10device_ptrIiEEEEPS5_jNS1_19radix_merge_compareILb0ELb0EiNS0_19identity_decomposerEEEEE10hipError_tT0_T1_T2_jT3_P12ihipStream_tbPNSt15iterator_traitsISK_E10value_typeEPNSQ_ISL_E10value_typeEPSM_NS1_7vsmem_tEENKUlT_SK_SL_SM_E_clISE_PiSF_SF_EESJ_SZ_SK_SL_SM_EUlSZ_E_NS1_11comp_targetILNS1_3genE9ELNS1_11target_archE1100ELNS1_3gpuE3ELNS1_3repE0EEENS1_48merge_mergepath_partition_config_static_selectorELNS0_4arch9wavefront6targetE0EEEvSL_.private_seg_size, 0
	.set _ZN7rocprim17ROCPRIM_400000_NS6detail17trampoline_kernelINS0_14default_configENS1_38merge_sort_block_merge_config_selectorIiNS0_10empty_typeEEEZZNS1_27merge_sort_block_merge_implIS3_N6thrust23THRUST_200600_302600_NS6detail15normal_iteratorINS9_10device_ptrIiEEEEPS5_jNS1_19radix_merge_compareILb0ELb0EiNS0_19identity_decomposerEEEEE10hipError_tT0_T1_T2_jT3_P12ihipStream_tbPNSt15iterator_traitsISK_E10value_typeEPNSQ_ISL_E10value_typeEPSM_NS1_7vsmem_tEENKUlT_SK_SL_SM_E_clISE_PiSF_SF_EESJ_SZ_SK_SL_SM_EUlSZ_E_NS1_11comp_targetILNS1_3genE9ELNS1_11target_archE1100ELNS1_3gpuE3ELNS1_3repE0EEENS1_48merge_mergepath_partition_config_static_selectorELNS0_4arch9wavefront6targetE0EEEvSL_.uses_vcc, 0
	.set _ZN7rocprim17ROCPRIM_400000_NS6detail17trampoline_kernelINS0_14default_configENS1_38merge_sort_block_merge_config_selectorIiNS0_10empty_typeEEEZZNS1_27merge_sort_block_merge_implIS3_N6thrust23THRUST_200600_302600_NS6detail15normal_iteratorINS9_10device_ptrIiEEEEPS5_jNS1_19radix_merge_compareILb0ELb0EiNS0_19identity_decomposerEEEEE10hipError_tT0_T1_T2_jT3_P12ihipStream_tbPNSt15iterator_traitsISK_E10value_typeEPNSQ_ISL_E10value_typeEPSM_NS1_7vsmem_tEENKUlT_SK_SL_SM_E_clISE_PiSF_SF_EESJ_SZ_SK_SL_SM_EUlSZ_E_NS1_11comp_targetILNS1_3genE9ELNS1_11target_archE1100ELNS1_3gpuE3ELNS1_3repE0EEENS1_48merge_mergepath_partition_config_static_selectorELNS0_4arch9wavefront6targetE0EEEvSL_.uses_flat_scratch, 0
	.set _ZN7rocprim17ROCPRIM_400000_NS6detail17trampoline_kernelINS0_14default_configENS1_38merge_sort_block_merge_config_selectorIiNS0_10empty_typeEEEZZNS1_27merge_sort_block_merge_implIS3_N6thrust23THRUST_200600_302600_NS6detail15normal_iteratorINS9_10device_ptrIiEEEEPS5_jNS1_19radix_merge_compareILb0ELb0EiNS0_19identity_decomposerEEEEE10hipError_tT0_T1_T2_jT3_P12ihipStream_tbPNSt15iterator_traitsISK_E10value_typeEPNSQ_ISL_E10value_typeEPSM_NS1_7vsmem_tEENKUlT_SK_SL_SM_E_clISE_PiSF_SF_EESJ_SZ_SK_SL_SM_EUlSZ_E_NS1_11comp_targetILNS1_3genE9ELNS1_11target_archE1100ELNS1_3gpuE3ELNS1_3repE0EEENS1_48merge_mergepath_partition_config_static_selectorELNS0_4arch9wavefront6targetE0EEEvSL_.has_dyn_sized_stack, 0
	.set _ZN7rocprim17ROCPRIM_400000_NS6detail17trampoline_kernelINS0_14default_configENS1_38merge_sort_block_merge_config_selectorIiNS0_10empty_typeEEEZZNS1_27merge_sort_block_merge_implIS3_N6thrust23THRUST_200600_302600_NS6detail15normal_iteratorINS9_10device_ptrIiEEEEPS5_jNS1_19radix_merge_compareILb0ELb0EiNS0_19identity_decomposerEEEEE10hipError_tT0_T1_T2_jT3_P12ihipStream_tbPNSt15iterator_traitsISK_E10value_typeEPNSQ_ISL_E10value_typeEPSM_NS1_7vsmem_tEENKUlT_SK_SL_SM_E_clISE_PiSF_SF_EESJ_SZ_SK_SL_SM_EUlSZ_E_NS1_11comp_targetILNS1_3genE9ELNS1_11target_archE1100ELNS1_3gpuE3ELNS1_3repE0EEENS1_48merge_mergepath_partition_config_static_selectorELNS0_4arch9wavefront6targetE0EEEvSL_.has_recursion, 0
	.set _ZN7rocprim17ROCPRIM_400000_NS6detail17trampoline_kernelINS0_14default_configENS1_38merge_sort_block_merge_config_selectorIiNS0_10empty_typeEEEZZNS1_27merge_sort_block_merge_implIS3_N6thrust23THRUST_200600_302600_NS6detail15normal_iteratorINS9_10device_ptrIiEEEEPS5_jNS1_19radix_merge_compareILb0ELb0EiNS0_19identity_decomposerEEEEE10hipError_tT0_T1_T2_jT3_P12ihipStream_tbPNSt15iterator_traitsISK_E10value_typeEPNSQ_ISL_E10value_typeEPSM_NS1_7vsmem_tEENKUlT_SK_SL_SM_E_clISE_PiSF_SF_EESJ_SZ_SK_SL_SM_EUlSZ_E_NS1_11comp_targetILNS1_3genE9ELNS1_11target_archE1100ELNS1_3gpuE3ELNS1_3repE0EEENS1_48merge_mergepath_partition_config_static_selectorELNS0_4arch9wavefront6targetE0EEEvSL_.has_indirect_call, 0
	.section	.AMDGPU.csdata,"",@progbits
; Kernel info:
; codeLenInByte = 0
; TotalNumSgprs: 0
; NumVgprs: 0
; ScratchSize: 0
; MemoryBound: 0
; FloatMode: 240
; IeeeMode: 1
; LDSByteSize: 0 bytes/workgroup (compile time only)
; SGPRBlocks: 0
; VGPRBlocks: 0
; NumSGPRsForWavesPerEU: 1
; NumVGPRsForWavesPerEU: 1
; Occupancy: 16
; WaveLimiterHint : 0
; COMPUTE_PGM_RSRC2:SCRATCH_EN: 0
; COMPUTE_PGM_RSRC2:USER_SGPR: 6
; COMPUTE_PGM_RSRC2:TRAP_HANDLER: 0
; COMPUTE_PGM_RSRC2:TGID_X_EN: 1
; COMPUTE_PGM_RSRC2:TGID_Y_EN: 0
; COMPUTE_PGM_RSRC2:TGID_Z_EN: 0
; COMPUTE_PGM_RSRC2:TIDIG_COMP_CNT: 0
	.section	.text._ZN7rocprim17ROCPRIM_400000_NS6detail17trampoline_kernelINS0_14default_configENS1_38merge_sort_block_merge_config_selectorIiNS0_10empty_typeEEEZZNS1_27merge_sort_block_merge_implIS3_N6thrust23THRUST_200600_302600_NS6detail15normal_iteratorINS9_10device_ptrIiEEEEPS5_jNS1_19radix_merge_compareILb0ELb0EiNS0_19identity_decomposerEEEEE10hipError_tT0_T1_T2_jT3_P12ihipStream_tbPNSt15iterator_traitsISK_E10value_typeEPNSQ_ISL_E10value_typeEPSM_NS1_7vsmem_tEENKUlT_SK_SL_SM_E_clISE_PiSF_SF_EESJ_SZ_SK_SL_SM_EUlSZ_E_NS1_11comp_targetILNS1_3genE8ELNS1_11target_archE1030ELNS1_3gpuE2ELNS1_3repE0EEENS1_48merge_mergepath_partition_config_static_selectorELNS0_4arch9wavefront6targetE0EEEvSL_,"axG",@progbits,_ZN7rocprim17ROCPRIM_400000_NS6detail17trampoline_kernelINS0_14default_configENS1_38merge_sort_block_merge_config_selectorIiNS0_10empty_typeEEEZZNS1_27merge_sort_block_merge_implIS3_N6thrust23THRUST_200600_302600_NS6detail15normal_iteratorINS9_10device_ptrIiEEEEPS5_jNS1_19radix_merge_compareILb0ELb0EiNS0_19identity_decomposerEEEEE10hipError_tT0_T1_T2_jT3_P12ihipStream_tbPNSt15iterator_traitsISK_E10value_typeEPNSQ_ISL_E10value_typeEPSM_NS1_7vsmem_tEENKUlT_SK_SL_SM_E_clISE_PiSF_SF_EESJ_SZ_SK_SL_SM_EUlSZ_E_NS1_11comp_targetILNS1_3genE8ELNS1_11target_archE1030ELNS1_3gpuE2ELNS1_3repE0EEENS1_48merge_mergepath_partition_config_static_selectorELNS0_4arch9wavefront6targetE0EEEvSL_,comdat
	.protected	_ZN7rocprim17ROCPRIM_400000_NS6detail17trampoline_kernelINS0_14default_configENS1_38merge_sort_block_merge_config_selectorIiNS0_10empty_typeEEEZZNS1_27merge_sort_block_merge_implIS3_N6thrust23THRUST_200600_302600_NS6detail15normal_iteratorINS9_10device_ptrIiEEEEPS5_jNS1_19radix_merge_compareILb0ELb0EiNS0_19identity_decomposerEEEEE10hipError_tT0_T1_T2_jT3_P12ihipStream_tbPNSt15iterator_traitsISK_E10value_typeEPNSQ_ISL_E10value_typeEPSM_NS1_7vsmem_tEENKUlT_SK_SL_SM_E_clISE_PiSF_SF_EESJ_SZ_SK_SL_SM_EUlSZ_E_NS1_11comp_targetILNS1_3genE8ELNS1_11target_archE1030ELNS1_3gpuE2ELNS1_3repE0EEENS1_48merge_mergepath_partition_config_static_selectorELNS0_4arch9wavefront6targetE0EEEvSL_ ; -- Begin function _ZN7rocprim17ROCPRIM_400000_NS6detail17trampoline_kernelINS0_14default_configENS1_38merge_sort_block_merge_config_selectorIiNS0_10empty_typeEEEZZNS1_27merge_sort_block_merge_implIS3_N6thrust23THRUST_200600_302600_NS6detail15normal_iteratorINS9_10device_ptrIiEEEEPS5_jNS1_19radix_merge_compareILb0ELb0EiNS0_19identity_decomposerEEEEE10hipError_tT0_T1_T2_jT3_P12ihipStream_tbPNSt15iterator_traitsISK_E10value_typeEPNSQ_ISL_E10value_typeEPSM_NS1_7vsmem_tEENKUlT_SK_SL_SM_E_clISE_PiSF_SF_EESJ_SZ_SK_SL_SM_EUlSZ_E_NS1_11comp_targetILNS1_3genE8ELNS1_11target_archE1030ELNS1_3gpuE2ELNS1_3repE0EEENS1_48merge_mergepath_partition_config_static_selectorELNS0_4arch9wavefront6targetE0EEEvSL_
	.globl	_ZN7rocprim17ROCPRIM_400000_NS6detail17trampoline_kernelINS0_14default_configENS1_38merge_sort_block_merge_config_selectorIiNS0_10empty_typeEEEZZNS1_27merge_sort_block_merge_implIS3_N6thrust23THRUST_200600_302600_NS6detail15normal_iteratorINS9_10device_ptrIiEEEEPS5_jNS1_19radix_merge_compareILb0ELb0EiNS0_19identity_decomposerEEEEE10hipError_tT0_T1_T2_jT3_P12ihipStream_tbPNSt15iterator_traitsISK_E10value_typeEPNSQ_ISL_E10value_typeEPSM_NS1_7vsmem_tEENKUlT_SK_SL_SM_E_clISE_PiSF_SF_EESJ_SZ_SK_SL_SM_EUlSZ_E_NS1_11comp_targetILNS1_3genE8ELNS1_11target_archE1030ELNS1_3gpuE2ELNS1_3repE0EEENS1_48merge_mergepath_partition_config_static_selectorELNS0_4arch9wavefront6targetE0EEEvSL_
	.p2align	8
	.type	_ZN7rocprim17ROCPRIM_400000_NS6detail17trampoline_kernelINS0_14default_configENS1_38merge_sort_block_merge_config_selectorIiNS0_10empty_typeEEEZZNS1_27merge_sort_block_merge_implIS3_N6thrust23THRUST_200600_302600_NS6detail15normal_iteratorINS9_10device_ptrIiEEEEPS5_jNS1_19radix_merge_compareILb0ELb0EiNS0_19identity_decomposerEEEEE10hipError_tT0_T1_T2_jT3_P12ihipStream_tbPNSt15iterator_traitsISK_E10value_typeEPNSQ_ISL_E10value_typeEPSM_NS1_7vsmem_tEENKUlT_SK_SL_SM_E_clISE_PiSF_SF_EESJ_SZ_SK_SL_SM_EUlSZ_E_NS1_11comp_targetILNS1_3genE8ELNS1_11target_archE1030ELNS1_3gpuE2ELNS1_3repE0EEENS1_48merge_mergepath_partition_config_static_selectorELNS0_4arch9wavefront6targetE0EEEvSL_,@function
_ZN7rocprim17ROCPRIM_400000_NS6detail17trampoline_kernelINS0_14default_configENS1_38merge_sort_block_merge_config_selectorIiNS0_10empty_typeEEEZZNS1_27merge_sort_block_merge_implIS3_N6thrust23THRUST_200600_302600_NS6detail15normal_iteratorINS9_10device_ptrIiEEEEPS5_jNS1_19radix_merge_compareILb0ELb0EiNS0_19identity_decomposerEEEEE10hipError_tT0_T1_T2_jT3_P12ihipStream_tbPNSt15iterator_traitsISK_E10value_typeEPNSQ_ISL_E10value_typeEPSM_NS1_7vsmem_tEENKUlT_SK_SL_SM_E_clISE_PiSF_SF_EESJ_SZ_SK_SL_SM_EUlSZ_E_NS1_11comp_targetILNS1_3genE8ELNS1_11target_archE1030ELNS1_3gpuE2ELNS1_3repE0EEENS1_48merge_mergepath_partition_config_static_selectorELNS0_4arch9wavefront6targetE0EEEvSL_: ; @_ZN7rocprim17ROCPRIM_400000_NS6detail17trampoline_kernelINS0_14default_configENS1_38merge_sort_block_merge_config_selectorIiNS0_10empty_typeEEEZZNS1_27merge_sort_block_merge_implIS3_N6thrust23THRUST_200600_302600_NS6detail15normal_iteratorINS9_10device_ptrIiEEEEPS5_jNS1_19radix_merge_compareILb0ELb0EiNS0_19identity_decomposerEEEEE10hipError_tT0_T1_T2_jT3_P12ihipStream_tbPNSt15iterator_traitsISK_E10value_typeEPNSQ_ISL_E10value_typeEPSM_NS1_7vsmem_tEENKUlT_SK_SL_SM_E_clISE_PiSF_SF_EESJ_SZ_SK_SL_SM_EUlSZ_E_NS1_11comp_targetILNS1_3genE8ELNS1_11target_archE1030ELNS1_3gpuE2ELNS1_3repE0EEENS1_48merge_mergepath_partition_config_static_selectorELNS0_4arch9wavefront6targetE0EEEvSL_
; %bb.0:
	s_load_dword s0, s[4:5], 0x0
	v_lshl_or_b32 v0, s6, 7, v0
	s_waitcnt lgkmcnt(0)
	v_cmp_gt_u32_e32 vcc_lo, s0, v0
	s_and_saveexec_b32 s0, vcc_lo
	s_cbranch_execz .LBB50_6
; %bb.1:
	s_load_dwordx2 s[0:1], s[4:5], 0x4
	s_waitcnt lgkmcnt(0)
	s_lshr_b32 s2, s0, 9
	s_and_b32 s2, s2, 0x7ffffe
	s_sub_i32 s3, 0, s2
	s_add_i32 s2, s2, -1
	v_and_b32_e32 v1, s3, v0
	v_and_b32_e32 v5, s2, v0
	s_mov_b32 s3, 0
	s_mov_b32 s2, exec_lo
	v_lshlrev_b32_e32 v1, 10, v1
	v_add_nc_u32_e32 v2, s0, v1
	v_min_u32_e32 v4, s1, v2
	v_min_u32_e32 v2, s1, v1
	v_add_nc_u32_e32 v3, s0, v4
	v_min_u32_e32 v1, s1, v3
	s_load_dwordx2 s[0:1], s[4:5], 0x20
	v_lshlrev_b32_e32 v3, 10, v5
	v_sub_nc_u32_e32 v5, v1, v2
	v_sub_nc_u32_e32 v6, v1, v4
	v_min_u32_e32 v1, v5, v3
	v_sub_nc_u32_e32 v3, v4, v2
	v_sub_nc_u32_e64 v6, v1, v6 clamp
	v_min_u32_e32 v7, v1, v3
	v_cmpx_lt_u32_e64 v6, v7
	s_cbranch_execz .LBB50_5
; %bb.2:
	s_load_dwordx2 s[4:5], s[4:5], 0x10
	v_mov_b32_e32 v5, 0
	v_mov_b32_e32 v3, v5
	v_lshlrev_b64 v[10:11], 2, v[4:5]
	v_lshlrev_b64 v[8:9], 2, v[2:3]
	s_waitcnt lgkmcnt(0)
	v_add_co_u32 v3, vcc_lo, s4, v8
	v_add_co_ci_u32_e64 v8, null, s5, v9, vcc_lo
	v_add_co_u32 v9, vcc_lo, s4, v10
	v_add_co_ci_u32_e64 v10, null, s5, v11, vcc_lo
	.p2align	6
.LBB50_3:                               ; =>This Inner Loop Header: Depth=1
	v_add_nc_u32_e32 v4, v7, v6
	v_mov_b32_e32 v12, v5
	v_lshrrev_b32_e32 v4, 1, v4
	v_xad_u32 v11, v4, -1, v1
	v_lshlrev_b64 v[13:14], 2, v[4:5]
	v_lshlrev_b64 v[11:12], 2, v[11:12]
	v_add_co_u32 v13, vcc_lo, v3, v13
	v_add_co_ci_u32_e64 v14, null, v8, v14, vcc_lo
	v_add_co_u32 v11, vcc_lo, v9, v11
	v_add_co_ci_u32_e64 v12, null, v10, v12, vcc_lo
	s_clause 0x1
	flat_load_dword v13, v[13:14]
	flat_load_dword v11, v[11:12]
	v_add_nc_u32_e32 v12, 1, v4
	s_waitcnt vmcnt(0) lgkmcnt(0)
	v_cmp_gt_i32_e32 vcc_lo, v13, v11
	v_cndmask_b32_e32 v7, v7, v4, vcc_lo
	v_cndmask_b32_e32 v6, v12, v6, vcc_lo
	v_cmp_ge_u32_e32 vcc_lo, v6, v7
	s_or_b32 s3, vcc_lo, s3
	s_andn2_b32 exec_lo, exec_lo, s3
	s_cbranch_execnz .LBB50_3
; %bb.4:
	s_or_b32 exec_lo, exec_lo, s3
.LBB50_5:
	s_or_b32 exec_lo, exec_lo, s2
	v_mov_b32_e32 v1, 0
	v_add_nc_u32_e32 v2, v6, v2
	v_lshlrev_b64 v[0:1], 2, v[0:1]
	s_waitcnt lgkmcnt(0)
	v_add_co_u32 v0, vcc_lo, s0, v0
	v_add_co_ci_u32_e64 v1, null, s1, v1, vcc_lo
	global_store_dword v[0:1], v2, off
.LBB50_6:
	s_endpgm
	.section	.rodata,"a",@progbits
	.p2align	6, 0x0
	.amdhsa_kernel _ZN7rocprim17ROCPRIM_400000_NS6detail17trampoline_kernelINS0_14default_configENS1_38merge_sort_block_merge_config_selectorIiNS0_10empty_typeEEEZZNS1_27merge_sort_block_merge_implIS3_N6thrust23THRUST_200600_302600_NS6detail15normal_iteratorINS9_10device_ptrIiEEEEPS5_jNS1_19radix_merge_compareILb0ELb0EiNS0_19identity_decomposerEEEEE10hipError_tT0_T1_T2_jT3_P12ihipStream_tbPNSt15iterator_traitsISK_E10value_typeEPNSQ_ISL_E10value_typeEPSM_NS1_7vsmem_tEENKUlT_SK_SL_SM_E_clISE_PiSF_SF_EESJ_SZ_SK_SL_SM_EUlSZ_E_NS1_11comp_targetILNS1_3genE8ELNS1_11target_archE1030ELNS1_3gpuE2ELNS1_3repE0EEENS1_48merge_mergepath_partition_config_static_selectorELNS0_4arch9wavefront6targetE0EEEvSL_
		.amdhsa_group_segment_fixed_size 0
		.amdhsa_private_segment_fixed_size 0
		.amdhsa_kernarg_size 40
		.amdhsa_user_sgpr_count 6
		.amdhsa_user_sgpr_private_segment_buffer 1
		.amdhsa_user_sgpr_dispatch_ptr 0
		.amdhsa_user_sgpr_queue_ptr 0
		.amdhsa_user_sgpr_kernarg_segment_ptr 1
		.amdhsa_user_sgpr_dispatch_id 0
		.amdhsa_user_sgpr_flat_scratch_init 0
		.amdhsa_user_sgpr_private_segment_size 0
		.amdhsa_wavefront_size32 1
		.amdhsa_uses_dynamic_stack 0
		.amdhsa_system_sgpr_private_segment_wavefront_offset 0
		.amdhsa_system_sgpr_workgroup_id_x 1
		.amdhsa_system_sgpr_workgroup_id_y 0
		.amdhsa_system_sgpr_workgroup_id_z 0
		.amdhsa_system_sgpr_workgroup_info 0
		.amdhsa_system_vgpr_workitem_id 0
		.amdhsa_next_free_vgpr 15
		.amdhsa_next_free_sgpr 7
		.amdhsa_reserve_vcc 1
		.amdhsa_reserve_flat_scratch 1
		.amdhsa_float_round_mode_32 0
		.amdhsa_float_round_mode_16_64 0
		.amdhsa_float_denorm_mode_32 3
		.amdhsa_float_denorm_mode_16_64 3
		.amdhsa_dx10_clamp 1
		.amdhsa_ieee_mode 1
		.amdhsa_fp16_overflow 0
		.amdhsa_workgroup_processor_mode 1
		.amdhsa_memory_ordered 1
		.amdhsa_forward_progress 1
		.amdhsa_shared_vgpr_count 0
		.amdhsa_exception_fp_ieee_invalid_op 0
		.amdhsa_exception_fp_denorm_src 0
		.amdhsa_exception_fp_ieee_div_zero 0
		.amdhsa_exception_fp_ieee_overflow 0
		.amdhsa_exception_fp_ieee_underflow 0
		.amdhsa_exception_fp_ieee_inexact 0
		.amdhsa_exception_int_div_zero 0
	.end_amdhsa_kernel
	.section	.text._ZN7rocprim17ROCPRIM_400000_NS6detail17trampoline_kernelINS0_14default_configENS1_38merge_sort_block_merge_config_selectorIiNS0_10empty_typeEEEZZNS1_27merge_sort_block_merge_implIS3_N6thrust23THRUST_200600_302600_NS6detail15normal_iteratorINS9_10device_ptrIiEEEEPS5_jNS1_19radix_merge_compareILb0ELb0EiNS0_19identity_decomposerEEEEE10hipError_tT0_T1_T2_jT3_P12ihipStream_tbPNSt15iterator_traitsISK_E10value_typeEPNSQ_ISL_E10value_typeEPSM_NS1_7vsmem_tEENKUlT_SK_SL_SM_E_clISE_PiSF_SF_EESJ_SZ_SK_SL_SM_EUlSZ_E_NS1_11comp_targetILNS1_3genE8ELNS1_11target_archE1030ELNS1_3gpuE2ELNS1_3repE0EEENS1_48merge_mergepath_partition_config_static_selectorELNS0_4arch9wavefront6targetE0EEEvSL_,"axG",@progbits,_ZN7rocprim17ROCPRIM_400000_NS6detail17trampoline_kernelINS0_14default_configENS1_38merge_sort_block_merge_config_selectorIiNS0_10empty_typeEEEZZNS1_27merge_sort_block_merge_implIS3_N6thrust23THRUST_200600_302600_NS6detail15normal_iteratorINS9_10device_ptrIiEEEEPS5_jNS1_19radix_merge_compareILb0ELb0EiNS0_19identity_decomposerEEEEE10hipError_tT0_T1_T2_jT3_P12ihipStream_tbPNSt15iterator_traitsISK_E10value_typeEPNSQ_ISL_E10value_typeEPSM_NS1_7vsmem_tEENKUlT_SK_SL_SM_E_clISE_PiSF_SF_EESJ_SZ_SK_SL_SM_EUlSZ_E_NS1_11comp_targetILNS1_3genE8ELNS1_11target_archE1030ELNS1_3gpuE2ELNS1_3repE0EEENS1_48merge_mergepath_partition_config_static_selectorELNS0_4arch9wavefront6targetE0EEEvSL_,comdat
.Lfunc_end50:
	.size	_ZN7rocprim17ROCPRIM_400000_NS6detail17trampoline_kernelINS0_14default_configENS1_38merge_sort_block_merge_config_selectorIiNS0_10empty_typeEEEZZNS1_27merge_sort_block_merge_implIS3_N6thrust23THRUST_200600_302600_NS6detail15normal_iteratorINS9_10device_ptrIiEEEEPS5_jNS1_19radix_merge_compareILb0ELb0EiNS0_19identity_decomposerEEEEE10hipError_tT0_T1_T2_jT3_P12ihipStream_tbPNSt15iterator_traitsISK_E10value_typeEPNSQ_ISL_E10value_typeEPSM_NS1_7vsmem_tEENKUlT_SK_SL_SM_E_clISE_PiSF_SF_EESJ_SZ_SK_SL_SM_EUlSZ_E_NS1_11comp_targetILNS1_3genE8ELNS1_11target_archE1030ELNS1_3gpuE2ELNS1_3repE0EEENS1_48merge_mergepath_partition_config_static_selectorELNS0_4arch9wavefront6targetE0EEEvSL_, .Lfunc_end50-_ZN7rocprim17ROCPRIM_400000_NS6detail17trampoline_kernelINS0_14default_configENS1_38merge_sort_block_merge_config_selectorIiNS0_10empty_typeEEEZZNS1_27merge_sort_block_merge_implIS3_N6thrust23THRUST_200600_302600_NS6detail15normal_iteratorINS9_10device_ptrIiEEEEPS5_jNS1_19radix_merge_compareILb0ELb0EiNS0_19identity_decomposerEEEEE10hipError_tT0_T1_T2_jT3_P12ihipStream_tbPNSt15iterator_traitsISK_E10value_typeEPNSQ_ISL_E10value_typeEPSM_NS1_7vsmem_tEENKUlT_SK_SL_SM_E_clISE_PiSF_SF_EESJ_SZ_SK_SL_SM_EUlSZ_E_NS1_11comp_targetILNS1_3genE8ELNS1_11target_archE1030ELNS1_3gpuE2ELNS1_3repE0EEENS1_48merge_mergepath_partition_config_static_selectorELNS0_4arch9wavefront6targetE0EEEvSL_
                                        ; -- End function
	.set _ZN7rocprim17ROCPRIM_400000_NS6detail17trampoline_kernelINS0_14default_configENS1_38merge_sort_block_merge_config_selectorIiNS0_10empty_typeEEEZZNS1_27merge_sort_block_merge_implIS3_N6thrust23THRUST_200600_302600_NS6detail15normal_iteratorINS9_10device_ptrIiEEEEPS5_jNS1_19radix_merge_compareILb0ELb0EiNS0_19identity_decomposerEEEEE10hipError_tT0_T1_T2_jT3_P12ihipStream_tbPNSt15iterator_traitsISK_E10value_typeEPNSQ_ISL_E10value_typeEPSM_NS1_7vsmem_tEENKUlT_SK_SL_SM_E_clISE_PiSF_SF_EESJ_SZ_SK_SL_SM_EUlSZ_E_NS1_11comp_targetILNS1_3genE8ELNS1_11target_archE1030ELNS1_3gpuE2ELNS1_3repE0EEENS1_48merge_mergepath_partition_config_static_selectorELNS0_4arch9wavefront6targetE0EEEvSL_.num_vgpr, 15
	.set _ZN7rocprim17ROCPRIM_400000_NS6detail17trampoline_kernelINS0_14default_configENS1_38merge_sort_block_merge_config_selectorIiNS0_10empty_typeEEEZZNS1_27merge_sort_block_merge_implIS3_N6thrust23THRUST_200600_302600_NS6detail15normal_iteratorINS9_10device_ptrIiEEEEPS5_jNS1_19radix_merge_compareILb0ELb0EiNS0_19identity_decomposerEEEEE10hipError_tT0_T1_T2_jT3_P12ihipStream_tbPNSt15iterator_traitsISK_E10value_typeEPNSQ_ISL_E10value_typeEPSM_NS1_7vsmem_tEENKUlT_SK_SL_SM_E_clISE_PiSF_SF_EESJ_SZ_SK_SL_SM_EUlSZ_E_NS1_11comp_targetILNS1_3genE8ELNS1_11target_archE1030ELNS1_3gpuE2ELNS1_3repE0EEENS1_48merge_mergepath_partition_config_static_selectorELNS0_4arch9wavefront6targetE0EEEvSL_.num_agpr, 0
	.set _ZN7rocprim17ROCPRIM_400000_NS6detail17trampoline_kernelINS0_14default_configENS1_38merge_sort_block_merge_config_selectorIiNS0_10empty_typeEEEZZNS1_27merge_sort_block_merge_implIS3_N6thrust23THRUST_200600_302600_NS6detail15normal_iteratorINS9_10device_ptrIiEEEEPS5_jNS1_19radix_merge_compareILb0ELb0EiNS0_19identity_decomposerEEEEE10hipError_tT0_T1_T2_jT3_P12ihipStream_tbPNSt15iterator_traitsISK_E10value_typeEPNSQ_ISL_E10value_typeEPSM_NS1_7vsmem_tEENKUlT_SK_SL_SM_E_clISE_PiSF_SF_EESJ_SZ_SK_SL_SM_EUlSZ_E_NS1_11comp_targetILNS1_3genE8ELNS1_11target_archE1030ELNS1_3gpuE2ELNS1_3repE0EEENS1_48merge_mergepath_partition_config_static_selectorELNS0_4arch9wavefront6targetE0EEEvSL_.numbered_sgpr, 7
	.set _ZN7rocprim17ROCPRIM_400000_NS6detail17trampoline_kernelINS0_14default_configENS1_38merge_sort_block_merge_config_selectorIiNS0_10empty_typeEEEZZNS1_27merge_sort_block_merge_implIS3_N6thrust23THRUST_200600_302600_NS6detail15normal_iteratorINS9_10device_ptrIiEEEEPS5_jNS1_19radix_merge_compareILb0ELb0EiNS0_19identity_decomposerEEEEE10hipError_tT0_T1_T2_jT3_P12ihipStream_tbPNSt15iterator_traitsISK_E10value_typeEPNSQ_ISL_E10value_typeEPSM_NS1_7vsmem_tEENKUlT_SK_SL_SM_E_clISE_PiSF_SF_EESJ_SZ_SK_SL_SM_EUlSZ_E_NS1_11comp_targetILNS1_3genE8ELNS1_11target_archE1030ELNS1_3gpuE2ELNS1_3repE0EEENS1_48merge_mergepath_partition_config_static_selectorELNS0_4arch9wavefront6targetE0EEEvSL_.num_named_barrier, 0
	.set _ZN7rocprim17ROCPRIM_400000_NS6detail17trampoline_kernelINS0_14default_configENS1_38merge_sort_block_merge_config_selectorIiNS0_10empty_typeEEEZZNS1_27merge_sort_block_merge_implIS3_N6thrust23THRUST_200600_302600_NS6detail15normal_iteratorINS9_10device_ptrIiEEEEPS5_jNS1_19radix_merge_compareILb0ELb0EiNS0_19identity_decomposerEEEEE10hipError_tT0_T1_T2_jT3_P12ihipStream_tbPNSt15iterator_traitsISK_E10value_typeEPNSQ_ISL_E10value_typeEPSM_NS1_7vsmem_tEENKUlT_SK_SL_SM_E_clISE_PiSF_SF_EESJ_SZ_SK_SL_SM_EUlSZ_E_NS1_11comp_targetILNS1_3genE8ELNS1_11target_archE1030ELNS1_3gpuE2ELNS1_3repE0EEENS1_48merge_mergepath_partition_config_static_selectorELNS0_4arch9wavefront6targetE0EEEvSL_.private_seg_size, 0
	.set _ZN7rocprim17ROCPRIM_400000_NS6detail17trampoline_kernelINS0_14default_configENS1_38merge_sort_block_merge_config_selectorIiNS0_10empty_typeEEEZZNS1_27merge_sort_block_merge_implIS3_N6thrust23THRUST_200600_302600_NS6detail15normal_iteratorINS9_10device_ptrIiEEEEPS5_jNS1_19radix_merge_compareILb0ELb0EiNS0_19identity_decomposerEEEEE10hipError_tT0_T1_T2_jT3_P12ihipStream_tbPNSt15iterator_traitsISK_E10value_typeEPNSQ_ISL_E10value_typeEPSM_NS1_7vsmem_tEENKUlT_SK_SL_SM_E_clISE_PiSF_SF_EESJ_SZ_SK_SL_SM_EUlSZ_E_NS1_11comp_targetILNS1_3genE8ELNS1_11target_archE1030ELNS1_3gpuE2ELNS1_3repE0EEENS1_48merge_mergepath_partition_config_static_selectorELNS0_4arch9wavefront6targetE0EEEvSL_.uses_vcc, 1
	.set _ZN7rocprim17ROCPRIM_400000_NS6detail17trampoline_kernelINS0_14default_configENS1_38merge_sort_block_merge_config_selectorIiNS0_10empty_typeEEEZZNS1_27merge_sort_block_merge_implIS3_N6thrust23THRUST_200600_302600_NS6detail15normal_iteratorINS9_10device_ptrIiEEEEPS5_jNS1_19radix_merge_compareILb0ELb0EiNS0_19identity_decomposerEEEEE10hipError_tT0_T1_T2_jT3_P12ihipStream_tbPNSt15iterator_traitsISK_E10value_typeEPNSQ_ISL_E10value_typeEPSM_NS1_7vsmem_tEENKUlT_SK_SL_SM_E_clISE_PiSF_SF_EESJ_SZ_SK_SL_SM_EUlSZ_E_NS1_11comp_targetILNS1_3genE8ELNS1_11target_archE1030ELNS1_3gpuE2ELNS1_3repE0EEENS1_48merge_mergepath_partition_config_static_selectorELNS0_4arch9wavefront6targetE0EEEvSL_.uses_flat_scratch, 1
	.set _ZN7rocprim17ROCPRIM_400000_NS6detail17trampoline_kernelINS0_14default_configENS1_38merge_sort_block_merge_config_selectorIiNS0_10empty_typeEEEZZNS1_27merge_sort_block_merge_implIS3_N6thrust23THRUST_200600_302600_NS6detail15normal_iteratorINS9_10device_ptrIiEEEEPS5_jNS1_19radix_merge_compareILb0ELb0EiNS0_19identity_decomposerEEEEE10hipError_tT0_T1_T2_jT3_P12ihipStream_tbPNSt15iterator_traitsISK_E10value_typeEPNSQ_ISL_E10value_typeEPSM_NS1_7vsmem_tEENKUlT_SK_SL_SM_E_clISE_PiSF_SF_EESJ_SZ_SK_SL_SM_EUlSZ_E_NS1_11comp_targetILNS1_3genE8ELNS1_11target_archE1030ELNS1_3gpuE2ELNS1_3repE0EEENS1_48merge_mergepath_partition_config_static_selectorELNS0_4arch9wavefront6targetE0EEEvSL_.has_dyn_sized_stack, 0
	.set _ZN7rocprim17ROCPRIM_400000_NS6detail17trampoline_kernelINS0_14default_configENS1_38merge_sort_block_merge_config_selectorIiNS0_10empty_typeEEEZZNS1_27merge_sort_block_merge_implIS3_N6thrust23THRUST_200600_302600_NS6detail15normal_iteratorINS9_10device_ptrIiEEEEPS5_jNS1_19radix_merge_compareILb0ELb0EiNS0_19identity_decomposerEEEEE10hipError_tT0_T1_T2_jT3_P12ihipStream_tbPNSt15iterator_traitsISK_E10value_typeEPNSQ_ISL_E10value_typeEPSM_NS1_7vsmem_tEENKUlT_SK_SL_SM_E_clISE_PiSF_SF_EESJ_SZ_SK_SL_SM_EUlSZ_E_NS1_11comp_targetILNS1_3genE8ELNS1_11target_archE1030ELNS1_3gpuE2ELNS1_3repE0EEENS1_48merge_mergepath_partition_config_static_selectorELNS0_4arch9wavefront6targetE0EEEvSL_.has_recursion, 0
	.set _ZN7rocprim17ROCPRIM_400000_NS6detail17trampoline_kernelINS0_14default_configENS1_38merge_sort_block_merge_config_selectorIiNS0_10empty_typeEEEZZNS1_27merge_sort_block_merge_implIS3_N6thrust23THRUST_200600_302600_NS6detail15normal_iteratorINS9_10device_ptrIiEEEEPS5_jNS1_19radix_merge_compareILb0ELb0EiNS0_19identity_decomposerEEEEE10hipError_tT0_T1_T2_jT3_P12ihipStream_tbPNSt15iterator_traitsISK_E10value_typeEPNSQ_ISL_E10value_typeEPSM_NS1_7vsmem_tEENKUlT_SK_SL_SM_E_clISE_PiSF_SF_EESJ_SZ_SK_SL_SM_EUlSZ_E_NS1_11comp_targetILNS1_3genE8ELNS1_11target_archE1030ELNS1_3gpuE2ELNS1_3repE0EEENS1_48merge_mergepath_partition_config_static_selectorELNS0_4arch9wavefront6targetE0EEEvSL_.has_indirect_call, 0
	.section	.AMDGPU.csdata,"",@progbits
; Kernel info:
; codeLenInByte = 436
; TotalNumSgprs: 9
; NumVgprs: 15
; ScratchSize: 0
; MemoryBound: 0
; FloatMode: 240
; IeeeMode: 1
; LDSByteSize: 0 bytes/workgroup (compile time only)
; SGPRBlocks: 0
; VGPRBlocks: 1
; NumSGPRsForWavesPerEU: 9
; NumVGPRsForWavesPerEU: 15
; Occupancy: 16
; WaveLimiterHint : 0
; COMPUTE_PGM_RSRC2:SCRATCH_EN: 0
; COMPUTE_PGM_RSRC2:USER_SGPR: 6
; COMPUTE_PGM_RSRC2:TRAP_HANDLER: 0
; COMPUTE_PGM_RSRC2:TGID_X_EN: 1
; COMPUTE_PGM_RSRC2:TGID_Y_EN: 0
; COMPUTE_PGM_RSRC2:TGID_Z_EN: 0
; COMPUTE_PGM_RSRC2:TIDIG_COMP_CNT: 0
	.section	.text._ZN7rocprim17ROCPRIM_400000_NS6detail17trampoline_kernelINS0_14default_configENS1_38merge_sort_block_merge_config_selectorIiNS0_10empty_typeEEEZZNS1_27merge_sort_block_merge_implIS3_N6thrust23THRUST_200600_302600_NS6detail15normal_iteratorINS9_10device_ptrIiEEEEPS5_jNS1_19radix_merge_compareILb0ELb0EiNS0_19identity_decomposerEEEEE10hipError_tT0_T1_T2_jT3_P12ihipStream_tbPNSt15iterator_traitsISK_E10value_typeEPNSQ_ISL_E10value_typeEPSM_NS1_7vsmem_tEENKUlT_SK_SL_SM_E_clISE_PiSF_SF_EESJ_SZ_SK_SL_SM_EUlSZ_E0_NS1_11comp_targetILNS1_3genE0ELNS1_11target_archE4294967295ELNS1_3gpuE0ELNS1_3repE0EEENS1_38merge_mergepath_config_static_selectorELNS0_4arch9wavefront6targetE0EEEvSL_,"axG",@progbits,_ZN7rocprim17ROCPRIM_400000_NS6detail17trampoline_kernelINS0_14default_configENS1_38merge_sort_block_merge_config_selectorIiNS0_10empty_typeEEEZZNS1_27merge_sort_block_merge_implIS3_N6thrust23THRUST_200600_302600_NS6detail15normal_iteratorINS9_10device_ptrIiEEEEPS5_jNS1_19radix_merge_compareILb0ELb0EiNS0_19identity_decomposerEEEEE10hipError_tT0_T1_T2_jT3_P12ihipStream_tbPNSt15iterator_traitsISK_E10value_typeEPNSQ_ISL_E10value_typeEPSM_NS1_7vsmem_tEENKUlT_SK_SL_SM_E_clISE_PiSF_SF_EESJ_SZ_SK_SL_SM_EUlSZ_E0_NS1_11comp_targetILNS1_3genE0ELNS1_11target_archE4294967295ELNS1_3gpuE0ELNS1_3repE0EEENS1_38merge_mergepath_config_static_selectorELNS0_4arch9wavefront6targetE0EEEvSL_,comdat
	.protected	_ZN7rocprim17ROCPRIM_400000_NS6detail17trampoline_kernelINS0_14default_configENS1_38merge_sort_block_merge_config_selectorIiNS0_10empty_typeEEEZZNS1_27merge_sort_block_merge_implIS3_N6thrust23THRUST_200600_302600_NS6detail15normal_iteratorINS9_10device_ptrIiEEEEPS5_jNS1_19radix_merge_compareILb0ELb0EiNS0_19identity_decomposerEEEEE10hipError_tT0_T1_T2_jT3_P12ihipStream_tbPNSt15iterator_traitsISK_E10value_typeEPNSQ_ISL_E10value_typeEPSM_NS1_7vsmem_tEENKUlT_SK_SL_SM_E_clISE_PiSF_SF_EESJ_SZ_SK_SL_SM_EUlSZ_E0_NS1_11comp_targetILNS1_3genE0ELNS1_11target_archE4294967295ELNS1_3gpuE0ELNS1_3repE0EEENS1_38merge_mergepath_config_static_selectorELNS0_4arch9wavefront6targetE0EEEvSL_ ; -- Begin function _ZN7rocprim17ROCPRIM_400000_NS6detail17trampoline_kernelINS0_14default_configENS1_38merge_sort_block_merge_config_selectorIiNS0_10empty_typeEEEZZNS1_27merge_sort_block_merge_implIS3_N6thrust23THRUST_200600_302600_NS6detail15normal_iteratorINS9_10device_ptrIiEEEEPS5_jNS1_19radix_merge_compareILb0ELb0EiNS0_19identity_decomposerEEEEE10hipError_tT0_T1_T2_jT3_P12ihipStream_tbPNSt15iterator_traitsISK_E10value_typeEPNSQ_ISL_E10value_typeEPSM_NS1_7vsmem_tEENKUlT_SK_SL_SM_E_clISE_PiSF_SF_EESJ_SZ_SK_SL_SM_EUlSZ_E0_NS1_11comp_targetILNS1_3genE0ELNS1_11target_archE4294967295ELNS1_3gpuE0ELNS1_3repE0EEENS1_38merge_mergepath_config_static_selectorELNS0_4arch9wavefront6targetE0EEEvSL_
	.globl	_ZN7rocprim17ROCPRIM_400000_NS6detail17trampoline_kernelINS0_14default_configENS1_38merge_sort_block_merge_config_selectorIiNS0_10empty_typeEEEZZNS1_27merge_sort_block_merge_implIS3_N6thrust23THRUST_200600_302600_NS6detail15normal_iteratorINS9_10device_ptrIiEEEEPS5_jNS1_19radix_merge_compareILb0ELb0EiNS0_19identity_decomposerEEEEE10hipError_tT0_T1_T2_jT3_P12ihipStream_tbPNSt15iterator_traitsISK_E10value_typeEPNSQ_ISL_E10value_typeEPSM_NS1_7vsmem_tEENKUlT_SK_SL_SM_E_clISE_PiSF_SF_EESJ_SZ_SK_SL_SM_EUlSZ_E0_NS1_11comp_targetILNS1_3genE0ELNS1_11target_archE4294967295ELNS1_3gpuE0ELNS1_3repE0EEENS1_38merge_mergepath_config_static_selectorELNS0_4arch9wavefront6targetE0EEEvSL_
	.p2align	8
	.type	_ZN7rocprim17ROCPRIM_400000_NS6detail17trampoline_kernelINS0_14default_configENS1_38merge_sort_block_merge_config_selectorIiNS0_10empty_typeEEEZZNS1_27merge_sort_block_merge_implIS3_N6thrust23THRUST_200600_302600_NS6detail15normal_iteratorINS9_10device_ptrIiEEEEPS5_jNS1_19radix_merge_compareILb0ELb0EiNS0_19identity_decomposerEEEEE10hipError_tT0_T1_T2_jT3_P12ihipStream_tbPNSt15iterator_traitsISK_E10value_typeEPNSQ_ISL_E10value_typeEPSM_NS1_7vsmem_tEENKUlT_SK_SL_SM_E_clISE_PiSF_SF_EESJ_SZ_SK_SL_SM_EUlSZ_E0_NS1_11comp_targetILNS1_3genE0ELNS1_11target_archE4294967295ELNS1_3gpuE0ELNS1_3repE0EEENS1_38merge_mergepath_config_static_selectorELNS0_4arch9wavefront6targetE0EEEvSL_,@function
_ZN7rocprim17ROCPRIM_400000_NS6detail17trampoline_kernelINS0_14default_configENS1_38merge_sort_block_merge_config_selectorIiNS0_10empty_typeEEEZZNS1_27merge_sort_block_merge_implIS3_N6thrust23THRUST_200600_302600_NS6detail15normal_iteratorINS9_10device_ptrIiEEEEPS5_jNS1_19radix_merge_compareILb0ELb0EiNS0_19identity_decomposerEEEEE10hipError_tT0_T1_T2_jT3_P12ihipStream_tbPNSt15iterator_traitsISK_E10value_typeEPNSQ_ISL_E10value_typeEPSM_NS1_7vsmem_tEENKUlT_SK_SL_SM_E_clISE_PiSF_SF_EESJ_SZ_SK_SL_SM_EUlSZ_E0_NS1_11comp_targetILNS1_3genE0ELNS1_11target_archE4294967295ELNS1_3gpuE0ELNS1_3repE0EEENS1_38merge_mergepath_config_static_selectorELNS0_4arch9wavefront6targetE0EEEvSL_: ; @_ZN7rocprim17ROCPRIM_400000_NS6detail17trampoline_kernelINS0_14default_configENS1_38merge_sort_block_merge_config_selectorIiNS0_10empty_typeEEEZZNS1_27merge_sort_block_merge_implIS3_N6thrust23THRUST_200600_302600_NS6detail15normal_iteratorINS9_10device_ptrIiEEEEPS5_jNS1_19radix_merge_compareILb0ELb0EiNS0_19identity_decomposerEEEEE10hipError_tT0_T1_T2_jT3_P12ihipStream_tbPNSt15iterator_traitsISK_E10value_typeEPNSQ_ISL_E10value_typeEPSM_NS1_7vsmem_tEENKUlT_SK_SL_SM_E_clISE_PiSF_SF_EESJ_SZ_SK_SL_SM_EUlSZ_E0_NS1_11comp_targetILNS1_3genE0ELNS1_11target_archE4294967295ELNS1_3gpuE0ELNS1_3repE0EEENS1_38merge_mergepath_config_static_selectorELNS0_4arch9wavefront6targetE0EEEvSL_
; %bb.0:
	.section	.rodata,"a",@progbits
	.p2align	6, 0x0
	.amdhsa_kernel _ZN7rocprim17ROCPRIM_400000_NS6detail17trampoline_kernelINS0_14default_configENS1_38merge_sort_block_merge_config_selectorIiNS0_10empty_typeEEEZZNS1_27merge_sort_block_merge_implIS3_N6thrust23THRUST_200600_302600_NS6detail15normal_iteratorINS9_10device_ptrIiEEEEPS5_jNS1_19radix_merge_compareILb0ELb0EiNS0_19identity_decomposerEEEEE10hipError_tT0_T1_T2_jT3_P12ihipStream_tbPNSt15iterator_traitsISK_E10value_typeEPNSQ_ISL_E10value_typeEPSM_NS1_7vsmem_tEENKUlT_SK_SL_SM_E_clISE_PiSF_SF_EESJ_SZ_SK_SL_SM_EUlSZ_E0_NS1_11comp_targetILNS1_3genE0ELNS1_11target_archE4294967295ELNS1_3gpuE0ELNS1_3repE0EEENS1_38merge_mergepath_config_static_selectorELNS0_4arch9wavefront6targetE0EEEvSL_
		.amdhsa_group_segment_fixed_size 0
		.amdhsa_private_segment_fixed_size 0
		.amdhsa_kernarg_size 64
		.amdhsa_user_sgpr_count 6
		.amdhsa_user_sgpr_private_segment_buffer 1
		.amdhsa_user_sgpr_dispatch_ptr 0
		.amdhsa_user_sgpr_queue_ptr 0
		.amdhsa_user_sgpr_kernarg_segment_ptr 1
		.amdhsa_user_sgpr_dispatch_id 0
		.amdhsa_user_sgpr_flat_scratch_init 0
		.amdhsa_user_sgpr_private_segment_size 0
		.amdhsa_wavefront_size32 1
		.amdhsa_uses_dynamic_stack 0
		.amdhsa_system_sgpr_private_segment_wavefront_offset 0
		.amdhsa_system_sgpr_workgroup_id_x 1
		.amdhsa_system_sgpr_workgroup_id_y 0
		.amdhsa_system_sgpr_workgroup_id_z 0
		.amdhsa_system_sgpr_workgroup_info 0
		.amdhsa_system_vgpr_workitem_id 0
		.amdhsa_next_free_vgpr 1
		.amdhsa_next_free_sgpr 1
		.amdhsa_reserve_vcc 0
		.amdhsa_reserve_flat_scratch 0
		.amdhsa_float_round_mode_32 0
		.amdhsa_float_round_mode_16_64 0
		.amdhsa_float_denorm_mode_32 3
		.amdhsa_float_denorm_mode_16_64 3
		.amdhsa_dx10_clamp 1
		.amdhsa_ieee_mode 1
		.amdhsa_fp16_overflow 0
		.amdhsa_workgroup_processor_mode 1
		.amdhsa_memory_ordered 1
		.amdhsa_forward_progress 1
		.amdhsa_shared_vgpr_count 0
		.amdhsa_exception_fp_ieee_invalid_op 0
		.amdhsa_exception_fp_denorm_src 0
		.amdhsa_exception_fp_ieee_div_zero 0
		.amdhsa_exception_fp_ieee_overflow 0
		.amdhsa_exception_fp_ieee_underflow 0
		.amdhsa_exception_fp_ieee_inexact 0
		.amdhsa_exception_int_div_zero 0
	.end_amdhsa_kernel
	.section	.text._ZN7rocprim17ROCPRIM_400000_NS6detail17trampoline_kernelINS0_14default_configENS1_38merge_sort_block_merge_config_selectorIiNS0_10empty_typeEEEZZNS1_27merge_sort_block_merge_implIS3_N6thrust23THRUST_200600_302600_NS6detail15normal_iteratorINS9_10device_ptrIiEEEEPS5_jNS1_19radix_merge_compareILb0ELb0EiNS0_19identity_decomposerEEEEE10hipError_tT0_T1_T2_jT3_P12ihipStream_tbPNSt15iterator_traitsISK_E10value_typeEPNSQ_ISL_E10value_typeEPSM_NS1_7vsmem_tEENKUlT_SK_SL_SM_E_clISE_PiSF_SF_EESJ_SZ_SK_SL_SM_EUlSZ_E0_NS1_11comp_targetILNS1_3genE0ELNS1_11target_archE4294967295ELNS1_3gpuE0ELNS1_3repE0EEENS1_38merge_mergepath_config_static_selectorELNS0_4arch9wavefront6targetE0EEEvSL_,"axG",@progbits,_ZN7rocprim17ROCPRIM_400000_NS6detail17trampoline_kernelINS0_14default_configENS1_38merge_sort_block_merge_config_selectorIiNS0_10empty_typeEEEZZNS1_27merge_sort_block_merge_implIS3_N6thrust23THRUST_200600_302600_NS6detail15normal_iteratorINS9_10device_ptrIiEEEEPS5_jNS1_19radix_merge_compareILb0ELb0EiNS0_19identity_decomposerEEEEE10hipError_tT0_T1_T2_jT3_P12ihipStream_tbPNSt15iterator_traitsISK_E10value_typeEPNSQ_ISL_E10value_typeEPSM_NS1_7vsmem_tEENKUlT_SK_SL_SM_E_clISE_PiSF_SF_EESJ_SZ_SK_SL_SM_EUlSZ_E0_NS1_11comp_targetILNS1_3genE0ELNS1_11target_archE4294967295ELNS1_3gpuE0ELNS1_3repE0EEENS1_38merge_mergepath_config_static_selectorELNS0_4arch9wavefront6targetE0EEEvSL_,comdat
.Lfunc_end51:
	.size	_ZN7rocprim17ROCPRIM_400000_NS6detail17trampoline_kernelINS0_14default_configENS1_38merge_sort_block_merge_config_selectorIiNS0_10empty_typeEEEZZNS1_27merge_sort_block_merge_implIS3_N6thrust23THRUST_200600_302600_NS6detail15normal_iteratorINS9_10device_ptrIiEEEEPS5_jNS1_19radix_merge_compareILb0ELb0EiNS0_19identity_decomposerEEEEE10hipError_tT0_T1_T2_jT3_P12ihipStream_tbPNSt15iterator_traitsISK_E10value_typeEPNSQ_ISL_E10value_typeEPSM_NS1_7vsmem_tEENKUlT_SK_SL_SM_E_clISE_PiSF_SF_EESJ_SZ_SK_SL_SM_EUlSZ_E0_NS1_11comp_targetILNS1_3genE0ELNS1_11target_archE4294967295ELNS1_3gpuE0ELNS1_3repE0EEENS1_38merge_mergepath_config_static_selectorELNS0_4arch9wavefront6targetE0EEEvSL_, .Lfunc_end51-_ZN7rocprim17ROCPRIM_400000_NS6detail17trampoline_kernelINS0_14default_configENS1_38merge_sort_block_merge_config_selectorIiNS0_10empty_typeEEEZZNS1_27merge_sort_block_merge_implIS3_N6thrust23THRUST_200600_302600_NS6detail15normal_iteratorINS9_10device_ptrIiEEEEPS5_jNS1_19radix_merge_compareILb0ELb0EiNS0_19identity_decomposerEEEEE10hipError_tT0_T1_T2_jT3_P12ihipStream_tbPNSt15iterator_traitsISK_E10value_typeEPNSQ_ISL_E10value_typeEPSM_NS1_7vsmem_tEENKUlT_SK_SL_SM_E_clISE_PiSF_SF_EESJ_SZ_SK_SL_SM_EUlSZ_E0_NS1_11comp_targetILNS1_3genE0ELNS1_11target_archE4294967295ELNS1_3gpuE0ELNS1_3repE0EEENS1_38merge_mergepath_config_static_selectorELNS0_4arch9wavefront6targetE0EEEvSL_
                                        ; -- End function
	.set _ZN7rocprim17ROCPRIM_400000_NS6detail17trampoline_kernelINS0_14default_configENS1_38merge_sort_block_merge_config_selectorIiNS0_10empty_typeEEEZZNS1_27merge_sort_block_merge_implIS3_N6thrust23THRUST_200600_302600_NS6detail15normal_iteratorINS9_10device_ptrIiEEEEPS5_jNS1_19radix_merge_compareILb0ELb0EiNS0_19identity_decomposerEEEEE10hipError_tT0_T1_T2_jT3_P12ihipStream_tbPNSt15iterator_traitsISK_E10value_typeEPNSQ_ISL_E10value_typeEPSM_NS1_7vsmem_tEENKUlT_SK_SL_SM_E_clISE_PiSF_SF_EESJ_SZ_SK_SL_SM_EUlSZ_E0_NS1_11comp_targetILNS1_3genE0ELNS1_11target_archE4294967295ELNS1_3gpuE0ELNS1_3repE0EEENS1_38merge_mergepath_config_static_selectorELNS0_4arch9wavefront6targetE0EEEvSL_.num_vgpr, 0
	.set _ZN7rocprim17ROCPRIM_400000_NS6detail17trampoline_kernelINS0_14default_configENS1_38merge_sort_block_merge_config_selectorIiNS0_10empty_typeEEEZZNS1_27merge_sort_block_merge_implIS3_N6thrust23THRUST_200600_302600_NS6detail15normal_iteratorINS9_10device_ptrIiEEEEPS5_jNS1_19radix_merge_compareILb0ELb0EiNS0_19identity_decomposerEEEEE10hipError_tT0_T1_T2_jT3_P12ihipStream_tbPNSt15iterator_traitsISK_E10value_typeEPNSQ_ISL_E10value_typeEPSM_NS1_7vsmem_tEENKUlT_SK_SL_SM_E_clISE_PiSF_SF_EESJ_SZ_SK_SL_SM_EUlSZ_E0_NS1_11comp_targetILNS1_3genE0ELNS1_11target_archE4294967295ELNS1_3gpuE0ELNS1_3repE0EEENS1_38merge_mergepath_config_static_selectorELNS0_4arch9wavefront6targetE0EEEvSL_.num_agpr, 0
	.set _ZN7rocprim17ROCPRIM_400000_NS6detail17trampoline_kernelINS0_14default_configENS1_38merge_sort_block_merge_config_selectorIiNS0_10empty_typeEEEZZNS1_27merge_sort_block_merge_implIS3_N6thrust23THRUST_200600_302600_NS6detail15normal_iteratorINS9_10device_ptrIiEEEEPS5_jNS1_19radix_merge_compareILb0ELb0EiNS0_19identity_decomposerEEEEE10hipError_tT0_T1_T2_jT3_P12ihipStream_tbPNSt15iterator_traitsISK_E10value_typeEPNSQ_ISL_E10value_typeEPSM_NS1_7vsmem_tEENKUlT_SK_SL_SM_E_clISE_PiSF_SF_EESJ_SZ_SK_SL_SM_EUlSZ_E0_NS1_11comp_targetILNS1_3genE0ELNS1_11target_archE4294967295ELNS1_3gpuE0ELNS1_3repE0EEENS1_38merge_mergepath_config_static_selectorELNS0_4arch9wavefront6targetE0EEEvSL_.numbered_sgpr, 0
	.set _ZN7rocprim17ROCPRIM_400000_NS6detail17trampoline_kernelINS0_14default_configENS1_38merge_sort_block_merge_config_selectorIiNS0_10empty_typeEEEZZNS1_27merge_sort_block_merge_implIS3_N6thrust23THRUST_200600_302600_NS6detail15normal_iteratorINS9_10device_ptrIiEEEEPS5_jNS1_19radix_merge_compareILb0ELb0EiNS0_19identity_decomposerEEEEE10hipError_tT0_T1_T2_jT3_P12ihipStream_tbPNSt15iterator_traitsISK_E10value_typeEPNSQ_ISL_E10value_typeEPSM_NS1_7vsmem_tEENKUlT_SK_SL_SM_E_clISE_PiSF_SF_EESJ_SZ_SK_SL_SM_EUlSZ_E0_NS1_11comp_targetILNS1_3genE0ELNS1_11target_archE4294967295ELNS1_3gpuE0ELNS1_3repE0EEENS1_38merge_mergepath_config_static_selectorELNS0_4arch9wavefront6targetE0EEEvSL_.num_named_barrier, 0
	.set _ZN7rocprim17ROCPRIM_400000_NS6detail17trampoline_kernelINS0_14default_configENS1_38merge_sort_block_merge_config_selectorIiNS0_10empty_typeEEEZZNS1_27merge_sort_block_merge_implIS3_N6thrust23THRUST_200600_302600_NS6detail15normal_iteratorINS9_10device_ptrIiEEEEPS5_jNS1_19radix_merge_compareILb0ELb0EiNS0_19identity_decomposerEEEEE10hipError_tT0_T1_T2_jT3_P12ihipStream_tbPNSt15iterator_traitsISK_E10value_typeEPNSQ_ISL_E10value_typeEPSM_NS1_7vsmem_tEENKUlT_SK_SL_SM_E_clISE_PiSF_SF_EESJ_SZ_SK_SL_SM_EUlSZ_E0_NS1_11comp_targetILNS1_3genE0ELNS1_11target_archE4294967295ELNS1_3gpuE0ELNS1_3repE0EEENS1_38merge_mergepath_config_static_selectorELNS0_4arch9wavefront6targetE0EEEvSL_.private_seg_size, 0
	.set _ZN7rocprim17ROCPRIM_400000_NS6detail17trampoline_kernelINS0_14default_configENS1_38merge_sort_block_merge_config_selectorIiNS0_10empty_typeEEEZZNS1_27merge_sort_block_merge_implIS3_N6thrust23THRUST_200600_302600_NS6detail15normal_iteratorINS9_10device_ptrIiEEEEPS5_jNS1_19radix_merge_compareILb0ELb0EiNS0_19identity_decomposerEEEEE10hipError_tT0_T1_T2_jT3_P12ihipStream_tbPNSt15iterator_traitsISK_E10value_typeEPNSQ_ISL_E10value_typeEPSM_NS1_7vsmem_tEENKUlT_SK_SL_SM_E_clISE_PiSF_SF_EESJ_SZ_SK_SL_SM_EUlSZ_E0_NS1_11comp_targetILNS1_3genE0ELNS1_11target_archE4294967295ELNS1_3gpuE0ELNS1_3repE0EEENS1_38merge_mergepath_config_static_selectorELNS0_4arch9wavefront6targetE0EEEvSL_.uses_vcc, 0
	.set _ZN7rocprim17ROCPRIM_400000_NS6detail17trampoline_kernelINS0_14default_configENS1_38merge_sort_block_merge_config_selectorIiNS0_10empty_typeEEEZZNS1_27merge_sort_block_merge_implIS3_N6thrust23THRUST_200600_302600_NS6detail15normal_iteratorINS9_10device_ptrIiEEEEPS5_jNS1_19radix_merge_compareILb0ELb0EiNS0_19identity_decomposerEEEEE10hipError_tT0_T1_T2_jT3_P12ihipStream_tbPNSt15iterator_traitsISK_E10value_typeEPNSQ_ISL_E10value_typeEPSM_NS1_7vsmem_tEENKUlT_SK_SL_SM_E_clISE_PiSF_SF_EESJ_SZ_SK_SL_SM_EUlSZ_E0_NS1_11comp_targetILNS1_3genE0ELNS1_11target_archE4294967295ELNS1_3gpuE0ELNS1_3repE0EEENS1_38merge_mergepath_config_static_selectorELNS0_4arch9wavefront6targetE0EEEvSL_.uses_flat_scratch, 0
	.set _ZN7rocprim17ROCPRIM_400000_NS6detail17trampoline_kernelINS0_14default_configENS1_38merge_sort_block_merge_config_selectorIiNS0_10empty_typeEEEZZNS1_27merge_sort_block_merge_implIS3_N6thrust23THRUST_200600_302600_NS6detail15normal_iteratorINS9_10device_ptrIiEEEEPS5_jNS1_19radix_merge_compareILb0ELb0EiNS0_19identity_decomposerEEEEE10hipError_tT0_T1_T2_jT3_P12ihipStream_tbPNSt15iterator_traitsISK_E10value_typeEPNSQ_ISL_E10value_typeEPSM_NS1_7vsmem_tEENKUlT_SK_SL_SM_E_clISE_PiSF_SF_EESJ_SZ_SK_SL_SM_EUlSZ_E0_NS1_11comp_targetILNS1_3genE0ELNS1_11target_archE4294967295ELNS1_3gpuE0ELNS1_3repE0EEENS1_38merge_mergepath_config_static_selectorELNS0_4arch9wavefront6targetE0EEEvSL_.has_dyn_sized_stack, 0
	.set _ZN7rocprim17ROCPRIM_400000_NS6detail17trampoline_kernelINS0_14default_configENS1_38merge_sort_block_merge_config_selectorIiNS0_10empty_typeEEEZZNS1_27merge_sort_block_merge_implIS3_N6thrust23THRUST_200600_302600_NS6detail15normal_iteratorINS9_10device_ptrIiEEEEPS5_jNS1_19radix_merge_compareILb0ELb0EiNS0_19identity_decomposerEEEEE10hipError_tT0_T1_T2_jT3_P12ihipStream_tbPNSt15iterator_traitsISK_E10value_typeEPNSQ_ISL_E10value_typeEPSM_NS1_7vsmem_tEENKUlT_SK_SL_SM_E_clISE_PiSF_SF_EESJ_SZ_SK_SL_SM_EUlSZ_E0_NS1_11comp_targetILNS1_3genE0ELNS1_11target_archE4294967295ELNS1_3gpuE0ELNS1_3repE0EEENS1_38merge_mergepath_config_static_selectorELNS0_4arch9wavefront6targetE0EEEvSL_.has_recursion, 0
	.set _ZN7rocprim17ROCPRIM_400000_NS6detail17trampoline_kernelINS0_14default_configENS1_38merge_sort_block_merge_config_selectorIiNS0_10empty_typeEEEZZNS1_27merge_sort_block_merge_implIS3_N6thrust23THRUST_200600_302600_NS6detail15normal_iteratorINS9_10device_ptrIiEEEEPS5_jNS1_19radix_merge_compareILb0ELb0EiNS0_19identity_decomposerEEEEE10hipError_tT0_T1_T2_jT3_P12ihipStream_tbPNSt15iterator_traitsISK_E10value_typeEPNSQ_ISL_E10value_typeEPSM_NS1_7vsmem_tEENKUlT_SK_SL_SM_E_clISE_PiSF_SF_EESJ_SZ_SK_SL_SM_EUlSZ_E0_NS1_11comp_targetILNS1_3genE0ELNS1_11target_archE4294967295ELNS1_3gpuE0ELNS1_3repE0EEENS1_38merge_mergepath_config_static_selectorELNS0_4arch9wavefront6targetE0EEEvSL_.has_indirect_call, 0
	.section	.AMDGPU.csdata,"",@progbits
; Kernel info:
; codeLenInByte = 0
; TotalNumSgprs: 0
; NumVgprs: 0
; ScratchSize: 0
; MemoryBound: 0
; FloatMode: 240
; IeeeMode: 1
; LDSByteSize: 0 bytes/workgroup (compile time only)
; SGPRBlocks: 0
; VGPRBlocks: 0
; NumSGPRsForWavesPerEU: 1
; NumVGPRsForWavesPerEU: 1
; Occupancy: 16
; WaveLimiterHint : 0
; COMPUTE_PGM_RSRC2:SCRATCH_EN: 0
; COMPUTE_PGM_RSRC2:USER_SGPR: 6
; COMPUTE_PGM_RSRC2:TRAP_HANDLER: 0
; COMPUTE_PGM_RSRC2:TGID_X_EN: 1
; COMPUTE_PGM_RSRC2:TGID_Y_EN: 0
; COMPUTE_PGM_RSRC2:TGID_Z_EN: 0
; COMPUTE_PGM_RSRC2:TIDIG_COMP_CNT: 0
	.section	.text._ZN7rocprim17ROCPRIM_400000_NS6detail17trampoline_kernelINS0_14default_configENS1_38merge_sort_block_merge_config_selectorIiNS0_10empty_typeEEEZZNS1_27merge_sort_block_merge_implIS3_N6thrust23THRUST_200600_302600_NS6detail15normal_iteratorINS9_10device_ptrIiEEEEPS5_jNS1_19radix_merge_compareILb0ELb0EiNS0_19identity_decomposerEEEEE10hipError_tT0_T1_T2_jT3_P12ihipStream_tbPNSt15iterator_traitsISK_E10value_typeEPNSQ_ISL_E10value_typeEPSM_NS1_7vsmem_tEENKUlT_SK_SL_SM_E_clISE_PiSF_SF_EESJ_SZ_SK_SL_SM_EUlSZ_E0_NS1_11comp_targetILNS1_3genE10ELNS1_11target_archE1201ELNS1_3gpuE5ELNS1_3repE0EEENS1_38merge_mergepath_config_static_selectorELNS0_4arch9wavefront6targetE0EEEvSL_,"axG",@progbits,_ZN7rocprim17ROCPRIM_400000_NS6detail17trampoline_kernelINS0_14default_configENS1_38merge_sort_block_merge_config_selectorIiNS0_10empty_typeEEEZZNS1_27merge_sort_block_merge_implIS3_N6thrust23THRUST_200600_302600_NS6detail15normal_iteratorINS9_10device_ptrIiEEEEPS5_jNS1_19radix_merge_compareILb0ELb0EiNS0_19identity_decomposerEEEEE10hipError_tT0_T1_T2_jT3_P12ihipStream_tbPNSt15iterator_traitsISK_E10value_typeEPNSQ_ISL_E10value_typeEPSM_NS1_7vsmem_tEENKUlT_SK_SL_SM_E_clISE_PiSF_SF_EESJ_SZ_SK_SL_SM_EUlSZ_E0_NS1_11comp_targetILNS1_3genE10ELNS1_11target_archE1201ELNS1_3gpuE5ELNS1_3repE0EEENS1_38merge_mergepath_config_static_selectorELNS0_4arch9wavefront6targetE0EEEvSL_,comdat
	.protected	_ZN7rocprim17ROCPRIM_400000_NS6detail17trampoline_kernelINS0_14default_configENS1_38merge_sort_block_merge_config_selectorIiNS0_10empty_typeEEEZZNS1_27merge_sort_block_merge_implIS3_N6thrust23THRUST_200600_302600_NS6detail15normal_iteratorINS9_10device_ptrIiEEEEPS5_jNS1_19radix_merge_compareILb0ELb0EiNS0_19identity_decomposerEEEEE10hipError_tT0_T1_T2_jT3_P12ihipStream_tbPNSt15iterator_traitsISK_E10value_typeEPNSQ_ISL_E10value_typeEPSM_NS1_7vsmem_tEENKUlT_SK_SL_SM_E_clISE_PiSF_SF_EESJ_SZ_SK_SL_SM_EUlSZ_E0_NS1_11comp_targetILNS1_3genE10ELNS1_11target_archE1201ELNS1_3gpuE5ELNS1_3repE0EEENS1_38merge_mergepath_config_static_selectorELNS0_4arch9wavefront6targetE0EEEvSL_ ; -- Begin function _ZN7rocprim17ROCPRIM_400000_NS6detail17trampoline_kernelINS0_14default_configENS1_38merge_sort_block_merge_config_selectorIiNS0_10empty_typeEEEZZNS1_27merge_sort_block_merge_implIS3_N6thrust23THRUST_200600_302600_NS6detail15normal_iteratorINS9_10device_ptrIiEEEEPS5_jNS1_19radix_merge_compareILb0ELb0EiNS0_19identity_decomposerEEEEE10hipError_tT0_T1_T2_jT3_P12ihipStream_tbPNSt15iterator_traitsISK_E10value_typeEPNSQ_ISL_E10value_typeEPSM_NS1_7vsmem_tEENKUlT_SK_SL_SM_E_clISE_PiSF_SF_EESJ_SZ_SK_SL_SM_EUlSZ_E0_NS1_11comp_targetILNS1_3genE10ELNS1_11target_archE1201ELNS1_3gpuE5ELNS1_3repE0EEENS1_38merge_mergepath_config_static_selectorELNS0_4arch9wavefront6targetE0EEEvSL_
	.globl	_ZN7rocprim17ROCPRIM_400000_NS6detail17trampoline_kernelINS0_14default_configENS1_38merge_sort_block_merge_config_selectorIiNS0_10empty_typeEEEZZNS1_27merge_sort_block_merge_implIS3_N6thrust23THRUST_200600_302600_NS6detail15normal_iteratorINS9_10device_ptrIiEEEEPS5_jNS1_19radix_merge_compareILb0ELb0EiNS0_19identity_decomposerEEEEE10hipError_tT0_T1_T2_jT3_P12ihipStream_tbPNSt15iterator_traitsISK_E10value_typeEPNSQ_ISL_E10value_typeEPSM_NS1_7vsmem_tEENKUlT_SK_SL_SM_E_clISE_PiSF_SF_EESJ_SZ_SK_SL_SM_EUlSZ_E0_NS1_11comp_targetILNS1_3genE10ELNS1_11target_archE1201ELNS1_3gpuE5ELNS1_3repE0EEENS1_38merge_mergepath_config_static_selectorELNS0_4arch9wavefront6targetE0EEEvSL_
	.p2align	8
	.type	_ZN7rocprim17ROCPRIM_400000_NS6detail17trampoline_kernelINS0_14default_configENS1_38merge_sort_block_merge_config_selectorIiNS0_10empty_typeEEEZZNS1_27merge_sort_block_merge_implIS3_N6thrust23THRUST_200600_302600_NS6detail15normal_iteratorINS9_10device_ptrIiEEEEPS5_jNS1_19radix_merge_compareILb0ELb0EiNS0_19identity_decomposerEEEEE10hipError_tT0_T1_T2_jT3_P12ihipStream_tbPNSt15iterator_traitsISK_E10value_typeEPNSQ_ISL_E10value_typeEPSM_NS1_7vsmem_tEENKUlT_SK_SL_SM_E_clISE_PiSF_SF_EESJ_SZ_SK_SL_SM_EUlSZ_E0_NS1_11comp_targetILNS1_3genE10ELNS1_11target_archE1201ELNS1_3gpuE5ELNS1_3repE0EEENS1_38merge_mergepath_config_static_selectorELNS0_4arch9wavefront6targetE0EEEvSL_,@function
_ZN7rocprim17ROCPRIM_400000_NS6detail17trampoline_kernelINS0_14default_configENS1_38merge_sort_block_merge_config_selectorIiNS0_10empty_typeEEEZZNS1_27merge_sort_block_merge_implIS3_N6thrust23THRUST_200600_302600_NS6detail15normal_iteratorINS9_10device_ptrIiEEEEPS5_jNS1_19radix_merge_compareILb0ELb0EiNS0_19identity_decomposerEEEEE10hipError_tT0_T1_T2_jT3_P12ihipStream_tbPNSt15iterator_traitsISK_E10value_typeEPNSQ_ISL_E10value_typeEPSM_NS1_7vsmem_tEENKUlT_SK_SL_SM_E_clISE_PiSF_SF_EESJ_SZ_SK_SL_SM_EUlSZ_E0_NS1_11comp_targetILNS1_3genE10ELNS1_11target_archE1201ELNS1_3gpuE5ELNS1_3repE0EEENS1_38merge_mergepath_config_static_selectorELNS0_4arch9wavefront6targetE0EEEvSL_: ; @_ZN7rocprim17ROCPRIM_400000_NS6detail17trampoline_kernelINS0_14default_configENS1_38merge_sort_block_merge_config_selectorIiNS0_10empty_typeEEEZZNS1_27merge_sort_block_merge_implIS3_N6thrust23THRUST_200600_302600_NS6detail15normal_iteratorINS9_10device_ptrIiEEEEPS5_jNS1_19radix_merge_compareILb0ELb0EiNS0_19identity_decomposerEEEEE10hipError_tT0_T1_T2_jT3_P12ihipStream_tbPNSt15iterator_traitsISK_E10value_typeEPNSQ_ISL_E10value_typeEPSM_NS1_7vsmem_tEENKUlT_SK_SL_SM_E_clISE_PiSF_SF_EESJ_SZ_SK_SL_SM_EUlSZ_E0_NS1_11comp_targetILNS1_3genE10ELNS1_11target_archE1201ELNS1_3gpuE5ELNS1_3repE0EEENS1_38merge_mergepath_config_static_selectorELNS0_4arch9wavefront6targetE0EEEvSL_
; %bb.0:
	.section	.rodata,"a",@progbits
	.p2align	6, 0x0
	.amdhsa_kernel _ZN7rocprim17ROCPRIM_400000_NS6detail17trampoline_kernelINS0_14default_configENS1_38merge_sort_block_merge_config_selectorIiNS0_10empty_typeEEEZZNS1_27merge_sort_block_merge_implIS3_N6thrust23THRUST_200600_302600_NS6detail15normal_iteratorINS9_10device_ptrIiEEEEPS5_jNS1_19radix_merge_compareILb0ELb0EiNS0_19identity_decomposerEEEEE10hipError_tT0_T1_T2_jT3_P12ihipStream_tbPNSt15iterator_traitsISK_E10value_typeEPNSQ_ISL_E10value_typeEPSM_NS1_7vsmem_tEENKUlT_SK_SL_SM_E_clISE_PiSF_SF_EESJ_SZ_SK_SL_SM_EUlSZ_E0_NS1_11comp_targetILNS1_3genE10ELNS1_11target_archE1201ELNS1_3gpuE5ELNS1_3repE0EEENS1_38merge_mergepath_config_static_selectorELNS0_4arch9wavefront6targetE0EEEvSL_
		.amdhsa_group_segment_fixed_size 0
		.amdhsa_private_segment_fixed_size 0
		.amdhsa_kernarg_size 64
		.amdhsa_user_sgpr_count 6
		.amdhsa_user_sgpr_private_segment_buffer 1
		.amdhsa_user_sgpr_dispatch_ptr 0
		.amdhsa_user_sgpr_queue_ptr 0
		.amdhsa_user_sgpr_kernarg_segment_ptr 1
		.amdhsa_user_sgpr_dispatch_id 0
		.amdhsa_user_sgpr_flat_scratch_init 0
		.amdhsa_user_sgpr_private_segment_size 0
		.amdhsa_wavefront_size32 1
		.amdhsa_uses_dynamic_stack 0
		.amdhsa_system_sgpr_private_segment_wavefront_offset 0
		.amdhsa_system_sgpr_workgroup_id_x 1
		.amdhsa_system_sgpr_workgroup_id_y 0
		.amdhsa_system_sgpr_workgroup_id_z 0
		.amdhsa_system_sgpr_workgroup_info 0
		.amdhsa_system_vgpr_workitem_id 0
		.amdhsa_next_free_vgpr 1
		.amdhsa_next_free_sgpr 1
		.amdhsa_reserve_vcc 0
		.amdhsa_reserve_flat_scratch 0
		.amdhsa_float_round_mode_32 0
		.amdhsa_float_round_mode_16_64 0
		.amdhsa_float_denorm_mode_32 3
		.amdhsa_float_denorm_mode_16_64 3
		.amdhsa_dx10_clamp 1
		.amdhsa_ieee_mode 1
		.amdhsa_fp16_overflow 0
		.amdhsa_workgroup_processor_mode 1
		.amdhsa_memory_ordered 1
		.amdhsa_forward_progress 1
		.amdhsa_shared_vgpr_count 0
		.amdhsa_exception_fp_ieee_invalid_op 0
		.amdhsa_exception_fp_denorm_src 0
		.amdhsa_exception_fp_ieee_div_zero 0
		.amdhsa_exception_fp_ieee_overflow 0
		.amdhsa_exception_fp_ieee_underflow 0
		.amdhsa_exception_fp_ieee_inexact 0
		.amdhsa_exception_int_div_zero 0
	.end_amdhsa_kernel
	.section	.text._ZN7rocprim17ROCPRIM_400000_NS6detail17trampoline_kernelINS0_14default_configENS1_38merge_sort_block_merge_config_selectorIiNS0_10empty_typeEEEZZNS1_27merge_sort_block_merge_implIS3_N6thrust23THRUST_200600_302600_NS6detail15normal_iteratorINS9_10device_ptrIiEEEEPS5_jNS1_19radix_merge_compareILb0ELb0EiNS0_19identity_decomposerEEEEE10hipError_tT0_T1_T2_jT3_P12ihipStream_tbPNSt15iterator_traitsISK_E10value_typeEPNSQ_ISL_E10value_typeEPSM_NS1_7vsmem_tEENKUlT_SK_SL_SM_E_clISE_PiSF_SF_EESJ_SZ_SK_SL_SM_EUlSZ_E0_NS1_11comp_targetILNS1_3genE10ELNS1_11target_archE1201ELNS1_3gpuE5ELNS1_3repE0EEENS1_38merge_mergepath_config_static_selectorELNS0_4arch9wavefront6targetE0EEEvSL_,"axG",@progbits,_ZN7rocprim17ROCPRIM_400000_NS6detail17trampoline_kernelINS0_14default_configENS1_38merge_sort_block_merge_config_selectorIiNS0_10empty_typeEEEZZNS1_27merge_sort_block_merge_implIS3_N6thrust23THRUST_200600_302600_NS6detail15normal_iteratorINS9_10device_ptrIiEEEEPS5_jNS1_19radix_merge_compareILb0ELb0EiNS0_19identity_decomposerEEEEE10hipError_tT0_T1_T2_jT3_P12ihipStream_tbPNSt15iterator_traitsISK_E10value_typeEPNSQ_ISL_E10value_typeEPSM_NS1_7vsmem_tEENKUlT_SK_SL_SM_E_clISE_PiSF_SF_EESJ_SZ_SK_SL_SM_EUlSZ_E0_NS1_11comp_targetILNS1_3genE10ELNS1_11target_archE1201ELNS1_3gpuE5ELNS1_3repE0EEENS1_38merge_mergepath_config_static_selectorELNS0_4arch9wavefront6targetE0EEEvSL_,comdat
.Lfunc_end52:
	.size	_ZN7rocprim17ROCPRIM_400000_NS6detail17trampoline_kernelINS0_14default_configENS1_38merge_sort_block_merge_config_selectorIiNS0_10empty_typeEEEZZNS1_27merge_sort_block_merge_implIS3_N6thrust23THRUST_200600_302600_NS6detail15normal_iteratorINS9_10device_ptrIiEEEEPS5_jNS1_19radix_merge_compareILb0ELb0EiNS0_19identity_decomposerEEEEE10hipError_tT0_T1_T2_jT3_P12ihipStream_tbPNSt15iterator_traitsISK_E10value_typeEPNSQ_ISL_E10value_typeEPSM_NS1_7vsmem_tEENKUlT_SK_SL_SM_E_clISE_PiSF_SF_EESJ_SZ_SK_SL_SM_EUlSZ_E0_NS1_11comp_targetILNS1_3genE10ELNS1_11target_archE1201ELNS1_3gpuE5ELNS1_3repE0EEENS1_38merge_mergepath_config_static_selectorELNS0_4arch9wavefront6targetE0EEEvSL_, .Lfunc_end52-_ZN7rocprim17ROCPRIM_400000_NS6detail17trampoline_kernelINS0_14default_configENS1_38merge_sort_block_merge_config_selectorIiNS0_10empty_typeEEEZZNS1_27merge_sort_block_merge_implIS3_N6thrust23THRUST_200600_302600_NS6detail15normal_iteratorINS9_10device_ptrIiEEEEPS5_jNS1_19radix_merge_compareILb0ELb0EiNS0_19identity_decomposerEEEEE10hipError_tT0_T1_T2_jT3_P12ihipStream_tbPNSt15iterator_traitsISK_E10value_typeEPNSQ_ISL_E10value_typeEPSM_NS1_7vsmem_tEENKUlT_SK_SL_SM_E_clISE_PiSF_SF_EESJ_SZ_SK_SL_SM_EUlSZ_E0_NS1_11comp_targetILNS1_3genE10ELNS1_11target_archE1201ELNS1_3gpuE5ELNS1_3repE0EEENS1_38merge_mergepath_config_static_selectorELNS0_4arch9wavefront6targetE0EEEvSL_
                                        ; -- End function
	.set _ZN7rocprim17ROCPRIM_400000_NS6detail17trampoline_kernelINS0_14default_configENS1_38merge_sort_block_merge_config_selectorIiNS0_10empty_typeEEEZZNS1_27merge_sort_block_merge_implIS3_N6thrust23THRUST_200600_302600_NS6detail15normal_iteratorINS9_10device_ptrIiEEEEPS5_jNS1_19radix_merge_compareILb0ELb0EiNS0_19identity_decomposerEEEEE10hipError_tT0_T1_T2_jT3_P12ihipStream_tbPNSt15iterator_traitsISK_E10value_typeEPNSQ_ISL_E10value_typeEPSM_NS1_7vsmem_tEENKUlT_SK_SL_SM_E_clISE_PiSF_SF_EESJ_SZ_SK_SL_SM_EUlSZ_E0_NS1_11comp_targetILNS1_3genE10ELNS1_11target_archE1201ELNS1_3gpuE5ELNS1_3repE0EEENS1_38merge_mergepath_config_static_selectorELNS0_4arch9wavefront6targetE0EEEvSL_.num_vgpr, 0
	.set _ZN7rocprim17ROCPRIM_400000_NS6detail17trampoline_kernelINS0_14default_configENS1_38merge_sort_block_merge_config_selectorIiNS0_10empty_typeEEEZZNS1_27merge_sort_block_merge_implIS3_N6thrust23THRUST_200600_302600_NS6detail15normal_iteratorINS9_10device_ptrIiEEEEPS5_jNS1_19radix_merge_compareILb0ELb0EiNS0_19identity_decomposerEEEEE10hipError_tT0_T1_T2_jT3_P12ihipStream_tbPNSt15iterator_traitsISK_E10value_typeEPNSQ_ISL_E10value_typeEPSM_NS1_7vsmem_tEENKUlT_SK_SL_SM_E_clISE_PiSF_SF_EESJ_SZ_SK_SL_SM_EUlSZ_E0_NS1_11comp_targetILNS1_3genE10ELNS1_11target_archE1201ELNS1_3gpuE5ELNS1_3repE0EEENS1_38merge_mergepath_config_static_selectorELNS0_4arch9wavefront6targetE0EEEvSL_.num_agpr, 0
	.set _ZN7rocprim17ROCPRIM_400000_NS6detail17trampoline_kernelINS0_14default_configENS1_38merge_sort_block_merge_config_selectorIiNS0_10empty_typeEEEZZNS1_27merge_sort_block_merge_implIS3_N6thrust23THRUST_200600_302600_NS6detail15normal_iteratorINS9_10device_ptrIiEEEEPS5_jNS1_19radix_merge_compareILb0ELb0EiNS0_19identity_decomposerEEEEE10hipError_tT0_T1_T2_jT3_P12ihipStream_tbPNSt15iterator_traitsISK_E10value_typeEPNSQ_ISL_E10value_typeEPSM_NS1_7vsmem_tEENKUlT_SK_SL_SM_E_clISE_PiSF_SF_EESJ_SZ_SK_SL_SM_EUlSZ_E0_NS1_11comp_targetILNS1_3genE10ELNS1_11target_archE1201ELNS1_3gpuE5ELNS1_3repE0EEENS1_38merge_mergepath_config_static_selectorELNS0_4arch9wavefront6targetE0EEEvSL_.numbered_sgpr, 0
	.set _ZN7rocprim17ROCPRIM_400000_NS6detail17trampoline_kernelINS0_14default_configENS1_38merge_sort_block_merge_config_selectorIiNS0_10empty_typeEEEZZNS1_27merge_sort_block_merge_implIS3_N6thrust23THRUST_200600_302600_NS6detail15normal_iteratorINS9_10device_ptrIiEEEEPS5_jNS1_19radix_merge_compareILb0ELb0EiNS0_19identity_decomposerEEEEE10hipError_tT0_T1_T2_jT3_P12ihipStream_tbPNSt15iterator_traitsISK_E10value_typeEPNSQ_ISL_E10value_typeEPSM_NS1_7vsmem_tEENKUlT_SK_SL_SM_E_clISE_PiSF_SF_EESJ_SZ_SK_SL_SM_EUlSZ_E0_NS1_11comp_targetILNS1_3genE10ELNS1_11target_archE1201ELNS1_3gpuE5ELNS1_3repE0EEENS1_38merge_mergepath_config_static_selectorELNS0_4arch9wavefront6targetE0EEEvSL_.num_named_barrier, 0
	.set _ZN7rocprim17ROCPRIM_400000_NS6detail17trampoline_kernelINS0_14default_configENS1_38merge_sort_block_merge_config_selectorIiNS0_10empty_typeEEEZZNS1_27merge_sort_block_merge_implIS3_N6thrust23THRUST_200600_302600_NS6detail15normal_iteratorINS9_10device_ptrIiEEEEPS5_jNS1_19radix_merge_compareILb0ELb0EiNS0_19identity_decomposerEEEEE10hipError_tT0_T1_T2_jT3_P12ihipStream_tbPNSt15iterator_traitsISK_E10value_typeEPNSQ_ISL_E10value_typeEPSM_NS1_7vsmem_tEENKUlT_SK_SL_SM_E_clISE_PiSF_SF_EESJ_SZ_SK_SL_SM_EUlSZ_E0_NS1_11comp_targetILNS1_3genE10ELNS1_11target_archE1201ELNS1_3gpuE5ELNS1_3repE0EEENS1_38merge_mergepath_config_static_selectorELNS0_4arch9wavefront6targetE0EEEvSL_.private_seg_size, 0
	.set _ZN7rocprim17ROCPRIM_400000_NS6detail17trampoline_kernelINS0_14default_configENS1_38merge_sort_block_merge_config_selectorIiNS0_10empty_typeEEEZZNS1_27merge_sort_block_merge_implIS3_N6thrust23THRUST_200600_302600_NS6detail15normal_iteratorINS9_10device_ptrIiEEEEPS5_jNS1_19radix_merge_compareILb0ELb0EiNS0_19identity_decomposerEEEEE10hipError_tT0_T1_T2_jT3_P12ihipStream_tbPNSt15iterator_traitsISK_E10value_typeEPNSQ_ISL_E10value_typeEPSM_NS1_7vsmem_tEENKUlT_SK_SL_SM_E_clISE_PiSF_SF_EESJ_SZ_SK_SL_SM_EUlSZ_E0_NS1_11comp_targetILNS1_3genE10ELNS1_11target_archE1201ELNS1_3gpuE5ELNS1_3repE0EEENS1_38merge_mergepath_config_static_selectorELNS0_4arch9wavefront6targetE0EEEvSL_.uses_vcc, 0
	.set _ZN7rocprim17ROCPRIM_400000_NS6detail17trampoline_kernelINS0_14default_configENS1_38merge_sort_block_merge_config_selectorIiNS0_10empty_typeEEEZZNS1_27merge_sort_block_merge_implIS3_N6thrust23THRUST_200600_302600_NS6detail15normal_iteratorINS9_10device_ptrIiEEEEPS5_jNS1_19radix_merge_compareILb0ELb0EiNS0_19identity_decomposerEEEEE10hipError_tT0_T1_T2_jT3_P12ihipStream_tbPNSt15iterator_traitsISK_E10value_typeEPNSQ_ISL_E10value_typeEPSM_NS1_7vsmem_tEENKUlT_SK_SL_SM_E_clISE_PiSF_SF_EESJ_SZ_SK_SL_SM_EUlSZ_E0_NS1_11comp_targetILNS1_3genE10ELNS1_11target_archE1201ELNS1_3gpuE5ELNS1_3repE0EEENS1_38merge_mergepath_config_static_selectorELNS0_4arch9wavefront6targetE0EEEvSL_.uses_flat_scratch, 0
	.set _ZN7rocprim17ROCPRIM_400000_NS6detail17trampoline_kernelINS0_14default_configENS1_38merge_sort_block_merge_config_selectorIiNS0_10empty_typeEEEZZNS1_27merge_sort_block_merge_implIS3_N6thrust23THRUST_200600_302600_NS6detail15normal_iteratorINS9_10device_ptrIiEEEEPS5_jNS1_19radix_merge_compareILb0ELb0EiNS0_19identity_decomposerEEEEE10hipError_tT0_T1_T2_jT3_P12ihipStream_tbPNSt15iterator_traitsISK_E10value_typeEPNSQ_ISL_E10value_typeEPSM_NS1_7vsmem_tEENKUlT_SK_SL_SM_E_clISE_PiSF_SF_EESJ_SZ_SK_SL_SM_EUlSZ_E0_NS1_11comp_targetILNS1_3genE10ELNS1_11target_archE1201ELNS1_3gpuE5ELNS1_3repE0EEENS1_38merge_mergepath_config_static_selectorELNS0_4arch9wavefront6targetE0EEEvSL_.has_dyn_sized_stack, 0
	.set _ZN7rocprim17ROCPRIM_400000_NS6detail17trampoline_kernelINS0_14default_configENS1_38merge_sort_block_merge_config_selectorIiNS0_10empty_typeEEEZZNS1_27merge_sort_block_merge_implIS3_N6thrust23THRUST_200600_302600_NS6detail15normal_iteratorINS9_10device_ptrIiEEEEPS5_jNS1_19radix_merge_compareILb0ELb0EiNS0_19identity_decomposerEEEEE10hipError_tT0_T1_T2_jT3_P12ihipStream_tbPNSt15iterator_traitsISK_E10value_typeEPNSQ_ISL_E10value_typeEPSM_NS1_7vsmem_tEENKUlT_SK_SL_SM_E_clISE_PiSF_SF_EESJ_SZ_SK_SL_SM_EUlSZ_E0_NS1_11comp_targetILNS1_3genE10ELNS1_11target_archE1201ELNS1_3gpuE5ELNS1_3repE0EEENS1_38merge_mergepath_config_static_selectorELNS0_4arch9wavefront6targetE0EEEvSL_.has_recursion, 0
	.set _ZN7rocprim17ROCPRIM_400000_NS6detail17trampoline_kernelINS0_14default_configENS1_38merge_sort_block_merge_config_selectorIiNS0_10empty_typeEEEZZNS1_27merge_sort_block_merge_implIS3_N6thrust23THRUST_200600_302600_NS6detail15normal_iteratorINS9_10device_ptrIiEEEEPS5_jNS1_19radix_merge_compareILb0ELb0EiNS0_19identity_decomposerEEEEE10hipError_tT0_T1_T2_jT3_P12ihipStream_tbPNSt15iterator_traitsISK_E10value_typeEPNSQ_ISL_E10value_typeEPSM_NS1_7vsmem_tEENKUlT_SK_SL_SM_E_clISE_PiSF_SF_EESJ_SZ_SK_SL_SM_EUlSZ_E0_NS1_11comp_targetILNS1_3genE10ELNS1_11target_archE1201ELNS1_3gpuE5ELNS1_3repE0EEENS1_38merge_mergepath_config_static_selectorELNS0_4arch9wavefront6targetE0EEEvSL_.has_indirect_call, 0
	.section	.AMDGPU.csdata,"",@progbits
; Kernel info:
; codeLenInByte = 0
; TotalNumSgprs: 0
; NumVgprs: 0
; ScratchSize: 0
; MemoryBound: 0
; FloatMode: 240
; IeeeMode: 1
; LDSByteSize: 0 bytes/workgroup (compile time only)
; SGPRBlocks: 0
; VGPRBlocks: 0
; NumSGPRsForWavesPerEU: 1
; NumVGPRsForWavesPerEU: 1
; Occupancy: 16
; WaveLimiterHint : 0
; COMPUTE_PGM_RSRC2:SCRATCH_EN: 0
; COMPUTE_PGM_RSRC2:USER_SGPR: 6
; COMPUTE_PGM_RSRC2:TRAP_HANDLER: 0
; COMPUTE_PGM_RSRC2:TGID_X_EN: 1
; COMPUTE_PGM_RSRC2:TGID_Y_EN: 0
; COMPUTE_PGM_RSRC2:TGID_Z_EN: 0
; COMPUTE_PGM_RSRC2:TIDIG_COMP_CNT: 0
	.section	.text._ZN7rocprim17ROCPRIM_400000_NS6detail17trampoline_kernelINS0_14default_configENS1_38merge_sort_block_merge_config_selectorIiNS0_10empty_typeEEEZZNS1_27merge_sort_block_merge_implIS3_N6thrust23THRUST_200600_302600_NS6detail15normal_iteratorINS9_10device_ptrIiEEEEPS5_jNS1_19radix_merge_compareILb0ELb0EiNS0_19identity_decomposerEEEEE10hipError_tT0_T1_T2_jT3_P12ihipStream_tbPNSt15iterator_traitsISK_E10value_typeEPNSQ_ISL_E10value_typeEPSM_NS1_7vsmem_tEENKUlT_SK_SL_SM_E_clISE_PiSF_SF_EESJ_SZ_SK_SL_SM_EUlSZ_E0_NS1_11comp_targetILNS1_3genE5ELNS1_11target_archE942ELNS1_3gpuE9ELNS1_3repE0EEENS1_38merge_mergepath_config_static_selectorELNS0_4arch9wavefront6targetE0EEEvSL_,"axG",@progbits,_ZN7rocprim17ROCPRIM_400000_NS6detail17trampoline_kernelINS0_14default_configENS1_38merge_sort_block_merge_config_selectorIiNS0_10empty_typeEEEZZNS1_27merge_sort_block_merge_implIS3_N6thrust23THRUST_200600_302600_NS6detail15normal_iteratorINS9_10device_ptrIiEEEEPS5_jNS1_19radix_merge_compareILb0ELb0EiNS0_19identity_decomposerEEEEE10hipError_tT0_T1_T2_jT3_P12ihipStream_tbPNSt15iterator_traitsISK_E10value_typeEPNSQ_ISL_E10value_typeEPSM_NS1_7vsmem_tEENKUlT_SK_SL_SM_E_clISE_PiSF_SF_EESJ_SZ_SK_SL_SM_EUlSZ_E0_NS1_11comp_targetILNS1_3genE5ELNS1_11target_archE942ELNS1_3gpuE9ELNS1_3repE0EEENS1_38merge_mergepath_config_static_selectorELNS0_4arch9wavefront6targetE0EEEvSL_,comdat
	.protected	_ZN7rocprim17ROCPRIM_400000_NS6detail17trampoline_kernelINS0_14default_configENS1_38merge_sort_block_merge_config_selectorIiNS0_10empty_typeEEEZZNS1_27merge_sort_block_merge_implIS3_N6thrust23THRUST_200600_302600_NS6detail15normal_iteratorINS9_10device_ptrIiEEEEPS5_jNS1_19radix_merge_compareILb0ELb0EiNS0_19identity_decomposerEEEEE10hipError_tT0_T1_T2_jT3_P12ihipStream_tbPNSt15iterator_traitsISK_E10value_typeEPNSQ_ISL_E10value_typeEPSM_NS1_7vsmem_tEENKUlT_SK_SL_SM_E_clISE_PiSF_SF_EESJ_SZ_SK_SL_SM_EUlSZ_E0_NS1_11comp_targetILNS1_3genE5ELNS1_11target_archE942ELNS1_3gpuE9ELNS1_3repE0EEENS1_38merge_mergepath_config_static_selectorELNS0_4arch9wavefront6targetE0EEEvSL_ ; -- Begin function _ZN7rocprim17ROCPRIM_400000_NS6detail17trampoline_kernelINS0_14default_configENS1_38merge_sort_block_merge_config_selectorIiNS0_10empty_typeEEEZZNS1_27merge_sort_block_merge_implIS3_N6thrust23THRUST_200600_302600_NS6detail15normal_iteratorINS9_10device_ptrIiEEEEPS5_jNS1_19radix_merge_compareILb0ELb0EiNS0_19identity_decomposerEEEEE10hipError_tT0_T1_T2_jT3_P12ihipStream_tbPNSt15iterator_traitsISK_E10value_typeEPNSQ_ISL_E10value_typeEPSM_NS1_7vsmem_tEENKUlT_SK_SL_SM_E_clISE_PiSF_SF_EESJ_SZ_SK_SL_SM_EUlSZ_E0_NS1_11comp_targetILNS1_3genE5ELNS1_11target_archE942ELNS1_3gpuE9ELNS1_3repE0EEENS1_38merge_mergepath_config_static_selectorELNS0_4arch9wavefront6targetE0EEEvSL_
	.globl	_ZN7rocprim17ROCPRIM_400000_NS6detail17trampoline_kernelINS0_14default_configENS1_38merge_sort_block_merge_config_selectorIiNS0_10empty_typeEEEZZNS1_27merge_sort_block_merge_implIS3_N6thrust23THRUST_200600_302600_NS6detail15normal_iteratorINS9_10device_ptrIiEEEEPS5_jNS1_19radix_merge_compareILb0ELb0EiNS0_19identity_decomposerEEEEE10hipError_tT0_T1_T2_jT3_P12ihipStream_tbPNSt15iterator_traitsISK_E10value_typeEPNSQ_ISL_E10value_typeEPSM_NS1_7vsmem_tEENKUlT_SK_SL_SM_E_clISE_PiSF_SF_EESJ_SZ_SK_SL_SM_EUlSZ_E0_NS1_11comp_targetILNS1_3genE5ELNS1_11target_archE942ELNS1_3gpuE9ELNS1_3repE0EEENS1_38merge_mergepath_config_static_selectorELNS0_4arch9wavefront6targetE0EEEvSL_
	.p2align	8
	.type	_ZN7rocprim17ROCPRIM_400000_NS6detail17trampoline_kernelINS0_14default_configENS1_38merge_sort_block_merge_config_selectorIiNS0_10empty_typeEEEZZNS1_27merge_sort_block_merge_implIS3_N6thrust23THRUST_200600_302600_NS6detail15normal_iteratorINS9_10device_ptrIiEEEEPS5_jNS1_19radix_merge_compareILb0ELb0EiNS0_19identity_decomposerEEEEE10hipError_tT0_T1_T2_jT3_P12ihipStream_tbPNSt15iterator_traitsISK_E10value_typeEPNSQ_ISL_E10value_typeEPSM_NS1_7vsmem_tEENKUlT_SK_SL_SM_E_clISE_PiSF_SF_EESJ_SZ_SK_SL_SM_EUlSZ_E0_NS1_11comp_targetILNS1_3genE5ELNS1_11target_archE942ELNS1_3gpuE9ELNS1_3repE0EEENS1_38merge_mergepath_config_static_selectorELNS0_4arch9wavefront6targetE0EEEvSL_,@function
_ZN7rocprim17ROCPRIM_400000_NS6detail17trampoline_kernelINS0_14default_configENS1_38merge_sort_block_merge_config_selectorIiNS0_10empty_typeEEEZZNS1_27merge_sort_block_merge_implIS3_N6thrust23THRUST_200600_302600_NS6detail15normal_iteratorINS9_10device_ptrIiEEEEPS5_jNS1_19radix_merge_compareILb0ELb0EiNS0_19identity_decomposerEEEEE10hipError_tT0_T1_T2_jT3_P12ihipStream_tbPNSt15iterator_traitsISK_E10value_typeEPNSQ_ISL_E10value_typeEPSM_NS1_7vsmem_tEENKUlT_SK_SL_SM_E_clISE_PiSF_SF_EESJ_SZ_SK_SL_SM_EUlSZ_E0_NS1_11comp_targetILNS1_3genE5ELNS1_11target_archE942ELNS1_3gpuE9ELNS1_3repE0EEENS1_38merge_mergepath_config_static_selectorELNS0_4arch9wavefront6targetE0EEEvSL_: ; @_ZN7rocprim17ROCPRIM_400000_NS6detail17trampoline_kernelINS0_14default_configENS1_38merge_sort_block_merge_config_selectorIiNS0_10empty_typeEEEZZNS1_27merge_sort_block_merge_implIS3_N6thrust23THRUST_200600_302600_NS6detail15normal_iteratorINS9_10device_ptrIiEEEEPS5_jNS1_19radix_merge_compareILb0ELb0EiNS0_19identity_decomposerEEEEE10hipError_tT0_T1_T2_jT3_P12ihipStream_tbPNSt15iterator_traitsISK_E10value_typeEPNSQ_ISL_E10value_typeEPSM_NS1_7vsmem_tEENKUlT_SK_SL_SM_E_clISE_PiSF_SF_EESJ_SZ_SK_SL_SM_EUlSZ_E0_NS1_11comp_targetILNS1_3genE5ELNS1_11target_archE942ELNS1_3gpuE9ELNS1_3repE0EEENS1_38merge_mergepath_config_static_selectorELNS0_4arch9wavefront6targetE0EEEvSL_
; %bb.0:
	.section	.rodata,"a",@progbits
	.p2align	6, 0x0
	.amdhsa_kernel _ZN7rocprim17ROCPRIM_400000_NS6detail17trampoline_kernelINS0_14default_configENS1_38merge_sort_block_merge_config_selectorIiNS0_10empty_typeEEEZZNS1_27merge_sort_block_merge_implIS3_N6thrust23THRUST_200600_302600_NS6detail15normal_iteratorINS9_10device_ptrIiEEEEPS5_jNS1_19radix_merge_compareILb0ELb0EiNS0_19identity_decomposerEEEEE10hipError_tT0_T1_T2_jT3_P12ihipStream_tbPNSt15iterator_traitsISK_E10value_typeEPNSQ_ISL_E10value_typeEPSM_NS1_7vsmem_tEENKUlT_SK_SL_SM_E_clISE_PiSF_SF_EESJ_SZ_SK_SL_SM_EUlSZ_E0_NS1_11comp_targetILNS1_3genE5ELNS1_11target_archE942ELNS1_3gpuE9ELNS1_3repE0EEENS1_38merge_mergepath_config_static_selectorELNS0_4arch9wavefront6targetE0EEEvSL_
		.amdhsa_group_segment_fixed_size 0
		.amdhsa_private_segment_fixed_size 0
		.amdhsa_kernarg_size 64
		.amdhsa_user_sgpr_count 6
		.amdhsa_user_sgpr_private_segment_buffer 1
		.amdhsa_user_sgpr_dispatch_ptr 0
		.amdhsa_user_sgpr_queue_ptr 0
		.amdhsa_user_sgpr_kernarg_segment_ptr 1
		.amdhsa_user_sgpr_dispatch_id 0
		.amdhsa_user_sgpr_flat_scratch_init 0
		.amdhsa_user_sgpr_private_segment_size 0
		.amdhsa_wavefront_size32 1
		.amdhsa_uses_dynamic_stack 0
		.amdhsa_system_sgpr_private_segment_wavefront_offset 0
		.amdhsa_system_sgpr_workgroup_id_x 1
		.amdhsa_system_sgpr_workgroup_id_y 0
		.amdhsa_system_sgpr_workgroup_id_z 0
		.amdhsa_system_sgpr_workgroup_info 0
		.amdhsa_system_vgpr_workitem_id 0
		.amdhsa_next_free_vgpr 1
		.amdhsa_next_free_sgpr 1
		.amdhsa_reserve_vcc 0
		.amdhsa_reserve_flat_scratch 0
		.amdhsa_float_round_mode_32 0
		.amdhsa_float_round_mode_16_64 0
		.amdhsa_float_denorm_mode_32 3
		.amdhsa_float_denorm_mode_16_64 3
		.amdhsa_dx10_clamp 1
		.amdhsa_ieee_mode 1
		.amdhsa_fp16_overflow 0
		.amdhsa_workgroup_processor_mode 1
		.amdhsa_memory_ordered 1
		.amdhsa_forward_progress 1
		.amdhsa_shared_vgpr_count 0
		.amdhsa_exception_fp_ieee_invalid_op 0
		.amdhsa_exception_fp_denorm_src 0
		.amdhsa_exception_fp_ieee_div_zero 0
		.amdhsa_exception_fp_ieee_overflow 0
		.amdhsa_exception_fp_ieee_underflow 0
		.amdhsa_exception_fp_ieee_inexact 0
		.amdhsa_exception_int_div_zero 0
	.end_amdhsa_kernel
	.section	.text._ZN7rocprim17ROCPRIM_400000_NS6detail17trampoline_kernelINS0_14default_configENS1_38merge_sort_block_merge_config_selectorIiNS0_10empty_typeEEEZZNS1_27merge_sort_block_merge_implIS3_N6thrust23THRUST_200600_302600_NS6detail15normal_iteratorINS9_10device_ptrIiEEEEPS5_jNS1_19radix_merge_compareILb0ELb0EiNS0_19identity_decomposerEEEEE10hipError_tT0_T1_T2_jT3_P12ihipStream_tbPNSt15iterator_traitsISK_E10value_typeEPNSQ_ISL_E10value_typeEPSM_NS1_7vsmem_tEENKUlT_SK_SL_SM_E_clISE_PiSF_SF_EESJ_SZ_SK_SL_SM_EUlSZ_E0_NS1_11comp_targetILNS1_3genE5ELNS1_11target_archE942ELNS1_3gpuE9ELNS1_3repE0EEENS1_38merge_mergepath_config_static_selectorELNS0_4arch9wavefront6targetE0EEEvSL_,"axG",@progbits,_ZN7rocprim17ROCPRIM_400000_NS6detail17trampoline_kernelINS0_14default_configENS1_38merge_sort_block_merge_config_selectorIiNS0_10empty_typeEEEZZNS1_27merge_sort_block_merge_implIS3_N6thrust23THRUST_200600_302600_NS6detail15normal_iteratorINS9_10device_ptrIiEEEEPS5_jNS1_19radix_merge_compareILb0ELb0EiNS0_19identity_decomposerEEEEE10hipError_tT0_T1_T2_jT3_P12ihipStream_tbPNSt15iterator_traitsISK_E10value_typeEPNSQ_ISL_E10value_typeEPSM_NS1_7vsmem_tEENKUlT_SK_SL_SM_E_clISE_PiSF_SF_EESJ_SZ_SK_SL_SM_EUlSZ_E0_NS1_11comp_targetILNS1_3genE5ELNS1_11target_archE942ELNS1_3gpuE9ELNS1_3repE0EEENS1_38merge_mergepath_config_static_selectorELNS0_4arch9wavefront6targetE0EEEvSL_,comdat
.Lfunc_end53:
	.size	_ZN7rocprim17ROCPRIM_400000_NS6detail17trampoline_kernelINS0_14default_configENS1_38merge_sort_block_merge_config_selectorIiNS0_10empty_typeEEEZZNS1_27merge_sort_block_merge_implIS3_N6thrust23THRUST_200600_302600_NS6detail15normal_iteratorINS9_10device_ptrIiEEEEPS5_jNS1_19radix_merge_compareILb0ELb0EiNS0_19identity_decomposerEEEEE10hipError_tT0_T1_T2_jT3_P12ihipStream_tbPNSt15iterator_traitsISK_E10value_typeEPNSQ_ISL_E10value_typeEPSM_NS1_7vsmem_tEENKUlT_SK_SL_SM_E_clISE_PiSF_SF_EESJ_SZ_SK_SL_SM_EUlSZ_E0_NS1_11comp_targetILNS1_3genE5ELNS1_11target_archE942ELNS1_3gpuE9ELNS1_3repE0EEENS1_38merge_mergepath_config_static_selectorELNS0_4arch9wavefront6targetE0EEEvSL_, .Lfunc_end53-_ZN7rocprim17ROCPRIM_400000_NS6detail17trampoline_kernelINS0_14default_configENS1_38merge_sort_block_merge_config_selectorIiNS0_10empty_typeEEEZZNS1_27merge_sort_block_merge_implIS3_N6thrust23THRUST_200600_302600_NS6detail15normal_iteratorINS9_10device_ptrIiEEEEPS5_jNS1_19radix_merge_compareILb0ELb0EiNS0_19identity_decomposerEEEEE10hipError_tT0_T1_T2_jT3_P12ihipStream_tbPNSt15iterator_traitsISK_E10value_typeEPNSQ_ISL_E10value_typeEPSM_NS1_7vsmem_tEENKUlT_SK_SL_SM_E_clISE_PiSF_SF_EESJ_SZ_SK_SL_SM_EUlSZ_E0_NS1_11comp_targetILNS1_3genE5ELNS1_11target_archE942ELNS1_3gpuE9ELNS1_3repE0EEENS1_38merge_mergepath_config_static_selectorELNS0_4arch9wavefront6targetE0EEEvSL_
                                        ; -- End function
	.set _ZN7rocprim17ROCPRIM_400000_NS6detail17trampoline_kernelINS0_14default_configENS1_38merge_sort_block_merge_config_selectorIiNS0_10empty_typeEEEZZNS1_27merge_sort_block_merge_implIS3_N6thrust23THRUST_200600_302600_NS6detail15normal_iteratorINS9_10device_ptrIiEEEEPS5_jNS1_19radix_merge_compareILb0ELb0EiNS0_19identity_decomposerEEEEE10hipError_tT0_T1_T2_jT3_P12ihipStream_tbPNSt15iterator_traitsISK_E10value_typeEPNSQ_ISL_E10value_typeEPSM_NS1_7vsmem_tEENKUlT_SK_SL_SM_E_clISE_PiSF_SF_EESJ_SZ_SK_SL_SM_EUlSZ_E0_NS1_11comp_targetILNS1_3genE5ELNS1_11target_archE942ELNS1_3gpuE9ELNS1_3repE0EEENS1_38merge_mergepath_config_static_selectorELNS0_4arch9wavefront6targetE0EEEvSL_.num_vgpr, 0
	.set _ZN7rocprim17ROCPRIM_400000_NS6detail17trampoline_kernelINS0_14default_configENS1_38merge_sort_block_merge_config_selectorIiNS0_10empty_typeEEEZZNS1_27merge_sort_block_merge_implIS3_N6thrust23THRUST_200600_302600_NS6detail15normal_iteratorINS9_10device_ptrIiEEEEPS5_jNS1_19radix_merge_compareILb0ELb0EiNS0_19identity_decomposerEEEEE10hipError_tT0_T1_T2_jT3_P12ihipStream_tbPNSt15iterator_traitsISK_E10value_typeEPNSQ_ISL_E10value_typeEPSM_NS1_7vsmem_tEENKUlT_SK_SL_SM_E_clISE_PiSF_SF_EESJ_SZ_SK_SL_SM_EUlSZ_E0_NS1_11comp_targetILNS1_3genE5ELNS1_11target_archE942ELNS1_3gpuE9ELNS1_3repE0EEENS1_38merge_mergepath_config_static_selectorELNS0_4arch9wavefront6targetE0EEEvSL_.num_agpr, 0
	.set _ZN7rocprim17ROCPRIM_400000_NS6detail17trampoline_kernelINS0_14default_configENS1_38merge_sort_block_merge_config_selectorIiNS0_10empty_typeEEEZZNS1_27merge_sort_block_merge_implIS3_N6thrust23THRUST_200600_302600_NS6detail15normal_iteratorINS9_10device_ptrIiEEEEPS5_jNS1_19radix_merge_compareILb0ELb0EiNS0_19identity_decomposerEEEEE10hipError_tT0_T1_T2_jT3_P12ihipStream_tbPNSt15iterator_traitsISK_E10value_typeEPNSQ_ISL_E10value_typeEPSM_NS1_7vsmem_tEENKUlT_SK_SL_SM_E_clISE_PiSF_SF_EESJ_SZ_SK_SL_SM_EUlSZ_E0_NS1_11comp_targetILNS1_3genE5ELNS1_11target_archE942ELNS1_3gpuE9ELNS1_3repE0EEENS1_38merge_mergepath_config_static_selectorELNS0_4arch9wavefront6targetE0EEEvSL_.numbered_sgpr, 0
	.set _ZN7rocprim17ROCPRIM_400000_NS6detail17trampoline_kernelINS0_14default_configENS1_38merge_sort_block_merge_config_selectorIiNS0_10empty_typeEEEZZNS1_27merge_sort_block_merge_implIS3_N6thrust23THRUST_200600_302600_NS6detail15normal_iteratorINS9_10device_ptrIiEEEEPS5_jNS1_19radix_merge_compareILb0ELb0EiNS0_19identity_decomposerEEEEE10hipError_tT0_T1_T2_jT3_P12ihipStream_tbPNSt15iterator_traitsISK_E10value_typeEPNSQ_ISL_E10value_typeEPSM_NS1_7vsmem_tEENKUlT_SK_SL_SM_E_clISE_PiSF_SF_EESJ_SZ_SK_SL_SM_EUlSZ_E0_NS1_11comp_targetILNS1_3genE5ELNS1_11target_archE942ELNS1_3gpuE9ELNS1_3repE0EEENS1_38merge_mergepath_config_static_selectorELNS0_4arch9wavefront6targetE0EEEvSL_.num_named_barrier, 0
	.set _ZN7rocprim17ROCPRIM_400000_NS6detail17trampoline_kernelINS0_14default_configENS1_38merge_sort_block_merge_config_selectorIiNS0_10empty_typeEEEZZNS1_27merge_sort_block_merge_implIS3_N6thrust23THRUST_200600_302600_NS6detail15normal_iteratorINS9_10device_ptrIiEEEEPS5_jNS1_19radix_merge_compareILb0ELb0EiNS0_19identity_decomposerEEEEE10hipError_tT0_T1_T2_jT3_P12ihipStream_tbPNSt15iterator_traitsISK_E10value_typeEPNSQ_ISL_E10value_typeEPSM_NS1_7vsmem_tEENKUlT_SK_SL_SM_E_clISE_PiSF_SF_EESJ_SZ_SK_SL_SM_EUlSZ_E0_NS1_11comp_targetILNS1_3genE5ELNS1_11target_archE942ELNS1_3gpuE9ELNS1_3repE0EEENS1_38merge_mergepath_config_static_selectorELNS0_4arch9wavefront6targetE0EEEvSL_.private_seg_size, 0
	.set _ZN7rocprim17ROCPRIM_400000_NS6detail17trampoline_kernelINS0_14default_configENS1_38merge_sort_block_merge_config_selectorIiNS0_10empty_typeEEEZZNS1_27merge_sort_block_merge_implIS3_N6thrust23THRUST_200600_302600_NS6detail15normal_iteratorINS9_10device_ptrIiEEEEPS5_jNS1_19radix_merge_compareILb0ELb0EiNS0_19identity_decomposerEEEEE10hipError_tT0_T1_T2_jT3_P12ihipStream_tbPNSt15iterator_traitsISK_E10value_typeEPNSQ_ISL_E10value_typeEPSM_NS1_7vsmem_tEENKUlT_SK_SL_SM_E_clISE_PiSF_SF_EESJ_SZ_SK_SL_SM_EUlSZ_E0_NS1_11comp_targetILNS1_3genE5ELNS1_11target_archE942ELNS1_3gpuE9ELNS1_3repE0EEENS1_38merge_mergepath_config_static_selectorELNS0_4arch9wavefront6targetE0EEEvSL_.uses_vcc, 0
	.set _ZN7rocprim17ROCPRIM_400000_NS6detail17trampoline_kernelINS0_14default_configENS1_38merge_sort_block_merge_config_selectorIiNS0_10empty_typeEEEZZNS1_27merge_sort_block_merge_implIS3_N6thrust23THRUST_200600_302600_NS6detail15normal_iteratorINS9_10device_ptrIiEEEEPS5_jNS1_19radix_merge_compareILb0ELb0EiNS0_19identity_decomposerEEEEE10hipError_tT0_T1_T2_jT3_P12ihipStream_tbPNSt15iterator_traitsISK_E10value_typeEPNSQ_ISL_E10value_typeEPSM_NS1_7vsmem_tEENKUlT_SK_SL_SM_E_clISE_PiSF_SF_EESJ_SZ_SK_SL_SM_EUlSZ_E0_NS1_11comp_targetILNS1_3genE5ELNS1_11target_archE942ELNS1_3gpuE9ELNS1_3repE0EEENS1_38merge_mergepath_config_static_selectorELNS0_4arch9wavefront6targetE0EEEvSL_.uses_flat_scratch, 0
	.set _ZN7rocprim17ROCPRIM_400000_NS6detail17trampoline_kernelINS0_14default_configENS1_38merge_sort_block_merge_config_selectorIiNS0_10empty_typeEEEZZNS1_27merge_sort_block_merge_implIS3_N6thrust23THRUST_200600_302600_NS6detail15normal_iteratorINS9_10device_ptrIiEEEEPS5_jNS1_19radix_merge_compareILb0ELb0EiNS0_19identity_decomposerEEEEE10hipError_tT0_T1_T2_jT3_P12ihipStream_tbPNSt15iterator_traitsISK_E10value_typeEPNSQ_ISL_E10value_typeEPSM_NS1_7vsmem_tEENKUlT_SK_SL_SM_E_clISE_PiSF_SF_EESJ_SZ_SK_SL_SM_EUlSZ_E0_NS1_11comp_targetILNS1_3genE5ELNS1_11target_archE942ELNS1_3gpuE9ELNS1_3repE0EEENS1_38merge_mergepath_config_static_selectorELNS0_4arch9wavefront6targetE0EEEvSL_.has_dyn_sized_stack, 0
	.set _ZN7rocprim17ROCPRIM_400000_NS6detail17trampoline_kernelINS0_14default_configENS1_38merge_sort_block_merge_config_selectorIiNS0_10empty_typeEEEZZNS1_27merge_sort_block_merge_implIS3_N6thrust23THRUST_200600_302600_NS6detail15normal_iteratorINS9_10device_ptrIiEEEEPS5_jNS1_19radix_merge_compareILb0ELb0EiNS0_19identity_decomposerEEEEE10hipError_tT0_T1_T2_jT3_P12ihipStream_tbPNSt15iterator_traitsISK_E10value_typeEPNSQ_ISL_E10value_typeEPSM_NS1_7vsmem_tEENKUlT_SK_SL_SM_E_clISE_PiSF_SF_EESJ_SZ_SK_SL_SM_EUlSZ_E0_NS1_11comp_targetILNS1_3genE5ELNS1_11target_archE942ELNS1_3gpuE9ELNS1_3repE0EEENS1_38merge_mergepath_config_static_selectorELNS0_4arch9wavefront6targetE0EEEvSL_.has_recursion, 0
	.set _ZN7rocprim17ROCPRIM_400000_NS6detail17trampoline_kernelINS0_14default_configENS1_38merge_sort_block_merge_config_selectorIiNS0_10empty_typeEEEZZNS1_27merge_sort_block_merge_implIS3_N6thrust23THRUST_200600_302600_NS6detail15normal_iteratorINS9_10device_ptrIiEEEEPS5_jNS1_19radix_merge_compareILb0ELb0EiNS0_19identity_decomposerEEEEE10hipError_tT0_T1_T2_jT3_P12ihipStream_tbPNSt15iterator_traitsISK_E10value_typeEPNSQ_ISL_E10value_typeEPSM_NS1_7vsmem_tEENKUlT_SK_SL_SM_E_clISE_PiSF_SF_EESJ_SZ_SK_SL_SM_EUlSZ_E0_NS1_11comp_targetILNS1_3genE5ELNS1_11target_archE942ELNS1_3gpuE9ELNS1_3repE0EEENS1_38merge_mergepath_config_static_selectorELNS0_4arch9wavefront6targetE0EEEvSL_.has_indirect_call, 0
	.section	.AMDGPU.csdata,"",@progbits
; Kernel info:
; codeLenInByte = 0
; TotalNumSgprs: 0
; NumVgprs: 0
; ScratchSize: 0
; MemoryBound: 0
; FloatMode: 240
; IeeeMode: 1
; LDSByteSize: 0 bytes/workgroup (compile time only)
; SGPRBlocks: 0
; VGPRBlocks: 0
; NumSGPRsForWavesPerEU: 1
; NumVGPRsForWavesPerEU: 1
; Occupancy: 16
; WaveLimiterHint : 0
; COMPUTE_PGM_RSRC2:SCRATCH_EN: 0
; COMPUTE_PGM_RSRC2:USER_SGPR: 6
; COMPUTE_PGM_RSRC2:TRAP_HANDLER: 0
; COMPUTE_PGM_RSRC2:TGID_X_EN: 1
; COMPUTE_PGM_RSRC2:TGID_Y_EN: 0
; COMPUTE_PGM_RSRC2:TGID_Z_EN: 0
; COMPUTE_PGM_RSRC2:TIDIG_COMP_CNT: 0
	.section	.text._ZN7rocprim17ROCPRIM_400000_NS6detail17trampoline_kernelINS0_14default_configENS1_38merge_sort_block_merge_config_selectorIiNS0_10empty_typeEEEZZNS1_27merge_sort_block_merge_implIS3_N6thrust23THRUST_200600_302600_NS6detail15normal_iteratorINS9_10device_ptrIiEEEEPS5_jNS1_19radix_merge_compareILb0ELb0EiNS0_19identity_decomposerEEEEE10hipError_tT0_T1_T2_jT3_P12ihipStream_tbPNSt15iterator_traitsISK_E10value_typeEPNSQ_ISL_E10value_typeEPSM_NS1_7vsmem_tEENKUlT_SK_SL_SM_E_clISE_PiSF_SF_EESJ_SZ_SK_SL_SM_EUlSZ_E0_NS1_11comp_targetILNS1_3genE4ELNS1_11target_archE910ELNS1_3gpuE8ELNS1_3repE0EEENS1_38merge_mergepath_config_static_selectorELNS0_4arch9wavefront6targetE0EEEvSL_,"axG",@progbits,_ZN7rocprim17ROCPRIM_400000_NS6detail17trampoline_kernelINS0_14default_configENS1_38merge_sort_block_merge_config_selectorIiNS0_10empty_typeEEEZZNS1_27merge_sort_block_merge_implIS3_N6thrust23THRUST_200600_302600_NS6detail15normal_iteratorINS9_10device_ptrIiEEEEPS5_jNS1_19radix_merge_compareILb0ELb0EiNS0_19identity_decomposerEEEEE10hipError_tT0_T1_T2_jT3_P12ihipStream_tbPNSt15iterator_traitsISK_E10value_typeEPNSQ_ISL_E10value_typeEPSM_NS1_7vsmem_tEENKUlT_SK_SL_SM_E_clISE_PiSF_SF_EESJ_SZ_SK_SL_SM_EUlSZ_E0_NS1_11comp_targetILNS1_3genE4ELNS1_11target_archE910ELNS1_3gpuE8ELNS1_3repE0EEENS1_38merge_mergepath_config_static_selectorELNS0_4arch9wavefront6targetE0EEEvSL_,comdat
	.protected	_ZN7rocprim17ROCPRIM_400000_NS6detail17trampoline_kernelINS0_14default_configENS1_38merge_sort_block_merge_config_selectorIiNS0_10empty_typeEEEZZNS1_27merge_sort_block_merge_implIS3_N6thrust23THRUST_200600_302600_NS6detail15normal_iteratorINS9_10device_ptrIiEEEEPS5_jNS1_19radix_merge_compareILb0ELb0EiNS0_19identity_decomposerEEEEE10hipError_tT0_T1_T2_jT3_P12ihipStream_tbPNSt15iterator_traitsISK_E10value_typeEPNSQ_ISL_E10value_typeEPSM_NS1_7vsmem_tEENKUlT_SK_SL_SM_E_clISE_PiSF_SF_EESJ_SZ_SK_SL_SM_EUlSZ_E0_NS1_11comp_targetILNS1_3genE4ELNS1_11target_archE910ELNS1_3gpuE8ELNS1_3repE0EEENS1_38merge_mergepath_config_static_selectorELNS0_4arch9wavefront6targetE0EEEvSL_ ; -- Begin function _ZN7rocprim17ROCPRIM_400000_NS6detail17trampoline_kernelINS0_14default_configENS1_38merge_sort_block_merge_config_selectorIiNS0_10empty_typeEEEZZNS1_27merge_sort_block_merge_implIS3_N6thrust23THRUST_200600_302600_NS6detail15normal_iteratorINS9_10device_ptrIiEEEEPS5_jNS1_19radix_merge_compareILb0ELb0EiNS0_19identity_decomposerEEEEE10hipError_tT0_T1_T2_jT3_P12ihipStream_tbPNSt15iterator_traitsISK_E10value_typeEPNSQ_ISL_E10value_typeEPSM_NS1_7vsmem_tEENKUlT_SK_SL_SM_E_clISE_PiSF_SF_EESJ_SZ_SK_SL_SM_EUlSZ_E0_NS1_11comp_targetILNS1_3genE4ELNS1_11target_archE910ELNS1_3gpuE8ELNS1_3repE0EEENS1_38merge_mergepath_config_static_selectorELNS0_4arch9wavefront6targetE0EEEvSL_
	.globl	_ZN7rocprim17ROCPRIM_400000_NS6detail17trampoline_kernelINS0_14default_configENS1_38merge_sort_block_merge_config_selectorIiNS0_10empty_typeEEEZZNS1_27merge_sort_block_merge_implIS3_N6thrust23THRUST_200600_302600_NS6detail15normal_iteratorINS9_10device_ptrIiEEEEPS5_jNS1_19radix_merge_compareILb0ELb0EiNS0_19identity_decomposerEEEEE10hipError_tT0_T1_T2_jT3_P12ihipStream_tbPNSt15iterator_traitsISK_E10value_typeEPNSQ_ISL_E10value_typeEPSM_NS1_7vsmem_tEENKUlT_SK_SL_SM_E_clISE_PiSF_SF_EESJ_SZ_SK_SL_SM_EUlSZ_E0_NS1_11comp_targetILNS1_3genE4ELNS1_11target_archE910ELNS1_3gpuE8ELNS1_3repE0EEENS1_38merge_mergepath_config_static_selectorELNS0_4arch9wavefront6targetE0EEEvSL_
	.p2align	8
	.type	_ZN7rocprim17ROCPRIM_400000_NS6detail17trampoline_kernelINS0_14default_configENS1_38merge_sort_block_merge_config_selectorIiNS0_10empty_typeEEEZZNS1_27merge_sort_block_merge_implIS3_N6thrust23THRUST_200600_302600_NS6detail15normal_iteratorINS9_10device_ptrIiEEEEPS5_jNS1_19radix_merge_compareILb0ELb0EiNS0_19identity_decomposerEEEEE10hipError_tT0_T1_T2_jT3_P12ihipStream_tbPNSt15iterator_traitsISK_E10value_typeEPNSQ_ISL_E10value_typeEPSM_NS1_7vsmem_tEENKUlT_SK_SL_SM_E_clISE_PiSF_SF_EESJ_SZ_SK_SL_SM_EUlSZ_E0_NS1_11comp_targetILNS1_3genE4ELNS1_11target_archE910ELNS1_3gpuE8ELNS1_3repE0EEENS1_38merge_mergepath_config_static_selectorELNS0_4arch9wavefront6targetE0EEEvSL_,@function
_ZN7rocprim17ROCPRIM_400000_NS6detail17trampoline_kernelINS0_14default_configENS1_38merge_sort_block_merge_config_selectorIiNS0_10empty_typeEEEZZNS1_27merge_sort_block_merge_implIS3_N6thrust23THRUST_200600_302600_NS6detail15normal_iteratorINS9_10device_ptrIiEEEEPS5_jNS1_19radix_merge_compareILb0ELb0EiNS0_19identity_decomposerEEEEE10hipError_tT0_T1_T2_jT3_P12ihipStream_tbPNSt15iterator_traitsISK_E10value_typeEPNSQ_ISL_E10value_typeEPSM_NS1_7vsmem_tEENKUlT_SK_SL_SM_E_clISE_PiSF_SF_EESJ_SZ_SK_SL_SM_EUlSZ_E0_NS1_11comp_targetILNS1_3genE4ELNS1_11target_archE910ELNS1_3gpuE8ELNS1_3repE0EEENS1_38merge_mergepath_config_static_selectorELNS0_4arch9wavefront6targetE0EEEvSL_: ; @_ZN7rocprim17ROCPRIM_400000_NS6detail17trampoline_kernelINS0_14default_configENS1_38merge_sort_block_merge_config_selectorIiNS0_10empty_typeEEEZZNS1_27merge_sort_block_merge_implIS3_N6thrust23THRUST_200600_302600_NS6detail15normal_iteratorINS9_10device_ptrIiEEEEPS5_jNS1_19radix_merge_compareILb0ELb0EiNS0_19identity_decomposerEEEEE10hipError_tT0_T1_T2_jT3_P12ihipStream_tbPNSt15iterator_traitsISK_E10value_typeEPNSQ_ISL_E10value_typeEPSM_NS1_7vsmem_tEENKUlT_SK_SL_SM_E_clISE_PiSF_SF_EESJ_SZ_SK_SL_SM_EUlSZ_E0_NS1_11comp_targetILNS1_3genE4ELNS1_11target_archE910ELNS1_3gpuE8ELNS1_3repE0EEENS1_38merge_mergepath_config_static_selectorELNS0_4arch9wavefront6targetE0EEEvSL_
; %bb.0:
	.section	.rodata,"a",@progbits
	.p2align	6, 0x0
	.amdhsa_kernel _ZN7rocprim17ROCPRIM_400000_NS6detail17trampoline_kernelINS0_14default_configENS1_38merge_sort_block_merge_config_selectorIiNS0_10empty_typeEEEZZNS1_27merge_sort_block_merge_implIS3_N6thrust23THRUST_200600_302600_NS6detail15normal_iteratorINS9_10device_ptrIiEEEEPS5_jNS1_19radix_merge_compareILb0ELb0EiNS0_19identity_decomposerEEEEE10hipError_tT0_T1_T2_jT3_P12ihipStream_tbPNSt15iterator_traitsISK_E10value_typeEPNSQ_ISL_E10value_typeEPSM_NS1_7vsmem_tEENKUlT_SK_SL_SM_E_clISE_PiSF_SF_EESJ_SZ_SK_SL_SM_EUlSZ_E0_NS1_11comp_targetILNS1_3genE4ELNS1_11target_archE910ELNS1_3gpuE8ELNS1_3repE0EEENS1_38merge_mergepath_config_static_selectorELNS0_4arch9wavefront6targetE0EEEvSL_
		.amdhsa_group_segment_fixed_size 0
		.amdhsa_private_segment_fixed_size 0
		.amdhsa_kernarg_size 64
		.amdhsa_user_sgpr_count 6
		.amdhsa_user_sgpr_private_segment_buffer 1
		.amdhsa_user_sgpr_dispatch_ptr 0
		.amdhsa_user_sgpr_queue_ptr 0
		.amdhsa_user_sgpr_kernarg_segment_ptr 1
		.amdhsa_user_sgpr_dispatch_id 0
		.amdhsa_user_sgpr_flat_scratch_init 0
		.amdhsa_user_sgpr_private_segment_size 0
		.amdhsa_wavefront_size32 1
		.amdhsa_uses_dynamic_stack 0
		.amdhsa_system_sgpr_private_segment_wavefront_offset 0
		.amdhsa_system_sgpr_workgroup_id_x 1
		.amdhsa_system_sgpr_workgroup_id_y 0
		.amdhsa_system_sgpr_workgroup_id_z 0
		.amdhsa_system_sgpr_workgroup_info 0
		.amdhsa_system_vgpr_workitem_id 0
		.amdhsa_next_free_vgpr 1
		.amdhsa_next_free_sgpr 1
		.amdhsa_reserve_vcc 0
		.amdhsa_reserve_flat_scratch 0
		.amdhsa_float_round_mode_32 0
		.amdhsa_float_round_mode_16_64 0
		.amdhsa_float_denorm_mode_32 3
		.amdhsa_float_denorm_mode_16_64 3
		.amdhsa_dx10_clamp 1
		.amdhsa_ieee_mode 1
		.amdhsa_fp16_overflow 0
		.amdhsa_workgroup_processor_mode 1
		.amdhsa_memory_ordered 1
		.amdhsa_forward_progress 1
		.amdhsa_shared_vgpr_count 0
		.amdhsa_exception_fp_ieee_invalid_op 0
		.amdhsa_exception_fp_denorm_src 0
		.amdhsa_exception_fp_ieee_div_zero 0
		.amdhsa_exception_fp_ieee_overflow 0
		.amdhsa_exception_fp_ieee_underflow 0
		.amdhsa_exception_fp_ieee_inexact 0
		.amdhsa_exception_int_div_zero 0
	.end_amdhsa_kernel
	.section	.text._ZN7rocprim17ROCPRIM_400000_NS6detail17trampoline_kernelINS0_14default_configENS1_38merge_sort_block_merge_config_selectorIiNS0_10empty_typeEEEZZNS1_27merge_sort_block_merge_implIS3_N6thrust23THRUST_200600_302600_NS6detail15normal_iteratorINS9_10device_ptrIiEEEEPS5_jNS1_19radix_merge_compareILb0ELb0EiNS0_19identity_decomposerEEEEE10hipError_tT0_T1_T2_jT3_P12ihipStream_tbPNSt15iterator_traitsISK_E10value_typeEPNSQ_ISL_E10value_typeEPSM_NS1_7vsmem_tEENKUlT_SK_SL_SM_E_clISE_PiSF_SF_EESJ_SZ_SK_SL_SM_EUlSZ_E0_NS1_11comp_targetILNS1_3genE4ELNS1_11target_archE910ELNS1_3gpuE8ELNS1_3repE0EEENS1_38merge_mergepath_config_static_selectorELNS0_4arch9wavefront6targetE0EEEvSL_,"axG",@progbits,_ZN7rocprim17ROCPRIM_400000_NS6detail17trampoline_kernelINS0_14default_configENS1_38merge_sort_block_merge_config_selectorIiNS0_10empty_typeEEEZZNS1_27merge_sort_block_merge_implIS3_N6thrust23THRUST_200600_302600_NS6detail15normal_iteratorINS9_10device_ptrIiEEEEPS5_jNS1_19radix_merge_compareILb0ELb0EiNS0_19identity_decomposerEEEEE10hipError_tT0_T1_T2_jT3_P12ihipStream_tbPNSt15iterator_traitsISK_E10value_typeEPNSQ_ISL_E10value_typeEPSM_NS1_7vsmem_tEENKUlT_SK_SL_SM_E_clISE_PiSF_SF_EESJ_SZ_SK_SL_SM_EUlSZ_E0_NS1_11comp_targetILNS1_3genE4ELNS1_11target_archE910ELNS1_3gpuE8ELNS1_3repE0EEENS1_38merge_mergepath_config_static_selectorELNS0_4arch9wavefront6targetE0EEEvSL_,comdat
.Lfunc_end54:
	.size	_ZN7rocprim17ROCPRIM_400000_NS6detail17trampoline_kernelINS0_14default_configENS1_38merge_sort_block_merge_config_selectorIiNS0_10empty_typeEEEZZNS1_27merge_sort_block_merge_implIS3_N6thrust23THRUST_200600_302600_NS6detail15normal_iteratorINS9_10device_ptrIiEEEEPS5_jNS1_19radix_merge_compareILb0ELb0EiNS0_19identity_decomposerEEEEE10hipError_tT0_T1_T2_jT3_P12ihipStream_tbPNSt15iterator_traitsISK_E10value_typeEPNSQ_ISL_E10value_typeEPSM_NS1_7vsmem_tEENKUlT_SK_SL_SM_E_clISE_PiSF_SF_EESJ_SZ_SK_SL_SM_EUlSZ_E0_NS1_11comp_targetILNS1_3genE4ELNS1_11target_archE910ELNS1_3gpuE8ELNS1_3repE0EEENS1_38merge_mergepath_config_static_selectorELNS0_4arch9wavefront6targetE0EEEvSL_, .Lfunc_end54-_ZN7rocprim17ROCPRIM_400000_NS6detail17trampoline_kernelINS0_14default_configENS1_38merge_sort_block_merge_config_selectorIiNS0_10empty_typeEEEZZNS1_27merge_sort_block_merge_implIS3_N6thrust23THRUST_200600_302600_NS6detail15normal_iteratorINS9_10device_ptrIiEEEEPS5_jNS1_19radix_merge_compareILb0ELb0EiNS0_19identity_decomposerEEEEE10hipError_tT0_T1_T2_jT3_P12ihipStream_tbPNSt15iterator_traitsISK_E10value_typeEPNSQ_ISL_E10value_typeEPSM_NS1_7vsmem_tEENKUlT_SK_SL_SM_E_clISE_PiSF_SF_EESJ_SZ_SK_SL_SM_EUlSZ_E0_NS1_11comp_targetILNS1_3genE4ELNS1_11target_archE910ELNS1_3gpuE8ELNS1_3repE0EEENS1_38merge_mergepath_config_static_selectorELNS0_4arch9wavefront6targetE0EEEvSL_
                                        ; -- End function
	.set _ZN7rocprim17ROCPRIM_400000_NS6detail17trampoline_kernelINS0_14default_configENS1_38merge_sort_block_merge_config_selectorIiNS0_10empty_typeEEEZZNS1_27merge_sort_block_merge_implIS3_N6thrust23THRUST_200600_302600_NS6detail15normal_iteratorINS9_10device_ptrIiEEEEPS5_jNS1_19radix_merge_compareILb0ELb0EiNS0_19identity_decomposerEEEEE10hipError_tT0_T1_T2_jT3_P12ihipStream_tbPNSt15iterator_traitsISK_E10value_typeEPNSQ_ISL_E10value_typeEPSM_NS1_7vsmem_tEENKUlT_SK_SL_SM_E_clISE_PiSF_SF_EESJ_SZ_SK_SL_SM_EUlSZ_E0_NS1_11comp_targetILNS1_3genE4ELNS1_11target_archE910ELNS1_3gpuE8ELNS1_3repE0EEENS1_38merge_mergepath_config_static_selectorELNS0_4arch9wavefront6targetE0EEEvSL_.num_vgpr, 0
	.set _ZN7rocprim17ROCPRIM_400000_NS6detail17trampoline_kernelINS0_14default_configENS1_38merge_sort_block_merge_config_selectorIiNS0_10empty_typeEEEZZNS1_27merge_sort_block_merge_implIS3_N6thrust23THRUST_200600_302600_NS6detail15normal_iteratorINS9_10device_ptrIiEEEEPS5_jNS1_19radix_merge_compareILb0ELb0EiNS0_19identity_decomposerEEEEE10hipError_tT0_T1_T2_jT3_P12ihipStream_tbPNSt15iterator_traitsISK_E10value_typeEPNSQ_ISL_E10value_typeEPSM_NS1_7vsmem_tEENKUlT_SK_SL_SM_E_clISE_PiSF_SF_EESJ_SZ_SK_SL_SM_EUlSZ_E0_NS1_11comp_targetILNS1_3genE4ELNS1_11target_archE910ELNS1_3gpuE8ELNS1_3repE0EEENS1_38merge_mergepath_config_static_selectorELNS0_4arch9wavefront6targetE0EEEvSL_.num_agpr, 0
	.set _ZN7rocprim17ROCPRIM_400000_NS6detail17trampoline_kernelINS0_14default_configENS1_38merge_sort_block_merge_config_selectorIiNS0_10empty_typeEEEZZNS1_27merge_sort_block_merge_implIS3_N6thrust23THRUST_200600_302600_NS6detail15normal_iteratorINS9_10device_ptrIiEEEEPS5_jNS1_19radix_merge_compareILb0ELb0EiNS0_19identity_decomposerEEEEE10hipError_tT0_T1_T2_jT3_P12ihipStream_tbPNSt15iterator_traitsISK_E10value_typeEPNSQ_ISL_E10value_typeEPSM_NS1_7vsmem_tEENKUlT_SK_SL_SM_E_clISE_PiSF_SF_EESJ_SZ_SK_SL_SM_EUlSZ_E0_NS1_11comp_targetILNS1_3genE4ELNS1_11target_archE910ELNS1_3gpuE8ELNS1_3repE0EEENS1_38merge_mergepath_config_static_selectorELNS0_4arch9wavefront6targetE0EEEvSL_.numbered_sgpr, 0
	.set _ZN7rocprim17ROCPRIM_400000_NS6detail17trampoline_kernelINS0_14default_configENS1_38merge_sort_block_merge_config_selectorIiNS0_10empty_typeEEEZZNS1_27merge_sort_block_merge_implIS3_N6thrust23THRUST_200600_302600_NS6detail15normal_iteratorINS9_10device_ptrIiEEEEPS5_jNS1_19radix_merge_compareILb0ELb0EiNS0_19identity_decomposerEEEEE10hipError_tT0_T1_T2_jT3_P12ihipStream_tbPNSt15iterator_traitsISK_E10value_typeEPNSQ_ISL_E10value_typeEPSM_NS1_7vsmem_tEENKUlT_SK_SL_SM_E_clISE_PiSF_SF_EESJ_SZ_SK_SL_SM_EUlSZ_E0_NS1_11comp_targetILNS1_3genE4ELNS1_11target_archE910ELNS1_3gpuE8ELNS1_3repE0EEENS1_38merge_mergepath_config_static_selectorELNS0_4arch9wavefront6targetE0EEEvSL_.num_named_barrier, 0
	.set _ZN7rocprim17ROCPRIM_400000_NS6detail17trampoline_kernelINS0_14default_configENS1_38merge_sort_block_merge_config_selectorIiNS0_10empty_typeEEEZZNS1_27merge_sort_block_merge_implIS3_N6thrust23THRUST_200600_302600_NS6detail15normal_iteratorINS9_10device_ptrIiEEEEPS5_jNS1_19radix_merge_compareILb0ELb0EiNS0_19identity_decomposerEEEEE10hipError_tT0_T1_T2_jT3_P12ihipStream_tbPNSt15iterator_traitsISK_E10value_typeEPNSQ_ISL_E10value_typeEPSM_NS1_7vsmem_tEENKUlT_SK_SL_SM_E_clISE_PiSF_SF_EESJ_SZ_SK_SL_SM_EUlSZ_E0_NS1_11comp_targetILNS1_3genE4ELNS1_11target_archE910ELNS1_3gpuE8ELNS1_3repE0EEENS1_38merge_mergepath_config_static_selectorELNS0_4arch9wavefront6targetE0EEEvSL_.private_seg_size, 0
	.set _ZN7rocprim17ROCPRIM_400000_NS6detail17trampoline_kernelINS0_14default_configENS1_38merge_sort_block_merge_config_selectorIiNS0_10empty_typeEEEZZNS1_27merge_sort_block_merge_implIS3_N6thrust23THRUST_200600_302600_NS6detail15normal_iteratorINS9_10device_ptrIiEEEEPS5_jNS1_19radix_merge_compareILb0ELb0EiNS0_19identity_decomposerEEEEE10hipError_tT0_T1_T2_jT3_P12ihipStream_tbPNSt15iterator_traitsISK_E10value_typeEPNSQ_ISL_E10value_typeEPSM_NS1_7vsmem_tEENKUlT_SK_SL_SM_E_clISE_PiSF_SF_EESJ_SZ_SK_SL_SM_EUlSZ_E0_NS1_11comp_targetILNS1_3genE4ELNS1_11target_archE910ELNS1_3gpuE8ELNS1_3repE0EEENS1_38merge_mergepath_config_static_selectorELNS0_4arch9wavefront6targetE0EEEvSL_.uses_vcc, 0
	.set _ZN7rocprim17ROCPRIM_400000_NS6detail17trampoline_kernelINS0_14default_configENS1_38merge_sort_block_merge_config_selectorIiNS0_10empty_typeEEEZZNS1_27merge_sort_block_merge_implIS3_N6thrust23THRUST_200600_302600_NS6detail15normal_iteratorINS9_10device_ptrIiEEEEPS5_jNS1_19radix_merge_compareILb0ELb0EiNS0_19identity_decomposerEEEEE10hipError_tT0_T1_T2_jT3_P12ihipStream_tbPNSt15iterator_traitsISK_E10value_typeEPNSQ_ISL_E10value_typeEPSM_NS1_7vsmem_tEENKUlT_SK_SL_SM_E_clISE_PiSF_SF_EESJ_SZ_SK_SL_SM_EUlSZ_E0_NS1_11comp_targetILNS1_3genE4ELNS1_11target_archE910ELNS1_3gpuE8ELNS1_3repE0EEENS1_38merge_mergepath_config_static_selectorELNS0_4arch9wavefront6targetE0EEEvSL_.uses_flat_scratch, 0
	.set _ZN7rocprim17ROCPRIM_400000_NS6detail17trampoline_kernelINS0_14default_configENS1_38merge_sort_block_merge_config_selectorIiNS0_10empty_typeEEEZZNS1_27merge_sort_block_merge_implIS3_N6thrust23THRUST_200600_302600_NS6detail15normal_iteratorINS9_10device_ptrIiEEEEPS5_jNS1_19radix_merge_compareILb0ELb0EiNS0_19identity_decomposerEEEEE10hipError_tT0_T1_T2_jT3_P12ihipStream_tbPNSt15iterator_traitsISK_E10value_typeEPNSQ_ISL_E10value_typeEPSM_NS1_7vsmem_tEENKUlT_SK_SL_SM_E_clISE_PiSF_SF_EESJ_SZ_SK_SL_SM_EUlSZ_E0_NS1_11comp_targetILNS1_3genE4ELNS1_11target_archE910ELNS1_3gpuE8ELNS1_3repE0EEENS1_38merge_mergepath_config_static_selectorELNS0_4arch9wavefront6targetE0EEEvSL_.has_dyn_sized_stack, 0
	.set _ZN7rocprim17ROCPRIM_400000_NS6detail17trampoline_kernelINS0_14default_configENS1_38merge_sort_block_merge_config_selectorIiNS0_10empty_typeEEEZZNS1_27merge_sort_block_merge_implIS3_N6thrust23THRUST_200600_302600_NS6detail15normal_iteratorINS9_10device_ptrIiEEEEPS5_jNS1_19radix_merge_compareILb0ELb0EiNS0_19identity_decomposerEEEEE10hipError_tT0_T1_T2_jT3_P12ihipStream_tbPNSt15iterator_traitsISK_E10value_typeEPNSQ_ISL_E10value_typeEPSM_NS1_7vsmem_tEENKUlT_SK_SL_SM_E_clISE_PiSF_SF_EESJ_SZ_SK_SL_SM_EUlSZ_E0_NS1_11comp_targetILNS1_3genE4ELNS1_11target_archE910ELNS1_3gpuE8ELNS1_3repE0EEENS1_38merge_mergepath_config_static_selectorELNS0_4arch9wavefront6targetE0EEEvSL_.has_recursion, 0
	.set _ZN7rocprim17ROCPRIM_400000_NS6detail17trampoline_kernelINS0_14default_configENS1_38merge_sort_block_merge_config_selectorIiNS0_10empty_typeEEEZZNS1_27merge_sort_block_merge_implIS3_N6thrust23THRUST_200600_302600_NS6detail15normal_iteratorINS9_10device_ptrIiEEEEPS5_jNS1_19radix_merge_compareILb0ELb0EiNS0_19identity_decomposerEEEEE10hipError_tT0_T1_T2_jT3_P12ihipStream_tbPNSt15iterator_traitsISK_E10value_typeEPNSQ_ISL_E10value_typeEPSM_NS1_7vsmem_tEENKUlT_SK_SL_SM_E_clISE_PiSF_SF_EESJ_SZ_SK_SL_SM_EUlSZ_E0_NS1_11comp_targetILNS1_3genE4ELNS1_11target_archE910ELNS1_3gpuE8ELNS1_3repE0EEENS1_38merge_mergepath_config_static_selectorELNS0_4arch9wavefront6targetE0EEEvSL_.has_indirect_call, 0
	.section	.AMDGPU.csdata,"",@progbits
; Kernel info:
; codeLenInByte = 0
; TotalNumSgprs: 0
; NumVgprs: 0
; ScratchSize: 0
; MemoryBound: 0
; FloatMode: 240
; IeeeMode: 1
; LDSByteSize: 0 bytes/workgroup (compile time only)
; SGPRBlocks: 0
; VGPRBlocks: 0
; NumSGPRsForWavesPerEU: 1
; NumVGPRsForWavesPerEU: 1
; Occupancy: 16
; WaveLimiterHint : 0
; COMPUTE_PGM_RSRC2:SCRATCH_EN: 0
; COMPUTE_PGM_RSRC2:USER_SGPR: 6
; COMPUTE_PGM_RSRC2:TRAP_HANDLER: 0
; COMPUTE_PGM_RSRC2:TGID_X_EN: 1
; COMPUTE_PGM_RSRC2:TGID_Y_EN: 0
; COMPUTE_PGM_RSRC2:TGID_Z_EN: 0
; COMPUTE_PGM_RSRC2:TIDIG_COMP_CNT: 0
	.section	.text._ZN7rocprim17ROCPRIM_400000_NS6detail17trampoline_kernelINS0_14default_configENS1_38merge_sort_block_merge_config_selectorIiNS0_10empty_typeEEEZZNS1_27merge_sort_block_merge_implIS3_N6thrust23THRUST_200600_302600_NS6detail15normal_iteratorINS9_10device_ptrIiEEEEPS5_jNS1_19radix_merge_compareILb0ELb0EiNS0_19identity_decomposerEEEEE10hipError_tT0_T1_T2_jT3_P12ihipStream_tbPNSt15iterator_traitsISK_E10value_typeEPNSQ_ISL_E10value_typeEPSM_NS1_7vsmem_tEENKUlT_SK_SL_SM_E_clISE_PiSF_SF_EESJ_SZ_SK_SL_SM_EUlSZ_E0_NS1_11comp_targetILNS1_3genE3ELNS1_11target_archE908ELNS1_3gpuE7ELNS1_3repE0EEENS1_38merge_mergepath_config_static_selectorELNS0_4arch9wavefront6targetE0EEEvSL_,"axG",@progbits,_ZN7rocprim17ROCPRIM_400000_NS6detail17trampoline_kernelINS0_14default_configENS1_38merge_sort_block_merge_config_selectorIiNS0_10empty_typeEEEZZNS1_27merge_sort_block_merge_implIS3_N6thrust23THRUST_200600_302600_NS6detail15normal_iteratorINS9_10device_ptrIiEEEEPS5_jNS1_19radix_merge_compareILb0ELb0EiNS0_19identity_decomposerEEEEE10hipError_tT0_T1_T2_jT3_P12ihipStream_tbPNSt15iterator_traitsISK_E10value_typeEPNSQ_ISL_E10value_typeEPSM_NS1_7vsmem_tEENKUlT_SK_SL_SM_E_clISE_PiSF_SF_EESJ_SZ_SK_SL_SM_EUlSZ_E0_NS1_11comp_targetILNS1_3genE3ELNS1_11target_archE908ELNS1_3gpuE7ELNS1_3repE0EEENS1_38merge_mergepath_config_static_selectorELNS0_4arch9wavefront6targetE0EEEvSL_,comdat
	.protected	_ZN7rocprim17ROCPRIM_400000_NS6detail17trampoline_kernelINS0_14default_configENS1_38merge_sort_block_merge_config_selectorIiNS0_10empty_typeEEEZZNS1_27merge_sort_block_merge_implIS3_N6thrust23THRUST_200600_302600_NS6detail15normal_iteratorINS9_10device_ptrIiEEEEPS5_jNS1_19radix_merge_compareILb0ELb0EiNS0_19identity_decomposerEEEEE10hipError_tT0_T1_T2_jT3_P12ihipStream_tbPNSt15iterator_traitsISK_E10value_typeEPNSQ_ISL_E10value_typeEPSM_NS1_7vsmem_tEENKUlT_SK_SL_SM_E_clISE_PiSF_SF_EESJ_SZ_SK_SL_SM_EUlSZ_E0_NS1_11comp_targetILNS1_3genE3ELNS1_11target_archE908ELNS1_3gpuE7ELNS1_3repE0EEENS1_38merge_mergepath_config_static_selectorELNS0_4arch9wavefront6targetE0EEEvSL_ ; -- Begin function _ZN7rocprim17ROCPRIM_400000_NS6detail17trampoline_kernelINS0_14default_configENS1_38merge_sort_block_merge_config_selectorIiNS0_10empty_typeEEEZZNS1_27merge_sort_block_merge_implIS3_N6thrust23THRUST_200600_302600_NS6detail15normal_iteratorINS9_10device_ptrIiEEEEPS5_jNS1_19radix_merge_compareILb0ELb0EiNS0_19identity_decomposerEEEEE10hipError_tT0_T1_T2_jT3_P12ihipStream_tbPNSt15iterator_traitsISK_E10value_typeEPNSQ_ISL_E10value_typeEPSM_NS1_7vsmem_tEENKUlT_SK_SL_SM_E_clISE_PiSF_SF_EESJ_SZ_SK_SL_SM_EUlSZ_E0_NS1_11comp_targetILNS1_3genE3ELNS1_11target_archE908ELNS1_3gpuE7ELNS1_3repE0EEENS1_38merge_mergepath_config_static_selectorELNS0_4arch9wavefront6targetE0EEEvSL_
	.globl	_ZN7rocprim17ROCPRIM_400000_NS6detail17trampoline_kernelINS0_14default_configENS1_38merge_sort_block_merge_config_selectorIiNS0_10empty_typeEEEZZNS1_27merge_sort_block_merge_implIS3_N6thrust23THRUST_200600_302600_NS6detail15normal_iteratorINS9_10device_ptrIiEEEEPS5_jNS1_19radix_merge_compareILb0ELb0EiNS0_19identity_decomposerEEEEE10hipError_tT0_T1_T2_jT3_P12ihipStream_tbPNSt15iterator_traitsISK_E10value_typeEPNSQ_ISL_E10value_typeEPSM_NS1_7vsmem_tEENKUlT_SK_SL_SM_E_clISE_PiSF_SF_EESJ_SZ_SK_SL_SM_EUlSZ_E0_NS1_11comp_targetILNS1_3genE3ELNS1_11target_archE908ELNS1_3gpuE7ELNS1_3repE0EEENS1_38merge_mergepath_config_static_selectorELNS0_4arch9wavefront6targetE0EEEvSL_
	.p2align	8
	.type	_ZN7rocprim17ROCPRIM_400000_NS6detail17trampoline_kernelINS0_14default_configENS1_38merge_sort_block_merge_config_selectorIiNS0_10empty_typeEEEZZNS1_27merge_sort_block_merge_implIS3_N6thrust23THRUST_200600_302600_NS6detail15normal_iteratorINS9_10device_ptrIiEEEEPS5_jNS1_19radix_merge_compareILb0ELb0EiNS0_19identity_decomposerEEEEE10hipError_tT0_T1_T2_jT3_P12ihipStream_tbPNSt15iterator_traitsISK_E10value_typeEPNSQ_ISL_E10value_typeEPSM_NS1_7vsmem_tEENKUlT_SK_SL_SM_E_clISE_PiSF_SF_EESJ_SZ_SK_SL_SM_EUlSZ_E0_NS1_11comp_targetILNS1_3genE3ELNS1_11target_archE908ELNS1_3gpuE7ELNS1_3repE0EEENS1_38merge_mergepath_config_static_selectorELNS0_4arch9wavefront6targetE0EEEvSL_,@function
_ZN7rocprim17ROCPRIM_400000_NS6detail17trampoline_kernelINS0_14default_configENS1_38merge_sort_block_merge_config_selectorIiNS0_10empty_typeEEEZZNS1_27merge_sort_block_merge_implIS3_N6thrust23THRUST_200600_302600_NS6detail15normal_iteratorINS9_10device_ptrIiEEEEPS5_jNS1_19radix_merge_compareILb0ELb0EiNS0_19identity_decomposerEEEEE10hipError_tT0_T1_T2_jT3_P12ihipStream_tbPNSt15iterator_traitsISK_E10value_typeEPNSQ_ISL_E10value_typeEPSM_NS1_7vsmem_tEENKUlT_SK_SL_SM_E_clISE_PiSF_SF_EESJ_SZ_SK_SL_SM_EUlSZ_E0_NS1_11comp_targetILNS1_3genE3ELNS1_11target_archE908ELNS1_3gpuE7ELNS1_3repE0EEENS1_38merge_mergepath_config_static_selectorELNS0_4arch9wavefront6targetE0EEEvSL_: ; @_ZN7rocprim17ROCPRIM_400000_NS6detail17trampoline_kernelINS0_14default_configENS1_38merge_sort_block_merge_config_selectorIiNS0_10empty_typeEEEZZNS1_27merge_sort_block_merge_implIS3_N6thrust23THRUST_200600_302600_NS6detail15normal_iteratorINS9_10device_ptrIiEEEEPS5_jNS1_19radix_merge_compareILb0ELb0EiNS0_19identity_decomposerEEEEE10hipError_tT0_T1_T2_jT3_P12ihipStream_tbPNSt15iterator_traitsISK_E10value_typeEPNSQ_ISL_E10value_typeEPSM_NS1_7vsmem_tEENKUlT_SK_SL_SM_E_clISE_PiSF_SF_EESJ_SZ_SK_SL_SM_EUlSZ_E0_NS1_11comp_targetILNS1_3genE3ELNS1_11target_archE908ELNS1_3gpuE7ELNS1_3repE0EEENS1_38merge_mergepath_config_static_selectorELNS0_4arch9wavefront6targetE0EEEvSL_
; %bb.0:
	.section	.rodata,"a",@progbits
	.p2align	6, 0x0
	.amdhsa_kernel _ZN7rocprim17ROCPRIM_400000_NS6detail17trampoline_kernelINS0_14default_configENS1_38merge_sort_block_merge_config_selectorIiNS0_10empty_typeEEEZZNS1_27merge_sort_block_merge_implIS3_N6thrust23THRUST_200600_302600_NS6detail15normal_iteratorINS9_10device_ptrIiEEEEPS5_jNS1_19radix_merge_compareILb0ELb0EiNS0_19identity_decomposerEEEEE10hipError_tT0_T1_T2_jT3_P12ihipStream_tbPNSt15iterator_traitsISK_E10value_typeEPNSQ_ISL_E10value_typeEPSM_NS1_7vsmem_tEENKUlT_SK_SL_SM_E_clISE_PiSF_SF_EESJ_SZ_SK_SL_SM_EUlSZ_E0_NS1_11comp_targetILNS1_3genE3ELNS1_11target_archE908ELNS1_3gpuE7ELNS1_3repE0EEENS1_38merge_mergepath_config_static_selectorELNS0_4arch9wavefront6targetE0EEEvSL_
		.amdhsa_group_segment_fixed_size 0
		.amdhsa_private_segment_fixed_size 0
		.amdhsa_kernarg_size 64
		.amdhsa_user_sgpr_count 6
		.amdhsa_user_sgpr_private_segment_buffer 1
		.amdhsa_user_sgpr_dispatch_ptr 0
		.amdhsa_user_sgpr_queue_ptr 0
		.amdhsa_user_sgpr_kernarg_segment_ptr 1
		.amdhsa_user_sgpr_dispatch_id 0
		.amdhsa_user_sgpr_flat_scratch_init 0
		.amdhsa_user_sgpr_private_segment_size 0
		.amdhsa_wavefront_size32 1
		.amdhsa_uses_dynamic_stack 0
		.amdhsa_system_sgpr_private_segment_wavefront_offset 0
		.amdhsa_system_sgpr_workgroup_id_x 1
		.amdhsa_system_sgpr_workgroup_id_y 0
		.amdhsa_system_sgpr_workgroup_id_z 0
		.amdhsa_system_sgpr_workgroup_info 0
		.amdhsa_system_vgpr_workitem_id 0
		.amdhsa_next_free_vgpr 1
		.amdhsa_next_free_sgpr 1
		.amdhsa_reserve_vcc 0
		.amdhsa_reserve_flat_scratch 0
		.amdhsa_float_round_mode_32 0
		.amdhsa_float_round_mode_16_64 0
		.amdhsa_float_denorm_mode_32 3
		.amdhsa_float_denorm_mode_16_64 3
		.amdhsa_dx10_clamp 1
		.amdhsa_ieee_mode 1
		.amdhsa_fp16_overflow 0
		.amdhsa_workgroup_processor_mode 1
		.amdhsa_memory_ordered 1
		.amdhsa_forward_progress 1
		.amdhsa_shared_vgpr_count 0
		.amdhsa_exception_fp_ieee_invalid_op 0
		.amdhsa_exception_fp_denorm_src 0
		.amdhsa_exception_fp_ieee_div_zero 0
		.amdhsa_exception_fp_ieee_overflow 0
		.amdhsa_exception_fp_ieee_underflow 0
		.amdhsa_exception_fp_ieee_inexact 0
		.amdhsa_exception_int_div_zero 0
	.end_amdhsa_kernel
	.section	.text._ZN7rocprim17ROCPRIM_400000_NS6detail17trampoline_kernelINS0_14default_configENS1_38merge_sort_block_merge_config_selectorIiNS0_10empty_typeEEEZZNS1_27merge_sort_block_merge_implIS3_N6thrust23THRUST_200600_302600_NS6detail15normal_iteratorINS9_10device_ptrIiEEEEPS5_jNS1_19radix_merge_compareILb0ELb0EiNS0_19identity_decomposerEEEEE10hipError_tT0_T1_T2_jT3_P12ihipStream_tbPNSt15iterator_traitsISK_E10value_typeEPNSQ_ISL_E10value_typeEPSM_NS1_7vsmem_tEENKUlT_SK_SL_SM_E_clISE_PiSF_SF_EESJ_SZ_SK_SL_SM_EUlSZ_E0_NS1_11comp_targetILNS1_3genE3ELNS1_11target_archE908ELNS1_3gpuE7ELNS1_3repE0EEENS1_38merge_mergepath_config_static_selectorELNS0_4arch9wavefront6targetE0EEEvSL_,"axG",@progbits,_ZN7rocprim17ROCPRIM_400000_NS6detail17trampoline_kernelINS0_14default_configENS1_38merge_sort_block_merge_config_selectorIiNS0_10empty_typeEEEZZNS1_27merge_sort_block_merge_implIS3_N6thrust23THRUST_200600_302600_NS6detail15normal_iteratorINS9_10device_ptrIiEEEEPS5_jNS1_19radix_merge_compareILb0ELb0EiNS0_19identity_decomposerEEEEE10hipError_tT0_T1_T2_jT3_P12ihipStream_tbPNSt15iterator_traitsISK_E10value_typeEPNSQ_ISL_E10value_typeEPSM_NS1_7vsmem_tEENKUlT_SK_SL_SM_E_clISE_PiSF_SF_EESJ_SZ_SK_SL_SM_EUlSZ_E0_NS1_11comp_targetILNS1_3genE3ELNS1_11target_archE908ELNS1_3gpuE7ELNS1_3repE0EEENS1_38merge_mergepath_config_static_selectorELNS0_4arch9wavefront6targetE0EEEvSL_,comdat
.Lfunc_end55:
	.size	_ZN7rocprim17ROCPRIM_400000_NS6detail17trampoline_kernelINS0_14default_configENS1_38merge_sort_block_merge_config_selectorIiNS0_10empty_typeEEEZZNS1_27merge_sort_block_merge_implIS3_N6thrust23THRUST_200600_302600_NS6detail15normal_iteratorINS9_10device_ptrIiEEEEPS5_jNS1_19radix_merge_compareILb0ELb0EiNS0_19identity_decomposerEEEEE10hipError_tT0_T1_T2_jT3_P12ihipStream_tbPNSt15iterator_traitsISK_E10value_typeEPNSQ_ISL_E10value_typeEPSM_NS1_7vsmem_tEENKUlT_SK_SL_SM_E_clISE_PiSF_SF_EESJ_SZ_SK_SL_SM_EUlSZ_E0_NS1_11comp_targetILNS1_3genE3ELNS1_11target_archE908ELNS1_3gpuE7ELNS1_3repE0EEENS1_38merge_mergepath_config_static_selectorELNS0_4arch9wavefront6targetE0EEEvSL_, .Lfunc_end55-_ZN7rocprim17ROCPRIM_400000_NS6detail17trampoline_kernelINS0_14default_configENS1_38merge_sort_block_merge_config_selectorIiNS0_10empty_typeEEEZZNS1_27merge_sort_block_merge_implIS3_N6thrust23THRUST_200600_302600_NS6detail15normal_iteratorINS9_10device_ptrIiEEEEPS5_jNS1_19radix_merge_compareILb0ELb0EiNS0_19identity_decomposerEEEEE10hipError_tT0_T1_T2_jT3_P12ihipStream_tbPNSt15iterator_traitsISK_E10value_typeEPNSQ_ISL_E10value_typeEPSM_NS1_7vsmem_tEENKUlT_SK_SL_SM_E_clISE_PiSF_SF_EESJ_SZ_SK_SL_SM_EUlSZ_E0_NS1_11comp_targetILNS1_3genE3ELNS1_11target_archE908ELNS1_3gpuE7ELNS1_3repE0EEENS1_38merge_mergepath_config_static_selectorELNS0_4arch9wavefront6targetE0EEEvSL_
                                        ; -- End function
	.set _ZN7rocprim17ROCPRIM_400000_NS6detail17trampoline_kernelINS0_14default_configENS1_38merge_sort_block_merge_config_selectorIiNS0_10empty_typeEEEZZNS1_27merge_sort_block_merge_implIS3_N6thrust23THRUST_200600_302600_NS6detail15normal_iteratorINS9_10device_ptrIiEEEEPS5_jNS1_19radix_merge_compareILb0ELb0EiNS0_19identity_decomposerEEEEE10hipError_tT0_T1_T2_jT3_P12ihipStream_tbPNSt15iterator_traitsISK_E10value_typeEPNSQ_ISL_E10value_typeEPSM_NS1_7vsmem_tEENKUlT_SK_SL_SM_E_clISE_PiSF_SF_EESJ_SZ_SK_SL_SM_EUlSZ_E0_NS1_11comp_targetILNS1_3genE3ELNS1_11target_archE908ELNS1_3gpuE7ELNS1_3repE0EEENS1_38merge_mergepath_config_static_selectorELNS0_4arch9wavefront6targetE0EEEvSL_.num_vgpr, 0
	.set _ZN7rocprim17ROCPRIM_400000_NS6detail17trampoline_kernelINS0_14default_configENS1_38merge_sort_block_merge_config_selectorIiNS0_10empty_typeEEEZZNS1_27merge_sort_block_merge_implIS3_N6thrust23THRUST_200600_302600_NS6detail15normal_iteratorINS9_10device_ptrIiEEEEPS5_jNS1_19radix_merge_compareILb0ELb0EiNS0_19identity_decomposerEEEEE10hipError_tT0_T1_T2_jT3_P12ihipStream_tbPNSt15iterator_traitsISK_E10value_typeEPNSQ_ISL_E10value_typeEPSM_NS1_7vsmem_tEENKUlT_SK_SL_SM_E_clISE_PiSF_SF_EESJ_SZ_SK_SL_SM_EUlSZ_E0_NS1_11comp_targetILNS1_3genE3ELNS1_11target_archE908ELNS1_3gpuE7ELNS1_3repE0EEENS1_38merge_mergepath_config_static_selectorELNS0_4arch9wavefront6targetE0EEEvSL_.num_agpr, 0
	.set _ZN7rocprim17ROCPRIM_400000_NS6detail17trampoline_kernelINS0_14default_configENS1_38merge_sort_block_merge_config_selectorIiNS0_10empty_typeEEEZZNS1_27merge_sort_block_merge_implIS3_N6thrust23THRUST_200600_302600_NS6detail15normal_iteratorINS9_10device_ptrIiEEEEPS5_jNS1_19radix_merge_compareILb0ELb0EiNS0_19identity_decomposerEEEEE10hipError_tT0_T1_T2_jT3_P12ihipStream_tbPNSt15iterator_traitsISK_E10value_typeEPNSQ_ISL_E10value_typeEPSM_NS1_7vsmem_tEENKUlT_SK_SL_SM_E_clISE_PiSF_SF_EESJ_SZ_SK_SL_SM_EUlSZ_E0_NS1_11comp_targetILNS1_3genE3ELNS1_11target_archE908ELNS1_3gpuE7ELNS1_3repE0EEENS1_38merge_mergepath_config_static_selectorELNS0_4arch9wavefront6targetE0EEEvSL_.numbered_sgpr, 0
	.set _ZN7rocprim17ROCPRIM_400000_NS6detail17trampoline_kernelINS0_14default_configENS1_38merge_sort_block_merge_config_selectorIiNS0_10empty_typeEEEZZNS1_27merge_sort_block_merge_implIS3_N6thrust23THRUST_200600_302600_NS6detail15normal_iteratorINS9_10device_ptrIiEEEEPS5_jNS1_19radix_merge_compareILb0ELb0EiNS0_19identity_decomposerEEEEE10hipError_tT0_T1_T2_jT3_P12ihipStream_tbPNSt15iterator_traitsISK_E10value_typeEPNSQ_ISL_E10value_typeEPSM_NS1_7vsmem_tEENKUlT_SK_SL_SM_E_clISE_PiSF_SF_EESJ_SZ_SK_SL_SM_EUlSZ_E0_NS1_11comp_targetILNS1_3genE3ELNS1_11target_archE908ELNS1_3gpuE7ELNS1_3repE0EEENS1_38merge_mergepath_config_static_selectorELNS0_4arch9wavefront6targetE0EEEvSL_.num_named_barrier, 0
	.set _ZN7rocprim17ROCPRIM_400000_NS6detail17trampoline_kernelINS0_14default_configENS1_38merge_sort_block_merge_config_selectorIiNS0_10empty_typeEEEZZNS1_27merge_sort_block_merge_implIS3_N6thrust23THRUST_200600_302600_NS6detail15normal_iteratorINS9_10device_ptrIiEEEEPS5_jNS1_19radix_merge_compareILb0ELb0EiNS0_19identity_decomposerEEEEE10hipError_tT0_T1_T2_jT3_P12ihipStream_tbPNSt15iterator_traitsISK_E10value_typeEPNSQ_ISL_E10value_typeEPSM_NS1_7vsmem_tEENKUlT_SK_SL_SM_E_clISE_PiSF_SF_EESJ_SZ_SK_SL_SM_EUlSZ_E0_NS1_11comp_targetILNS1_3genE3ELNS1_11target_archE908ELNS1_3gpuE7ELNS1_3repE0EEENS1_38merge_mergepath_config_static_selectorELNS0_4arch9wavefront6targetE0EEEvSL_.private_seg_size, 0
	.set _ZN7rocprim17ROCPRIM_400000_NS6detail17trampoline_kernelINS0_14default_configENS1_38merge_sort_block_merge_config_selectorIiNS0_10empty_typeEEEZZNS1_27merge_sort_block_merge_implIS3_N6thrust23THRUST_200600_302600_NS6detail15normal_iteratorINS9_10device_ptrIiEEEEPS5_jNS1_19radix_merge_compareILb0ELb0EiNS0_19identity_decomposerEEEEE10hipError_tT0_T1_T2_jT3_P12ihipStream_tbPNSt15iterator_traitsISK_E10value_typeEPNSQ_ISL_E10value_typeEPSM_NS1_7vsmem_tEENKUlT_SK_SL_SM_E_clISE_PiSF_SF_EESJ_SZ_SK_SL_SM_EUlSZ_E0_NS1_11comp_targetILNS1_3genE3ELNS1_11target_archE908ELNS1_3gpuE7ELNS1_3repE0EEENS1_38merge_mergepath_config_static_selectorELNS0_4arch9wavefront6targetE0EEEvSL_.uses_vcc, 0
	.set _ZN7rocprim17ROCPRIM_400000_NS6detail17trampoline_kernelINS0_14default_configENS1_38merge_sort_block_merge_config_selectorIiNS0_10empty_typeEEEZZNS1_27merge_sort_block_merge_implIS3_N6thrust23THRUST_200600_302600_NS6detail15normal_iteratorINS9_10device_ptrIiEEEEPS5_jNS1_19radix_merge_compareILb0ELb0EiNS0_19identity_decomposerEEEEE10hipError_tT0_T1_T2_jT3_P12ihipStream_tbPNSt15iterator_traitsISK_E10value_typeEPNSQ_ISL_E10value_typeEPSM_NS1_7vsmem_tEENKUlT_SK_SL_SM_E_clISE_PiSF_SF_EESJ_SZ_SK_SL_SM_EUlSZ_E0_NS1_11comp_targetILNS1_3genE3ELNS1_11target_archE908ELNS1_3gpuE7ELNS1_3repE0EEENS1_38merge_mergepath_config_static_selectorELNS0_4arch9wavefront6targetE0EEEvSL_.uses_flat_scratch, 0
	.set _ZN7rocprim17ROCPRIM_400000_NS6detail17trampoline_kernelINS0_14default_configENS1_38merge_sort_block_merge_config_selectorIiNS0_10empty_typeEEEZZNS1_27merge_sort_block_merge_implIS3_N6thrust23THRUST_200600_302600_NS6detail15normal_iteratorINS9_10device_ptrIiEEEEPS5_jNS1_19radix_merge_compareILb0ELb0EiNS0_19identity_decomposerEEEEE10hipError_tT0_T1_T2_jT3_P12ihipStream_tbPNSt15iterator_traitsISK_E10value_typeEPNSQ_ISL_E10value_typeEPSM_NS1_7vsmem_tEENKUlT_SK_SL_SM_E_clISE_PiSF_SF_EESJ_SZ_SK_SL_SM_EUlSZ_E0_NS1_11comp_targetILNS1_3genE3ELNS1_11target_archE908ELNS1_3gpuE7ELNS1_3repE0EEENS1_38merge_mergepath_config_static_selectorELNS0_4arch9wavefront6targetE0EEEvSL_.has_dyn_sized_stack, 0
	.set _ZN7rocprim17ROCPRIM_400000_NS6detail17trampoline_kernelINS0_14default_configENS1_38merge_sort_block_merge_config_selectorIiNS0_10empty_typeEEEZZNS1_27merge_sort_block_merge_implIS3_N6thrust23THRUST_200600_302600_NS6detail15normal_iteratorINS9_10device_ptrIiEEEEPS5_jNS1_19radix_merge_compareILb0ELb0EiNS0_19identity_decomposerEEEEE10hipError_tT0_T1_T2_jT3_P12ihipStream_tbPNSt15iterator_traitsISK_E10value_typeEPNSQ_ISL_E10value_typeEPSM_NS1_7vsmem_tEENKUlT_SK_SL_SM_E_clISE_PiSF_SF_EESJ_SZ_SK_SL_SM_EUlSZ_E0_NS1_11comp_targetILNS1_3genE3ELNS1_11target_archE908ELNS1_3gpuE7ELNS1_3repE0EEENS1_38merge_mergepath_config_static_selectorELNS0_4arch9wavefront6targetE0EEEvSL_.has_recursion, 0
	.set _ZN7rocprim17ROCPRIM_400000_NS6detail17trampoline_kernelINS0_14default_configENS1_38merge_sort_block_merge_config_selectorIiNS0_10empty_typeEEEZZNS1_27merge_sort_block_merge_implIS3_N6thrust23THRUST_200600_302600_NS6detail15normal_iteratorINS9_10device_ptrIiEEEEPS5_jNS1_19radix_merge_compareILb0ELb0EiNS0_19identity_decomposerEEEEE10hipError_tT0_T1_T2_jT3_P12ihipStream_tbPNSt15iterator_traitsISK_E10value_typeEPNSQ_ISL_E10value_typeEPSM_NS1_7vsmem_tEENKUlT_SK_SL_SM_E_clISE_PiSF_SF_EESJ_SZ_SK_SL_SM_EUlSZ_E0_NS1_11comp_targetILNS1_3genE3ELNS1_11target_archE908ELNS1_3gpuE7ELNS1_3repE0EEENS1_38merge_mergepath_config_static_selectorELNS0_4arch9wavefront6targetE0EEEvSL_.has_indirect_call, 0
	.section	.AMDGPU.csdata,"",@progbits
; Kernel info:
; codeLenInByte = 0
; TotalNumSgprs: 0
; NumVgprs: 0
; ScratchSize: 0
; MemoryBound: 0
; FloatMode: 240
; IeeeMode: 1
; LDSByteSize: 0 bytes/workgroup (compile time only)
; SGPRBlocks: 0
; VGPRBlocks: 0
; NumSGPRsForWavesPerEU: 1
; NumVGPRsForWavesPerEU: 1
; Occupancy: 16
; WaveLimiterHint : 0
; COMPUTE_PGM_RSRC2:SCRATCH_EN: 0
; COMPUTE_PGM_RSRC2:USER_SGPR: 6
; COMPUTE_PGM_RSRC2:TRAP_HANDLER: 0
; COMPUTE_PGM_RSRC2:TGID_X_EN: 1
; COMPUTE_PGM_RSRC2:TGID_Y_EN: 0
; COMPUTE_PGM_RSRC2:TGID_Z_EN: 0
; COMPUTE_PGM_RSRC2:TIDIG_COMP_CNT: 0
	.section	.text._ZN7rocprim17ROCPRIM_400000_NS6detail17trampoline_kernelINS0_14default_configENS1_38merge_sort_block_merge_config_selectorIiNS0_10empty_typeEEEZZNS1_27merge_sort_block_merge_implIS3_N6thrust23THRUST_200600_302600_NS6detail15normal_iteratorINS9_10device_ptrIiEEEEPS5_jNS1_19radix_merge_compareILb0ELb0EiNS0_19identity_decomposerEEEEE10hipError_tT0_T1_T2_jT3_P12ihipStream_tbPNSt15iterator_traitsISK_E10value_typeEPNSQ_ISL_E10value_typeEPSM_NS1_7vsmem_tEENKUlT_SK_SL_SM_E_clISE_PiSF_SF_EESJ_SZ_SK_SL_SM_EUlSZ_E0_NS1_11comp_targetILNS1_3genE2ELNS1_11target_archE906ELNS1_3gpuE6ELNS1_3repE0EEENS1_38merge_mergepath_config_static_selectorELNS0_4arch9wavefront6targetE0EEEvSL_,"axG",@progbits,_ZN7rocprim17ROCPRIM_400000_NS6detail17trampoline_kernelINS0_14default_configENS1_38merge_sort_block_merge_config_selectorIiNS0_10empty_typeEEEZZNS1_27merge_sort_block_merge_implIS3_N6thrust23THRUST_200600_302600_NS6detail15normal_iteratorINS9_10device_ptrIiEEEEPS5_jNS1_19radix_merge_compareILb0ELb0EiNS0_19identity_decomposerEEEEE10hipError_tT0_T1_T2_jT3_P12ihipStream_tbPNSt15iterator_traitsISK_E10value_typeEPNSQ_ISL_E10value_typeEPSM_NS1_7vsmem_tEENKUlT_SK_SL_SM_E_clISE_PiSF_SF_EESJ_SZ_SK_SL_SM_EUlSZ_E0_NS1_11comp_targetILNS1_3genE2ELNS1_11target_archE906ELNS1_3gpuE6ELNS1_3repE0EEENS1_38merge_mergepath_config_static_selectorELNS0_4arch9wavefront6targetE0EEEvSL_,comdat
	.protected	_ZN7rocprim17ROCPRIM_400000_NS6detail17trampoline_kernelINS0_14default_configENS1_38merge_sort_block_merge_config_selectorIiNS0_10empty_typeEEEZZNS1_27merge_sort_block_merge_implIS3_N6thrust23THRUST_200600_302600_NS6detail15normal_iteratorINS9_10device_ptrIiEEEEPS5_jNS1_19radix_merge_compareILb0ELb0EiNS0_19identity_decomposerEEEEE10hipError_tT0_T1_T2_jT3_P12ihipStream_tbPNSt15iterator_traitsISK_E10value_typeEPNSQ_ISL_E10value_typeEPSM_NS1_7vsmem_tEENKUlT_SK_SL_SM_E_clISE_PiSF_SF_EESJ_SZ_SK_SL_SM_EUlSZ_E0_NS1_11comp_targetILNS1_3genE2ELNS1_11target_archE906ELNS1_3gpuE6ELNS1_3repE0EEENS1_38merge_mergepath_config_static_selectorELNS0_4arch9wavefront6targetE0EEEvSL_ ; -- Begin function _ZN7rocprim17ROCPRIM_400000_NS6detail17trampoline_kernelINS0_14default_configENS1_38merge_sort_block_merge_config_selectorIiNS0_10empty_typeEEEZZNS1_27merge_sort_block_merge_implIS3_N6thrust23THRUST_200600_302600_NS6detail15normal_iteratorINS9_10device_ptrIiEEEEPS5_jNS1_19radix_merge_compareILb0ELb0EiNS0_19identity_decomposerEEEEE10hipError_tT0_T1_T2_jT3_P12ihipStream_tbPNSt15iterator_traitsISK_E10value_typeEPNSQ_ISL_E10value_typeEPSM_NS1_7vsmem_tEENKUlT_SK_SL_SM_E_clISE_PiSF_SF_EESJ_SZ_SK_SL_SM_EUlSZ_E0_NS1_11comp_targetILNS1_3genE2ELNS1_11target_archE906ELNS1_3gpuE6ELNS1_3repE0EEENS1_38merge_mergepath_config_static_selectorELNS0_4arch9wavefront6targetE0EEEvSL_
	.globl	_ZN7rocprim17ROCPRIM_400000_NS6detail17trampoline_kernelINS0_14default_configENS1_38merge_sort_block_merge_config_selectorIiNS0_10empty_typeEEEZZNS1_27merge_sort_block_merge_implIS3_N6thrust23THRUST_200600_302600_NS6detail15normal_iteratorINS9_10device_ptrIiEEEEPS5_jNS1_19radix_merge_compareILb0ELb0EiNS0_19identity_decomposerEEEEE10hipError_tT0_T1_T2_jT3_P12ihipStream_tbPNSt15iterator_traitsISK_E10value_typeEPNSQ_ISL_E10value_typeEPSM_NS1_7vsmem_tEENKUlT_SK_SL_SM_E_clISE_PiSF_SF_EESJ_SZ_SK_SL_SM_EUlSZ_E0_NS1_11comp_targetILNS1_3genE2ELNS1_11target_archE906ELNS1_3gpuE6ELNS1_3repE0EEENS1_38merge_mergepath_config_static_selectorELNS0_4arch9wavefront6targetE0EEEvSL_
	.p2align	8
	.type	_ZN7rocprim17ROCPRIM_400000_NS6detail17trampoline_kernelINS0_14default_configENS1_38merge_sort_block_merge_config_selectorIiNS0_10empty_typeEEEZZNS1_27merge_sort_block_merge_implIS3_N6thrust23THRUST_200600_302600_NS6detail15normal_iteratorINS9_10device_ptrIiEEEEPS5_jNS1_19radix_merge_compareILb0ELb0EiNS0_19identity_decomposerEEEEE10hipError_tT0_T1_T2_jT3_P12ihipStream_tbPNSt15iterator_traitsISK_E10value_typeEPNSQ_ISL_E10value_typeEPSM_NS1_7vsmem_tEENKUlT_SK_SL_SM_E_clISE_PiSF_SF_EESJ_SZ_SK_SL_SM_EUlSZ_E0_NS1_11comp_targetILNS1_3genE2ELNS1_11target_archE906ELNS1_3gpuE6ELNS1_3repE0EEENS1_38merge_mergepath_config_static_selectorELNS0_4arch9wavefront6targetE0EEEvSL_,@function
_ZN7rocprim17ROCPRIM_400000_NS6detail17trampoline_kernelINS0_14default_configENS1_38merge_sort_block_merge_config_selectorIiNS0_10empty_typeEEEZZNS1_27merge_sort_block_merge_implIS3_N6thrust23THRUST_200600_302600_NS6detail15normal_iteratorINS9_10device_ptrIiEEEEPS5_jNS1_19radix_merge_compareILb0ELb0EiNS0_19identity_decomposerEEEEE10hipError_tT0_T1_T2_jT3_P12ihipStream_tbPNSt15iterator_traitsISK_E10value_typeEPNSQ_ISL_E10value_typeEPSM_NS1_7vsmem_tEENKUlT_SK_SL_SM_E_clISE_PiSF_SF_EESJ_SZ_SK_SL_SM_EUlSZ_E0_NS1_11comp_targetILNS1_3genE2ELNS1_11target_archE906ELNS1_3gpuE6ELNS1_3repE0EEENS1_38merge_mergepath_config_static_selectorELNS0_4arch9wavefront6targetE0EEEvSL_: ; @_ZN7rocprim17ROCPRIM_400000_NS6detail17trampoline_kernelINS0_14default_configENS1_38merge_sort_block_merge_config_selectorIiNS0_10empty_typeEEEZZNS1_27merge_sort_block_merge_implIS3_N6thrust23THRUST_200600_302600_NS6detail15normal_iteratorINS9_10device_ptrIiEEEEPS5_jNS1_19radix_merge_compareILb0ELb0EiNS0_19identity_decomposerEEEEE10hipError_tT0_T1_T2_jT3_P12ihipStream_tbPNSt15iterator_traitsISK_E10value_typeEPNSQ_ISL_E10value_typeEPSM_NS1_7vsmem_tEENKUlT_SK_SL_SM_E_clISE_PiSF_SF_EESJ_SZ_SK_SL_SM_EUlSZ_E0_NS1_11comp_targetILNS1_3genE2ELNS1_11target_archE906ELNS1_3gpuE6ELNS1_3repE0EEENS1_38merge_mergepath_config_static_selectorELNS0_4arch9wavefront6targetE0EEEvSL_
; %bb.0:
	.section	.rodata,"a",@progbits
	.p2align	6, 0x0
	.amdhsa_kernel _ZN7rocprim17ROCPRIM_400000_NS6detail17trampoline_kernelINS0_14default_configENS1_38merge_sort_block_merge_config_selectorIiNS0_10empty_typeEEEZZNS1_27merge_sort_block_merge_implIS3_N6thrust23THRUST_200600_302600_NS6detail15normal_iteratorINS9_10device_ptrIiEEEEPS5_jNS1_19radix_merge_compareILb0ELb0EiNS0_19identity_decomposerEEEEE10hipError_tT0_T1_T2_jT3_P12ihipStream_tbPNSt15iterator_traitsISK_E10value_typeEPNSQ_ISL_E10value_typeEPSM_NS1_7vsmem_tEENKUlT_SK_SL_SM_E_clISE_PiSF_SF_EESJ_SZ_SK_SL_SM_EUlSZ_E0_NS1_11comp_targetILNS1_3genE2ELNS1_11target_archE906ELNS1_3gpuE6ELNS1_3repE0EEENS1_38merge_mergepath_config_static_selectorELNS0_4arch9wavefront6targetE0EEEvSL_
		.amdhsa_group_segment_fixed_size 0
		.amdhsa_private_segment_fixed_size 0
		.amdhsa_kernarg_size 64
		.amdhsa_user_sgpr_count 6
		.amdhsa_user_sgpr_private_segment_buffer 1
		.amdhsa_user_sgpr_dispatch_ptr 0
		.amdhsa_user_sgpr_queue_ptr 0
		.amdhsa_user_sgpr_kernarg_segment_ptr 1
		.amdhsa_user_sgpr_dispatch_id 0
		.amdhsa_user_sgpr_flat_scratch_init 0
		.amdhsa_user_sgpr_private_segment_size 0
		.amdhsa_wavefront_size32 1
		.amdhsa_uses_dynamic_stack 0
		.amdhsa_system_sgpr_private_segment_wavefront_offset 0
		.amdhsa_system_sgpr_workgroup_id_x 1
		.amdhsa_system_sgpr_workgroup_id_y 0
		.amdhsa_system_sgpr_workgroup_id_z 0
		.amdhsa_system_sgpr_workgroup_info 0
		.amdhsa_system_vgpr_workitem_id 0
		.amdhsa_next_free_vgpr 1
		.amdhsa_next_free_sgpr 1
		.amdhsa_reserve_vcc 0
		.amdhsa_reserve_flat_scratch 0
		.amdhsa_float_round_mode_32 0
		.amdhsa_float_round_mode_16_64 0
		.amdhsa_float_denorm_mode_32 3
		.amdhsa_float_denorm_mode_16_64 3
		.amdhsa_dx10_clamp 1
		.amdhsa_ieee_mode 1
		.amdhsa_fp16_overflow 0
		.amdhsa_workgroup_processor_mode 1
		.amdhsa_memory_ordered 1
		.amdhsa_forward_progress 1
		.amdhsa_shared_vgpr_count 0
		.amdhsa_exception_fp_ieee_invalid_op 0
		.amdhsa_exception_fp_denorm_src 0
		.amdhsa_exception_fp_ieee_div_zero 0
		.amdhsa_exception_fp_ieee_overflow 0
		.amdhsa_exception_fp_ieee_underflow 0
		.amdhsa_exception_fp_ieee_inexact 0
		.amdhsa_exception_int_div_zero 0
	.end_amdhsa_kernel
	.section	.text._ZN7rocprim17ROCPRIM_400000_NS6detail17trampoline_kernelINS0_14default_configENS1_38merge_sort_block_merge_config_selectorIiNS0_10empty_typeEEEZZNS1_27merge_sort_block_merge_implIS3_N6thrust23THRUST_200600_302600_NS6detail15normal_iteratorINS9_10device_ptrIiEEEEPS5_jNS1_19radix_merge_compareILb0ELb0EiNS0_19identity_decomposerEEEEE10hipError_tT0_T1_T2_jT3_P12ihipStream_tbPNSt15iterator_traitsISK_E10value_typeEPNSQ_ISL_E10value_typeEPSM_NS1_7vsmem_tEENKUlT_SK_SL_SM_E_clISE_PiSF_SF_EESJ_SZ_SK_SL_SM_EUlSZ_E0_NS1_11comp_targetILNS1_3genE2ELNS1_11target_archE906ELNS1_3gpuE6ELNS1_3repE0EEENS1_38merge_mergepath_config_static_selectorELNS0_4arch9wavefront6targetE0EEEvSL_,"axG",@progbits,_ZN7rocprim17ROCPRIM_400000_NS6detail17trampoline_kernelINS0_14default_configENS1_38merge_sort_block_merge_config_selectorIiNS0_10empty_typeEEEZZNS1_27merge_sort_block_merge_implIS3_N6thrust23THRUST_200600_302600_NS6detail15normal_iteratorINS9_10device_ptrIiEEEEPS5_jNS1_19radix_merge_compareILb0ELb0EiNS0_19identity_decomposerEEEEE10hipError_tT0_T1_T2_jT3_P12ihipStream_tbPNSt15iterator_traitsISK_E10value_typeEPNSQ_ISL_E10value_typeEPSM_NS1_7vsmem_tEENKUlT_SK_SL_SM_E_clISE_PiSF_SF_EESJ_SZ_SK_SL_SM_EUlSZ_E0_NS1_11comp_targetILNS1_3genE2ELNS1_11target_archE906ELNS1_3gpuE6ELNS1_3repE0EEENS1_38merge_mergepath_config_static_selectorELNS0_4arch9wavefront6targetE0EEEvSL_,comdat
.Lfunc_end56:
	.size	_ZN7rocprim17ROCPRIM_400000_NS6detail17trampoline_kernelINS0_14default_configENS1_38merge_sort_block_merge_config_selectorIiNS0_10empty_typeEEEZZNS1_27merge_sort_block_merge_implIS3_N6thrust23THRUST_200600_302600_NS6detail15normal_iteratorINS9_10device_ptrIiEEEEPS5_jNS1_19radix_merge_compareILb0ELb0EiNS0_19identity_decomposerEEEEE10hipError_tT0_T1_T2_jT3_P12ihipStream_tbPNSt15iterator_traitsISK_E10value_typeEPNSQ_ISL_E10value_typeEPSM_NS1_7vsmem_tEENKUlT_SK_SL_SM_E_clISE_PiSF_SF_EESJ_SZ_SK_SL_SM_EUlSZ_E0_NS1_11comp_targetILNS1_3genE2ELNS1_11target_archE906ELNS1_3gpuE6ELNS1_3repE0EEENS1_38merge_mergepath_config_static_selectorELNS0_4arch9wavefront6targetE0EEEvSL_, .Lfunc_end56-_ZN7rocprim17ROCPRIM_400000_NS6detail17trampoline_kernelINS0_14default_configENS1_38merge_sort_block_merge_config_selectorIiNS0_10empty_typeEEEZZNS1_27merge_sort_block_merge_implIS3_N6thrust23THRUST_200600_302600_NS6detail15normal_iteratorINS9_10device_ptrIiEEEEPS5_jNS1_19radix_merge_compareILb0ELb0EiNS0_19identity_decomposerEEEEE10hipError_tT0_T1_T2_jT3_P12ihipStream_tbPNSt15iterator_traitsISK_E10value_typeEPNSQ_ISL_E10value_typeEPSM_NS1_7vsmem_tEENKUlT_SK_SL_SM_E_clISE_PiSF_SF_EESJ_SZ_SK_SL_SM_EUlSZ_E0_NS1_11comp_targetILNS1_3genE2ELNS1_11target_archE906ELNS1_3gpuE6ELNS1_3repE0EEENS1_38merge_mergepath_config_static_selectorELNS0_4arch9wavefront6targetE0EEEvSL_
                                        ; -- End function
	.set _ZN7rocprim17ROCPRIM_400000_NS6detail17trampoline_kernelINS0_14default_configENS1_38merge_sort_block_merge_config_selectorIiNS0_10empty_typeEEEZZNS1_27merge_sort_block_merge_implIS3_N6thrust23THRUST_200600_302600_NS6detail15normal_iteratorINS9_10device_ptrIiEEEEPS5_jNS1_19radix_merge_compareILb0ELb0EiNS0_19identity_decomposerEEEEE10hipError_tT0_T1_T2_jT3_P12ihipStream_tbPNSt15iterator_traitsISK_E10value_typeEPNSQ_ISL_E10value_typeEPSM_NS1_7vsmem_tEENKUlT_SK_SL_SM_E_clISE_PiSF_SF_EESJ_SZ_SK_SL_SM_EUlSZ_E0_NS1_11comp_targetILNS1_3genE2ELNS1_11target_archE906ELNS1_3gpuE6ELNS1_3repE0EEENS1_38merge_mergepath_config_static_selectorELNS0_4arch9wavefront6targetE0EEEvSL_.num_vgpr, 0
	.set _ZN7rocprim17ROCPRIM_400000_NS6detail17trampoline_kernelINS0_14default_configENS1_38merge_sort_block_merge_config_selectorIiNS0_10empty_typeEEEZZNS1_27merge_sort_block_merge_implIS3_N6thrust23THRUST_200600_302600_NS6detail15normal_iteratorINS9_10device_ptrIiEEEEPS5_jNS1_19radix_merge_compareILb0ELb0EiNS0_19identity_decomposerEEEEE10hipError_tT0_T1_T2_jT3_P12ihipStream_tbPNSt15iterator_traitsISK_E10value_typeEPNSQ_ISL_E10value_typeEPSM_NS1_7vsmem_tEENKUlT_SK_SL_SM_E_clISE_PiSF_SF_EESJ_SZ_SK_SL_SM_EUlSZ_E0_NS1_11comp_targetILNS1_3genE2ELNS1_11target_archE906ELNS1_3gpuE6ELNS1_3repE0EEENS1_38merge_mergepath_config_static_selectorELNS0_4arch9wavefront6targetE0EEEvSL_.num_agpr, 0
	.set _ZN7rocprim17ROCPRIM_400000_NS6detail17trampoline_kernelINS0_14default_configENS1_38merge_sort_block_merge_config_selectorIiNS0_10empty_typeEEEZZNS1_27merge_sort_block_merge_implIS3_N6thrust23THRUST_200600_302600_NS6detail15normal_iteratorINS9_10device_ptrIiEEEEPS5_jNS1_19radix_merge_compareILb0ELb0EiNS0_19identity_decomposerEEEEE10hipError_tT0_T1_T2_jT3_P12ihipStream_tbPNSt15iterator_traitsISK_E10value_typeEPNSQ_ISL_E10value_typeEPSM_NS1_7vsmem_tEENKUlT_SK_SL_SM_E_clISE_PiSF_SF_EESJ_SZ_SK_SL_SM_EUlSZ_E0_NS1_11comp_targetILNS1_3genE2ELNS1_11target_archE906ELNS1_3gpuE6ELNS1_3repE0EEENS1_38merge_mergepath_config_static_selectorELNS0_4arch9wavefront6targetE0EEEvSL_.numbered_sgpr, 0
	.set _ZN7rocprim17ROCPRIM_400000_NS6detail17trampoline_kernelINS0_14default_configENS1_38merge_sort_block_merge_config_selectorIiNS0_10empty_typeEEEZZNS1_27merge_sort_block_merge_implIS3_N6thrust23THRUST_200600_302600_NS6detail15normal_iteratorINS9_10device_ptrIiEEEEPS5_jNS1_19radix_merge_compareILb0ELb0EiNS0_19identity_decomposerEEEEE10hipError_tT0_T1_T2_jT3_P12ihipStream_tbPNSt15iterator_traitsISK_E10value_typeEPNSQ_ISL_E10value_typeEPSM_NS1_7vsmem_tEENKUlT_SK_SL_SM_E_clISE_PiSF_SF_EESJ_SZ_SK_SL_SM_EUlSZ_E0_NS1_11comp_targetILNS1_3genE2ELNS1_11target_archE906ELNS1_3gpuE6ELNS1_3repE0EEENS1_38merge_mergepath_config_static_selectorELNS0_4arch9wavefront6targetE0EEEvSL_.num_named_barrier, 0
	.set _ZN7rocprim17ROCPRIM_400000_NS6detail17trampoline_kernelINS0_14default_configENS1_38merge_sort_block_merge_config_selectorIiNS0_10empty_typeEEEZZNS1_27merge_sort_block_merge_implIS3_N6thrust23THRUST_200600_302600_NS6detail15normal_iteratorINS9_10device_ptrIiEEEEPS5_jNS1_19radix_merge_compareILb0ELb0EiNS0_19identity_decomposerEEEEE10hipError_tT0_T1_T2_jT3_P12ihipStream_tbPNSt15iterator_traitsISK_E10value_typeEPNSQ_ISL_E10value_typeEPSM_NS1_7vsmem_tEENKUlT_SK_SL_SM_E_clISE_PiSF_SF_EESJ_SZ_SK_SL_SM_EUlSZ_E0_NS1_11comp_targetILNS1_3genE2ELNS1_11target_archE906ELNS1_3gpuE6ELNS1_3repE0EEENS1_38merge_mergepath_config_static_selectorELNS0_4arch9wavefront6targetE0EEEvSL_.private_seg_size, 0
	.set _ZN7rocprim17ROCPRIM_400000_NS6detail17trampoline_kernelINS0_14default_configENS1_38merge_sort_block_merge_config_selectorIiNS0_10empty_typeEEEZZNS1_27merge_sort_block_merge_implIS3_N6thrust23THRUST_200600_302600_NS6detail15normal_iteratorINS9_10device_ptrIiEEEEPS5_jNS1_19radix_merge_compareILb0ELb0EiNS0_19identity_decomposerEEEEE10hipError_tT0_T1_T2_jT3_P12ihipStream_tbPNSt15iterator_traitsISK_E10value_typeEPNSQ_ISL_E10value_typeEPSM_NS1_7vsmem_tEENKUlT_SK_SL_SM_E_clISE_PiSF_SF_EESJ_SZ_SK_SL_SM_EUlSZ_E0_NS1_11comp_targetILNS1_3genE2ELNS1_11target_archE906ELNS1_3gpuE6ELNS1_3repE0EEENS1_38merge_mergepath_config_static_selectorELNS0_4arch9wavefront6targetE0EEEvSL_.uses_vcc, 0
	.set _ZN7rocprim17ROCPRIM_400000_NS6detail17trampoline_kernelINS0_14default_configENS1_38merge_sort_block_merge_config_selectorIiNS0_10empty_typeEEEZZNS1_27merge_sort_block_merge_implIS3_N6thrust23THRUST_200600_302600_NS6detail15normal_iteratorINS9_10device_ptrIiEEEEPS5_jNS1_19radix_merge_compareILb0ELb0EiNS0_19identity_decomposerEEEEE10hipError_tT0_T1_T2_jT3_P12ihipStream_tbPNSt15iterator_traitsISK_E10value_typeEPNSQ_ISL_E10value_typeEPSM_NS1_7vsmem_tEENKUlT_SK_SL_SM_E_clISE_PiSF_SF_EESJ_SZ_SK_SL_SM_EUlSZ_E0_NS1_11comp_targetILNS1_3genE2ELNS1_11target_archE906ELNS1_3gpuE6ELNS1_3repE0EEENS1_38merge_mergepath_config_static_selectorELNS0_4arch9wavefront6targetE0EEEvSL_.uses_flat_scratch, 0
	.set _ZN7rocprim17ROCPRIM_400000_NS6detail17trampoline_kernelINS0_14default_configENS1_38merge_sort_block_merge_config_selectorIiNS0_10empty_typeEEEZZNS1_27merge_sort_block_merge_implIS3_N6thrust23THRUST_200600_302600_NS6detail15normal_iteratorINS9_10device_ptrIiEEEEPS5_jNS1_19radix_merge_compareILb0ELb0EiNS0_19identity_decomposerEEEEE10hipError_tT0_T1_T2_jT3_P12ihipStream_tbPNSt15iterator_traitsISK_E10value_typeEPNSQ_ISL_E10value_typeEPSM_NS1_7vsmem_tEENKUlT_SK_SL_SM_E_clISE_PiSF_SF_EESJ_SZ_SK_SL_SM_EUlSZ_E0_NS1_11comp_targetILNS1_3genE2ELNS1_11target_archE906ELNS1_3gpuE6ELNS1_3repE0EEENS1_38merge_mergepath_config_static_selectorELNS0_4arch9wavefront6targetE0EEEvSL_.has_dyn_sized_stack, 0
	.set _ZN7rocprim17ROCPRIM_400000_NS6detail17trampoline_kernelINS0_14default_configENS1_38merge_sort_block_merge_config_selectorIiNS0_10empty_typeEEEZZNS1_27merge_sort_block_merge_implIS3_N6thrust23THRUST_200600_302600_NS6detail15normal_iteratorINS9_10device_ptrIiEEEEPS5_jNS1_19radix_merge_compareILb0ELb0EiNS0_19identity_decomposerEEEEE10hipError_tT0_T1_T2_jT3_P12ihipStream_tbPNSt15iterator_traitsISK_E10value_typeEPNSQ_ISL_E10value_typeEPSM_NS1_7vsmem_tEENKUlT_SK_SL_SM_E_clISE_PiSF_SF_EESJ_SZ_SK_SL_SM_EUlSZ_E0_NS1_11comp_targetILNS1_3genE2ELNS1_11target_archE906ELNS1_3gpuE6ELNS1_3repE0EEENS1_38merge_mergepath_config_static_selectorELNS0_4arch9wavefront6targetE0EEEvSL_.has_recursion, 0
	.set _ZN7rocprim17ROCPRIM_400000_NS6detail17trampoline_kernelINS0_14default_configENS1_38merge_sort_block_merge_config_selectorIiNS0_10empty_typeEEEZZNS1_27merge_sort_block_merge_implIS3_N6thrust23THRUST_200600_302600_NS6detail15normal_iteratorINS9_10device_ptrIiEEEEPS5_jNS1_19radix_merge_compareILb0ELb0EiNS0_19identity_decomposerEEEEE10hipError_tT0_T1_T2_jT3_P12ihipStream_tbPNSt15iterator_traitsISK_E10value_typeEPNSQ_ISL_E10value_typeEPSM_NS1_7vsmem_tEENKUlT_SK_SL_SM_E_clISE_PiSF_SF_EESJ_SZ_SK_SL_SM_EUlSZ_E0_NS1_11comp_targetILNS1_3genE2ELNS1_11target_archE906ELNS1_3gpuE6ELNS1_3repE0EEENS1_38merge_mergepath_config_static_selectorELNS0_4arch9wavefront6targetE0EEEvSL_.has_indirect_call, 0
	.section	.AMDGPU.csdata,"",@progbits
; Kernel info:
; codeLenInByte = 0
; TotalNumSgprs: 0
; NumVgprs: 0
; ScratchSize: 0
; MemoryBound: 0
; FloatMode: 240
; IeeeMode: 1
; LDSByteSize: 0 bytes/workgroup (compile time only)
; SGPRBlocks: 0
; VGPRBlocks: 0
; NumSGPRsForWavesPerEU: 1
; NumVGPRsForWavesPerEU: 1
; Occupancy: 16
; WaveLimiterHint : 0
; COMPUTE_PGM_RSRC2:SCRATCH_EN: 0
; COMPUTE_PGM_RSRC2:USER_SGPR: 6
; COMPUTE_PGM_RSRC2:TRAP_HANDLER: 0
; COMPUTE_PGM_RSRC2:TGID_X_EN: 1
; COMPUTE_PGM_RSRC2:TGID_Y_EN: 0
; COMPUTE_PGM_RSRC2:TGID_Z_EN: 0
; COMPUTE_PGM_RSRC2:TIDIG_COMP_CNT: 0
	.section	.text._ZN7rocprim17ROCPRIM_400000_NS6detail17trampoline_kernelINS0_14default_configENS1_38merge_sort_block_merge_config_selectorIiNS0_10empty_typeEEEZZNS1_27merge_sort_block_merge_implIS3_N6thrust23THRUST_200600_302600_NS6detail15normal_iteratorINS9_10device_ptrIiEEEEPS5_jNS1_19radix_merge_compareILb0ELb0EiNS0_19identity_decomposerEEEEE10hipError_tT0_T1_T2_jT3_P12ihipStream_tbPNSt15iterator_traitsISK_E10value_typeEPNSQ_ISL_E10value_typeEPSM_NS1_7vsmem_tEENKUlT_SK_SL_SM_E_clISE_PiSF_SF_EESJ_SZ_SK_SL_SM_EUlSZ_E0_NS1_11comp_targetILNS1_3genE9ELNS1_11target_archE1100ELNS1_3gpuE3ELNS1_3repE0EEENS1_38merge_mergepath_config_static_selectorELNS0_4arch9wavefront6targetE0EEEvSL_,"axG",@progbits,_ZN7rocprim17ROCPRIM_400000_NS6detail17trampoline_kernelINS0_14default_configENS1_38merge_sort_block_merge_config_selectorIiNS0_10empty_typeEEEZZNS1_27merge_sort_block_merge_implIS3_N6thrust23THRUST_200600_302600_NS6detail15normal_iteratorINS9_10device_ptrIiEEEEPS5_jNS1_19radix_merge_compareILb0ELb0EiNS0_19identity_decomposerEEEEE10hipError_tT0_T1_T2_jT3_P12ihipStream_tbPNSt15iterator_traitsISK_E10value_typeEPNSQ_ISL_E10value_typeEPSM_NS1_7vsmem_tEENKUlT_SK_SL_SM_E_clISE_PiSF_SF_EESJ_SZ_SK_SL_SM_EUlSZ_E0_NS1_11comp_targetILNS1_3genE9ELNS1_11target_archE1100ELNS1_3gpuE3ELNS1_3repE0EEENS1_38merge_mergepath_config_static_selectorELNS0_4arch9wavefront6targetE0EEEvSL_,comdat
	.protected	_ZN7rocprim17ROCPRIM_400000_NS6detail17trampoline_kernelINS0_14default_configENS1_38merge_sort_block_merge_config_selectorIiNS0_10empty_typeEEEZZNS1_27merge_sort_block_merge_implIS3_N6thrust23THRUST_200600_302600_NS6detail15normal_iteratorINS9_10device_ptrIiEEEEPS5_jNS1_19radix_merge_compareILb0ELb0EiNS0_19identity_decomposerEEEEE10hipError_tT0_T1_T2_jT3_P12ihipStream_tbPNSt15iterator_traitsISK_E10value_typeEPNSQ_ISL_E10value_typeEPSM_NS1_7vsmem_tEENKUlT_SK_SL_SM_E_clISE_PiSF_SF_EESJ_SZ_SK_SL_SM_EUlSZ_E0_NS1_11comp_targetILNS1_3genE9ELNS1_11target_archE1100ELNS1_3gpuE3ELNS1_3repE0EEENS1_38merge_mergepath_config_static_selectorELNS0_4arch9wavefront6targetE0EEEvSL_ ; -- Begin function _ZN7rocprim17ROCPRIM_400000_NS6detail17trampoline_kernelINS0_14default_configENS1_38merge_sort_block_merge_config_selectorIiNS0_10empty_typeEEEZZNS1_27merge_sort_block_merge_implIS3_N6thrust23THRUST_200600_302600_NS6detail15normal_iteratorINS9_10device_ptrIiEEEEPS5_jNS1_19radix_merge_compareILb0ELb0EiNS0_19identity_decomposerEEEEE10hipError_tT0_T1_T2_jT3_P12ihipStream_tbPNSt15iterator_traitsISK_E10value_typeEPNSQ_ISL_E10value_typeEPSM_NS1_7vsmem_tEENKUlT_SK_SL_SM_E_clISE_PiSF_SF_EESJ_SZ_SK_SL_SM_EUlSZ_E0_NS1_11comp_targetILNS1_3genE9ELNS1_11target_archE1100ELNS1_3gpuE3ELNS1_3repE0EEENS1_38merge_mergepath_config_static_selectorELNS0_4arch9wavefront6targetE0EEEvSL_
	.globl	_ZN7rocprim17ROCPRIM_400000_NS6detail17trampoline_kernelINS0_14default_configENS1_38merge_sort_block_merge_config_selectorIiNS0_10empty_typeEEEZZNS1_27merge_sort_block_merge_implIS3_N6thrust23THRUST_200600_302600_NS6detail15normal_iteratorINS9_10device_ptrIiEEEEPS5_jNS1_19radix_merge_compareILb0ELb0EiNS0_19identity_decomposerEEEEE10hipError_tT0_T1_T2_jT3_P12ihipStream_tbPNSt15iterator_traitsISK_E10value_typeEPNSQ_ISL_E10value_typeEPSM_NS1_7vsmem_tEENKUlT_SK_SL_SM_E_clISE_PiSF_SF_EESJ_SZ_SK_SL_SM_EUlSZ_E0_NS1_11comp_targetILNS1_3genE9ELNS1_11target_archE1100ELNS1_3gpuE3ELNS1_3repE0EEENS1_38merge_mergepath_config_static_selectorELNS0_4arch9wavefront6targetE0EEEvSL_
	.p2align	8
	.type	_ZN7rocprim17ROCPRIM_400000_NS6detail17trampoline_kernelINS0_14default_configENS1_38merge_sort_block_merge_config_selectorIiNS0_10empty_typeEEEZZNS1_27merge_sort_block_merge_implIS3_N6thrust23THRUST_200600_302600_NS6detail15normal_iteratorINS9_10device_ptrIiEEEEPS5_jNS1_19radix_merge_compareILb0ELb0EiNS0_19identity_decomposerEEEEE10hipError_tT0_T1_T2_jT3_P12ihipStream_tbPNSt15iterator_traitsISK_E10value_typeEPNSQ_ISL_E10value_typeEPSM_NS1_7vsmem_tEENKUlT_SK_SL_SM_E_clISE_PiSF_SF_EESJ_SZ_SK_SL_SM_EUlSZ_E0_NS1_11comp_targetILNS1_3genE9ELNS1_11target_archE1100ELNS1_3gpuE3ELNS1_3repE0EEENS1_38merge_mergepath_config_static_selectorELNS0_4arch9wavefront6targetE0EEEvSL_,@function
_ZN7rocprim17ROCPRIM_400000_NS6detail17trampoline_kernelINS0_14default_configENS1_38merge_sort_block_merge_config_selectorIiNS0_10empty_typeEEEZZNS1_27merge_sort_block_merge_implIS3_N6thrust23THRUST_200600_302600_NS6detail15normal_iteratorINS9_10device_ptrIiEEEEPS5_jNS1_19radix_merge_compareILb0ELb0EiNS0_19identity_decomposerEEEEE10hipError_tT0_T1_T2_jT3_P12ihipStream_tbPNSt15iterator_traitsISK_E10value_typeEPNSQ_ISL_E10value_typeEPSM_NS1_7vsmem_tEENKUlT_SK_SL_SM_E_clISE_PiSF_SF_EESJ_SZ_SK_SL_SM_EUlSZ_E0_NS1_11comp_targetILNS1_3genE9ELNS1_11target_archE1100ELNS1_3gpuE3ELNS1_3repE0EEENS1_38merge_mergepath_config_static_selectorELNS0_4arch9wavefront6targetE0EEEvSL_: ; @_ZN7rocprim17ROCPRIM_400000_NS6detail17trampoline_kernelINS0_14default_configENS1_38merge_sort_block_merge_config_selectorIiNS0_10empty_typeEEEZZNS1_27merge_sort_block_merge_implIS3_N6thrust23THRUST_200600_302600_NS6detail15normal_iteratorINS9_10device_ptrIiEEEEPS5_jNS1_19radix_merge_compareILb0ELb0EiNS0_19identity_decomposerEEEEE10hipError_tT0_T1_T2_jT3_P12ihipStream_tbPNSt15iterator_traitsISK_E10value_typeEPNSQ_ISL_E10value_typeEPSM_NS1_7vsmem_tEENKUlT_SK_SL_SM_E_clISE_PiSF_SF_EESJ_SZ_SK_SL_SM_EUlSZ_E0_NS1_11comp_targetILNS1_3genE9ELNS1_11target_archE1100ELNS1_3gpuE3ELNS1_3repE0EEENS1_38merge_mergepath_config_static_selectorELNS0_4arch9wavefront6targetE0EEEvSL_
; %bb.0:
	.section	.rodata,"a",@progbits
	.p2align	6, 0x0
	.amdhsa_kernel _ZN7rocprim17ROCPRIM_400000_NS6detail17trampoline_kernelINS0_14default_configENS1_38merge_sort_block_merge_config_selectorIiNS0_10empty_typeEEEZZNS1_27merge_sort_block_merge_implIS3_N6thrust23THRUST_200600_302600_NS6detail15normal_iteratorINS9_10device_ptrIiEEEEPS5_jNS1_19radix_merge_compareILb0ELb0EiNS0_19identity_decomposerEEEEE10hipError_tT0_T1_T2_jT3_P12ihipStream_tbPNSt15iterator_traitsISK_E10value_typeEPNSQ_ISL_E10value_typeEPSM_NS1_7vsmem_tEENKUlT_SK_SL_SM_E_clISE_PiSF_SF_EESJ_SZ_SK_SL_SM_EUlSZ_E0_NS1_11comp_targetILNS1_3genE9ELNS1_11target_archE1100ELNS1_3gpuE3ELNS1_3repE0EEENS1_38merge_mergepath_config_static_selectorELNS0_4arch9wavefront6targetE0EEEvSL_
		.amdhsa_group_segment_fixed_size 0
		.amdhsa_private_segment_fixed_size 0
		.amdhsa_kernarg_size 64
		.amdhsa_user_sgpr_count 6
		.amdhsa_user_sgpr_private_segment_buffer 1
		.amdhsa_user_sgpr_dispatch_ptr 0
		.amdhsa_user_sgpr_queue_ptr 0
		.amdhsa_user_sgpr_kernarg_segment_ptr 1
		.amdhsa_user_sgpr_dispatch_id 0
		.amdhsa_user_sgpr_flat_scratch_init 0
		.amdhsa_user_sgpr_private_segment_size 0
		.amdhsa_wavefront_size32 1
		.amdhsa_uses_dynamic_stack 0
		.amdhsa_system_sgpr_private_segment_wavefront_offset 0
		.amdhsa_system_sgpr_workgroup_id_x 1
		.amdhsa_system_sgpr_workgroup_id_y 0
		.amdhsa_system_sgpr_workgroup_id_z 0
		.amdhsa_system_sgpr_workgroup_info 0
		.amdhsa_system_vgpr_workitem_id 0
		.amdhsa_next_free_vgpr 1
		.amdhsa_next_free_sgpr 1
		.amdhsa_reserve_vcc 0
		.amdhsa_reserve_flat_scratch 0
		.amdhsa_float_round_mode_32 0
		.amdhsa_float_round_mode_16_64 0
		.amdhsa_float_denorm_mode_32 3
		.amdhsa_float_denorm_mode_16_64 3
		.amdhsa_dx10_clamp 1
		.amdhsa_ieee_mode 1
		.amdhsa_fp16_overflow 0
		.amdhsa_workgroup_processor_mode 1
		.amdhsa_memory_ordered 1
		.amdhsa_forward_progress 1
		.amdhsa_shared_vgpr_count 0
		.amdhsa_exception_fp_ieee_invalid_op 0
		.amdhsa_exception_fp_denorm_src 0
		.amdhsa_exception_fp_ieee_div_zero 0
		.amdhsa_exception_fp_ieee_overflow 0
		.amdhsa_exception_fp_ieee_underflow 0
		.amdhsa_exception_fp_ieee_inexact 0
		.amdhsa_exception_int_div_zero 0
	.end_amdhsa_kernel
	.section	.text._ZN7rocprim17ROCPRIM_400000_NS6detail17trampoline_kernelINS0_14default_configENS1_38merge_sort_block_merge_config_selectorIiNS0_10empty_typeEEEZZNS1_27merge_sort_block_merge_implIS3_N6thrust23THRUST_200600_302600_NS6detail15normal_iteratorINS9_10device_ptrIiEEEEPS5_jNS1_19radix_merge_compareILb0ELb0EiNS0_19identity_decomposerEEEEE10hipError_tT0_T1_T2_jT3_P12ihipStream_tbPNSt15iterator_traitsISK_E10value_typeEPNSQ_ISL_E10value_typeEPSM_NS1_7vsmem_tEENKUlT_SK_SL_SM_E_clISE_PiSF_SF_EESJ_SZ_SK_SL_SM_EUlSZ_E0_NS1_11comp_targetILNS1_3genE9ELNS1_11target_archE1100ELNS1_3gpuE3ELNS1_3repE0EEENS1_38merge_mergepath_config_static_selectorELNS0_4arch9wavefront6targetE0EEEvSL_,"axG",@progbits,_ZN7rocprim17ROCPRIM_400000_NS6detail17trampoline_kernelINS0_14default_configENS1_38merge_sort_block_merge_config_selectorIiNS0_10empty_typeEEEZZNS1_27merge_sort_block_merge_implIS3_N6thrust23THRUST_200600_302600_NS6detail15normal_iteratorINS9_10device_ptrIiEEEEPS5_jNS1_19radix_merge_compareILb0ELb0EiNS0_19identity_decomposerEEEEE10hipError_tT0_T1_T2_jT3_P12ihipStream_tbPNSt15iterator_traitsISK_E10value_typeEPNSQ_ISL_E10value_typeEPSM_NS1_7vsmem_tEENKUlT_SK_SL_SM_E_clISE_PiSF_SF_EESJ_SZ_SK_SL_SM_EUlSZ_E0_NS1_11comp_targetILNS1_3genE9ELNS1_11target_archE1100ELNS1_3gpuE3ELNS1_3repE0EEENS1_38merge_mergepath_config_static_selectorELNS0_4arch9wavefront6targetE0EEEvSL_,comdat
.Lfunc_end57:
	.size	_ZN7rocprim17ROCPRIM_400000_NS6detail17trampoline_kernelINS0_14default_configENS1_38merge_sort_block_merge_config_selectorIiNS0_10empty_typeEEEZZNS1_27merge_sort_block_merge_implIS3_N6thrust23THRUST_200600_302600_NS6detail15normal_iteratorINS9_10device_ptrIiEEEEPS5_jNS1_19radix_merge_compareILb0ELb0EiNS0_19identity_decomposerEEEEE10hipError_tT0_T1_T2_jT3_P12ihipStream_tbPNSt15iterator_traitsISK_E10value_typeEPNSQ_ISL_E10value_typeEPSM_NS1_7vsmem_tEENKUlT_SK_SL_SM_E_clISE_PiSF_SF_EESJ_SZ_SK_SL_SM_EUlSZ_E0_NS1_11comp_targetILNS1_3genE9ELNS1_11target_archE1100ELNS1_3gpuE3ELNS1_3repE0EEENS1_38merge_mergepath_config_static_selectorELNS0_4arch9wavefront6targetE0EEEvSL_, .Lfunc_end57-_ZN7rocprim17ROCPRIM_400000_NS6detail17trampoline_kernelINS0_14default_configENS1_38merge_sort_block_merge_config_selectorIiNS0_10empty_typeEEEZZNS1_27merge_sort_block_merge_implIS3_N6thrust23THRUST_200600_302600_NS6detail15normal_iteratorINS9_10device_ptrIiEEEEPS5_jNS1_19radix_merge_compareILb0ELb0EiNS0_19identity_decomposerEEEEE10hipError_tT0_T1_T2_jT3_P12ihipStream_tbPNSt15iterator_traitsISK_E10value_typeEPNSQ_ISL_E10value_typeEPSM_NS1_7vsmem_tEENKUlT_SK_SL_SM_E_clISE_PiSF_SF_EESJ_SZ_SK_SL_SM_EUlSZ_E0_NS1_11comp_targetILNS1_3genE9ELNS1_11target_archE1100ELNS1_3gpuE3ELNS1_3repE0EEENS1_38merge_mergepath_config_static_selectorELNS0_4arch9wavefront6targetE0EEEvSL_
                                        ; -- End function
	.set _ZN7rocprim17ROCPRIM_400000_NS6detail17trampoline_kernelINS0_14default_configENS1_38merge_sort_block_merge_config_selectorIiNS0_10empty_typeEEEZZNS1_27merge_sort_block_merge_implIS3_N6thrust23THRUST_200600_302600_NS6detail15normal_iteratorINS9_10device_ptrIiEEEEPS5_jNS1_19radix_merge_compareILb0ELb0EiNS0_19identity_decomposerEEEEE10hipError_tT0_T1_T2_jT3_P12ihipStream_tbPNSt15iterator_traitsISK_E10value_typeEPNSQ_ISL_E10value_typeEPSM_NS1_7vsmem_tEENKUlT_SK_SL_SM_E_clISE_PiSF_SF_EESJ_SZ_SK_SL_SM_EUlSZ_E0_NS1_11comp_targetILNS1_3genE9ELNS1_11target_archE1100ELNS1_3gpuE3ELNS1_3repE0EEENS1_38merge_mergepath_config_static_selectorELNS0_4arch9wavefront6targetE0EEEvSL_.num_vgpr, 0
	.set _ZN7rocprim17ROCPRIM_400000_NS6detail17trampoline_kernelINS0_14default_configENS1_38merge_sort_block_merge_config_selectorIiNS0_10empty_typeEEEZZNS1_27merge_sort_block_merge_implIS3_N6thrust23THRUST_200600_302600_NS6detail15normal_iteratorINS9_10device_ptrIiEEEEPS5_jNS1_19radix_merge_compareILb0ELb0EiNS0_19identity_decomposerEEEEE10hipError_tT0_T1_T2_jT3_P12ihipStream_tbPNSt15iterator_traitsISK_E10value_typeEPNSQ_ISL_E10value_typeEPSM_NS1_7vsmem_tEENKUlT_SK_SL_SM_E_clISE_PiSF_SF_EESJ_SZ_SK_SL_SM_EUlSZ_E0_NS1_11comp_targetILNS1_3genE9ELNS1_11target_archE1100ELNS1_3gpuE3ELNS1_3repE0EEENS1_38merge_mergepath_config_static_selectorELNS0_4arch9wavefront6targetE0EEEvSL_.num_agpr, 0
	.set _ZN7rocprim17ROCPRIM_400000_NS6detail17trampoline_kernelINS0_14default_configENS1_38merge_sort_block_merge_config_selectorIiNS0_10empty_typeEEEZZNS1_27merge_sort_block_merge_implIS3_N6thrust23THRUST_200600_302600_NS6detail15normal_iteratorINS9_10device_ptrIiEEEEPS5_jNS1_19radix_merge_compareILb0ELb0EiNS0_19identity_decomposerEEEEE10hipError_tT0_T1_T2_jT3_P12ihipStream_tbPNSt15iterator_traitsISK_E10value_typeEPNSQ_ISL_E10value_typeEPSM_NS1_7vsmem_tEENKUlT_SK_SL_SM_E_clISE_PiSF_SF_EESJ_SZ_SK_SL_SM_EUlSZ_E0_NS1_11comp_targetILNS1_3genE9ELNS1_11target_archE1100ELNS1_3gpuE3ELNS1_3repE0EEENS1_38merge_mergepath_config_static_selectorELNS0_4arch9wavefront6targetE0EEEvSL_.numbered_sgpr, 0
	.set _ZN7rocprim17ROCPRIM_400000_NS6detail17trampoline_kernelINS0_14default_configENS1_38merge_sort_block_merge_config_selectorIiNS0_10empty_typeEEEZZNS1_27merge_sort_block_merge_implIS3_N6thrust23THRUST_200600_302600_NS6detail15normal_iteratorINS9_10device_ptrIiEEEEPS5_jNS1_19radix_merge_compareILb0ELb0EiNS0_19identity_decomposerEEEEE10hipError_tT0_T1_T2_jT3_P12ihipStream_tbPNSt15iterator_traitsISK_E10value_typeEPNSQ_ISL_E10value_typeEPSM_NS1_7vsmem_tEENKUlT_SK_SL_SM_E_clISE_PiSF_SF_EESJ_SZ_SK_SL_SM_EUlSZ_E0_NS1_11comp_targetILNS1_3genE9ELNS1_11target_archE1100ELNS1_3gpuE3ELNS1_3repE0EEENS1_38merge_mergepath_config_static_selectorELNS0_4arch9wavefront6targetE0EEEvSL_.num_named_barrier, 0
	.set _ZN7rocprim17ROCPRIM_400000_NS6detail17trampoline_kernelINS0_14default_configENS1_38merge_sort_block_merge_config_selectorIiNS0_10empty_typeEEEZZNS1_27merge_sort_block_merge_implIS3_N6thrust23THRUST_200600_302600_NS6detail15normal_iteratorINS9_10device_ptrIiEEEEPS5_jNS1_19radix_merge_compareILb0ELb0EiNS0_19identity_decomposerEEEEE10hipError_tT0_T1_T2_jT3_P12ihipStream_tbPNSt15iterator_traitsISK_E10value_typeEPNSQ_ISL_E10value_typeEPSM_NS1_7vsmem_tEENKUlT_SK_SL_SM_E_clISE_PiSF_SF_EESJ_SZ_SK_SL_SM_EUlSZ_E0_NS1_11comp_targetILNS1_3genE9ELNS1_11target_archE1100ELNS1_3gpuE3ELNS1_3repE0EEENS1_38merge_mergepath_config_static_selectorELNS0_4arch9wavefront6targetE0EEEvSL_.private_seg_size, 0
	.set _ZN7rocprim17ROCPRIM_400000_NS6detail17trampoline_kernelINS0_14default_configENS1_38merge_sort_block_merge_config_selectorIiNS0_10empty_typeEEEZZNS1_27merge_sort_block_merge_implIS3_N6thrust23THRUST_200600_302600_NS6detail15normal_iteratorINS9_10device_ptrIiEEEEPS5_jNS1_19radix_merge_compareILb0ELb0EiNS0_19identity_decomposerEEEEE10hipError_tT0_T1_T2_jT3_P12ihipStream_tbPNSt15iterator_traitsISK_E10value_typeEPNSQ_ISL_E10value_typeEPSM_NS1_7vsmem_tEENKUlT_SK_SL_SM_E_clISE_PiSF_SF_EESJ_SZ_SK_SL_SM_EUlSZ_E0_NS1_11comp_targetILNS1_3genE9ELNS1_11target_archE1100ELNS1_3gpuE3ELNS1_3repE0EEENS1_38merge_mergepath_config_static_selectorELNS0_4arch9wavefront6targetE0EEEvSL_.uses_vcc, 0
	.set _ZN7rocprim17ROCPRIM_400000_NS6detail17trampoline_kernelINS0_14default_configENS1_38merge_sort_block_merge_config_selectorIiNS0_10empty_typeEEEZZNS1_27merge_sort_block_merge_implIS3_N6thrust23THRUST_200600_302600_NS6detail15normal_iteratorINS9_10device_ptrIiEEEEPS5_jNS1_19radix_merge_compareILb0ELb0EiNS0_19identity_decomposerEEEEE10hipError_tT0_T1_T2_jT3_P12ihipStream_tbPNSt15iterator_traitsISK_E10value_typeEPNSQ_ISL_E10value_typeEPSM_NS1_7vsmem_tEENKUlT_SK_SL_SM_E_clISE_PiSF_SF_EESJ_SZ_SK_SL_SM_EUlSZ_E0_NS1_11comp_targetILNS1_3genE9ELNS1_11target_archE1100ELNS1_3gpuE3ELNS1_3repE0EEENS1_38merge_mergepath_config_static_selectorELNS0_4arch9wavefront6targetE0EEEvSL_.uses_flat_scratch, 0
	.set _ZN7rocprim17ROCPRIM_400000_NS6detail17trampoline_kernelINS0_14default_configENS1_38merge_sort_block_merge_config_selectorIiNS0_10empty_typeEEEZZNS1_27merge_sort_block_merge_implIS3_N6thrust23THRUST_200600_302600_NS6detail15normal_iteratorINS9_10device_ptrIiEEEEPS5_jNS1_19radix_merge_compareILb0ELb0EiNS0_19identity_decomposerEEEEE10hipError_tT0_T1_T2_jT3_P12ihipStream_tbPNSt15iterator_traitsISK_E10value_typeEPNSQ_ISL_E10value_typeEPSM_NS1_7vsmem_tEENKUlT_SK_SL_SM_E_clISE_PiSF_SF_EESJ_SZ_SK_SL_SM_EUlSZ_E0_NS1_11comp_targetILNS1_3genE9ELNS1_11target_archE1100ELNS1_3gpuE3ELNS1_3repE0EEENS1_38merge_mergepath_config_static_selectorELNS0_4arch9wavefront6targetE0EEEvSL_.has_dyn_sized_stack, 0
	.set _ZN7rocprim17ROCPRIM_400000_NS6detail17trampoline_kernelINS0_14default_configENS1_38merge_sort_block_merge_config_selectorIiNS0_10empty_typeEEEZZNS1_27merge_sort_block_merge_implIS3_N6thrust23THRUST_200600_302600_NS6detail15normal_iteratorINS9_10device_ptrIiEEEEPS5_jNS1_19radix_merge_compareILb0ELb0EiNS0_19identity_decomposerEEEEE10hipError_tT0_T1_T2_jT3_P12ihipStream_tbPNSt15iterator_traitsISK_E10value_typeEPNSQ_ISL_E10value_typeEPSM_NS1_7vsmem_tEENKUlT_SK_SL_SM_E_clISE_PiSF_SF_EESJ_SZ_SK_SL_SM_EUlSZ_E0_NS1_11comp_targetILNS1_3genE9ELNS1_11target_archE1100ELNS1_3gpuE3ELNS1_3repE0EEENS1_38merge_mergepath_config_static_selectorELNS0_4arch9wavefront6targetE0EEEvSL_.has_recursion, 0
	.set _ZN7rocprim17ROCPRIM_400000_NS6detail17trampoline_kernelINS0_14default_configENS1_38merge_sort_block_merge_config_selectorIiNS0_10empty_typeEEEZZNS1_27merge_sort_block_merge_implIS3_N6thrust23THRUST_200600_302600_NS6detail15normal_iteratorINS9_10device_ptrIiEEEEPS5_jNS1_19radix_merge_compareILb0ELb0EiNS0_19identity_decomposerEEEEE10hipError_tT0_T1_T2_jT3_P12ihipStream_tbPNSt15iterator_traitsISK_E10value_typeEPNSQ_ISL_E10value_typeEPSM_NS1_7vsmem_tEENKUlT_SK_SL_SM_E_clISE_PiSF_SF_EESJ_SZ_SK_SL_SM_EUlSZ_E0_NS1_11comp_targetILNS1_3genE9ELNS1_11target_archE1100ELNS1_3gpuE3ELNS1_3repE0EEENS1_38merge_mergepath_config_static_selectorELNS0_4arch9wavefront6targetE0EEEvSL_.has_indirect_call, 0
	.section	.AMDGPU.csdata,"",@progbits
; Kernel info:
; codeLenInByte = 0
; TotalNumSgprs: 0
; NumVgprs: 0
; ScratchSize: 0
; MemoryBound: 0
; FloatMode: 240
; IeeeMode: 1
; LDSByteSize: 0 bytes/workgroup (compile time only)
; SGPRBlocks: 0
; VGPRBlocks: 0
; NumSGPRsForWavesPerEU: 1
; NumVGPRsForWavesPerEU: 1
; Occupancy: 16
; WaveLimiterHint : 0
; COMPUTE_PGM_RSRC2:SCRATCH_EN: 0
; COMPUTE_PGM_RSRC2:USER_SGPR: 6
; COMPUTE_PGM_RSRC2:TRAP_HANDLER: 0
; COMPUTE_PGM_RSRC2:TGID_X_EN: 1
; COMPUTE_PGM_RSRC2:TGID_Y_EN: 0
; COMPUTE_PGM_RSRC2:TGID_Z_EN: 0
; COMPUTE_PGM_RSRC2:TIDIG_COMP_CNT: 0
	.section	.text._ZN7rocprim17ROCPRIM_400000_NS6detail17trampoline_kernelINS0_14default_configENS1_38merge_sort_block_merge_config_selectorIiNS0_10empty_typeEEEZZNS1_27merge_sort_block_merge_implIS3_N6thrust23THRUST_200600_302600_NS6detail15normal_iteratorINS9_10device_ptrIiEEEEPS5_jNS1_19radix_merge_compareILb0ELb0EiNS0_19identity_decomposerEEEEE10hipError_tT0_T1_T2_jT3_P12ihipStream_tbPNSt15iterator_traitsISK_E10value_typeEPNSQ_ISL_E10value_typeEPSM_NS1_7vsmem_tEENKUlT_SK_SL_SM_E_clISE_PiSF_SF_EESJ_SZ_SK_SL_SM_EUlSZ_E0_NS1_11comp_targetILNS1_3genE8ELNS1_11target_archE1030ELNS1_3gpuE2ELNS1_3repE0EEENS1_38merge_mergepath_config_static_selectorELNS0_4arch9wavefront6targetE0EEEvSL_,"axG",@progbits,_ZN7rocprim17ROCPRIM_400000_NS6detail17trampoline_kernelINS0_14default_configENS1_38merge_sort_block_merge_config_selectorIiNS0_10empty_typeEEEZZNS1_27merge_sort_block_merge_implIS3_N6thrust23THRUST_200600_302600_NS6detail15normal_iteratorINS9_10device_ptrIiEEEEPS5_jNS1_19radix_merge_compareILb0ELb0EiNS0_19identity_decomposerEEEEE10hipError_tT0_T1_T2_jT3_P12ihipStream_tbPNSt15iterator_traitsISK_E10value_typeEPNSQ_ISL_E10value_typeEPSM_NS1_7vsmem_tEENKUlT_SK_SL_SM_E_clISE_PiSF_SF_EESJ_SZ_SK_SL_SM_EUlSZ_E0_NS1_11comp_targetILNS1_3genE8ELNS1_11target_archE1030ELNS1_3gpuE2ELNS1_3repE0EEENS1_38merge_mergepath_config_static_selectorELNS0_4arch9wavefront6targetE0EEEvSL_,comdat
	.protected	_ZN7rocprim17ROCPRIM_400000_NS6detail17trampoline_kernelINS0_14default_configENS1_38merge_sort_block_merge_config_selectorIiNS0_10empty_typeEEEZZNS1_27merge_sort_block_merge_implIS3_N6thrust23THRUST_200600_302600_NS6detail15normal_iteratorINS9_10device_ptrIiEEEEPS5_jNS1_19radix_merge_compareILb0ELb0EiNS0_19identity_decomposerEEEEE10hipError_tT0_T1_T2_jT3_P12ihipStream_tbPNSt15iterator_traitsISK_E10value_typeEPNSQ_ISL_E10value_typeEPSM_NS1_7vsmem_tEENKUlT_SK_SL_SM_E_clISE_PiSF_SF_EESJ_SZ_SK_SL_SM_EUlSZ_E0_NS1_11comp_targetILNS1_3genE8ELNS1_11target_archE1030ELNS1_3gpuE2ELNS1_3repE0EEENS1_38merge_mergepath_config_static_selectorELNS0_4arch9wavefront6targetE0EEEvSL_ ; -- Begin function _ZN7rocprim17ROCPRIM_400000_NS6detail17trampoline_kernelINS0_14default_configENS1_38merge_sort_block_merge_config_selectorIiNS0_10empty_typeEEEZZNS1_27merge_sort_block_merge_implIS3_N6thrust23THRUST_200600_302600_NS6detail15normal_iteratorINS9_10device_ptrIiEEEEPS5_jNS1_19radix_merge_compareILb0ELb0EiNS0_19identity_decomposerEEEEE10hipError_tT0_T1_T2_jT3_P12ihipStream_tbPNSt15iterator_traitsISK_E10value_typeEPNSQ_ISL_E10value_typeEPSM_NS1_7vsmem_tEENKUlT_SK_SL_SM_E_clISE_PiSF_SF_EESJ_SZ_SK_SL_SM_EUlSZ_E0_NS1_11comp_targetILNS1_3genE8ELNS1_11target_archE1030ELNS1_3gpuE2ELNS1_3repE0EEENS1_38merge_mergepath_config_static_selectorELNS0_4arch9wavefront6targetE0EEEvSL_
	.globl	_ZN7rocprim17ROCPRIM_400000_NS6detail17trampoline_kernelINS0_14default_configENS1_38merge_sort_block_merge_config_selectorIiNS0_10empty_typeEEEZZNS1_27merge_sort_block_merge_implIS3_N6thrust23THRUST_200600_302600_NS6detail15normal_iteratorINS9_10device_ptrIiEEEEPS5_jNS1_19radix_merge_compareILb0ELb0EiNS0_19identity_decomposerEEEEE10hipError_tT0_T1_T2_jT3_P12ihipStream_tbPNSt15iterator_traitsISK_E10value_typeEPNSQ_ISL_E10value_typeEPSM_NS1_7vsmem_tEENKUlT_SK_SL_SM_E_clISE_PiSF_SF_EESJ_SZ_SK_SL_SM_EUlSZ_E0_NS1_11comp_targetILNS1_3genE8ELNS1_11target_archE1030ELNS1_3gpuE2ELNS1_3repE0EEENS1_38merge_mergepath_config_static_selectorELNS0_4arch9wavefront6targetE0EEEvSL_
	.p2align	8
	.type	_ZN7rocprim17ROCPRIM_400000_NS6detail17trampoline_kernelINS0_14default_configENS1_38merge_sort_block_merge_config_selectorIiNS0_10empty_typeEEEZZNS1_27merge_sort_block_merge_implIS3_N6thrust23THRUST_200600_302600_NS6detail15normal_iteratorINS9_10device_ptrIiEEEEPS5_jNS1_19radix_merge_compareILb0ELb0EiNS0_19identity_decomposerEEEEE10hipError_tT0_T1_T2_jT3_P12ihipStream_tbPNSt15iterator_traitsISK_E10value_typeEPNSQ_ISL_E10value_typeEPSM_NS1_7vsmem_tEENKUlT_SK_SL_SM_E_clISE_PiSF_SF_EESJ_SZ_SK_SL_SM_EUlSZ_E0_NS1_11comp_targetILNS1_3genE8ELNS1_11target_archE1030ELNS1_3gpuE2ELNS1_3repE0EEENS1_38merge_mergepath_config_static_selectorELNS0_4arch9wavefront6targetE0EEEvSL_,@function
_ZN7rocprim17ROCPRIM_400000_NS6detail17trampoline_kernelINS0_14default_configENS1_38merge_sort_block_merge_config_selectorIiNS0_10empty_typeEEEZZNS1_27merge_sort_block_merge_implIS3_N6thrust23THRUST_200600_302600_NS6detail15normal_iteratorINS9_10device_ptrIiEEEEPS5_jNS1_19radix_merge_compareILb0ELb0EiNS0_19identity_decomposerEEEEE10hipError_tT0_T1_T2_jT3_P12ihipStream_tbPNSt15iterator_traitsISK_E10value_typeEPNSQ_ISL_E10value_typeEPSM_NS1_7vsmem_tEENKUlT_SK_SL_SM_E_clISE_PiSF_SF_EESJ_SZ_SK_SL_SM_EUlSZ_E0_NS1_11comp_targetILNS1_3genE8ELNS1_11target_archE1030ELNS1_3gpuE2ELNS1_3repE0EEENS1_38merge_mergepath_config_static_selectorELNS0_4arch9wavefront6targetE0EEEvSL_: ; @_ZN7rocprim17ROCPRIM_400000_NS6detail17trampoline_kernelINS0_14default_configENS1_38merge_sort_block_merge_config_selectorIiNS0_10empty_typeEEEZZNS1_27merge_sort_block_merge_implIS3_N6thrust23THRUST_200600_302600_NS6detail15normal_iteratorINS9_10device_ptrIiEEEEPS5_jNS1_19radix_merge_compareILb0ELb0EiNS0_19identity_decomposerEEEEE10hipError_tT0_T1_T2_jT3_P12ihipStream_tbPNSt15iterator_traitsISK_E10value_typeEPNSQ_ISL_E10value_typeEPSM_NS1_7vsmem_tEENKUlT_SK_SL_SM_E_clISE_PiSF_SF_EESJ_SZ_SK_SL_SM_EUlSZ_E0_NS1_11comp_targetILNS1_3genE8ELNS1_11target_archE1030ELNS1_3gpuE2ELNS1_3repE0EEENS1_38merge_mergepath_config_static_selectorELNS0_4arch9wavefront6targetE0EEEvSL_
; %bb.0:
	s_clause 0x1
	s_load_dwordx2 s[12:13], s[4:5], 0x40
	s_load_dword s1, s[4:5], 0x30
	s_add_u32 s2, s4, 64
	s_addc_u32 s3, s5, 0
	s_waitcnt lgkmcnt(0)
	s_mul_i32 s0, s13, s8
	s_add_i32 s0, s0, s7
	s_mul_i32 s0, s0, s12
	s_add_i32 s0, s0, s6
	s_cmp_ge_u32 s0, s1
	s_cbranch_scc1 .LBB58_27
; %bb.1:
	s_clause 0x2
	s_load_dwordx2 s[8:9], s[4:5], 0x28
	s_load_dwordx2 s[10:11], s[4:5], 0x38
	;; [unrolled: 1-line block ×3, first 2 shown]
	s_mov_b32 s1, 0
	v_mov_b32_e32 v2, 0
	s_mov_b32 s21, s1
                                        ; implicit-def: $vgpr5
	global_load_dword v1, v2, s[2:3] offset:14
	s_waitcnt lgkmcnt(0)
	s_lshr_b32 s22, s8, 10
	s_cmp_lg_u32 s0, s22
	s_cselect_b32 s7, -1, 0
	s_lshl_b64 s[14:15], s[0:1], 2
	s_add_u32 s10, s10, s14
	s_addc_u32 s11, s11, s15
	s_load_dwordx2 s[14:15], s[10:11], 0x0
	s_lshr_b32 s10, s9, 9
	s_and_b32 s10, s10, 0x7ffffe
	s_sub_i32 s11, 0, s10
	s_lshl_b32 s10, s0, 10
	s_and_b32 s13, s0, s11
	s_or_b32 s11, s0, s11
	s_lshl_b32 s16, s13, 11
	s_lshl_b32 s13, s13, 10
	s_add_i32 s16, s16, s9
	s_sub_i32 s17, s10, s13
	s_sub_i32 s13, s16, s13
	s_add_i32 s16, s16, s17
	s_min_u32 s17, s8, s13
	s_add_i32 s13, s13, s9
	s_waitcnt lgkmcnt(0)
	s_sub_i32 s9, s16, s14
	s_sub_i32 s16, s16, s15
	s_min_u32 s20, s8, s9
	s_addk_i32 s16, 0x400
	s_cmp_eq_u32 s11, -1
	s_cselect_b32 s9, s13, s16
	s_cselect_b32 s11, s17, s15
	s_mov_b32 s15, s1
	s_min_u32 s13, s9, s8
	s_lshl_b64 s[16:17], s[14:15], 2
	s_sub_i32 s9, s11, s14
	s_sub_i32 s11, s13, s20
	s_add_u32 s15, s18, s16
	s_addc_u32 s16, s19, s17
	s_lshl_b64 s[20:21], s[20:21], 2
	s_add_u32 s13, s18, s20
	s_addc_u32 s14, s19, s21
	s_cmp_lt_u32 s6, s12
	s_cselect_b32 s6, 12, 18
	s_add_u32 s2, s2, s6
	s_addc_u32 s3, s3, 0
	s_cmp_eq_u32 s0, s22
	global_load_ushort v3, v2, s[2:3]
	s_mov_b32 s0, -1
	s_waitcnt vmcnt(1)
	v_lshrrev_b32_e32 v4, 16, v1
	v_and_b32_e32 v1, 0xffff, v1
	v_mul_lo_u32 v1, v1, v4
                                        ; implicit-def: $vgpr4
	s_waitcnt vmcnt(0)
	v_mul_lo_u32 v7, v1, v3
	v_lshlrev_b32_e32 v3, 2, v0
                                        ; implicit-def: $vgpr1
	v_add_nc_u32_e32 v6, v7, v0
	s_cbranch_scc0 .LBB58_17
; %bb.2:
	s_andn2_b32 vcc_lo, exec_lo, s0
	s_cbranch_vccz .LBB58_18
.LBB58_3:
	v_mov_b32_e32 v2, 0
	s_and_saveexec_b32 s2, s1
	s_cbranch_execz .LBB58_5
.LBB58_4:
	v_mov_b32_e32 v7, 0
	v_mov_b32_e32 v2, v7
	v_lshlrev_b64 v[8:9], 2, v[1:2]
	v_add_co_u32 v8, vcc_lo, s15, v8
	v_add_co_ci_u32_e64 v9, null, s16, v9, vcc_lo
	v_sub_co_u32 v6, vcc_lo, v1, s9
	v_lshlrev_b64 v[1:2], 2, v[6:7]
	v_add_co_u32 v1, s0, s13, v1
	v_add_co_ci_u32_e64 v2, null, s14, v2, s0
	v_cndmask_b32_e32 v1, v1, v8, vcc_lo
	v_cndmask_b32_e32 v2, v2, v9, vcc_lo
	global_load_dword v2, v[1:2], off
.LBB58_5:
	s_or_b32 exec_lo, exec_lo, s2
	s_load_dwordx2 s[4:5], s[4:5], 0x10
	v_lshlrev_b32_e32 v1, 1, v0
	s_mov_b32 s0, exec_lo
	s_waitcnt vmcnt(0)
	ds_write2st64_b32 v3, v4, v2 offset1:8
	s_waitcnt lgkmcnt(0)
	s_barrier
	v_min_u32_e32 v7, v5, v1
	buffer_gl0_inv
	v_sub_nc_u32_e64 v6, v7, s11 clamp
	v_min_u32_e32 v8, s9, v7
	v_cmpx_lt_u32_e64 v6, v8
	s_cbranch_execz .LBB58_9
; %bb.6:
	v_lshlrev_b32_e32 v9, 2, v7
	s_mov_b32 s1, 0
	v_lshl_add_u32 v9, s9, 2, v9
	.p2align	6
.LBB58_7:                               ; =>This Inner Loop Header: Depth=1
	v_add_nc_u32_e32 v10, v8, v6
	v_lshrrev_b32_e32 v10, 1, v10
	v_not_b32_e32 v11, v10
	v_lshlrev_b32_e32 v12, 2, v10
	v_add_nc_u32_e32 v13, 1, v10
	v_lshl_add_u32 v11, v11, 2, v9
	ds_read_b32 v12, v12
	ds_read_b32 v11, v11
	s_waitcnt lgkmcnt(0)
	v_cmp_gt_i32_e32 vcc_lo, v12, v11
	v_cndmask_b32_e32 v8, v8, v10, vcc_lo
	v_cndmask_b32_e32 v6, v13, v6, vcc_lo
	v_cmp_ge_u32_e32 vcc_lo, v6, v8
	s_or_b32 s1, vcc_lo, s1
	s_andn2_b32 exec_lo, exec_lo, s1
	s_cbranch_execnz .LBB58_7
; %bb.8:
	s_or_b32 exec_lo, exec_lo, s1
.LBB58_9:
	s_or_b32 exec_lo, exec_lo, s0
	v_sub_nc_u32_e32 v7, v7, v6
	v_cmp_ge_u32_e32 vcc_lo, s9, v6
	v_add_nc_u32_e32 v7, s9, v7
	v_cmp_le_u32_e64 s0, v7, v5
	s_or_b32 s0, vcc_lo, s0
	s_and_saveexec_b32 s3, s0
	s_cbranch_execz .LBB58_15
; %bb.10:
	v_cmp_gt_u32_e32 vcc_lo, s9, v6
                                        ; implicit-def: $vgpr2
	s_and_saveexec_b32 s0, vcc_lo
; %bb.11:
	v_lshlrev_b32_e32 v2, 2, v6
	ds_read_b32 v2, v2
; %bb.12:
	s_or_b32 exec_lo, exec_lo, s0
	v_cmp_ge_u32_e64 s0, v7, v5
	s_mov_b32 s2, exec_lo
                                        ; implicit-def: $vgpr4
	v_cmpx_lt_u32_e64 v7, v5
; %bb.13:
	v_lshlrev_b32_e32 v4, 2, v7
	ds_read_b32 v4, v4
; %bb.14:
	s_or_b32 exec_lo, exec_lo, s2
	s_waitcnt lgkmcnt(0)
	v_cmp_le_i32_e64 s1, v2, v4
	s_and_b32 s1, vcc_lo, s1
	s_or_b32 vcc_lo, s0, s1
	v_cndmask_b32_e32 v8, v7, v6, vcc_lo
	v_cndmask_b32_e64 v9, v5, s9, vcc_lo
	v_add_nc_u32_e32 v8, 1, v8
	v_add_nc_u32_e32 v9, -1, v9
	v_cndmask_b32_e32 v6, v6, v8, vcc_lo
	v_min_u32_e32 v9, v8, v9
	v_cndmask_b32_e32 v7, v8, v7, vcc_lo
	v_cmp_gt_u32_e64 s0, s9, v6
	v_lshlrev_b32_e32 v9, 2, v9
	v_cmp_ge_u32_e64 s2, v7, v5
	ds_read_b32 v9, v9
	s_waitcnt lgkmcnt(0)
	v_cndmask_b32_e32 v10, v9, v4, vcc_lo
	v_cndmask_b32_e32 v9, v2, v9, vcc_lo
	;; [unrolled: 1-line block ×3, first 2 shown]
	v_cmp_le_i32_e64 s1, v9, v10
	s_and_b32 s0, s0, s1
	s_or_b32 vcc_lo, s2, s0
	v_cndmask_b32_e32 v2, v10, v9, vcc_lo
.LBB58_15:
	s_or_b32 exec_lo, exec_lo, s3
	v_lshrrev_b32_e32 v6, 2, v0
	v_or_b32_e32 v5, 0x200, v0
	v_lshrrev_b32_e32 v7, 3, v0
	s_mov_b32 s11, 0
	v_and_b32_e32 v6, 0x7c, v6
	v_lshrrev_b32_e32 v8, 3, v5
	s_lshl_b64 s[0:1], s[10:11], 2
	s_barrier
	s_add_u32 s0, s4, s0
	v_lshl_add_u32 v1, v1, 2, v6
	v_and_b32_e32 v6, 60, v7
	v_and_b32_e32 v7, 0x7c, v8
	buffer_gl0_inv
	s_barrier
	buffer_gl0_inv
	s_addc_u32 s1, s5, s1
	ds_write2_b32 v1, v4, v2 offset1:1
	v_add_co_u32 v1, s0, s0, v3
	v_add_nc_u32_e32 v4, v6, v3
	v_add_nc_u32_e32 v6, v7, v3
	v_add_co_ci_u32_e64 v2, null, s1, 0, s0
	s_and_b32 vcc_lo, exec_lo, s7
	s_waitcnt lgkmcnt(0)
	s_cbranch_vccz .LBB58_21
; %bb.16:
	s_barrier
	buffer_gl0_inv
	ds_read_b32 v7, v4
	ds_read_b32 v3, v6 offset:2048
	s_mov_b32 s11, -1
	s_waitcnt lgkmcnt(1)
	global_store_dword v[1:2], v7, off
	s_cbranch_execz .LBB58_22
	s_branch .LBB58_25
.LBB58_17:
	v_sub_co_u32 v1, vcc_lo, v0, s9
	v_add_co_u32 v4, s0, s15, v3
	v_add_co_ci_u32_e64 v5, null, s16, 0, s0
	v_lshlrev_b64 v[1:2], 2, v[1:2]
	s_mov_b32 s1, -1
	v_add_co_u32 v1, s0, s13, v1
	v_add_co_ci_u32_e64 v2, null, s14, v2, s0
	s_add_i32 s0, s11, s9
	v_cndmask_b32_e32 v1, v1, v4, vcc_lo
	v_cndmask_b32_e32 v2, v2, v5, vcc_lo
	v_mov_b32_e32 v5, s0
	global_load_dword v4, v[1:2], off
	v_add_nc_u32_e32 v1, v7, v0
	s_cbranch_execnz .LBB58_3
.LBB58_18:
	s_waitcnt vmcnt(0)
	v_mov_b32_e32 v4, 0
	s_add_i32 s2, s11, s9
	s_mov_b32 s1, exec_lo
	v_cmpx_gt_u32_e64 s2, v0
	s_cbranch_execz .LBB58_20
; %bb.19:
	v_sub_co_u32 v1, vcc_lo, v0, s9
	v_mov_b32_e32 v2, 0
	v_add_co_u32 v4, s0, s15, v3
	v_add_co_ci_u32_e64 v5, null, s16, 0, s0
	v_lshlrev_b64 v[1:2], 2, v[1:2]
	v_add_co_u32 v1, s0, s13, v1
	v_add_co_ci_u32_e64 v2, null, s14, v2, s0
	v_cndmask_b32_e32 v1, v1, v4, vcc_lo
	v_cndmask_b32_e32 v2, v2, v5, vcc_lo
	global_load_dword v4, v[1:2], off
.LBB58_20:
	s_or_b32 exec_lo, exec_lo, s1
	v_cmp_gt_u32_e64 s1, s2, v6
	v_mov_b32_e32 v5, s2
	v_mov_b32_e32 v1, v6
	;; [unrolled: 1-line block ×3, first 2 shown]
	s_and_saveexec_b32 s2, s1
	s_cbranch_execnz .LBB58_4
	s_branch .LBB58_5
.LBB58_21:
                                        ; implicit-def: $vgpr3
.LBB58_22:
	s_barrier
	s_waitcnt lgkmcnt(0)
	s_waitcnt_vscnt null, 0x0
	buffer_gl0_inv
	ds_read_b32 v3, v6 offset:2048
	s_sub_i32 s0, s8, s10
	s_mov_b32 s1, exec_lo
	v_cmpx_gt_u32_e64 s0, v0
	s_cbranch_execz .LBB58_24
; %bb.23:
	ds_read_b32 v0, v4
	s_waitcnt lgkmcnt(0)
	global_store_dword v[1:2], v0, off
.LBB58_24:
	s_or_b32 exec_lo, exec_lo, s1
	v_cmp_gt_u32_e64 s11, s0, v5
.LBB58_25:
	s_and_saveexec_b32 s0, s11
	s_cbranch_execz .LBB58_27
; %bb.26:
	v_add_co_u32 v0, vcc_lo, 0x800, v1
	v_add_co_ci_u32_e64 v1, null, 0, v2, vcc_lo
	s_waitcnt lgkmcnt(0)
	global_store_dword v[0:1], v3, off
.LBB58_27:
	s_endpgm
	.section	.rodata,"a",@progbits
	.p2align	6, 0x0
	.amdhsa_kernel _ZN7rocprim17ROCPRIM_400000_NS6detail17trampoline_kernelINS0_14default_configENS1_38merge_sort_block_merge_config_selectorIiNS0_10empty_typeEEEZZNS1_27merge_sort_block_merge_implIS3_N6thrust23THRUST_200600_302600_NS6detail15normal_iteratorINS9_10device_ptrIiEEEEPS5_jNS1_19radix_merge_compareILb0ELb0EiNS0_19identity_decomposerEEEEE10hipError_tT0_T1_T2_jT3_P12ihipStream_tbPNSt15iterator_traitsISK_E10value_typeEPNSQ_ISL_E10value_typeEPSM_NS1_7vsmem_tEENKUlT_SK_SL_SM_E_clISE_PiSF_SF_EESJ_SZ_SK_SL_SM_EUlSZ_E0_NS1_11comp_targetILNS1_3genE8ELNS1_11target_archE1030ELNS1_3gpuE2ELNS1_3repE0EEENS1_38merge_mergepath_config_static_selectorELNS0_4arch9wavefront6targetE0EEEvSL_
		.amdhsa_group_segment_fixed_size 4224
		.amdhsa_private_segment_fixed_size 0
		.amdhsa_kernarg_size 320
		.amdhsa_user_sgpr_count 6
		.amdhsa_user_sgpr_private_segment_buffer 1
		.amdhsa_user_sgpr_dispatch_ptr 0
		.amdhsa_user_sgpr_queue_ptr 0
		.amdhsa_user_sgpr_kernarg_segment_ptr 1
		.amdhsa_user_sgpr_dispatch_id 0
		.amdhsa_user_sgpr_flat_scratch_init 0
		.amdhsa_user_sgpr_private_segment_size 0
		.amdhsa_wavefront_size32 1
		.amdhsa_uses_dynamic_stack 0
		.amdhsa_system_sgpr_private_segment_wavefront_offset 0
		.amdhsa_system_sgpr_workgroup_id_x 1
		.amdhsa_system_sgpr_workgroup_id_y 1
		.amdhsa_system_sgpr_workgroup_id_z 1
		.amdhsa_system_sgpr_workgroup_info 0
		.amdhsa_system_vgpr_workitem_id 0
		.amdhsa_next_free_vgpr 14
		.amdhsa_next_free_sgpr 23
		.amdhsa_reserve_vcc 1
		.amdhsa_reserve_flat_scratch 0
		.amdhsa_float_round_mode_32 0
		.amdhsa_float_round_mode_16_64 0
		.amdhsa_float_denorm_mode_32 3
		.amdhsa_float_denorm_mode_16_64 3
		.amdhsa_dx10_clamp 1
		.amdhsa_ieee_mode 1
		.amdhsa_fp16_overflow 0
		.amdhsa_workgroup_processor_mode 1
		.amdhsa_memory_ordered 1
		.amdhsa_forward_progress 1
		.amdhsa_shared_vgpr_count 0
		.amdhsa_exception_fp_ieee_invalid_op 0
		.amdhsa_exception_fp_denorm_src 0
		.amdhsa_exception_fp_ieee_div_zero 0
		.amdhsa_exception_fp_ieee_overflow 0
		.amdhsa_exception_fp_ieee_underflow 0
		.amdhsa_exception_fp_ieee_inexact 0
		.amdhsa_exception_int_div_zero 0
	.end_amdhsa_kernel
	.section	.text._ZN7rocprim17ROCPRIM_400000_NS6detail17trampoline_kernelINS0_14default_configENS1_38merge_sort_block_merge_config_selectorIiNS0_10empty_typeEEEZZNS1_27merge_sort_block_merge_implIS3_N6thrust23THRUST_200600_302600_NS6detail15normal_iteratorINS9_10device_ptrIiEEEEPS5_jNS1_19radix_merge_compareILb0ELb0EiNS0_19identity_decomposerEEEEE10hipError_tT0_T1_T2_jT3_P12ihipStream_tbPNSt15iterator_traitsISK_E10value_typeEPNSQ_ISL_E10value_typeEPSM_NS1_7vsmem_tEENKUlT_SK_SL_SM_E_clISE_PiSF_SF_EESJ_SZ_SK_SL_SM_EUlSZ_E0_NS1_11comp_targetILNS1_3genE8ELNS1_11target_archE1030ELNS1_3gpuE2ELNS1_3repE0EEENS1_38merge_mergepath_config_static_selectorELNS0_4arch9wavefront6targetE0EEEvSL_,"axG",@progbits,_ZN7rocprim17ROCPRIM_400000_NS6detail17trampoline_kernelINS0_14default_configENS1_38merge_sort_block_merge_config_selectorIiNS0_10empty_typeEEEZZNS1_27merge_sort_block_merge_implIS3_N6thrust23THRUST_200600_302600_NS6detail15normal_iteratorINS9_10device_ptrIiEEEEPS5_jNS1_19radix_merge_compareILb0ELb0EiNS0_19identity_decomposerEEEEE10hipError_tT0_T1_T2_jT3_P12ihipStream_tbPNSt15iterator_traitsISK_E10value_typeEPNSQ_ISL_E10value_typeEPSM_NS1_7vsmem_tEENKUlT_SK_SL_SM_E_clISE_PiSF_SF_EESJ_SZ_SK_SL_SM_EUlSZ_E0_NS1_11comp_targetILNS1_3genE8ELNS1_11target_archE1030ELNS1_3gpuE2ELNS1_3repE0EEENS1_38merge_mergepath_config_static_selectorELNS0_4arch9wavefront6targetE0EEEvSL_,comdat
.Lfunc_end58:
	.size	_ZN7rocprim17ROCPRIM_400000_NS6detail17trampoline_kernelINS0_14default_configENS1_38merge_sort_block_merge_config_selectorIiNS0_10empty_typeEEEZZNS1_27merge_sort_block_merge_implIS3_N6thrust23THRUST_200600_302600_NS6detail15normal_iteratorINS9_10device_ptrIiEEEEPS5_jNS1_19radix_merge_compareILb0ELb0EiNS0_19identity_decomposerEEEEE10hipError_tT0_T1_T2_jT3_P12ihipStream_tbPNSt15iterator_traitsISK_E10value_typeEPNSQ_ISL_E10value_typeEPSM_NS1_7vsmem_tEENKUlT_SK_SL_SM_E_clISE_PiSF_SF_EESJ_SZ_SK_SL_SM_EUlSZ_E0_NS1_11comp_targetILNS1_3genE8ELNS1_11target_archE1030ELNS1_3gpuE2ELNS1_3repE0EEENS1_38merge_mergepath_config_static_selectorELNS0_4arch9wavefront6targetE0EEEvSL_, .Lfunc_end58-_ZN7rocprim17ROCPRIM_400000_NS6detail17trampoline_kernelINS0_14default_configENS1_38merge_sort_block_merge_config_selectorIiNS0_10empty_typeEEEZZNS1_27merge_sort_block_merge_implIS3_N6thrust23THRUST_200600_302600_NS6detail15normal_iteratorINS9_10device_ptrIiEEEEPS5_jNS1_19radix_merge_compareILb0ELb0EiNS0_19identity_decomposerEEEEE10hipError_tT0_T1_T2_jT3_P12ihipStream_tbPNSt15iterator_traitsISK_E10value_typeEPNSQ_ISL_E10value_typeEPSM_NS1_7vsmem_tEENKUlT_SK_SL_SM_E_clISE_PiSF_SF_EESJ_SZ_SK_SL_SM_EUlSZ_E0_NS1_11comp_targetILNS1_3genE8ELNS1_11target_archE1030ELNS1_3gpuE2ELNS1_3repE0EEENS1_38merge_mergepath_config_static_selectorELNS0_4arch9wavefront6targetE0EEEvSL_
                                        ; -- End function
	.set _ZN7rocprim17ROCPRIM_400000_NS6detail17trampoline_kernelINS0_14default_configENS1_38merge_sort_block_merge_config_selectorIiNS0_10empty_typeEEEZZNS1_27merge_sort_block_merge_implIS3_N6thrust23THRUST_200600_302600_NS6detail15normal_iteratorINS9_10device_ptrIiEEEEPS5_jNS1_19radix_merge_compareILb0ELb0EiNS0_19identity_decomposerEEEEE10hipError_tT0_T1_T2_jT3_P12ihipStream_tbPNSt15iterator_traitsISK_E10value_typeEPNSQ_ISL_E10value_typeEPSM_NS1_7vsmem_tEENKUlT_SK_SL_SM_E_clISE_PiSF_SF_EESJ_SZ_SK_SL_SM_EUlSZ_E0_NS1_11comp_targetILNS1_3genE8ELNS1_11target_archE1030ELNS1_3gpuE2ELNS1_3repE0EEENS1_38merge_mergepath_config_static_selectorELNS0_4arch9wavefront6targetE0EEEvSL_.num_vgpr, 14
	.set _ZN7rocprim17ROCPRIM_400000_NS6detail17trampoline_kernelINS0_14default_configENS1_38merge_sort_block_merge_config_selectorIiNS0_10empty_typeEEEZZNS1_27merge_sort_block_merge_implIS3_N6thrust23THRUST_200600_302600_NS6detail15normal_iteratorINS9_10device_ptrIiEEEEPS5_jNS1_19radix_merge_compareILb0ELb0EiNS0_19identity_decomposerEEEEE10hipError_tT0_T1_T2_jT3_P12ihipStream_tbPNSt15iterator_traitsISK_E10value_typeEPNSQ_ISL_E10value_typeEPSM_NS1_7vsmem_tEENKUlT_SK_SL_SM_E_clISE_PiSF_SF_EESJ_SZ_SK_SL_SM_EUlSZ_E0_NS1_11comp_targetILNS1_3genE8ELNS1_11target_archE1030ELNS1_3gpuE2ELNS1_3repE0EEENS1_38merge_mergepath_config_static_selectorELNS0_4arch9wavefront6targetE0EEEvSL_.num_agpr, 0
	.set _ZN7rocprim17ROCPRIM_400000_NS6detail17trampoline_kernelINS0_14default_configENS1_38merge_sort_block_merge_config_selectorIiNS0_10empty_typeEEEZZNS1_27merge_sort_block_merge_implIS3_N6thrust23THRUST_200600_302600_NS6detail15normal_iteratorINS9_10device_ptrIiEEEEPS5_jNS1_19radix_merge_compareILb0ELb0EiNS0_19identity_decomposerEEEEE10hipError_tT0_T1_T2_jT3_P12ihipStream_tbPNSt15iterator_traitsISK_E10value_typeEPNSQ_ISL_E10value_typeEPSM_NS1_7vsmem_tEENKUlT_SK_SL_SM_E_clISE_PiSF_SF_EESJ_SZ_SK_SL_SM_EUlSZ_E0_NS1_11comp_targetILNS1_3genE8ELNS1_11target_archE1030ELNS1_3gpuE2ELNS1_3repE0EEENS1_38merge_mergepath_config_static_selectorELNS0_4arch9wavefront6targetE0EEEvSL_.numbered_sgpr, 23
	.set _ZN7rocprim17ROCPRIM_400000_NS6detail17trampoline_kernelINS0_14default_configENS1_38merge_sort_block_merge_config_selectorIiNS0_10empty_typeEEEZZNS1_27merge_sort_block_merge_implIS3_N6thrust23THRUST_200600_302600_NS6detail15normal_iteratorINS9_10device_ptrIiEEEEPS5_jNS1_19radix_merge_compareILb0ELb0EiNS0_19identity_decomposerEEEEE10hipError_tT0_T1_T2_jT3_P12ihipStream_tbPNSt15iterator_traitsISK_E10value_typeEPNSQ_ISL_E10value_typeEPSM_NS1_7vsmem_tEENKUlT_SK_SL_SM_E_clISE_PiSF_SF_EESJ_SZ_SK_SL_SM_EUlSZ_E0_NS1_11comp_targetILNS1_3genE8ELNS1_11target_archE1030ELNS1_3gpuE2ELNS1_3repE0EEENS1_38merge_mergepath_config_static_selectorELNS0_4arch9wavefront6targetE0EEEvSL_.num_named_barrier, 0
	.set _ZN7rocprim17ROCPRIM_400000_NS6detail17trampoline_kernelINS0_14default_configENS1_38merge_sort_block_merge_config_selectorIiNS0_10empty_typeEEEZZNS1_27merge_sort_block_merge_implIS3_N6thrust23THRUST_200600_302600_NS6detail15normal_iteratorINS9_10device_ptrIiEEEEPS5_jNS1_19radix_merge_compareILb0ELb0EiNS0_19identity_decomposerEEEEE10hipError_tT0_T1_T2_jT3_P12ihipStream_tbPNSt15iterator_traitsISK_E10value_typeEPNSQ_ISL_E10value_typeEPSM_NS1_7vsmem_tEENKUlT_SK_SL_SM_E_clISE_PiSF_SF_EESJ_SZ_SK_SL_SM_EUlSZ_E0_NS1_11comp_targetILNS1_3genE8ELNS1_11target_archE1030ELNS1_3gpuE2ELNS1_3repE0EEENS1_38merge_mergepath_config_static_selectorELNS0_4arch9wavefront6targetE0EEEvSL_.private_seg_size, 0
	.set _ZN7rocprim17ROCPRIM_400000_NS6detail17trampoline_kernelINS0_14default_configENS1_38merge_sort_block_merge_config_selectorIiNS0_10empty_typeEEEZZNS1_27merge_sort_block_merge_implIS3_N6thrust23THRUST_200600_302600_NS6detail15normal_iteratorINS9_10device_ptrIiEEEEPS5_jNS1_19radix_merge_compareILb0ELb0EiNS0_19identity_decomposerEEEEE10hipError_tT0_T1_T2_jT3_P12ihipStream_tbPNSt15iterator_traitsISK_E10value_typeEPNSQ_ISL_E10value_typeEPSM_NS1_7vsmem_tEENKUlT_SK_SL_SM_E_clISE_PiSF_SF_EESJ_SZ_SK_SL_SM_EUlSZ_E0_NS1_11comp_targetILNS1_3genE8ELNS1_11target_archE1030ELNS1_3gpuE2ELNS1_3repE0EEENS1_38merge_mergepath_config_static_selectorELNS0_4arch9wavefront6targetE0EEEvSL_.uses_vcc, 1
	.set _ZN7rocprim17ROCPRIM_400000_NS6detail17trampoline_kernelINS0_14default_configENS1_38merge_sort_block_merge_config_selectorIiNS0_10empty_typeEEEZZNS1_27merge_sort_block_merge_implIS3_N6thrust23THRUST_200600_302600_NS6detail15normal_iteratorINS9_10device_ptrIiEEEEPS5_jNS1_19radix_merge_compareILb0ELb0EiNS0_19identity_decomposerEEEEE10hipError_tT0_T1_T2_jT3_P12ihipStream_tbPNSt15iterator_traitsISK_E10value_typeEPNSQ_ISL_E10value_typeEPSM_NS1_7vsmem_tEENKUlT_SK_SL_SM_E_clISE_PiSF_SF_EESJ_SZ_SK_SL_SM_EUlSZ_E0_NS1_11comp_targetILNS1_3genE8ELNS1_11target_archE1030ELNS1_3gpuE2ELNS1_3repE0EEENS1_38merge_mergepath_config_static_selectorELNS0_4arch9wavefront6targetE0EEEvSL_.uses_flat_scratch, 0
	.set _ZN7rocprim17ROCPRIM_400000_NS6detail17trampoline_kernelINS0_14default_configENS1_38merge_sort_block_merge_config_selectorIiNS0_10empty_typeEEEZZNS1_27merge_sort_block_merge_implIS3_N6thrust23THRUST_200600_302600_NS6detail15normal_iteratorINS9_10device_ptrIiEEEEPS5_jNS1_19radix_merge_compareILb0ELb0EiNS0_19identity_decomposerEEEEE10hipError_tT0_T1_T2_jT3_P12ihipStream_tbPNSt15iterator_traitsISK_E10value_typeEPNSQ_ISL_E10value_typeEPSM_NS1_7vsmem_tEENKUlT_SK_SL_SM_E_clISE_PiSF_SF_EESJ_SZ_SK_SL_SM_EUlSZ_E0_NS1_11comp_targetILNS1_3genE8ELNS1_11target_archE1030ELNS1_3gpuE2ELNS1_3repE0EEENS1_38merge_mergepath_config_static_selectorELNS0_4arch9wavefront6targetE0EEEvSL_.has_dyn_sized_stack, 0
	.set _ZN7rocprim17ROCPRIM_400000_NS6detail17trampoline_kernelINS0_14default_configENS1_38merge_sort_block_merge_config_selectorIiNS0_10empty_typeEEEZZNS1_27merge_sort_block_merge_implIS3_N6thrust23THRUST_200600_302600_NS6detail15normal_iteratorINS9_10device_ptrIiEEEEPS5_jNS1_19radix_merge_compareILb0ELb0EiNS0_19identity_decomposerEEEEE10hipError_tT0_T1_T2_jT3_P12ihipStream_tbPNSt15iterator_traitsISK_E10value_typeEPNSQ_ISL_E10value_typeEPSM_NS1_7vsmem_tEENKUlT_SK_SL_SM_E_clISE_PiSF_SF_EESJ_SZ_SK_SL_SM_EUlSZ_E0_NS1_11comp_targetILNS1_3genE8ELNS1_11target_archE1030ELNS1_3gpuE2ELNS1_3repE0EEENS1_38merge_mergepath_config_static_selectorELNS0_4arch9wavefront6targetE0EEEvSL_.has_recursion, 0
	.set _ZN7rocprim17ROCPRIM_400000_NS6detail17trampoline_kernelINS0_14default_configENS1_38merge_sort_block_merge_config_selectorIiNS0_10empty_typeEEEZZNS1_27merge_sort_block_merge_implIS3_N6thrust23THRUST_200600_302600_NS6detail15normal_iteratorINS9_10device_ptrIiEEEEPS5_jNS1_19radix_merge_compareILb0ELb0EiNS0_19identity_decomposerEEEEE10hipError_tT0_T1_T2_jT3_P12ihipStream_tbPNSt15iterator_traitsISK_E10value_typeEPNSQ_ISL_E10value_typeEPSM_NS1_7vsmem_tEENKUlT_SK_SL_SM_E_clISE_PiSF_SF_EESJ_SZ_SK_SL_SM_EUlSZ_E0_NS1_11comp_targetILNS1_3genE8ELNS1_11target_archE1030ELNS1_3gpuE2ELNS1_3repE0EEENS1_38merge_mergepath_config_static_selectorELNS0_4arch9wavefront6targetE0EEEvSL_.has_indirect_call, 0
	.section	.AMDGPU.csdata,"",@progbits
; Kernel info:
; codeLenInByte = 1396
; TotalNumSgprs: 25
; NumVgprs: 14
; ScratchSize: 0
; MemoryBound: 0
; FloatMode: 240
; IeeeMode: 1
; LDSByteSize: 4224 bytes/workgroup (compile time only)
; SGPRBlocks: 0
; VGPRBlocks: 1
; NumSGPRsForWavesPerEU: 25
; NumVGPRsForWavesPerEU: 14
; Occupancy: 16
; WaveLimiterHint : 1
; COMPUTE_PGM_RSRC2:SCRATCH_EN: 0
; COMPUTE_PGM_RSRC2:USER_SGPR: 6
; COMPUTE_PGM_RSRC2:TRAP_HANDLER: 0
; COMPUTE_PGM_RSRC2:TGID_X_EN: 1
; COMPUTE_PGM_RSRC2:TGID_Y_EN: 1
; COMPUTE_PGM_RSRC2:TGID_Z_EN: 1
; COMPUTE_PGM_RSRC2:TIDIG_COMP_CNT: 0
	.section	.text._ZN7rocprim17ROCPRIM_400000_NS6detail17trampoline_kernelINS0_14default_configENS1_38merge_sort_block_merge_config_selectorIiNS0_10empty_typeEEEZZNS1_27merge_sort_block_merge_implIS3_N6thrust23THRUST_200600_302600_NS6detail15normal_iteratorINS9_10device_ptrIiEEEEPS5_jNS1_19radix_merge_compareILb0ELb0EiNS0_19identity_decomposerEEEEE10hipError_tT0_T1_T2_jT3_P12ihipStream_tbPNSt15iterator_traitsISK_E10value_typeEPNSQ_ISL_E10value_typeEPSM_NS1_7vsmem_tEENKUlT_SK_SL_SM_E_clISE_PiSF_SF_EESJ_SZ_SK_SL_SM_EUlSZ_E1_NS1_11comp_targetILNS1_3genE0ELNS1_11target_archE4294967295ELNS1_3gpuE0ELNS1_3repE0EEENS1_36merge_oddeven_config_static_selectorELNS0_4arch9wavefront6targetE0EEEvSL_,"axG",@progbits,_ZN7rocprim17ROCPRIM_400000_NS6detail17trampoline_kernelINS0_14default_configENS1_38merge_sort_block_merge_config_selectorIiNS0_10empty_typeEEEZZNS1_27merge_sort_block_merge_implIS3_N6thrust23THRUST_200600_302600_NS6detail15normal_iteratorINS9_10device_ptrIiEEEEPS5_jNS1_19radix_merge_compareILb0ELb0EiNS0_19identity_decomposerEEEEE10hipError_tT0_T1_T2_jT3_P12ihipStream_tbPNSt15iterator_traitsISK_E10value_typeEPNSQ_ISL_E10value_typeEPSM_NS1_7vsmem_tEENKUlT_SK_SL_SM_E_clISE_PiSF_SF_EESJ_SZ_SK_SL_SM_EUlSZ_E1_NS1_11comp_targetILNS1_3genE0ELNS1_11target_archE4294967295ELNS1_3gpuE0ELNS1_3repE0EEENS1_36merge_oddeven_config_static_selectorELNS0_4arch9wavefront6targetE0EEEvSL_,comdat
	.protected	_ZN7rocprim17ROCPRIM_400000_NS6detail17trampoline_kernelINS0_14default_configENS1_38merge_sort_block_merge_config_selectorIiNS0_10empty_typeEEEZZNS1_27merge_sort_block_merge_implIS3_N6thrust23THRUST_200600_302600_NS6detail15normal_iteratorINS9_10device_ptrIiEEEEPS5_jNS1_19radix_merge_compareILb0ELb0EiNS0_19identity_decomposerEEEEE10hipError_tT0_T1_T2_jT3_P12ihipStream_tbPNSt15iterator_traitsISK_E10value_typeEPNSQ_ISL_E10value_typeEPSM_NS1_7vsmem_tEENKUlT_SK_SL_SM_E_clISE_PiSF_SF_EESJ_SZ_SK_SL_SM_EUlSZ_E1_NS1_11comp_targetILNS1_3genE0ELNS1_11target_archE4294967295ELNS1_3gpuE0ELNS1_3repE0EEENS1_36merge_oddeven_config_static_selectorELNS0_4arch9wavefront6targetE0EEEvSL_ ; -- Begin function _ZN7rocprim17ROCPRIM_400000_NS6detail17trampoline_kernelINS0_14default_configENS1_38merge_sort_block_merge_config_selectorIiNS0_10empty_typeEEEZZNS1_27merge_sort_block_merge_implIS3_N6thrust23THRUST_200600_302600_NS6detail15normal_iteratorINS9_10device_ptrIiEEEEPS5_jNS1_19radix_merge_compareILb0ELb0EiNS0_19identity_decomposerEEEEE10hipError_tT0_T1_T2_jT3_P12ihipStream_tbPNSt15iterator_traitsISK_E10value_typeEPNSQ_ISL_E10value_typeEPSM_NS1_7vsmem_tEENKUlT_SK_SL_SM_E_clISE_PiSF_SF_EESJ_SZ_SK_SL_SM_EUlSZ_E1_NS1_11comp_targetILNS1_3genE0ELNS1_11target_archE4294967295ELNS1_3gpuE0ELNS1_3repE0EEENS1_36merge_oddeven_config_static_selectorELNS0_4arch9wavefront6targetE0EEEvSL_
	.globl	_ZN7rocprim17ROCPRIM_400000_NS6detail17trampoline_kernelINS0_14default_configENS1_38merge_sort_block_merge_config_selectorIiNS0_10empty_typeEEEZZNS1_27merge_sort_block_merge_implIS3_N6thrust23THRUST_200600_302600_NS6detail15normal_iteratorINS9_10device_ptrIiEEEEPS5_jNS1_19radix_merge_compareILb0ELb0EiNS0_19identity_decomposerEEEEE10hipError_tT0_T1_T2_jT3_P12ihipStream_tbPNSt15iterator_traitsISK_E10value_typeEPNSQ_ISL_E10value_typeEPSM_NS1_7vsmem_tEENKUlT_SK_SL_SM_E_clISE_PiSF_SF_EESJ_SZ_SK_SL_SM_EUlSZ_E1_NS1_11comp_targetILNS1_3genE0ELNS1_11target_archE4294967295ELNS1_3gpuE0ELNS1_3repE0EEENS1_36merge_oddeven_config_static_selectorELNS0_4arch9wavefront6targetE0EEEvSL_
	.p2align	8
	.type	_ZN7rocprim17ROCPRIM_400000_NS6detail17trampoline_kernelINS0_14default_configENS1_38merge_sort_block_merge_config_selectorIiNS0_10empty_typeEEEZZNS1_27merge_sort_block_merge_implIS3_N6thrust23THRUST_200600_302600_NS6detail15normal_iteratorINS9_10device_ptrIiEEEEPS5_jNS1_19radix_merge_compareILb0ELb0EiNS0_19identity_decomposerEEEEE10hipError_tT0_T1_T2_jT3_P12ihipStream_tbPNSt15iterator_traitsISK_E10value_typeEPNSQ_ISL_E10value_typeEPSM_NS1_7vsmem_tEENKUlT_SK_SL_SM_E_clISE_PiSF_SF_EESJ_SZ_SK_SL_SM_EUlSZ_E1_NS1_11comp_targetILNS1_3genE0ELNS1_11target_archE4294967295ELNS1_3gpuE0ELNS1_3repE0EEENS1_36merge_oddeven_config_static_selectorELNS0_4arch9wavefront6targetE0EEEvSL_,@function
_ZN7rocprim17ROCPRIM_400000_NS6detail17trampoline_kernelINS0_14default_configENS1_38merge_sort_block_merge_config_selectorIiNS0_10empty_typeEEEZZNS1_27merge_sort_block_merge_implIS3_N6thrust23THRUST_200600_302600_NS6detail15normal_iteratorINS9_10device_ptrIiEEEEPS5_jNS1_19radix_merge_compareILb0ELb0EiNS0_19identity_decomposerEEEEE10hipError_tT0_T1_T2_jT3_P12ihipStream_tbPNSt15iterator_traitsISK_E10value_typeEPNSQ_ISL_E10value_typeEPSM_NS1_7vsmem_tEENKUlT_SK_SL_SM_E_clISE_PiSF_SF_EESJ_SZ_SK_SL_SM_EUlSZ_E1_NS1_11comp_targetILNS1_3genE0ELNS1_11target_archE4294967295ELNS1_3gpuE0ELNS1_3repE0EEENS1_36merge_oddeven_config_static_selectorELNS0_4arch9wavefront6targetE0EEEvSL_: ; @_ZN7rocprim17ROCPRIM_400000_NS6detail17trampoline_kernelINS0_14default_configENS1_38merge_sort_block_merge_config_selectorIiNS0_10empty_typeEEEZZNS1_27merge_sort_block_merge_implIS3_N6thrust23THRUST_200600_302600_NS6detail15normal_iteratorINS9_10device_ptrIiEEEEPS5_jNS1_19radix_merge_compareILb0ELb0EiNS0_19identity_decomposerEEEEE10hipError_tT0_T1_T2_jT3_P12ihipStream_tbPNSt15iterator_traitsISK_E10value_typeEPNSQ_ISL_E10value_typeEPSM_NS1_7vsmem_tEENKUlT_SK_SL_SM_E_clISE_PiSF_SF_EESJ_SZ_SK_SL_SM_EUlSZ_E1_NS1_11comp_targetILNS1_3genE0ELNS1_11target_archE4294967295ELNS1_3gpuE0ELNS1_3repE0EEENS1_36merge_oddeven_config_static_selectorELNS0_4arch9wavefront6targetE0EEEvSL_
; %bb.0:
	.section	.rodata,"a",@progbits
	.p2align	6, 0x0
	.amdhsa_kernel _ZN7rocprim17ROCPRIM_400000_NS6detail17trampoline_kernelINS0_14default_configENS1_38merge_sort_block_merge_config_selectorIiNS0_10empty_typeEEEZZNS1_27merge_sort_block_merge_implIS3_N6thrust23THRUST_200600_302600_NS6detail15normal_iteratorINS9_10device_ptrIiEEEEPS5_jNS1_19radix_merge_compareILb0ELb0EiNS0_19identity_decomposerEEEEE10hipError_tT0_T1_T2_jT3_P12ihipStream_tbPNSt15iterator_traitsISK_E10value_typeEPNSQ_ISL_E10value_typeEPSM_NS1_7vsmem_tEENKUlT_SK_SL_SM_E_clISE_PiSF_SF_EESJ_SZ_SK_SL_SM_EUlSZ_E1_NS1_11comp_targetILNS1_3genE0ELNS1_11target_archE4294967295ELNS1_3gpuE0ELNS1_3repE0EEENS1_36merge_oddeven_config_static_selectorELNS0_4arch9wavefront6targetE0EEEvSL_
		.amdhsa_group_segment_fixed_size 0
		.amdhsa_private_segment_fixed_size 0
		.amdhsa_kernarg_size 48
		.amdhsa_user_sgpr_count 6
		.amdhsa_user_sgpr_private_segment_buffer 1
		.amdhsa_user_sgpr_dispatch_ptr 0
		.amdhsa_user_sgpr_queue_ptr 0
		.amdhsa_user_sgpr_kernarg_segment_ptr 1
		.amdhsa_user_sgpr_dispatch_id 0
		.amdhsa_user_sgpr_flat_scratch_init 0
		.amdhsa_user_sgpr_private_segment_size 0
		.amdhsa_wavefront_size32 1
		.amdhsa_uses_dynamic_stack 0
		.amdhsa_system_sgpr_private_segment_wavefront_offset 0
		.amdhsa_system_sgpr_workgroup_id_x 1
		.amdhsa_system_sgpr_workgroup_id_y 0
		.amdhsa_system_sgpr_workgroup_id_z 0
		.amdhsa_system_sgpr_workgroup_info 0
		.amdhsa_system_vgpr_workitem_id 0
		.amdhsa_next_free_vgpr 1
		.amdhsa_next_free_sgpr 1
		.amdhsa_reserve_vcc 0
		.amdhsa_reserve_flat_scratch 0
		.amdhsa_float_round_mode_32 0
		.amdhsa_float_round_mode_16_64 0
		.amdhsa_float_denorm_mode_32 3
		.amdhsa_float_denorm_mode_16_64 3
		.amdhsa_dx10_clamp 1
		.amdhsa_ieee_mode 1
		.amdhsa_fp16_overflow 0
		.amdhsa_workgroup_processor_mode 1
		.amdhsa_memory_ordered 1
		.amdhsa_forward_progress 1
		.amdhsa_shared_vgpr_count 0
		.amdhsa_exception_fp_ieee_invalid_op 0
		.amdhsa_exception_fp_denorm_src 0
		.amdhsa_exception_fp_ieee_div_zero 0
		.amdhsa_exception_fp_ieee_overflow 0
		.amdhsa_exception_fp_ieee_underflow 0
		.amdhsa_exception_fp_ieee_inexact 0
		.amdhsa_exception_int_div_zero 0
	.end_amdhsa_kernel
	.section	.text._ZN7rocprim17ROCPRIM_400000_NS6detail17trampoline_kernelINS0_14default_configENS1_38merge_sort_block_merge_config_selectorIiNS0_10empty_typeEEEZZNS1_27merge_sort_block_merge_implIS3_N6thrust23THRUST_200600_302600_NS6detail15normal_iteratorINS9_10device_ptrIiEEEEPS5_jNS1_19radix_merge_compareILb0ELb0EiNS0_19identity_decomposerEEEEE10hipError_tT0_T1_T2_jT3_P12ihipStream_tbPNSt15iterator_traitsISK_E10value_typeEPNSQ_ISL_E10value_typeEPSM_NS1_7vsmem_tEENKUlT_SK_SL_SM_E_clISE_PiSF_SF_EESJ_SZ_SK_SL_SM_EUlSZ_E1_NS1_11comp_targetILNS1_3genE0ELNS1_11target_archE4294967295ELNS1_3gpuE0ELNS1_3repE0EEENS1_36merge_oddeven_config_static_selectorELNS0_4arch9wavefront6targetE0EEEvSL_,"axG",@progbits,_ZN7rocprim17ROCPRIM_400000_NS6detail17trampoline_kernelINS0_14default_configENS1_38merge_sort_block_merge_config_selectorIiNS0_10empty_typeEEEZZNS1_27merge_sort_block_merge_implIS3_N6thrust23THRUST_200600_302600_NS6detail15normal_iteratorINS9_10device_ptrIiEEEEPS5_jNS1_19radix_merge_compareILb0ELb0EiNS0_19identity_decomposerEEEEE10hipError_tT0_T1_T2_jT3_P12ihipStream_tbPNSt15iterator_traitsISK_E10value_typeEPNSQ_ISL_E10value_typeEPSM_NS1_7vsmem_tEENKUlT_SK_SL_SM_E_clISE_PiSF_SF_EESJ_SZ_SK_SL_SM_EUlSZ_E1_NS1_11comp_targetILNS1_3genE0ELNS1_11target_archE4294967295ELNS1_3gpuE0ELNS1_3repE0EEENS1_36merge_oddeven_config_static_selectorELNS0_4arch9wavefront6targetE0EEEvSL_,comdat
.Lfunc_end59:
	.size	_ZN7rocprim17ROCPRIM_400000_NS6detail17trampoline_kernelINS0_14default_configENS1_38merge_sort_block_merge_config_selectorIiNS0_10empty_typeEEEZZNS1_27merge_sort_block_merge_implIS3_N6thrust23THRUST_200600_302600_NS6detail15normal_iteratorINS9_10device_ptrIiEEEEPS5_jNS1_19radix_merge_compareILb0ELb0EiNS0_19identity_decomposerEEEEE10hipError_tT0_T1_T2_jT3_P12ihipStream_tbPNSt15iterator_traitsISK_E10value_typeEPNSQ_ISL_E10value_typeEPSM_NS1_7vsmem_tEENKUlT_SK_SL_SM_E_clISE_PiSF_SF_EESJ_SZ_SK_SL_SM_EUlSZ_E1_NS1_11comp_targetILNS1_3genE0ELNS1_11target_archE4294967295ELNS1_3gpuE0ELNS1_3repE0EEENS1_36merge_oddeven_config_static_selectorELNS0_4arch9wavefront6targetE0EEEvSL_, .Lfunc_end59-_ZN7rocprim17ROCPRIM_400000_NS6detail17trampoline_kernelINS0_14default_configENS1_38merge_sort_block_merge_config_selectorIiNS0_10empty_typeEEEZZNS1_27merge_sort_block_merge_implIS3_N6thrust23THRUST_200600_302600_NS6detail15normal_iteratorINS9_10device_ptrIiEEEEPS5_jNS1_19radix_merge_compareILb0ELb0EiNS0_19identity_decomposerEEEEE10hipError_tT0_T1_T2_jT3_P12ihipStream_tbPNSt15iterator_traitsISK_E10value_typeEPNSQ_ISL_E10value_typeEPSM_NS1_7vsmem_tEENKUlT_SK_SL_SM_E_clISE_PiSF_SF_EESJ_SZ_SK_SL_SM_EUlSZ_E1_NS1_11comp_targetILNS1_3genE0ELNS1_11target_archE4294967295ELNS1_3gpuE0ELNS1_3repE0EEENS1_36merge_oddeven_config_static_selectorELNS0_4arch9wavefront6targetE0EEEvSL_
                                        ; -- End function
	.set _ZN7rocprim17ROCPRIM_400000_NS6detail17trampoline_kernelINS0_14default_configENS1_38merge_sort_block_merge_config_selectorIiNS0_10empty_typeEEEZZNS1_27merge_sort_block_merge_implIS3_N6thrust23THRUST_200600_302600_NS6detail15normal_iteratorINS9_10device_ptrIiEEEEPS5_jNS1_19radix_merge_compareILb0ELb0EiNS0_19identity_decomposerEEEEE10hipError_tT0_T1_T2_jT3_P12ihipStream_tbPNSt15iterator_traitsISK_E10value_typeEPNSQ_ISL_E10value_typeEPSM_NS1_7vsmem_tEENKUlT_SK_SL_SM_E_clISE_PiSF_SF_EESJ_SZ_SK_SL_SM_EUlSZ_E1_NS1_11comp_targetILNS1_3genE0ELNS1_11target_archE4294967295ELNS1_3gpuE0ELNS1_3repE0EEENS1_36merge_oddeven_config_static_selectorELNS0_4arch9wavefront6targetE0EEEvSL_.num_vgpr, 0
	.set _ZN7rocprim17ROCPRIM_400000_NS6detail17trampoline_kernelINS0_14default_configENS1_38merge_sort_block_merge_config_selectorIiNS0_10empty_typeEEEZZNS1_27merge_sort_block_merge_implIS3_N6thrust23THRUST_200600_302600_NS6detail15normal_iteratorINS9_10device_ptrIiEEEEPS5_jNS1_19radix_merge_compareILb0ELb0EiNS0_19identity_decomposerEEEEE10hipError_tT0_T1_T2_jT3_P12ihipStream_tbPNSt15iterator_traitsISK_E10value_typeEPNSQ_ISL_E10value_typeEPSM_NS1_7vsmem_tEENKUlT_SK_SL_SM_E_clISE_PiSF_SF_EESJ_SZ_SK_SL_SM_EUlSZ_E1_NS1_11comp_targetILNS1_3genE0ELNS1_11target_archE4294967295ELNS1_3gpuE0ELNS1_3repE0EEENS1_36merge_oddeven_config_static_selectorELNS0_4arch9wavefront6targetE0EEEvSL_.num_agpr, 0
	.set _ZN7rocprim17ROCPRIM_400000_NS6detail17trampoline_kernelINS0_14default_configENS1_38merge_sort_block_merge_config_selectorIiNS0_10empty_typeEEEZZNS1_27merge_sort_block_merge_implIS3_N6thrust23THRUST_200600_302600_NS6detail15normal_iteratorINS9_10device_ptrIiEEEEPS5_jNS1_19radix_merge_compareILb0ELb0EiNS0_19identity_decomposerEEEEE10hipError_tT0_T1_T2_jT3_P12ihipStream_tbPNSt15iterator_traitsISK_E10value_typeEPNSQ_ISL_E10value_typeEPSM_NS1_7vsmem_tEENKUlT_SK_SL_SM_E_clISE_PiSF_SF_EESJ_SZ_SK_SL_SM_EUlSZ_E1_NS1_11comp_targetILNS1_3genE0ELNS1_11target_archE4294967295ELNS1_3gpuE0ELNS1_3repE0EEENS1_36merge_oddeven_config_static_selectorELNS0_4arch9wavefront6targetE0EEEvSL_.numbered_sgpr, 0
	.set _ZN7rocprim17ROCPRIM_400000_NS6detail17trampoline_kernelINS0_14default_configENS1_38merge_sort_block_merge_config_selectorIiNS0_10empty_typeEEEZZNS1_27merge_sort_block_merge_implIS3_N6thrust23THRUST_200600_302600_NS6detail15normal_iteratorINS9_10device_ptrIiEEEEPS5_jNS1_19radix_merge_compareILb0ELb0EiNS0_19identity_decomposerEEEEE10hipError_tT0_T1_T2_jT3_P12ihipStream_tbPNSt15iterator_traitsISK_E10value_typeEPNSQ_ISL_E10value_typeEPSM_NS1_7vsmem_tEENKUlT_SK_SL_SM_E_clISE_PiSF_SF_EESJ_SZ_SK_SL_SM_EUlSZ_E1_NS1_11comp_targetILNS1_3genE0ELNS1_11target_archE4294967295ELNS1_3gpuE0ELNS1_3repE0EEENS1_36merge_oddeven_config_static_selectorELNS0_4arch9wavefront6targetE0EEEvSL_.num_named_barrier, 0
	.set _ZN7rocprim17ROCPRIM_400000_NS6detail17trampoline_kernelINS0_14default_configENS1_38merge_sort_block_merge_config_selectorIiNS0_10empty_typeEEEZZNS1_27merge_sort_block_merge_implIS3_N6thrust23THRUST_200600_302600_NS6detail15normal_iteratorINS9_10device_ptrIiEEEEPS5_jNS1_19radix_merge_compareILb0ELb0EiNS0_19identity_decomposerEEEEE10hipError_tT0_T1_T2_jT3_P12ihipStream_tbPNSt15iterator_traitsISK_E10value_typeEPNSQ_ISL_E10value_typeEPSM_NS1_7vsmem_tEENKUlT_SK_SL_SM_E_clISE_PiSF_SF_EESJ_SZ_SK_SL_SM_EUlSZ_E1_NS1_11comp_targetILNS1_3genE0ELNS1_11target_archE4294967295ELNS1_3gpuE0ELNS1_3repE0EEENS1_36merge_oddeven_config_static_selectorELNS0_4arch9wavefront6targetE0EEEvSL_.private_seg_size, 0
	.set _ZN7rocprim17ROCPRIM_400000_NS6detail17trampoline_kernelINS0_14default_configENS1_38merge_sort_block_merge_config_selectorIiNS0_10empty_typeEEEZZNS1_27merge_sort_block_merge_implIS3_N6thrust23THRUST_200600_302600_NS6detail15normal_iteratorINS9_10device_ptrIiEEEEPS5_jNS1_19radix_merge_compareILb0ELb0EiNS0_19identity_decomposerEEEEE10hipError_tT0_T1_T2_jT3_P12ihipStream_tbPNSt15iterator_traitsISK_E10value_typeEPNSQ_ISL_E10value_typeEPSM_NS1_7vsmem_tEENKUlT_SK_SL_SM_E_clISE_PiSF_SF_EESJ_SZ_SK_SL_SM_EUlSZ_E1_NS1_11comp_targetILNS1_3genE0ELNS1_11target_archE4294967295ELNS1_3gpuE0ELNS1_3repE0EEENS1_36merge_oddeven_config_static_selectorELNS0_4arch9wavefront6targetE0EEEvSL_.uses_vcc, 0
	.set _ZN7rocprim17ROCPRIM_400000_NS6detail17trampoline_kernelINS0_14default_configENS1_38merge_sort_block_merge_config_selectorIiNS0_10empty_typeEEEZZNS1_27merge_sort_block_merge_implIS3_N6thrust23THRUST_200600_302600_NS6detail15normal_iteratorINS9_10device_ptrIiEEEEPS5_jNS1_19radix_merge_compareILb0ELb0EiNS0_19identity_decomposerEEEEE10hipError_tT0_T1_T2_jT3_P12ihipStream_tbPNSt15iterator_traitsISK_E10value_typeEPNSQ_ISL_E10value_typeEPSM_NS1_7vsmem_tEENKUlT_SK_SL_SM_E_clISE_PiSF_SF_EESJ_SZ_SK_SL_SM_EUlSZ_E1_NS1_11comp_targetILNS1_3genE0ELNS1_11target_archE4294967295ELNS1_3gpuE0ELNS1_3repE0EEENS1_36merge_oddeven_config_static_selectorELNS0_4arch9wavefront6targetE0EEEvSL_.uses_flat_scratch, 0
	.set _ZN7rocprim17ROCPRIM_400000_NS6detail17trampoline_kernelINS0_14default_configENS1_38merge_sort_block_merge_config_selectorIiNS0_10empty_typeEEEZZNS1_27merge_sort_block_merge_implIS3_N6thrust23THRUST_200600_302600_NS6detail15normal_iteratorINS9_10device_ptrIiEEEEPS5_jNS1_19radix_merge_compareILb0ELb0EiNS0_19identity_decomposerEEEEE10hipError_tT0_T1_T2_jT3_P12ihipStream_tbPNSt15iterator_traitsISK_E10value_typeEPNSQ_ISL_E10value_typeEPSM_NS1_7vsmem_tEENKUlT_SK_SL_SM_E_clISE_PiSF_SF_EESJ_SZ_SK_SL_SM_EUlSZ_E1_NS1_11comp_targetILNS1_3genE0ELNS1_11target_archE4294967295ELNS1_3gpuE0ELNS1_3repE0EEENS1_36merge_oddeven_config_static_selectorELNS0_4arch9wavefront6targetE0EEEvSL_.has_dyn_sized_stack, 0
	.set _ZN7rocprim17ROCPRIM_400000_NS6detail17trampoline_kernelINS0_14default_configENS1_38merge_sort_block_merge_config_selectorIiNS0_10empty_typeEEEZZNS1_27merge_sort_block_merge_implIS3_N6thrust23THRUST_200600_302600_NS6detail15normal_iteratorINS9_10device_ptrIiEEEEPS5_jNS1_19radix_merge_compareILb0ELb0EiNS0_19identity_decomposerEEEEE10hipError_tT0_T1_T2_jT3_P12ihipStream_tbPNSt15iterator_traitsISK_E10value_typeEPNSQ_ISL_E10value_typeEPSM_NS1_7vsmem_tEENKUlT_SK_SL_SM_E_clISE_PiSF_SF_EESJ_SZ_SK_SL_SM_EUlSZ_E1_NS1_11comp_targetILNS1_3genE0ELNS1_11target_archE4294967295ELNS1_3gpuE0ELNS1_3repE0EEENS1_36merge_oddeven_config_static_selectorELNS0_4arch9wavefront6targetE0EEEvSL_.has_recursion, 0
	.set _ZN7rocprim17ROCPRIM_400000_NS6detail17trampoline_kernelINS0_14default_configENS1_38merge_sort_block_merge_config_selectorIiNS0_10empty_typeEEEZZNS1_27merge_sort_block_merge_implIS3_N6thrust23THRUST_200600_302600_NS6detail15normal_iteratorINS9_10device_ptrIiEEEEPS5_jNS1_19radix_merge_compareILb0ELb0EiNS0_19identity_decomposerEEEEE10hipError_tT0_T1_T2_jT3_P12ihipStream_tbPNSt15iterator_traitsISK_E10value_typeEPNSQ_ISL_E10value_typeEPSM_NS1_7vsmem_tEENKUlT_SK_SL_SM_E_clISE_PiSF_SF_EESJ_SZ_SK_SL_SM_EUlSZ_E1_NS1_11comp_targetILNS1_3genE0ELNS1_11target_archE4294967295ELNS1_3gpuE0ELNS1_3repE0EEENS1_36merge_oddeven_config_static_selectorELNS0_4arch9wavefront6targetE0EEEvSL_.has_indirect_call, 0
	.section	.AMDGPU.csdata,"",@progbits
; Kernel info:
; codeLenInByte = 0
; TotalNumSgprs: 0
; NumVgprs: 0
; ScratchSize: 0
; MemoryBound: 0
; FloatMode: 240
; IeeeMode: 1
; LDSByteSize: 0 bytes/workgroup (compile time only)
; SGPRBlocks: 0
; VGPRBlocks: 0
; NumSGPRsForWavesPerEU: 1
; NumVGPRsForWavesPerEU: 1
; Occupancy: 16
; WaveLimiterHint : 0
; COMPUTE_PGM_RSRC2:SCRATCH_EN: 0
; COMPUTE_PGM_RSRC2:USER_SGPR: 6
; COMPUTE_PGM_RSRC2:TRAP_HANDLER: 0
; COMPUTE_PGM_RSRC2:TGID_X_EN: 1
; COMPUTE_PGM_RSRC2:TGID_Y_EN: 0
; COMPUTE_PGM_RSRC2:TGID_Z_EN: 0
; COMPUTE_PGM_RSRC2:TIDIG_COMP_CNT: 0
	.section	.text._ZN7rocprim17ROCPRIM_400000_NS6detail17trampoline_kernelINS0_14default_configENS1_38merge_sort_block_merge_config_selectorIiNS0_10empty_typeEEEZZNS1_27merge_sort_block_merge_implIS3_N6thrust23THRUST_200600_302600_NS6detail15normal_iteratorINS9_10device_ptrIiEEEEPS5_jNS1_19radix_merge_compareILb0ELb0EiNS0_19identity_decomposerEEEEE10hipError_tT0_T1_T2_jT3_P12ihipStream_tbPNSt15iterator_traitsISK_E10value_typeEPNSQ_ISL_E10value_typeEPSM_NS1_7vsmem_tEENKUlT_SK_SL_SM_E_clISE_PiSF_SF_EESJ_SZ_SK_SL_SM_EUlSZ_E1_NS1_11comp_targetILNS1_3genE10ELNS1_11target_archE1201ELNS1_3gpuE5ELNS1_3repE0EEENS1_36merge_oddeven_config_static_selectorELNS0_4arch9wavefront6targetE0EEEvSL_,"axG",@progbits,_ZN7rocprim17ROCPRIM_400000_NS6detail17trampoline_kernelINS0_14default_configENS1_38merge_sort_block_merge_config_selectorIiNS0_10empty_typeEEEZZNS1_27merge_sort_block_merge_implIS3_N6thrust23THRUST_200600_302600_NS6detail15normal_iteratorINS9_10device_ptrIiEEEEPS5_jNS1_19radix_merge_compareILb0ELb0EiNS0_19identity_decomposerEEEEE10hipError_tT0_T1_T2_jT3_P12ihipStream_tbPNSt15iterator_traitsISK_E10value_typeEPNSQ_ISL_E10value_typeEPSM_NS1_7vsmem_tEENKUlT_SK_SL_SM_E_clISE_PiSF_SF_EESJ_SZ_SK_SL_SM_EUlSZ_E1_NS1_11comp_targetILNS1_3genE10ELNS1_11target_archE1201ELNS1_3gpuE5ELNS1_3repE0EEENS1_36merge_oddeven_config_static_selectorELNS0_4arch9wavefront6targetE0EEEvSL_,comdat
	.protected	_ZN7rocprim17ROCPRIM_400000_NS6detail17trampoline_kernelINS0_14default_configENS1_38merge_sort_block_merge_config_selectorIiNS0_10empty_typeEEEZZNS1_27merge_sort_block_merge_implIS3_N6thrust23THRUST_200600_302600_NS6detail15normal_iteratorINS9_10device_ptrIiEEEEPS5_jNS1_19radix_merge_compareILb0ELb0EiNS0_19identity_decomposerEEEEE10hipError_tT0_T1_T2_jT3_P12ihipStream_tbPNSt15iterator_traitsISK_E10value_typeEPNSQ_ISL_E10value_typeEPSM_NS1_7vsmem_tEENKUlT_SK_SL_SM_E_clISE_PiSF_SF_EESJ_SZ_SK_SL_SM_EUlSZ_E1_NS1_11comp_targetILNS1_3genE10ELNS1_11target_archE1201ELNS1_3gpuE5ELNS1_3repE0EEENS1_36merge_oddeven_config_static_selectorELNS0_4arch9wavefront6targetE0EEEvSL_ ; -- Begin function _ZN7rocprim17ROCPRIM_400000_NS6detail17trampoline_kernelINS0_14default_configENS1_38merge_sort_block_merge_config_selectorIiNS0_10empty_typeEEEZZNS1_27merge_sort_block_merge_implIS3_N6thrust23THRUST_200600_302600_NS6detail15normal_iteratorINS9_10device_ptrIiEEEEPS5_jNS1_19radix_merge_compareILb0ELb0EiNS0_19identity_decomposerEEEEE10hipError_tT0_T1_T2_jT3_P12ihipStream_tbPNSt15iterator_traitsISK_E10value_typeEPNSQ_ISL_E10value_typeEPSM_NS1_7vsmem_tEENKUlT_SK_SL_SM_E_clISE_PiSF_SF_EESJ_SZ_SK_SL_SM_EUlSZ_E1_NS1_11comp_targetILNS1_3genE10ELNS1_11target_archE1201ELNS1_3gpuE5ELNS1_3repE0EEENS1_36merge_oddeven_config_static_selectorELNS0_4arch9wavefront6targetE0EEEvSL_
	.globl	_ZN7rocprim17ROCPRIM_400000_NS6detail17trampoline_kernelINS0_14default_configENS1_38merge_sort_block_merge_config_selectorIiNS0_10empty_typeEEEZZNS1_27merge_sort_block_merge_implIS3_N6thrust23THRUST_200600_302600_NS6detail15normal_iteratorINS9_10device_ptrIiEEEEPS5_jNS1_19radix_merge_compareILb0ELb0EiNS0_19identity_decomposerEEEEE10hipError_tT0_T1_T2_jT3_P12ihipStream_tbPNSt15iterator_traitsISK_E10value_typeEPNSQ_ISL_E10value_typeEPSM_NS1_7vsmem_tEENKUlT_SK_SL_SM_E_clISE_PiSF_SF_EESJ_SZ_SK_SL_SM_EUlSZ_E1_NS1_11comp_targetILNS1_3genE10ELNS1_11target_archE1201ELNS1_3gpuE5ELNS1_3repE0EEENS1_36merge_oddeven_config_static_selectorELNS0_4arch9wavefront6targetE0EEEvSL_
	.p2align	8
	.type	_ZN7rocprim17ROCPRIM_400000_NS6detail17trampoline_kernelINS0_14default_configENS1_38merge_sort_block_merge_config_selectorIiNS0_10empty_typeEEEZZNS1_27merge_sort_block_merge_implIS3_N6thrust23THRUST_200600_302600_NS6detail15normal_iteratorINS9_10device_ptrIiEEEEPS5_jNS1_19radix_merge_compareILb0ELb0EiNS0_19identity_decomposerEEEEE10hipError_tT0_T1_T2_jT3_P12ihipStream_tbPNSt15iterator_traitsISK_E10value_typeEPNSQ_ISL_E10value_typeEPSM_NS1_7vsmem_tEENKUlT_SK_SL_SM_E_clISE_PiSF_SF_EESJ_SZ_SK_SL_SM_EUlSZ_E1_NS1_11comp_targetILNS1_3genE10ELNS1_11target_archE1201ELNS1_3gpuE5ELNS1_3repE0EEENS1_36merge_oddeven_config_static_selectorELNS0_4arch9wavefront6targetE0EEEvSL_,@function
_ZN7rocprim17ROCPRIM_400000_NS6detail17trampoline_kernelINS0_14default_configENS1_38merge_sort_block_merge_config_selectorIiNS0_10empty_typeEEEZZNS1_27merge_sort_block_merge_implIS3_N6thrust23THRUST_200600_302600_NS6detail15normal_iteratorINS9_10device_ptrIiEEEEPS5_jNS1_19radix_merge_compareILb0ELb0EiNS0_19identity_decomposerEEEEE10hipError_tT0_T1_T2_jT3_P12ihipStream_tbPNSt15iterator_traitsISK_E10value_typeEPNSQ_ISL_E10value_typeEPSM_NS1_7vsmem_tEENKUlT_SK_SL_SM_E_clISE_PiSF_SF_EESJ_SZ_SK_SL_SM_EUlSZ_E1_NS1_11comp_targetILNS1_3genE10ELNS1_11target_archE1201ELNS1_3gpuE5ELNS1_3repE0EEENS1_36merge_oddeven_config_static_selectorELNS0_4arch9wavefront6targetE0EEEvSL_: ; @_ZN7rocprim17ROCPRIM_400000_NS6detail17trampoline_kernelINS0_14default_configENS1_38merge_sort_block_merge_config_selectorIiNS0_10empty_typeEEEZZNS1_27merge_sort_block_merge_implIS3_N6thrust23THRUST_200600_302600_NS6detail15normal_iteratorINS9_10device_ptrIiEEEEPS5_jNS1_19radix_merge_compareILb0ELb0EiNS0_19identity_decomposerEEEEE10hipError_tT0_T1_T2_jT3_P12ihipStream_tbPNSt15iterator_traitsISK_E10value_typeEPNSQ_ISL_E10value_typeEPSM_NS1_7vsmem_tEENKUlT_SK_SL_SM_E_clISE_PiSF_SF_EESJ_SZ_SK_SL_SM_EUlSZ_E1_NS1_11comp_targetILNS1_3genE10ELNS1_11target_archE1201ELNS1_3gpuE5ELNS1_3repE0EEENS1_36merge_oddeven_config_static_selectorELNS0_4arch9wavefront6targetE0EEEvSL_
; %bb.0:
	.section	.rodata,"a",@progbits
	.p2align	6, 0x0
	.amdhsa_kernel _ZN7rocprim17ROCPRIM_400000_NS6detail17trampoline_kernelINS0_14default_configENS1_38merge_sort_block_merge_config_selectorIiNS0_10empty_typeEEEZZNS1_27merge_sort_block_merge_implIS3_N6thrust23THRUST_200600_302600_NS6detail15normal_iteratorINS9_10device_ptrIiEEEEPS5_jNS1_19radix_merge_compareILb0ELb0EiNS0_19identity_decomposerEEEEE10hipError_tT0_T1_T2_jT3_P12ihipStream_tbPNSt15iterator_traitsISK_E10value_typeEPNSQ_ISL_E10value_typeEPSM_NS1_7vsmem_tEENKUlT_SK_SL_SM_E_clISE_PiSF_SF_EESJ_SZ_SK_SL_SM_EUlSZ_E1_NS1_11comp_targetILNS1_3genE10ELNS1_11target_archE1201ELNS1_3gpuE5ELNS1_3repE0EEENS1_36merge_oddeven_config_static_selectorELNS0_4arch9wavefront6targetE0EEEvSL_
		.amdhsa_group_segment_fixed_size 0
		.amdhsa_private_segment_fixed_size 0
		.amdhsa_kernarg_size 48
		.amdhsa_user_sgpr_count 6
		.amdhsa_user_sgpr_private_segment_buffer 1
		.amdhsa_user_sgpr_dispatch_ptr 0
		.amdhsa_user_sgpr_queue_ptr 0
		.amdhsa_user_sgpr_kernarg_segment_ptr 1
		.amdhsa_user_sgpr_dispatch_id 0
		.amdhsa_user_sgpr_flat_scratch_init 0
		.amdhsa_user_sgpr_private_segment_size 0
		.amdhsa_wavefront_size32 1
		.amdhsa_uses_dynamic_stack 0
		.amdhsa_system_sgpr_private_segment_wavefront_offset 0
		.amdhsa_system_sgpr_workgroup_id_x 1
		.amdhsa_system_sgpr_workgroup_id_y 0
		.amdhsa_system_sgpr_workgroup_id_z 0
		.amdhsa_system_sgpr_workgroup_info 0
		.amdhsa_system_vgpr_workitem_id 0
		.amdhsa_next_free_vgpr 1
		.amdhsa_next_free_sgpr 1
		.amdhsa_reserve_vcc 0
		.amdhsa_reserve_flat_scratch 0
		.amdhsa_float_round_mode_32 0
		.amdhsa_float_round_mode_16_64 0
		.amdhsa_float_denorm_mode_32 3
		.amdhsa_float_denorm_mode_16_64 3
		.amdhsa_dx10_clamp 1
		.amdhsa_ieee_mode 1
		.amdhsa_fp16_overflow 0
		.amdhsa_workgroup_processor_mode 1
		.amdhsa_memory_ordered 1
		.amdhsa_forward_progress 1
		.amdhsa_shared_vgpr_count 0
		.amdhsa_exception_fp_ieee_invalid_op 0
		.amdhsa_exception_fp_denorm_src 0
		.amdhsa_exception_fp_ieee_div_zero 0
		.amdhsa_exception_fp_ieee_overflow 0
		.amdhsa_exception_fp_ieee_underflow 0
		.amdhsa_exception_fp_ieee_inexact 0
		.amdhsa_exception_int_div_zero 0
	.end_amdhsa_kernel
	.section	.text._ZN7rocprim17ROCPRIM_400000_NS6detail17trampoline_kernelINS0_14default_configENS1_38merge_sort_block_merge_config_selectorIiNS0_10empty_typeEEEZZNS1_27merge_sort_block_merge_implIS3_N6thrust23THRUST_200600_302600_NS6detail15normal_iteratorINS9_10device_ptrIiEEEEPS5_jNS1_19radix_merge_compareILb0ELb0EiNS0_19identity_decomposerEEEEE10hipError_tT0_T1_T2_jT3_P12ihipStream_tbPNSt15iterator_traitsISK_E10value_typeEPNSQ_ISL_E10value_typeEPSM_NS1_7vsmem_tEENKUlT_SK_SL_SM_E_clISE_PiSF_SF_EESJ_SZ_SK_SL_SM_EUlSZ_E1_NS1_11comp_targetILNS1_3genE10ELNS1_11target_archE1201ELNS1_3gpuE5ELNS1_3repE0EEENS1_36merge_oddeven_config_static_selectorELNS0_4arch9wavefront6targetE0EEEvSL_,"axG",@progbits,_ZN7rocprim17ROCPRIM_400000_NS6detail17trampoline_kernelINS0_14default_configENS1_38merge_sort_block_merge_config_selectorIiNS0_10empty_typeEEEZZNS1_27merge_sort_block_merge_implIS3_N6thrust23THRUST_200600_302600_NS6detail15normal_iteratorINS9_10device_ptrIiEEEEPS5_jNS1_19radix_merge_compareILb0ELb0EiNS0_19identity_decomposerEEEEE10hipError_tT0_T1_T2_jT3_P12ihipStream_tbPNSt15iterator_traitsISK_E10value_typeEPNSQ_ISL_E10value_typeEPSM_NS1_7vsmem_tEENKUlT_SK_SL_SM_E_clISE_PiSF_SF_EESJ_SZ_SK_SL_SM_EUlSZ_E1_NS1_11comp_targetILNS1_3genE10ELNS1_11target_archE1201ELNS1_3gpuE5ELNS1_3repE0EEENS1_36merge_oddeven_config_static_selectorELNS0_4arch9wavefront6targetE0EEEvSL_,comdat
.Lfunc_end60:
	.size	_ZN7rocprim17ROCPRIM_400000_NS6detail17trampoline_kernelINS0_14default_configENS1_38merge_sort_block_merge_config_selectorIiNS0_10empty_typeEEEZZNS1_27merge_sort_block_merge_implIS3_N6thrust23THRUST_200600_302600_NS6detail15normal_iteratorINS9_10device_ptrIiEEEEPS5_jNS1_19radix_merge_compareILb0ELb0EiNS0_19identity_decomposerEEEEE10hipError_tT0_T1_T2_jT3_P12ihipStream_tbPNSt15iterator_traitsISK_E10value_typeEPNSQ_ISL_E10value_typeEPSM_NS1_7vsmem_tEENKUlT_SK_SL_SM_E_clISE_PiSF_SF_EESJ_SZ_SK_SL_SM_EUlSZ_E1_NS1_11comp_targetILNS1_3genE10ELNS1_11target_archE1201ELNS1_3gpuE5ELNS1_3repE0EEENS1_36merge_oddeven_config_static_selectorELNS0_4arch9wavefront6targetE0EEEvSL_, .Lfunc_end60-_ZN7rocprim17ROCPRIM_400000_NS6detail17trampoline_kernelINS0_14default_configENS1_38merge_sort_block_merge_config_selectorIiNS0_10empty_typeEEEZZNS1_27merge_sort_block_merge_implIS3_N6thrust23THRUST_200600_302600_NS6detail15normal_iteratorINS9_10device_ptrIiEEEEPS5_jNS1_19radix_merge_compareILb0ELb0EiNS0_19identity_decomposerEEEEE10hipError_tT0_T1_T2_jT3_P12ihipStream_tbPNSt15iterator_traitsISK_E10value_typeEPNSQ_ISL_E10value_typeEPSM_NS1_7vsmem_tEENKUlT_SK_SL_SM_E_clISE_PiSF_SF_EESJ_SZ_SK_SL_SM_EUlSZ_E1_NS1_11comp_targetILNS1_3genE10ELNS1_11target_archE1201ELNS1_3gpuE5ELNS1_3repE0EEENS1_36merge_oddeven_config_static_selectorELNS0_4arch9wavefront6targetE0EEEvSL_
                                        ; -- End function
	.set _ZN7rocprim17ROCPRIM_400000_NS6detail17trampoline_kernelINS0_14default_configENS1_38merge_sort_block_merge_config_selectorIiNS0_10empty_typeEEEZZNS1_27merge_sort_block_merge_implIS3_N6thrust23THRUST_200600_302600_NS6detail15normal_iteratorINS9_10device_ptrIiEEEEPS5_jNS1_19radix_merge_compareILb0ELb0EiNS0_19identity_decomposerEEEEE10hipError_tT0_T1_T2_jT3_P12ihipStream_tbPNSt15iterator_traitsISK_E10value_typeEPNSQ_ISL_E10value_typeEPSM_NS1_7vsmem_tEENKUlT_SK_SL_SM_E_clISE_PiSF_SF_EESJ_SZ_SK_SL_SM_EUlSZ_E1_NS1_11comp_targetILNS1_3genE10ELNS1_11target_archE1201ELNS1_3gpuE5ELNS1_3repE0EEENS1_36merge_oddeven_config_static_selectorELNS0_4arch9wavefront6targetE0EEEvSL_.num_vgpr, 0
	.set _ZN7rocprim17ROCPRIM_400000_NS6detail17trampoline_kernelINS0_14default_configENS1_38merge_sort_block_merge_config_selectorIiNS0_10empty_typeEEEZZNS1_27merge_sort_block_merge_implIS3_N6thrust23THRUST_200600_302600_NS6detail15normal_iteratorINS9_10device_ptrIiEEEEPS5_jNS1_19radix_merge_compareILb0ELb0EiNS0_19identity_decomposerEEEEE10hipError_tT0_T1_T2_jT3_P12ihipStream_tbPNSt15iterator_traitsISK_E10value_typeEPNSQ_ISL_E10value_typeEPSM_NS1_7vsmem_tEENKUlT_SK_SL_SM_E_clISE_PiSF_SF_EESJ_SZ_SK_SL_SM_EUlSZ_E1_NS1_11comp_targetILNS1_3genE10ELNS1_11target_archE1201ELNS1_3gpuE5ELNS1_3repE0EEENS1_36merge_oddeven_config_static_selectorELNS0_4arch9wavefront6targetE0EEEvSL_.num_agpr, 0
	.set _ZN7rocprim17ROCPRIM_400000_NS6detail17trampoline_kernelINS0_14default_configENS1_38merge_sort_block_merge_config_selectorIiNS0_10empty_typeEEEZZNS1_27merge_sort_block_merge_implIS3_N6thrust23THRUST_200600_302600_NS6detail15normal_iteratorINS9_10device_ptrIiEEEEPS5_jNS1_19radix_merge_compareILb0ELb0EiNS0_19identity_decomposerEEEEE10hipError_tT0_T1_T2_jT3_P12ihipStream_tbPNSt15iterator_traitsISK_E10value_typeEPNSQ_ISL_E10value_typeEPSM_NS1_7vsmem_tEENKUlT_SK_SL_SM_E_clISE_PiSF_SF_EESJ_SZ_SK_SL_SM_EUlSZ_E1_NS1_11comp_targetILNS1_3genE10ELNS1_11target_archE1201ELNS1_3gpuE5ELNS1_3repE0EEENS1_36merge_oddeven_config_static_selectorELNS0_4arch9wavefront6targetE0EEEvSL_.numbered_sgpr, 0
	.set _ZN7rocprim17ROCPRIM_400000_NS6detail17trampoline_kernelINS0_14default_configENS1_38merge_sort_block_merge_config_selectorIiNS0_10empty_typeEEEZZNS1_27merge_sort_block_merge_implIS3_N6thrust23THRUST_200600_302600_NS6detail15normal_iteratorINS9_10device_ptrIiEEEEPS5_jNS1_19radix_merge_compareILb0ELb0EiNS0_19identity_decomposerEEEEE10hipError_tT0_T1_T2_jT3_P12ihipStream_tbPNSt15iterator_traitsISK_E10value_typeEPNSQ_ISL_E10value_typeEPSM_NS1_7vsmem_tEENKUlT_SK_SL_SM_E_clISE_PiSF_SF_EESJ_SZ_SK_SL_SM_EUlSZ_E1_NS1_11comp_targetILNS1_3genE10ELNS1_11target_archE1201ELNS1_3gpuE5ELNS1_3repE0EEENS1_36merge_oddeven_config_static_selectorELNS0_4arch9wavefront6targetE0EEEvSL_.num_named_barrier, 0
	.set _ZN7rocprim17ROCPRIM_400000_NS6detail17trampoline_kernelINS0_14default_configENS1_38merge_sort_block_merge_config_selectorIiNS0_10empty_typeEEEZZNS1_27merge_sort_block_merge_implIS3_N6thrust23THRUST_200600_302600_NS6detail15normal_iteratorINS9_10device_ptrIiEEEEPS5_jNS1_19radix_merge_compareILb0ELb0EiNS0_19identity_decomposerEEEEE10hipError_tT0_T1_T2_jT3_P12ihipStream_tbPNSt15iterator_traitsISK_E10value_typeEPNSQ_ISL_E10value_typeEPSM_NS1_7vsmem_tEENKUlT_SK_SL_SM_E_clISE_PiSF_SF_EESJ_SZ_SK_SL_SM_EUlSZ_E1_NS1_11comp_targetILNS1_3genE10ELNS1_11target_archE1201ELNS1_3gpuE5ELNS1_3repE0EEENS1_36merge_oddeven_config_static_selectorELNS0_4arch9wavefront6targetE0EEEvSL_.private_seg_size, 0
	.set _ZN7rocprim17ROCPRIM_400000_NS6detail17trampoline_kernelINS0_14default_configENS1_38merge_sort_block_merge_config_selectorIiNS0_10empty_typeEEEZZNS1_27merge_sort_block_merge_implIS3_N6thrust23THRUST_200600_302600_NS6detail15normal_iteratorINS9_10device_ptrIiEEEEPS5_jNS1_19radix_merge_compareILb0ELb0EiNS0_19identity_decomposerEEEEE10hipError_tT0_T1_T2_jT3_P12ihipStream_tbPNSt15iterator_traitsISK_E10value_typeEPNSQ_ISL_E10value_typeEPSM_NS1_7vsmem_tEENKUlT_SK_SL_SM_E_clISE_PiSF_SF_EESJ_SZ_SK_SL_SM_EUlSZ_E1_NS1_11comp_targetILNS1_3genE10ELNS1_11target_archE1201ELNS1_3gpuE5ELNS1_3repE0EEENS1_36merge_oddeven_config_static_selectorELNS0_4arch9wavefront6targetE0EEEvSL_.uses_vcc, 0
	.set _ZN7rocprim17ROCPRIM_400000_NS6detail17trampoline_kernelINS0_14default_configENS1_38merge_sort_block_merge_config_selectorIiNS0_10empty_typeEEEZZNS1_27merge_sort_block_merge_implIS3_N6thrust23THRUST_200600_302600_NS6detail15normal_iteratorINS9_10device_ptrIiEEEEPS5_jNS1_19radix_merge_compareILb0ELb0EiNS0_19identity_decomposerEEEEE10hipError_tT0_T1_T2_jT3_P12ihipStream_tbPNSt15iterator_traitsISK_E10value_typeEPNSQ_ISL_E10value_typeEPSM_NS1_7vsmem_tEENKUlT_SK_SL_SM_E_clISE_PiSF_SF_EESJ_SZ_SK_SL_SM_EUlSZ_E1_NS1_11comp_targetILNS1_3genE10ELNS1_11target_archE1201ELNS1_3gpuE5ELNS1_3repE0EEENS1_36merge_oddeven_config_static_selectorELNS0_4arch9wavefront6targetE0EEEvSL_.uses_flat_scratch, 0
	.set _ZN7rocprim17ROCPRIM_400000_NS6detail17trampoline_kernelINS0_14default_configENS1_38merge_sort_block_merge_config_selectorIiNS0_10empty_typeEEEZZNS1_27merge_sort_block_merge_implIS3_N6thrust23THRUST_200600_302600_NS6detail15normal_iteratorINS9_10device_ptrIiEEEEPS5_jNS1_19radix_merge_compareILb0ELb0EiNS0_19identity_decomposerEEEEE10hipError_tT0_T1_T2_jT3_P12ihipStream_tbPNSt15iterator_traitsISK_E10value_typeEPNSQ_ISL_E10value_typeEPSM_NS1_7vsmem_tEENKUlT_SK_SL_SM_E_clISE_PiSF_SF_EESJ_SZ_SK_SL_SM_EUlSZ_E1_NS1_11comp_targetILNS1_3genE10ELNS1_11target_archE1201ELNS1_3gpuE5ELNS1_3repE0EEENS1_36merge_oddeven_config_static_selectorELNS0_4arch9wavefront6targetE0EEEvSL_.has_dyn_sized_stack, 0
	.set _ZN7rocprim17ROCPRIM_400000_NS6detail17trampoline_kernelINS0_14default_configENS1_38merge_sort_block_merge_config_selectorIiNS0_10empty_typeEEEZZNS1_27merge_sort_block_merge_implIS3_N6thrust23THRUST_200600_302600_NS6detail15normal_iteratorINS9_10device_ptrIiEEEEPS5_jNS1_19radix_merge_compareILb0ELb0EiNS0_19identity_decomposerEEEEE10hipError_tT0_T1_T2_jT3_P12ihipStream_tbPNSt15iterator_traitsISK_E10value_typeEPNSQ_ISL_E10value_typeEPSM_NS1_7vsmem_tEENKUlT_SK_SL_SM_E_clISE_PiSF_SF_EESJ_SZ_SK_SL_SM_EUlSZ_E1_NS1_11comp_targetILNS1_3genE10ELNS1_11target_archE1201ELNS1_3gpuE5ELNS1_3repE0EEENS1_36merge_oddeven_config_static_selectorELNS0_4arch9wavefront6targetE0EEEvSL_.has_recursion, 0
	.set _ZN7rocprim17ROCPRIM_400000_NS6detail17trampoline_kernelINS0_14default_configENS1_38merge_sort_block_merge_config_selectorIiNS0_10empty_typeEEEZZNS1_27merge_sort_block_merge_implIS3_N6thrust23THRUST_200600_302600_NS6detail15normal_iteratorINS9_10device_ptrIiEEEEPS5_jNS1_19radix_merge_compareILb0ELb0EiNS0_19identity_decomposerEEEEE10hipError_tT0_T1_T2_jT3_P12ihipStream_tbPNSt15iterator_traitsISK_E10value_typeEPNSQ_ISL_E10value_typeEPSM_NS1_7vsmem_tEENKUlT_SK_SL_SM_E_clISE_PiSF_SF_EESJ_SZ_SK_SL_SM_EUlSZ_E1_NS1_11comp_targetILNS1_3genE10ELNS1_11target_archE1201ELNS1_3gpuE5ELNS1_3repE0EEENS1_36merge_oddeven_config_static_selectorELNS0_4arch9wavefront6targetE0EEEvSL_.has_indirect_call, 0
	.section	.AMDGPU.csdata,"",@progbits
; Kernel info:
; codeLenInByte = 0
; TotalNumSgprs: 0
; NumVgprs: 0
; ScratchSize: 0
; MemoryBound: 0
; FloatMode: 240
; IeeeMode: 1
; LDSByteSize: 0 bytes/workgroup (compile time only)
; SGPRBlocks: 0
; VGPRBlocks: 0
; NumSGPRsForWavesPerEU: 1
; NumVGPRsForWavesPerEU: 1
; Occupancy: 16
; WaveLimiterHint : 0
; COMPUTE_PGM_RSRC2:SCRATCH_EN: 0
; COMPUTE_PGM_RSRC2:USER_SGPR: 6
; COMPUTE_PGM_RSRC2:TRAP_HANDLER: 0
; COMPUTE_PGM_RSRC2:TGID_X_EN: 1
; COMPUTE_PGM_RSRC2:TGID_Y_EN: 0
; COMPUTE_PGM_RSRC2:TGID_Z_EN: 0
; COMPUTE_PGM_RSRC2:TIDIG_COMP_CNT: 0
	.section	.text._ZN7rocprim17ROCPRIM_400000_NS6detail17trampoline_kernelINS0_14default_configENS1_38merge_sort_block_merge_config_selectorIiNS0_10empty_typeEEEZZNS1_27merge_sort_block_merge_implIS3_N6thrust23THRUST_200600_302600_NS6detail15normal_iteratorINS9_10device_ptrIiEEEEPS5_jNS1_19radix_merge_compareILb0ELb0EiNS0_19identity_decomposerEEEEE10hipError_tT0_T1_T2_jT3_P12ihipStream_tbPNSt15iterator_traitsISK_E10value_typeEPNSQ_ISL_E10value_typeEPSM_NS1_7vsmem_tEENKUlT_SK_SL_SM_E_clISE_PiSF_SF_EESJ_SZ_SK_SL_SM_EUlSZ_E1_NS1_11comp_targetILNS1_3genE5ELNS1_11target_archE942ELNS1_3gpuE9ELNS1_3repE0EEENS1_36merge_oddeven_config_static_selectorELNS0_4arch9wavefront6targetE0EEEvSL_,"axG",@progbits,_ZN7rocprim17ROCPRIM_400000_NS6detail17trampoline_kernelINS0_14default_configENS1_38merge_sort_block_merge_config_selectorIiNS0_10empty_typeEEEZZNS1_27merge_sort_block_merge_implIS3_N6thrust23THRUST_200600_302600_NS6detail15normal_iteratorINS9_10device_ptrIiEEEEPS5_jNS1_19radix_merge_compareILb0ELb0EiNS0_19identity_decomposerEEEEE10hipError_tT0_T1_T2_jT3_P12ihipStream_tbPNSt15iterator_traitsISK_E10value_typeEPNSQ_ISL_E10value_typeEPSM_NS1_7vsmem_tEENKUlT_SK_SL_SM_E_clISE_PiSF_SF_EESJ_SZ_SK_SL_SM_EUlSZ_E1_NS1_11comp_targetILNS1_3genE5ELNS1_11target_archE942ELNS1_3gpuE9ELNS1_3repE0EEENS1_36merge_oddeven_config_static_selectorELNS0_4arch9wavefront6targetE0EEEvSL_,comdat
	.protected	_ZN7rocprim17ROCPRIM_400000_NS6detail17trampoline_kernelINS0_14default_configENS1_38merge_sort_block_merge_config_selectorIiNS0_10empty_typeEEEZZNS1_27merge_sort_block_merge_implIS3_N6thrust23THRUST_200600_302600_NS6detail15normal_iteratorINS9_10device_ptrIiEEEEPS5_jNS1_19radix_merge_compareILb0ELb0EiNS0_19identity_decomposerEEEEE10hipError_tT0_T1_T2_jT3_P12ihipStream_tbPNSt15iterator_traitsISK_E10value_typeEPNSQ_ISL_E10value_typeEPSM_NS1_7vsmem_tEENKUlT_SK_SL_SM_E_clISE_PiSF_SF_EESJ_SZ_SK_SL_SM_EUlSZ_E1_NS1_11comp_targetILNS1_3genE5ELNS1_11target_archE942ELNS1_3gpuE9ELNS1_3repE0EEENS1_36merge_oddeven_config_static_selectorELNS0_4arch9wavefront6targetE0EEEvSL_ ; -- Begin function _ZN7rocprim17ROCPRIM_400000_NS6detail17trampoline_kernelINS0_14default_configENS1_38merge_sort_block_merge_config_selectorIiNS0_10empty_typeEEEZZNS1_27merge_sort_block_merge_implIS3_N6thrust23THRUST_200600_302600_NS6detail15normal_iteratorINS9_10device_ptrIiEEEEPS5_jNS1_19radix_merge_compareILb0ELb0EiNS0_19identity_decomposerEEEEE10hipError_tT0_T1_T2_jT3_P12ihipStream_tbPNSt15iterator_traitsISK_E10value_typeEPNSQ_ISL_E10value_typeEPSM_NS1_7vsmem_tEENKUlT_SK_SL_SM_E_clISE_PiSF_SF_EESJ_SZ_SK_SL_SM_EUlSZ_E1_NS1_11comp_targetILNS1_3genE5ELNS1_11target_archE942ELNS1_3gpuE9ELNS1_3repE0EEENS1_36merge_oddeven_config_static_selectorELNS0_4arch9wavefront6targetE0EEEvSL_
	.globl	_ZN7rocprim17ROCPRIM_400000_NS6detail17trampoline_kernelINS0_14default_configENS1_38merge_sort_block_merge_config_selectorIiNS0_10empty_typeEEEZZNS1_27merge_sort_block_merge_implIS3_N6thrust23THRUST_200600_302600_NS6detail15normal_iteratorINS9_10device_ptrIiEEEEPS5_jNS1_19radix_merge_compareILb0ELb0EiNS0_19identity_decomposerEEEEE10hipError_tT0_T1_T2_jT3_P12ihipStream_tbPNSt15iterator_traitsISK_E10value_typeEPNSQ_ISL_E10value_typeEPSM_NS1_7vsmem_tEENKUlT_SK_SL_SM_E_clISE_PiSF_SF_EESJ_SZ_SK_SL_SM_EUlSZ_E1_NS1_11comp_targetILNS1_3genE5ELNS1_11target_archE942ELNS1_3gpuE9ELNS1_3repE0EEENS1_36merge_oddeven_config_static_selectorELNS0_4arch9wavefront6targetE0EEEvSL_
	.p2align	8
	.type	_ZN7rocprim17ROCPRIM_400000_NS6detail17trampoline_kernelINS0_14default_configENS1_38merge_sort_block_merge_config_selectorIiNS0_10empty_typeEEEZZNS1_27merge_sort_block_merge_implIS3_N6thrust23THRUST_200600_302600_NS6detail15normal_iteratorINS9_10device_ptrIiEEEEPS5_jNS1_19radix_merge_compareILb0ELb0EiNS0_19identity_decomposerEEEEE10hipError_tT0_T1_T2_jT3_P12ihipStream_tbPNSt15iterator_traitsISK_E10value_typeEPNSQ_ISL_E10value_typeEPSM_NS1_7vsmem_tEENKUlT_SK_SL_SM_E_clISE_PiSF_SF_EESJ_SZ_SK_SL_SM_EUlSZ_E1_NS1_11comp_targetILNS1_3genE5ELNS1_11target_archE942ELNS1_3gpuE9ELNS1_3repE0EEENS1_36merge_oddeven_config_static_selectorELNS0_4arch9wavefront6targetE0EEEvSL_,@function
_ZN7rocprim17ROCPRIM_400000_NS6detail17trampoline_kernelINS0_14default_configENS1_38merge_sort_block_merge_config_selectorIiNS0_10empty_typeEEEZZNS1_27merge_sort_block_merge_implIS3_N6thrust23THRUST_200600_302600_NS6detail15normal_iteratorINS9_10device_ptrIiEEEEPS5_jNS1_19radix_merge_compareILb0ELb0EiNS0_19identity_decomposerEEEEE10hipError_tT0_T1_T2_jT3_P12ihipStream_tbPNSt15iterator_traitsISK_E10value_typeEPNSQ_ISL_E10value_typeEPSM_NS1_7vsmem_tEENKUlT_SK_SL_SM_E_clISE_PiSF_SF_EESJ_SZ_SK_SL_SM_EUlSZ_E1_NS1_11comp_targetILNS1_3genE5ELNS1_11target_archE942ELNS1_3gpuE9ELNS1_3repE0EEENS1_36merge_oddeven_config_static_selectorELNS0_4arch9wavefront6targetE0EEEvSL_: ; @_ZN7rocprim17ROCPRIM_400000_NS6detail17trampoline_kernelINS0_14default_configENS1_38merge_sort_block_merge_config_selectorIiNS0_10empty_typeEEEZZNS1_27merge_sort_block_merge_implIS3_N6thrust23THRUST_200600_302600_NS6detail15normal_iteratorINS9_10device_ptrIiEEEEPS5_jNS1_19radix_merge_compareILb0ELb0EiNS0_19identity_decomposerEEEEE10hipError_tT0_T1_T2_jT3_P12ihipStream_tbPNSt15iterator_traitsISK_E10value_typeEPNSQ_ISL_E10value_typeEPSM_NS1_7vsmem_tEENKUlT_SK_SL_SM_E_clISE_PiSF_SF_EESJ_SZ_SK_SL_SM_EUlSZ_E1_NS1_11comp_targetILNS1_3genE5ELNS1_11target_archE942ELNS1_3gpuE9ELNS1_3repE0EEENS1_36merge_oddeven_config_static_selectorELNS0_4arch9wavefront6targetE0EEEvSL_
; %bb.0:
	.section	.rodata,"a",@progbits
	.p2align	6, 0x0
	.amdhsa_kernel _ZN7rocprim17ROCPRIM_400000_NS6detail17trampoline_kernelINS0_14default_configENS1_38merge_sort_block_merge_config_selectorIiNS0_10empty_typeEEEZZNS1_27merge_sort_block_merge_implIS3_N6thrust23THRUST_200600_302600_NS6detail15normal_iteratorINS9_10device_ptrIiEEEEPS5_jNS1_19radix_merge_compareILb0ELb0EiNS0_19identity_decomposerEEEEE10hipError_tT0_T1_T2_jT3_P12ihipStream_tbPNSt15iterator_traitsISK_E10value_typeEPNSQ_ISL_E10value_typeEPSM_NS1_7vsmem_tEENKUlT_SK_SL_SM_E_clISE_PiSF_SF_EESJ_SZ_SK_SL_SM_EUlSZ_E1_NS1_11comp_targetILNS1_3genE5ELNS1_11target_archE942ELNS1_3gpuE9ELNS1_3repE0EEENS1_36merge_oddeven_config_static_selectorELNS0_4arch9wavefront6targetE0EEEvSL_
		.amdhsa_group_segment_fixed_size 0
		.amdhsa_private_segment_fixed_size 0
		.amdhsa_kernarg_size 48
		.amdhsa_user_sgpr_count 6
		.amdhsa_user_sgpr_private_segment_buffer 1
		.amdhsa_user_sgpr_dispatch_ptr 0
		.amdhsa_user_sgpr_queue_ptr 0
		.amdhsa_user_sgpr_kernarg_segment_ptr 1
		.amdhsa_user_sgpr_dispatch_id 0
		.amdhsa_user_sgpr_flat_scratch_init 0
		.amdhsa_user_sgpr_private_segment_size 0
		.amdhsa_wavefront_size32 1
		.amdhsa_uses_dynamic_stack 0
		.amdhsa_system_sgpr_private_segment_wavefront_offset 0
		.amdhsa_system_sgpr_workgroup_id_x 1
		.amdhsa_system_sgpr_workgroup_id_y 0
		.amdhsa_system_sgpr_workgroup_id_z 0
		.amdhsa_system_sgpr_workgroup_info 0
		.amdhsa_system_vgpr_workitem_id 0
		.amdhsa_next_free_vgpr 1
		.amdhsa_next_free_sgpr 1
		.amdhsa_reserve_vcc 0
		.amdhsa_reserve_flat_scratch 0
		.amdhsa_float_round_mode_32 0
		.amdhsa_float_round_mode_16_64 0
		.amdhsa_float_denorm_mode_32 3
		.amdhsa_float_denorm_mode_16_64 3
		.amdhsa_dx10_clamp 1
		.amdhsa_ieee_mode 1
		.amdhsa_fp16_overflow 0
		.amdhsa_workgroup_processor_mode 1
		.amdhsa_memory_ordered 1
		.amdhsa_forward_progress 1
		.amdhsa_shared_vgpr_count 0
		.amdhsa_exception_fp_ieee_invalid_op 0
		.amdhsa_exception_fp_denorm_src 0
		.amdhsa_exception_fp_ieee_div_zero 0
		.amdhsa_exception_fp_ieee_overflow 0
		.amdhsa_exception_fp_ieee_underflow 0
		.amdhsa_exception_fp_ieee_inexact 0
		.amdhsa_exception_int_div_zero 0
	.end_amdhsa_kernel
	.section	.text._ZN7rocprim17ROCPRIM_400000_NS6detail17trampoline_kernelINS0_14default_configENS1_38merge_sort_block_merge_config_selectorIiNS0_10empty_typeEEEZZNS1_27merge_sort_block_merge_implIS3_N6thrust23THRUST_200600_302600_NS6detail15normal_iteratorINS9_10device_ptrIiEEEEPS5_jNS1_19radix_merge_compareILb0ELb0EiNS0_19identity_decomposerEEEEE10hipError_tT0_T1_T2_jT3_P12ihipStream_tbPNSt15iterator_traitsISK_E10value_typeEPNSQ_ISL_E10value_typeEPSM_NS1_7vsmem_tEENKUlT_SK_SL_SM_E_clISE_PiSF_SF_EESJ_SZ_SK_SL_SM_EUlSZ_E1_NS1_11comp_targetILNS1_3genE5ELNS1_11target_archE942ELNS1_3gpuE9ELNS1_3repE0EEENS1_36merge_oddeven_config_static_selectorELNS0_4arch9wavefront6targetE0EEEvSL_,"axG",@progbits,_ZN7rocprim17ROCPRIM_400000_NS6detail17trampoline_kernelINS0_14default_configENS1_38merge_sort_block_merge_config_selectorIiNS0_10empty_typeEEEZZNS1_27merge_sort_block_merge_implIS3_N6thrust23THRUST_200600_302600_NS6detail15normal_iteratorINS9_10device_ptrIiEEEEPS5_jNS1_19radix_merge_compareILb0ELb0EiNS0_19identity_decomposerEEEEE10hipError_tT0_T1_T2_jT3_P12ihipStream_tbPNSt15iterator_traitsISK_E10value_typeEPNSQ_ISL_E10value_typeEPSM_NS1_7vsmem_tEENKUlT_SK_SL_SM_E_clISE_PiSF_SF_EESJ_SZ_SK_SL_SM_EUlSZ_E1_NS1_11comp_targetILNS1_3genE5ELNS1_11target_archE942ELNS1_3gpuE9ELNS1_3repE0EEENS1_36merge_oddeven_config_static_selectorELNS0_4arch9wavefront6targetE0EEEvSL_,comdat
.Lfunc_end61:
	.size	_ZN7rocprim17ROCPRIM_400000_NS6detail17trampoline_kernelINS0_14default_configENS1_38merge_sort_block_merge_config_selectorIiNS0_10empty_typeEEEZZNS1_27merge_sort_block_merge_implIS3_N6thrust23THRUST_200600_302600_NS6detail15normal_iteratorINS9_10device_ptrIiEEEEPS5_jNS1_19radix_merge_compareILb0ELb0EiNS0_19identity_decomposerEEEEE10hipError_tT0_T1_T2_jT3_P12ihipStream_tbPNSt15iterator_traitsISK_E10value_typeEPNSQ_ISL_E10value_typeEPSM_NS1_7vsmem_tEENKUlT_SK_SL_SM_E_clISE_PiSF_SF_EESJ_SZ_SK_SL_SM_EUlSZ_E1_NS1_11comp_targetILNS1_3genE5ELNS1_11target_archE942ELNS1_3gpuE9ELNS1_3repE0EEENS1_36merge_oddeven_config_static_selectorELNS0_4arch9wavefront6targetE0EEEvSL_, .Lfunc_end61-_ZN7rocprim17ROCPRIM_400000_NS6detail17trampoline_kernelINS0_14default_configENS1_38merge_sort_block_merge_config_selectorIiNS0_10empty_typeEEEZZNS1_27merge_sort_block_merge_implIS3_N6thrust23THRUST_200600_302600_NS6detail15normal_iteratorINS9_10device_ptrIiEEEEPS5_jNS1_19radix_merge_compareILb0ELb0EiNS0_19identity_decomposerEEEEE10hipError_tT0_T1_T2_jT3_P12ihipStream_tbPNSt15iterator_traitsISK_E10value_typeEPNSQ_ISL_E10value_typeEPSM_NS1_7vsmem_tEENKUlT_SK_SL_SM_E_clISE_PiSF_SF_EESJ_SZ_SK_SL_SM_EUlSZ_E1_NS1_11comp_targetILNS1_3genE5ELNS1_11target_archE942ELNS1_3gpuE9ELNS1_3repE0EEENS1_36merge_oddeven_config_static_selectorELNS0_4arch9wavefront6targetE0EEEvSL_
                                        ; -- End function
	.set _ZN7rocprim17ROCPRIM_400000_NS6detail17trampoline_kernelINS0_14default_configENS1_38merge_sort_block_merge_config_selectorIiNS0_10empty_typeEEEZZNS1_27merge_sort_block_merge_implIS3_N6thrust23THRUST_200600_302600_NS6detail15normal_iteratorINS9_10device_ptrIiEEEEPS5_jNS1_19radix_merge_compareILb0ELb0EiNS0_19identity_decomposerEEEEE10hipError_tT0_T1_T2_jT3_P12ihipStream_tbPNSt15iterator_traitsISK_E10value_typeEPNSQ_ISL_E10value_typeEPSM_NS1_7vsmem_tEENKUlT_SK_SL_SM_E_clISE_PiSF_SF_EESJ_SZ_SK_SL_SM_EUlSZ_E1_NS1_11comp_targetILNS1_3genE5ELNS1_11target_archE942ELNS1_3gpuE9ELNS1_3repE0EEENS1_36merge_oddeven_config_static_selectorELNS0_4arch9wavefront6targetE0EEEvSL_.num_vgpr, 0
	.set _ZN7rocprim17ROCPRIM_400000_NS6detail17trampoline_kernelINS0_14default_configENS1_38merge_sort_block_merge_config_selectorIiNS0_10empty_typeEEEZZNS1_27merge_sort_block_merge_implIS3_N6thrust23THRUST_200600_302600_NS6detail15normal_iteratorINS9_10device_ptrIiEEEEPS5_jNS1_19radix_merge_compareILb0ELb0EiNS0_19identity_decomposerEEEEE10hipError_tT0_T1_T2_jT3_P12ihipStream_tbPNSt15iterator_traitsISK_E10value_typeEPNSQ_ISL_E10value_typeEPSM_NS1_7vsmem_tEENKUlT_SK_SL_SM_E_clISE_PiSF_SF_EESJ_SZ_SK_SL_SM_EUlSZ_E1_NS1_11comp_targetILNS1_3genE5ELNS1_11target_archE942ELNS1_3gpuE9ELNS1_3repE0EEENS1_36merge_oddeven_config_static_selectorELNS0_4arch9wavefront6targetE0EEEvSL_.num_agpr, 0
	.set _ZN7rocprim17ROCPRIM_400000_NS6detail17trampoline_kernelINS0_14default_configENS1_38merge_sort_block_merge_config_selectorIiNS0_10empty_typeEEEZZNS1_27merge_sort_block_merge_implIS3_N6thrust23THRUST_200600_302600_NS6detail15normal_iteratorINS9_10device_ptrIiEEEEPS5_jNS1_19radix_merge_compareILb0ELb0EiNS0_19identity_decomposerEEEEE10hipError_tT0_T1_T2_jT3_P12ihipStream_tbPNSt15iterator_traitsISK_E10value_typeEPNSQ_ISL_E10value_typeEPSM_NS1_7vsmem_tEENKUlT_SK_SL_SM_E_clISE_PiSF_SF_EESJ_SZ_SK_SL_SM_EUlSZ_E1_NS1_11comp_targetILNS1_3genE5ELNS1_11target_archE942ELNS1_3gpuE9ELNS1_3repE0EEENS1_36merge_oddeven_config_static_selectorELNS0_4arch9wavefront6targetE0EEEvSL_.numbered_sgpr, 0
	.set _ZN7rocprim17ROCPRIM_400000_NS6detail17trampoline_kernelINS0_14default_configENS1_38merge_sort_block_merge_config_selectorIiNS0_10empty_typeEEEZZNS1_27merge_sort_block_merge_implIS3_N6thrust23THRUST_200600_302600_NS6detail15normal_iteratorINS9_10device_ptrIiEEEEPS5_jNS1_19radix_merge_compareILb0ELb0EiNS0_19identity_decomposerEEEEE10hipError_tT0_T1_T2_jT3_P12ihipStream_tbPNSt15iterator_traitsISK_E10value_typeEPNSQ_ISL_E10value_typeEPSM_NS1_7vsmem_tEENKUlT_SK_SL_SM_E_clISE_PiSF_SF_EESJ_SZ_SK_SL_SM_EUlSZ_E1_NS1_11comp_targetILNS1_3genE5ELNS1_11target_archE942ELNS1_3gpuE9ELNS1_3repE0EEENS1_36merge_oddeven_config_static_selectorELNS0_4arch9wavefront6targetE0EEEvSL_.num_named_barrier, 0
	.set _ZN7rocprim17ROCPRIM_400000_NS6detail17trampoline_kernelINS0_14default_configENS1_38merge_sort_block_merge_config_selectorIiNS0_10empty_typeEEEZZNS1_27merge_sort_block_merge_implIS3_N6thrust23THRUST_200600_302600_NS6detail15normal_iteratorINS9_10device_ptrIiEEEEPS5_jNS1_19radix_merge_compareILb0ELb0EiNS0_19identity_decomposerEEEEE10hipError_tT0_T1_T2_jT3_P12ihipStream_tbPNSt15iterator_traitsISK_E10value_typeEPNSQ_ISL_E10value_typeEPSM_NS1_7vsmem_tEENKUlT_SK_SL_SM_E_clISE_PiSF_SF_EESJ_SZ_SK_SL_SM_EUlSZ_E1_NS1_11comp_targetILNS1_3genE5ELNS1_11target_archE942ELNS1_3gpuE9ELNS1_3repE0EEENS1_36merge_oddeven_config_static_selectorELNS0_4arch9wavefront6targetE0EEEvSL_.private_seg_size, 0
	.set _ZN7rocprim17ROCPRIM_400000_NS6detail17trampoline_kernelINS0_14default_configENS1_38merge_sort_block_merge_config_selectorIiNS0_10empty_typeEEEZZNS1_27merge_sort_block_merge_implIS3_N6thrust23THRUST_200600_302600_NS6detail15normal_iteratorINS9_10device_ptrIiEEEEPS5_jNS1_19radix_merge_compareILb0ELb0EiNS0_19identity_decomposerEEEEE10hipError_tT0_T1_T2_jT3_P12ihipStream_tbPNSt15iterator_traitsISK_E10value_typeEPNSQ_ISL_E10value_typeEPSM_NS1_7vsmem_tEENKUlT_SK_SL_SM_E_clISE_PiSF_SF_EESJ_SZ_SK_SL_SM_EUlSZ_E1_NS1_11comp_targetILNS1_3genE5ELNS1_11target_archE942ELNS1_3gpuE9ELNS1_3repE0EEENS1_36merge_oddeven_config_static_selectorELNS0_4arch9wavefront6targetE0EEEvSL_.uses_vcc, 0
	.set _ZN7rocprim17ROCPRIM_400000_NS6detail17trampoline_kernelINS0_14default_configENS1_38merge_sort_block_merge_config_selectorIiNS0_10empty_typeEEEZZNS1_27merge_sort_block_merge_implIS3_N6thrust23THRUST_200600_302600_NS6detail15normal_iteratorINS9_10device_ptrIiEEEEPS5_jNS1_19radix_merge_compareILb0ELb0EiNS0_19identity_decomposerEEEEE10hipError_tT0_T1_T2_jT3_P12ihipStream_tbPNSt15iterator_traitsISK_E10value_typeEPNSQ_ISL_E10value_typeEPSM_NS1_7vsmem_tEENKUlT_SK_SL_SM_E_clISE_PiSF_SF_EESJ_SZ_SK_SL_SM_EUlSZ_E1_NS1_11comp_targetILNS1_3genE5ELNS1_11target_archE942ELNS1_3gpuE9ELNS1_3repE0EEENS1_36merge_oddeven_config_static_selectorELNS0_4arch9wavefront6targetE0EEEvSL_.uses_flat_scratch, 0
	.set _ZN7rocprim17ROCPRIM_400000_NS6detail17trampoline_kernelINS0_14default_configENS1_38merge_sort_block_merge_config_selectorIiNS0_10empty_typeEEEZZNS1_27merge_sort_block_merge_implIS3_N6thrust23THRUST_200600_302600_NS6detail15normal_iteratorINS9_10device_ptrIiEEEEPS5_jNS1_19radix_merge_compareILb0ELb0EiNS0_19identity_decomposerEEEEE10hipError_tT0_T1_T2_jT3_P12ihipStream_tbPNSt15iterator_traitsISK_E10value_typeEPNSQ_ISL_E10value_typeEPSM_NS1_7vsmem_tEENKUlT_SK_SL_SM_E_clISE_PiSF_SF_EESJ_SZ_SK_SL_SM_EUlSZ_E1_NS1_11comp_targetILNS1_3genE5ELNS1_11target_archE942ELNS1_3gpuE9ELNS1_3repE0EEENS1_36merge_oddeven_config_static_selectorELNS0_4arch9wavefront6targetE0EEEvSL_.has_dyn_sized_stack, 0
	.set _ZN7rocprim17ROCPRIM_400000_NS6detail17trampoline_kernelINS0_14default_configENS1_38merge_sort_block_merge_config_selectorIiNS0_10empty_typeEEEZZNS1_27merge_sort_block_merge_implIS3_N6thrust23THRUST_200600_302600_NS6detail15normal_iteratorINS9_10device_ptrIiEEEEPS5_jNS1_19radix_merge_compareILb0ELb0EiNS0_19identity_decomposerEEEEE10hipError_tT0_T1_T2_jT3_P12ihipStream_tbPNSt15iterator_traitsISK_E10value_typeEPNSQ_ISL_E10value_typeEPSM_NS1_7vsmem_tEENKUlT_SK_SL_SM_E_clISE_PiSF_SF_EESJ_SZ_SK_SL_SM_EUlSZ_E1_NS1_11comp_targetILNS1_3genE5ELNS1_11target_archE942ELNS1_3gpuE9ELNS1_3repE0EEENS1_36merge_oddeven_config_static_selectorELNS0_4arch9wavefront6targetE0EEEvSL_.has_recursion, 0
	.set _ZN7rocprim17ROCPRIM_400000_NS6detail17trampoline_kernelINS0_14default_configENS1_38merge_sort_block_merge_config_selectorIiNS0_10empty_typeEEEZZNS1_27merge_sort_block_merge_implIS3_N6thrust23THRUST_200600_302600_NS6detail15normal_iteratorINS9_10device_ptrIiEEEEPS5_jNS1_19radix_merge_compareILb0ELb0EiNS0_19identity_decomposerEEEEE10hipError_tT0_T1_T2_jT3_P12ihipStream_tbPNSt15iterator_traitsISK_E10value_typeEPNSQ_ISL_E10value_typeEPSM_NS1_7vsmem_tEENKUlT_SK_SL_SM_E_clISE_PiSF_SF_EESJ_SZ_SK_SL_SM_EUlSZ_E1_NS1_11comp_targetILNS1_3genE5ELNS1_11target_archE942ELNS1_3gpuE9ELNS1_3repE0EEENS1_36merge_oddeven_config_static_selectorELNS0_4arch9wavefront6targetE0EEEvSL_.has_indirect_call, 0
	.section	.AMDGPU.csdata,"",@progbits
; Kernel info:
; codeLenInByte = 0
; TotalNumSgprs: 0
; NumVgprs: 0
; ScratchSize: 0
; MemoryBound: 0
; FloatMode: 240
; IeeeMode: 1
; LDSByteSize: 0 bytes/workgroup (compile time only)
; SGPRBlocks: 0
; VGPRBlocks: 0
; NumSGPRsForWavesPerEU: 1
; NumVGPRsForWavesPerEU: 1
; Occupancy: 16
; WaveLimiterHint : 0
; COMPUTE_PGM_RSRC2:SCRATCH_EN: 0
; COMPUTE_PGM_RSRC2:USER_SGPR: 6
; COMPUTE_PGM_RSRC2:TRAP_HANDLER: 0
; COMPUTE_PGM_RSRC2:TGID_X_EN: 1
; COMPUTE_PGM_RSRC2:TGID_Y_EN: 0
; COMPUTE_PGM_RSRC2:TGID_Z_EN: 0
; COMPUTE_PGM_RSRC2:TIDIG_COMP_CNT: 0
	.section	.text._ZN7rocprim17ROCPRIM_400000_NS6detail17trampoline_kernelINS0_14default_configENS1_38merge_sort_block_merge_config_selectorIiNS0_10empty_typeEEEZZNS1_27merge_sort_block_merge_implIS3_N6thrust23THRUST_200600_302600_NS6detail15normal_iteratorINS9_10device_ptrIiEEEEPS5_jNS1_19radix_merge_compareILb0ELb0EiNS0_19identity_decomposerEEEEE10hipError_tT0_T1_T2_jT3_P12ihipStream_tbPNSt15iterator_traitsISK_E10value_typeEPNSQ_ISL_E10value_typeEPSM_NS1_7vsmem_tEENKUlT_SK_SL_SM_E_clISE_PiSF_SF_EESJ_SZ_SK_SL_SM_EUlSZ_E1_NS1_11comp_targetILNS1_3genE4ELNS1_11target_archE910ELNS1_3gpuE8ELNS1_3repE0EEENS1_36merge_oddeven_config_static_selectorELNS0_4arch9wavefront6targetE0EEEvSL_,"axG",@progbits,_ZN7rocprim17ROCPRIM_400000_NS6detail17trampoline_kernelINS0_14default_configENS1_38merge_sort_block_merge_config_selectorIiNS0_10empty_typeEEEZZNS1_27merge_sort_block_merge_implIS3_N6thrust23THRUST_200600_302600_NS6detail15normal_iteratorINS9_10device_ptrIiEEEEPS5_jNS1_19radix_merge_compareILb0ELb0EiNS0_19identity_decomposerEEEEE10hipError_tT0_T1_T2_jT3_P12ihipStream_tbPNSt15iterator_traitsISK_E10value_typeEPNSQ_ISL_E10value_typeEPSM_NS1_7vsmem_tEENKUlT_SK_SL_SM_E_clISE_PiSF_SF_EESJ_SZ_SK_SL_SM_EUlSZ_E1_NS1_11comp_targetILNS1_3genE4ELNS1_11target_archE910ELNS1_3gpuE8ELNS1_3repE0EEENS1_36merge_oddeven_config_static_selectorELNS0_4arch9wavefront6targetE0EEEvSL_,comdat
	.protected	_ZN7rocprim17ROCPRIM_400000_NS6detail17trampoline_kernelINS0_14default_configENS1_38merge_sort_block_merge_config_selectorIiNS0_10empty_typeEEEZZNS1_27merge_sort_block_merge_implIS3_N6thrust23THRUST_200600_302600_NS6detail15normal_iteratorINS9_10device_ptrIiEEEEPS5_jNS1_19radix_merge_compareILb0ELb0EiNS0_19identity_decomposerEEEEE10hipError_tT0_T1_T2_jT3_P12ihipStream_tbPNSt15iterator_traitsISK_E10value_typeEPNSQ_ISL_E10value_typeEPSM_NS1_7vsmem_tEENKUlT_SK_SL_SM_E_clISE_PiSF_SF_EESJ_SZ_SK_SL_SM_EUlSZ_E1_NS1_11comp_targetILNS1_3genE4ELNS1_11target_archE910ELNS1_3gpuE8ELNS1_3repE0EEENS1_36merge_oddeven_config_static_selectorELNS0_4arch9wavefront6targetE0EEEvSL_ ; -- Begin function _ZN7rocprim17ROCPRIM_400000_NS6detail17trampoline_kernelINS0_14default_configENS1_38merge_sort_block_merge_config_selectorIiNS0_10empty_typeEEEZZNS1_27merge_sort_block_merge_implIS3_N6thrust23THRUST_200600_302600_NS6detail15normal_iteratorINS9_10device_ptrIiEEEEPS5_jNS1_19radix_merge_compareILb0ELb0EiNS0_19identity_decomposerEEEEE10hipError_tT0_T1_T2_jT3_P12ihipStream_tbPNSt15iterator_traitsISK_E10value_typeEPNSQ_ISL_E10value_typeEPSM_NS1_7vsmem_tEENKUlT_SK_SL_SM_E_clISE_PiSF_SF_EESJ_SZ_SK_SL_SM_EUlSZ_E1_NS1_11comp_targetILNS1_3genE4ELNS1_11target_archE910ELNS1_3gpuE8ELNS1_3repE0EEENS1_36merge_oddeven_config_static_selectorELNS0_4arch9wavefront6targetE0EEEvSL_
	.globl	_ZN7rocprim17ROCPRIM_400000_NS6detail17trampoline_kernelINS0_14default_configENS1_38merge_sort_block_merge_config_selectorIiNS0_10empty_typeEEEZZNS1_27merge_sort_block_merge_implIS3_N6thrust23THRUST_200600_302600_NS6detail15normal_iteratorINS9_10device_ptrIiEEEEPS5_jNS1_19radix_merge_compareILb0ELb0EiNS0_19identity_decomposerEEEEE10hipError_tT0_T1_T2_jT3_P12ihipStream_tbPNSt15iterator_traitsISK_E10value_typeEPNSQ_ISL_E10value_typeEPSM_NS1_7vsmem_tEENKUlT_SK_SL_SM_E_clISE_PiSF_SF_EESJ_SZ_SK_SL_SM_EUlSZ_E1_NS1_11comp_targetILNS1_3genE4ELNS1_11target_archE910ELNS1_3gpuE8ELNS1_3repE0EEENS1_36merge_oddeven_config_static_selectorELNS0_4arch9wavefront6targetE0EEEvSL_
	.p2align	8
	.type	_ZN7rocprim17ROCPRIM_400000_NS6detail17trampoline_kernelINS0_14default_configENS1_38merge_sort_block_merge_config_selectorIiNS0_10empty_typeEEEZZNS1_27merge_sort_block_merge_implIS3_N6thrust23THRUST_200600_302600_NS6detail15normal_iteratorINS9_10device_ptrIiEEEEPS5_jNS1_19radix_merge_compareILb0ELb0EiNS0_19identity_decomposerEEEEE10hipError_tT0_T1_T2_jT3_P12ihipStream_tbPNSt15iterator_traitsISK_E10value_typeEPNSQ_ISL_E10value_typeEPSM_NS1_7vsmem_tEENKUlT_SK_SL_SM_E_clISE_PiSF_SF_EESJ_SZ_SK_SL_SM_EUlSZ_E1_NS1_11comp_targetILNS1_3genE4ELNS1_11target_archE910ELNS1_3gpuE8ELNS1_3repE0EEENS1_36merge_oddeven_config_static_selectorELNS0_4arch9wavefront6targetE0EEEvSL_,@function
_ZN7rocprim17ROCPRIM_400000_NS6detail17trampoline_kernelINS0_14default_configENS1_38merge_sort_block_merge_config_selectorIiNS0_10empty_typeEEEZZNS1_27merge_sort_block_merge_implIS3_N6thrust23THRUST_200600_302600_NS6detail15normal_iteratorINS9_10device_ptrIiEEEEPS5_jNS1_19radix_merge_compareILb0ELb0EiNS0_19identity_decomposerEEEEE10hipError_tT0_T1_T2_jT3_P12ihipStream_tbPNSt15iterator_traitsISK_E10value_typeEPNSQ_ISL_E10value_typeEPSM_NS1_7vsmem_tEENKUlT_SK_SL_SM_E_clISE_PiSF_SF_EESJ_SZ_SK_SL_SM_EUlSZ_E1_NS1_11comp_targetILNS1_3genE4ELNS1_11target_archE910ELNS1_3gpuE8ELNS1_3repE0EEENS1_36merge_oddeven_config_static_selectorELNS0_4arch9wavefront6targetE0EEEvSL_: ; @_ZN7rocprim17ROCPRIM_400000_NS6detail17trampoline_kernelINS0_14default_configENS1_38merge_sort_block_merge_config_selectorIiNS0_10empty_typeEEEZZNS1_27merge_sort_block_merge_implIS3_N6thrust23THRUST_200600_302600_NS6detail15normal_iteratorINS9_10device_ptrIiEEEEPS5_jNS1_19radix_merge_compareILb0ELb0EiNS0_19identity_decomposerEEEEE10hipError_tT0_T1_T2_jT3_P12ihipStream_tbPNSt15iterator_traitsISK_E10value_typeEPNSQ_ISL_E10value_typeEPSM_NS1_7vsmem_tEENKUlT_SK_SL_SM_E_clISE_PiSF_SF_EESJ_SZ_SK_SL_SM_EUlSZ_E1_NS1_11comp_targetILNS1_3genE4ELNS1_11target_archE910ELNS1_3gpuE8ELNS1_3repE0EEENS1_36merge_oddeven_config_static_selectorELNS0_4arch9wavefront6targetE0EEEvSL_
; %bb.0:
	.section	.rodata,"a",@progbits
	.p2align	6, 0x0
	.amdhsa_kernel _ZN7rocprim17ROCPRIM_400000_NS6detail17trampoline_kernelINS0_14default_configENS1_38merge_sort_block_merge_config_selectorIiNS0_10empty_typeEEEZZNS1_27merge_sort_block_merge_implIS3_N6thrust23THRUST_200600_302600_NS6detail15normal_iteratorINS9_10device_ptrIiEEEEPS5_jNS1_19radix_merge_compareILb0ELb0EiNS0_19identity_decomposerEEEEE10hipError_tT0_T1_T2_jT3_P12ihipStream_tbPNSt15iterator_traitsISK_E10value_typeEPNSQ_ISL_E10value_typeEPSM_NS1_7vsmem_tEENKUlT_SK_SL_SM_E_clISE_PiSF_SF_EESJ_SZ_SK_SL_SM_EUlSZ_E1_NS1_11comp_targetILNS1_3genE4ELNS1_11target_archE910ELNS1_3gpuE8ELNS1_3repE0EEENS1_36merge_oddeven_config_static_selectorELNS0_4arch9wavefront6targetE0EEEvSL_
		.amdhsa_group_segment_fixed_size 0
		.amdhsa_private_segment_fixed_size 0
		.amdhsa_kernarg_size 48
		.amdhsa_user_sgpr_count 6
		.amdhsa_user_sgpr_private_segment_buffer 1
		.amdhsa_user_sgpr_dispatch_ptr 0
		.amdhsa_user_sgpr_queue_ptr 0
		.amdhsa_user_sgpr_kernarg_segment_ptr 1
		.amdhsa_user_sgpr_dispatch_id 0
		.amdhsa_user_sgpr_flat_scratch_init 0
		.amdhsa_user_sgpr_private_segment_size 0
		.amdhsa_wavefront_size32 1
		.amdhsa_uses_dynamic_stack 0
		.amdhsa_system_sgpr_private_segment_wavefront_offset 0
		.amdhsa_system_sgpr_workgroup_id_x 1
		.amdhsa_system_sgpr_workgroup_id_y 0
		.amdhsa_system_sgpr_workgroup_id_z 0
		.amdhsa_system_sgpr_workgroup_info 0
		.amdhsa_system_vgpr_workitem_id 0
		.amdhsa_next_free_vgpr 1
		.amdhsa_next_free_sgpr 1
		.amdhsa_reserve_vcc 0
		.amdhsa_reserve_flat_scratch 0
		.amdhsa_float_round_mode_32 0
		.amdhsa_float_round_mode_16_64 0
		.amdhsa_float_denorm_mode_32 3
		.amdhsa_float_denorm_mode_16_64 3
		.amdhsa_dx10_clamp 1
		.amdhsa_ieee_mode 1
		.amdhsa_fp16_overflow 0
		.amdhsa_workgroup_processor_mode 1
		.amdhsa_memory_ordered 1
		.amdhsa_forward_progress 1
		.amdhsa_shared_vgpr_count 0
		.amdhsa_exception_fp_ieee_invalid_op 0
		.amdhsa_exception_fp_denorm_src 0
		.amdhsa_exception_fp_ieee_div_zero 0
		.amdhsa_exception_fp_ieee_overflow 0
		.amdhsa_exception_fp_ieee_underflow 0
		.amdhsa_exception_fp_ieee_inexact 0
		.amdhsa_exception_int_div_zero 0
	.end_amdhsa_kernel
	.section	.text._ZN7rocprim17ROCPRIM_400000_NS6detail17trampoline_kernelINS0_14default_configENS1_38merge_sort_block_merge_config_selectorIiNS0_10empty_typeEEEZZNS1_27merge_sort_block_merge_implIS3_N6thrust23THRUST_200600_302600_NS6detail15normal_iteratorINS9_10device_ptrIiEEEEPS5_jNS1_19radix_merge_compareILb0ELb0EiNS0_19identity_decomposerEEEEE10hipError_tT0_T1_T2_jT3_P12ihipStream_tbPNSt15iterator_traitsISK_E10value_typeEPNSQ_ISL_E10value_typeEPSM_NS1_7vsmem_tEENKUlT_SK_SL_SM_E_clISE_PiSF_SF_EESJ_SZ_SK_SL_SM_EUlSZ_E1_NS1_11comp_targetILNS1_3genE4ELNS1_11target_archE910ELNS1_3gpuE8ELNS1_3repE0EEENS1_36merge_oddeven_config_static_selectorELNS0_4arch9wavefront6targetE0EEEvSL_,"axG",@progbits,_ZN7rocprim17ROCPRIM_400000_NS6detail17trampoline_kernelINS0_14default_configENS1_38merge_sort_block_merge_config_selectorIiNS0_10empty_typeEEEZZNS1_27merge_sort_block_merge_implIS3_N6thrust23THRUST_200600_302600_NS6detail15normal_iteratorINS9_10device_ptrIiEEEEPS5_jNS1_19radix_merge_compareILb0ELb0EiNS0_19identity_decomposerEEEEE10hipError_tT0_T1_T2_jT3_P12ihipStream_tbPNSt15iterator_traitsISK_E10value_typeEPNSQ_ISL_E10value_typeEPSM_NS1_7vsmem_tEENKUlT_SK_SL_SM_E_clISE_PiSF_SF_EESJ_SZ_SK_SL_SM_EUlSZ_E1_NS1_11comp_targetILNS1_3genE4ELNS1_11target_archE910ELNS1_3gpuE8ELNS1_3repE0EEENS1_36merge_oddeven_config_static_selectorELNS0_4arch9wavefront6targetE0EEEvSL_,comdat
.Lfunc_end62:
	.size	_ZN7rocprim17ROCPRIM_400000_NS6detail17trampoline_kernelINS0_14default_configENS1_38merge_sort_block_merge_config_selectorIiNS0_10empty_typeEEEZZNS1_27merge_sort_block_merge_implIS3_N6thrust23THRUST_200600_302600_NS6detail15normal_iteratorINS9_10device_ptrIiEEEEPS5_jNS1_19radix_merge_compareILb0ELb0EiNS0_19identity_decomposerEEEEE10hipError_tT0_T1_T2_jT3_P12ihipStream_tbPNSt15iterator_traitsISK_E10value_typeEPNSQ_ISL_E10value_typeEPSM_NS1_7vsmem_tEENKUlT_SK_SL_SM_E_clISE_PiSF_SF_EESJ_SZ_SK_SL_SM_EUlSZ_E1_NS1_11comp_targetILNS1_3genE4ELNS1_11target_archE910ELNS1_3gpuE8ELNS1_3repE0EEENS1_36merge_oddeven_config_static_selectorELNS0_4arch9wavefront6targetE0EEEvSL_, .Lfunc_end62-_ZN7rocprim17ROCPRIM_400000_NS6detail17trampoline_kernelINS0_14default_configENS1_38merge_sort_block_merge_config_selectorIiNS0_10empty_typeEEEZZNS1_27merge_sort_block_merge_implIS3_N6thrust23THRUST_200600_302600_NS6detail15normal_iteratorINS9_10device_ptrIiEEEEPS5_jNS1_19radix_merge_compareILb0ELb0EiNS0_19identity_decomposerEEEEE10hipError_tT0_T1_T2_jT3_P12ihipStream_tbPNSt15iterator_traitsISK_E10value_typeEPNSQ_ISL_E10value_typeEPSM_NS1_7vsmem_tEENKUlT_SK_SL_SM_E_clISE_PiSF_SF_EESJ_SZ_SK_SL_SM_EUlSZ_E1_NS1_11comp_targetILNS1_3genE4ELNS1_11target_archE910ELNS1_3gpuE8ELNS1_3repE0EEENS1_36merge_oddeven_config_static_selectorELNS0_4arch9wavefront6targetE0EEEvSL_
                                        ; -- End function
	.set _ZN7rocprim17ROCPRIM_400000_NS6detail17trampoline_kernelINS0_14default_configENS1_38merge_sort_block_merge_config_selectorIiNS0_10empty_typeEEEZZNS1_27merge_sort_block_merge_implIS3_N6thrust23THRUST_200600_302600_NS6detail15normal_iteratorINS9_10device_ptrIiEEEEPS5_jNS1_19radix_merge_compareILb0ELb0EiNS0_19identity_decomposerEEEEE10hipError_tT0_T1_T2_jT3_P12ihipStream_tbPNSt15iterator_traitsISK_E10value_typeEPNSQ_ISL_E10value_typeEPSM_NS1_7vsmem_tEENKUlT_SK_SL_SM_E_clISE_PiSF_SF_EESJ_SZ_SK_SL_SM_EUlSZ_E1_NS1_11comp_targetILNS1_3genE4ELNS1_11target_archE910ELNS1_3gpuE8ELNS1_3repE0EEENS1_36merge_oddeven_config_static_selectorELNS0_4arch9wavefront6targetE0EEEvSL_.num_vgpr, 0
	.set _ZN7rocprim17ROCPRIM_400000_NS6detail17trampoline_kernelINS0_14default_configENS1_38merge_sort_block_merge_config_selectorIiNS0_10empty_typeEEEZZNS1_27merge_sort_block_merge_implIS3_N6thrust23THRUST_200600_302600_NS6detail15normal_iteratorINS9_10device_ptrIiEEEEPS5_jNS1_19radix_merge_compareILb0ELb0EiNS0_19identity_decomposerEEEEE10hipError_tT0_T1_T2_jT3_P12ihipStream_tbPNSt15iterator_traitsISK_E10value_typeEPNSQ_ISL_E10value_typeEPSM_NS1_7vsmem_tEENKUlT_SK_SL_SM_E_clISE_PiSF_SF_EESJ_SZ_SK_SL_SM_EUlSZ_E1_NS1_11comp_targetILNS1_3genE4ELNS1_11target_archE910ELNS1_3gpuE8ELNS1_3repE0EEENS1_36merge_oddeven_config_static_selectorELNS0_4arch9wavefront6targetE0EEEvSL_.num_agpr, 0
	.set _ZN7rocprim17ROCPRIM_400000_NS6detail17trampoline_kernelINS0_14default_configENS1_38merge_sort_block_merge_config_selectorIiNS0_10empty_typeEEEZZNS1_27merge_sort_block_merge_implIS3_N6thrust23THRUST_200600_302600_NS6detail15normal_iteratorINS9_10device_ptrIiEEEEPS5_jNS1_19radix_merge_compareILb0ELb0EiNS0_19identity_decomposerEEEEE10hipError_tT0_T1_T2_jT3_P12ihipStream_tbPNSt15iterator_traitsISK_E10value_typeEPNSQ_ISL_E10value_typeEPSM_NS1_7vsmem_tEENKUlT_SK_SL_SM_E_clISE_PiSF_SF_EESJ_SZ_SK_SL_SM_EUlSZ_E1_NS1_11comp_targetILNS1_3genE4ELNS1_11target_archE910ELNS1_3gpuE8ELNS1_3repE0EEENS1_36merge_oddeven_config_static_selectorELNS0_4arch9wavefront6targetE0EEEvSL_.numbered_sgpr, 0
	.set _ZN7rocprim17ROCPRIM_400000_NS6detail17trampoline_kernelINS0_14default_configENS1_38merge_sort_block_merge_config_selectorIiNS0_10empty_typeEEEZZNS1_27merge_sort_block_merge_implIS3_N6thrust23THRUST_200600_302600_NS6detail15normal_iteratorINS9_10device_ptrIiEEEEPS5_jNS1_19radix_merge_compareILb0ELb0EiNS0_19identity_decomposerEEEEE10hipError_tT0_T1_T2_jT3_P12ihipStream_tbPNSt15iterator_traitsISK_E10value_typeEPNSQ_ISL_E10value_typeEPSM_NS1_7vsmem_tEENKUlT_SK_SL_SM_E_clISE_PiSF_SF_EESJ_SZ_SK_SL_SM_EUlSZ_E1_NS1_11comp_targetILNS1_3genE4ELNS1_11target_archE910ELNS1_3gpuE8ELNS1_3repE0EEENS1_36merge_oddeven_config_static_selectorELNS0_4arch9wavefront6targetE0EEEvSL_.num_named_barrier, 0
	.set _ZN7rocprim17ROCPRIM_400000_NS6detail17trampoline_kernelINS0_14default_configENS1_38merge_sort_block_merge_config_selectorIiNS0_10empty_typeEEEZZNS1_27merge_sort_block_merge_implIS3_N6thrust23THRUST_200600_302600_NS6detail15normal_iteratorINS9_10device_ptrIiEEEEPS5_jNS1_19radix_merge_compareILb0ELb0EiNS0_19identity_decomposerEEEEE10hipError_tT0_T1_T2_jT3_P12ihipStream_tbPNSt15iterator_traitsISK_E10value_typeEPNSQ_ISL_E10value_typeEPSM_NS1_7vsmem_tEENKUlT_SK_SL_SM_E_clISE_PiSF_SF_EESJ_SZ_SK_SL_SM_EUlSZ_E1_NS1_11comp_targetILNS1_3genE4ELNS1_11target_archE910ELNS1_3gpuE8ELNS1_3repE0EEENS1_36merge_oddeven_config_static_selectorELNS0_4arch9wavefront6targetE0EEEvSL_.private_seg_size, 0
	.set _ZN7rocprim17ROCPRIM_400000_NS6detail17trampoline_kernelINS0_14default_configENS1_38merge_sort_block_merge_config_selectorIiNS0_10empty_typeEEEZZNS1_27merge_sort_block_merge_implIS3_N6thrust23THRUST_200600_302600_NS6detail15normal_iteratorINS9_10device_ptrIiEEEEPS5_jNS1_19radix_merge_compareILb0ELb0EiNS0_19identity_decomposerEEEEE10hipError_tT0_T1_T2_jT3_P12ihipStream_tbPNSt15iterator_traitsISK_E10value_typeEPNSQ_ISL_E10value_typeEPSM_NS1_7vsmem_tEENKUlT_SK_SL_SM_E_clISE_PiSF_SF_EESJ_SZ_SK_SL_SM_EUlSZ_E1_NS1_11comp_targetILNS1_3genE4ELNS1_11target_archE910ELNS1_3gpuE8ELNS1_3repE0EEENS1_36merge_oddeven_config_static_selectorELNS0_4arch9wavefront6targetE0EEEvSL_.uses_vcc, 0
	.set _ZN7rocprim17ROCPRIM_400000_NS6detail17trampoline_kernelINS0_14default_configENS1_38merge_sort_block_merge_config_selectorIiNS0_10empty_typeEEEZZNS1_27merge_sort_block_merge_implIS3_N6thrust23THRUST_200600_302600_NS6detail15normal_iteratorINS9_10device_ptrIiEEEEPS5_jNS1_19radix_merge_compareILb0ELb0EiNS0_19identity_decomposerEEEEE10hipError_tT0_T1_T2_jT3_P12ihipStream_tbPNSt15iterator_traitsISK_E10value_typeEPNSQ_ISL_E10value_typeEPSM_NS1_7vsmem_tEENKUlT_SK_SL_SM_E_clISE_PiSF_SF_EESJ_SZ_SK_SL_SM_EUlSZ_E1_NS1_11comp_targetILNS1_3genE4ELNS1_11target_archE910ELNS1_3gpuE8ELNS1_3repE0EEENS1_36merge_oddeven_config_static_selectorELNS0_4arch9wavefront6targetE0EEEvSL_.uses_flat_scratch, 0
	.set _ZN7rocprim17ROCPRIM_400000_NS6detail17trampoline_kernelINS0_14default_configENS1_38merge_sort_block_merge_config_selectorIiNS0_10empty_typeEEEZZNS1_27merge_sort_block_merge_implIS3_N6thrust23THRUST_200600_302600_NS6detail15normal_iteratorINS9_10device_ptrIiEEEEPS5_jNS1_19radix_merge_compareILb0ELb0EiNS0_19identity_decomposerEEEEE10hipError_tT0_T1_T2_jT3_P12ihipStream_tbPNSt15iterator_traitsISK_E10value_typeEPNSQ_ISL_E10value_typeEPSM_NS1_7vsmem_tEENKUlT_SK_SL_SM_E_clISE_PiSF_SF_EESJ_SZ_SK_SL_SM_EUlSZ_E1_NS1_11comp_targetILNS1_3genE4ELNS1_11target_archE910ELNS1_3gpuE8ELNS1_3repE0EEENS1_36merge_oddeven_config_static_selectorELNS0_4arch9wavefront6targetE0EEEvSL_.has_dyn_sized_stack, 0
	.set _ZN7rocprim17ROCPRIM_400000_NS6detail17trampoline_kernelINS0_14default_configENS1_38merge_sort_block_merge_config_selectorIiNS0_10empty_typeEEEZZNS1_27merge_sort_block_merge_implIS3_N6thrust23THRUST_200600_302600_NS6detail15normal_iteratorINS9_10device_ptrIiEEEEPS5_jNS1_19radix_merge_compareILb0ELb0EiNS0_19identity_decomposerEEEEE10hipError_tT0_T1_T2_jT3_P12ihipStream_tbPNSt15iterator_traitsISK_E10value_typeEPNSQ_ISL_E10value_typeEPSM_NS1_7vsmem_tEENKUlT_SK_SL_SM_E_clISE_PiSF_SF_EESJ_SZ_SK_SL_SM_EUlSZ_E1_NS1_11comp_targetILNS1_3genE4ELNS1_11target_archE910ELNS1_3gpuE8ELNS1_3repE0EEENS1_36merge_oddeven_config_static_selectorELNS0_4arch9wavefront6targetE0EEEvSL_.has_recursion, 0
	.set _ZN7rocprim17ROCPRIM_400000_NS6detail17trampoline_kernelINS0_14default_configENS1_38merge_sort_block_merge_config_selectorIiNS0_10empty_typeEEEZZNS1_27merge_sort_block_merge_implIS3_N6thrust23THRUST_200600_302600_NS6detail15normal_iteratorINS9_10device_ptrIiEEEEPS5_jNS1_19radix_merge_compareILb0ELb0EiNS0_19identity_decomposerEEEEE10hipError_tT0_T1_T2_jT3_P12ihipStream_tbPNSt15iterator_traitsISK_E10value_typeEPNSQ_ISL_E10value_typeEPSM_NS1_7vsmem_tEENKUlT_SK_SL_SM_E_clISE_PiSF_SF_EESJ_SZ_SK_SL_SM_EUlSZ_E1_NS1_11comp_targetILNS1_3genE4ELNS1_11target_archE910ELNS1_3gpuE8ELNS1_3repE0EEENS1_36merge_oddeven_config_static_selectorELNS0_4arch9wavefront6targetE0EEEvSL_.has_indirect_call, 0
	.section	.AMDGPU.csdata,"",@progbits
; Kernel info:
; codeLenInByte = 0
; TotalNumSgprs: 0
; NumVgprs: 0
; ScratchSize: 0
; MemoryBound: 0
; FloatMode: 240
; IeeeMode: 1
; LDSByteSize: 0 bytes/workgroup (compile time only)
; SGPRBlocks: 0
; VGPRBlocks: 0
; NumSGPRsForWavesPerEU: 1
; NumVGPRsForWavesPerEU: 1
; Occupancy: 16
; WaveLimiterHint : 0
; COMPUTE_PGM_RSRC2:SCRATCH_EN: 0
; COMPUTE_PGM_RSRC2:USER_SGPR: 6
; COMPUTE_PGM_RSRC2:TRAP_HANDLER: 0
; COMPUTE_PGM_RSRC2:TGID_X_EN: 1
; COMPUTE_PGM_RSRC2:TGID_Y_EN: 0
; COMPUTE_PGM_RSRC2:TGID_Z_EN: 0
; COMPUTE_PGM_RSRC2:TIDIG_COMP_CNT: 0
	.section	.text._ZN7rocprim17ROCPRIM_400000_NS6detail17trampoline_kernelINS0_14default_configENS1_38merge_sort_block_merge_config_selectorIiNS0_10empty_typeEEEZZNS1_27merge_sort_block_merge_implIS3_N6thrust23THRUST_200600_302600_NS6detail15normal_iteratorINS9_10device_ptrIiEEEEPS5_jNS1_19radix_merge_compareILb0ELb0EiNS0_19identity_decomposerEEEEE10hipError_tT0_T1_T2_jT3_P12ihipStream_tbPNSt15iterator_traitsISK_E10value_typeEPNSQ_ISL_E10value_typeEPSM_NS1_7vsmem_tEENKUlT_SK_SL_SM_E_clISE_PiSF_SF_EESJ_SZ_SK_SL_SM_EUlSZ_E1_NS1_11comp_targetILNS1_3genE3ELNS1_11target_archE908ELNS1_3gpuE7ELNS1_3repE0EEENS1_36merge_oddeven_config_static_selectorELNS0_4arch9wavefront6targetE0EEEvSL_,"axG",@progbits,_ZN7rocprim17ROCPRIM_400000_NS6detail17trampoline_kernelINS0_14default_configENS1_38merge_sort_block_merge_config_selectorIiNS0_10empty_typeEEEZZNS1_27merge_sort_block_merge_implIS3_N6thrust23THRUST_200600_302600_NS6detail15normal_iteratorINS9_10device_ptrIiEEEEPS5_jNS1_19radix_merge_compareILb0ELb0EiNS0_19identity_decomposerEEEEE10hipError_tT0_T1_T2_jT3_P12ihipStream_tbPNSt15iterator_traitsISK_E10value_typeEPNSQ_ISL_E10value_typeEPSM_NS1_7vsmem_tEENKUlT_SK_SL_SM_E_clISE_PiSF_SF_EESJ_SZ_SK_SL_SM_EUlSZ_E1_NS1_11comp_targetILNS1_3genE3ELNS1_11target_archE908ELNS1_3gpuE7ELNS1_3repE0EEENS1_36merge_oddeven_config_static_selectorELNS0_4arch9wavefront6targetE0EEEvSL_,comdat
	.protected	_ZN7rocprim17ROCPRIM_400000_NS6detail17trampoline_kernelINS0_14default_configENS1_38merge_sort_block_merge_config_selectorIiNS0_10empty_typeEEEZZNS1_27merge_sort_block_merge_implIS3_N6thrust23THRUST_200600_302600_NS6detail15normal_iteratorINS9_10device_ptrIiEEEEPS5_jNS1_19radix_merge_compareILb0ELb0EiNS0_19identity_decomposerEEEEE10hipError_tT0_T1_T2_jT3_P12ihipStream_tbPNSt15iterator_traitsISK_E10value_typeEPNSQ_ISL_E10value_typeEPSM_NS1_7vsmem_tEENKUlT_SK_SL_SM_E_clISE_PiSF_SF_EESJ_SZ_SK_SL_SM_EUlSZ_E1_NS1_11comp_targetILNS1_3genE3ELNS1_11target_archE908ELNS1_3gpuE7ELNS1_3repE0EEENS1_36merge_oddeven_config_static_selectorELNS0_4arch9wavefront6targetE0EEEvSL_ ; -- Begin function _ZN7rocprim17ROCPRIM_400000_NS6detail17trampoline_kernelINS0_14default_configENS1_38merge_sort_block_merge_config_selectorIiNS0_10empty_typeEEEZZNS1_27merge_sort_block_merge_implIS3_N6thrust23THRUST_200600_302600_NS6detail15normal_iteratorINS9_10device_ptrIiEEEEPS5_jNS1_19radix_merge_compareILb0ELb0EiNS0_19identity_decomposerEEEEE10hipError_tT0_T1_T2_jT3_P12ihipStream_tbPNSt15iterator_traitsISK_E10value_typeEPNSQ_ISL_E10value_typeEPSM_NS1_7vsmem_tEENKUlT_SK_SL_SM_E_clISE_PiSF_SF_EESJ_SZ_SK_SL_SM_EUlSZ_E1_NS1_11comp_targetILNS1_3genE3ELNS1_11target_archE908ELNS1_3gpuE7ELNS1_3repE0EEENS1_36merge_oddeven_config_static_selectorELNS0_4arch9wavefront6targetE0EEEvSL_
	.globl	_ZN7rocprim17ROCPRIM_400000_NS6detail17trampoline_kernelINS0_14default_configENS1_38merge_sort_block_merge_config_selectorIiNS0_10empty_typeEEEZZNS1_27merge_sort_block_merge_implIS3_N6thrust23THRUST_200600_302600_NS6detail15normal_iteratorINS9_10device_ptrIiEEEEPS5_jNS1_19radix_merge_compareILb0ELb0EiNS0_19identity_decomposerEEEEE10hipError_tT0_T1_T2_jT3_P12ihipStream_tbPNSt15iterator_traitsISK_E10value_typeEPNSQ_ISL_E10value_typeEPSM_NS1_7vsmem_tEENKUlT_SK_SL_SM_E_clISE_PiSF_SF_EESJ_SZ_SK_SL_SM_EUlSZ_E1_NS1_11comp_targetILNS1_3genE3ELNS1_11target_archE908ELNS1_3gpuE7ELNS1_3repE0EEENS1_36merge_oddeven_config_static_selectorELNS0_4arch9wavefront6targetE0EEEvSL_
	.p2align	8
	.type	_ZN7rocprim17ROCPRIM_400000_NS6detail17trampoline_kernelINS0_14default_configENS1_38merge_sort_block_merge_config_selectorIiNS0_10empty_typeEEEZZNS1_27merge_sort_block_merge_implIS3_N6thrust23THRUST_200600_302600_NS6detail15normal_iteratorINS9_10device_ptrIiEEEEPS5_jNS1_19radix_merge_compareILb0ELb0EiNS0_19identity_decomposerEEEEE10hipError_tT0_T1_T2_jT3_P12ihipStream_tbPNSt15iterator_traitsISK_E10value_typeEPNSQ_ISL_E10value_typeEPSM_NS1_7vsmem_tEENKUlT_SK_SL_SM_E_clISE_PiSF_SF_EESJ_SZ_SK_SL_SM_EUlSZ_E1_NS1_11comp_targetILNS1_3genE3ELNS1_11target_archE908ELNS1_3gpuE7ELNS1_3repE0EEENS1_36merge_oddeven_config_static_selectorELNS0_4arch9wavefront6targetE0EEEvSL_,@function
_ZN7rocprim17ROCPRIM_400000_NS6detail17trampoline_kernelINS0_14default_configENS1_38merge_sort_block_merge_config_selectorIiNS0_10empty_typeEEEZZNS1_27merge_sort_block_merge_implIS3_N6thrust23THRUST_200600_302600_NS6detail15normal_iteratorINS9_10device_ptrIiEEEEPS5_jNS1_19radix_merge_compareILb0ELb0EiNS0_19identity_decomposerEEEEE10hipError_tT0_T1_T2_jT3_P12ihipStream_tbPNSt15iterator_traitsISK_E10value_typeEPNSQ_ISL_E10value_typeEPSM_NS1_7vsmem_tEENKUlT_SK_SL_SM_E_clISE_PiSF_SF_EESJ_SZ_SK_SL_SM_EUlSZ_E1_NS1_11comp_targetILNS1_3genE3ELNS1_11target_archE908ELNS1_3gpuE7ELNS1_3repE0EEENS1_36merge_oddeven_config_static_selectorELNS0_4arch9wavefront6targetE0EEEvSL_: ; @_ZN7rocprim17ROCPRIM_400000_NS6detail17trampoline_kernelINS0_14default_configENS1_38merge_sort_block_merge_config_selectorIiNS0_10empty_typeEEEZZNS1_27merge_sort_block_merge_implIS3_N6thrust23THRUST_200600_302600_NS6detail15normal_iteratorINS9_10device_ptrIiEEEEPS5_jNS1_19radix_merge_compareILb0ELb0EiNS0_19identity_decomposerEEEEE10hipError_tT0_T1_T2_jT3_P12ihipStream_tbPNSt15iterator_traitsISK_E10value_typeEPNSQ_ISL_E10value_typeEPSM_NS1_7vsmem_tEENKUlT_SK_SL_SM_E_clISE_PiSF_SF_EESJ_SZ_SK_SL_SM_EUlSZ_E1_NS1_11comp_targetILNS1_3genE3ELNS1_11target_archE908ELNS1_3gpuE7ELNS1_3repE0EEENS1_36merge_oddeven_config_static_selectorELNS0_4arch9wavefront6targetE0EEEvSL_
; %bb.0:
	.section	.rodata,"a",@progbits
	.p2align	6, 0x0
	.amdhsa_kernel _ZN7rocprim17ROCPRIM_400000_NS6detail17trampoline_kernelINS0_14default_configENS1_38merge_sort_block_merge_config_selectorIiNS0_10empty_typeEEEZZNS1_27merge_sort_block_merge_implIS3_N6thrust23THRUST_200600_302600_NS6detail15normal_iteratorINS9_10device_ptrIiEEEEPS5_jNS1_19radix_merge_compareILb0ELb0EiNS0_19identity_decomposerEEEEE10hipError_tT0_T1_T2_jT3_P12ihipStream_tbPNSt15iterator_traitsISK_E10value_typeEPNSQ_ISL_E10value_typeEPSM_NS1_7vsmem_tEENKUlT_SK_SL_SM_E_clISE_PiSF_SF_EESJ_SZ_SK_SL_SM_EUlSZ_E1_NS1_11comp_targetILNS1_3genE3ELNS1_11target_archE908ELNS1_3gpuE7ELNS1_3repE0EEENS1_36merge_oddeven_config_static_selectorELNS0_4arch9wavefront6targetE0EEEvSL_
		.amdhsa_group_segment_fixed_size 0
		.amdhsa_private_segment_fixed_size 0
		.amdhsa_kernarg_size 48
		.amdhsa_user_sgpr_count 6
		.amdhsa_user_sgpr_private_segment_buffer 1
		.amdhsa_user_sgpr_dispatch_ptr 0
		.amdhsa_user_sgpr_queue_ptr 0
		.amdhsa_user_sgpr_kernarg_segment_ptr 1
		.amdhsa_user_sgpr_dispatch_id 0
		.amdhsa_user_sgpr_flat_scratch_init 0
		.amdhsa_user_sgpr_private_segment_size 0
		.amdhsa_wavefront_size32 1
		.amdhsa_uses_dynamic_stack 0
		.amdhsa_system_sgpr_private_segment_wavefront_offset 0
		.amdhsa_system_sgpr_workgroup_id_x 1
		.amdhsa_system_sgpr_workgroup_id_y 0
		.amdhsa_system_sgpr_workgroup_id_z 0
		.amdhsa_system_sgpr_workgroup_info 0
		.amdhsa_system_vgpr_workitem_id 0
		.amdhsa_next_free_vgpr 1
		.amdhsa_next_free_sgpr 1
		.amdhsa_reserve_vcc 0
		.amdhsa_reserve_flat_scratch 0
		.amdhsa_float_round_mode_32 0
		.amdhsa_float_round_mode_16_64 0
		.amdhsa_float_denorm_mode_32 3
		.amdhsa_float_denorm_mode_16_64 3
		.amdhsa_dx10_clamp 1
		.amdhsa_ieee_mode 1
		.amdhsa_fp16_overflow 0
		.amdhsa_workgroup_processor_mode 1
		.amdhsa_memory_ordered 1
		.amdhsa_forward_progress 1
		.amdhsa_shared_vgpr_count 0
		.amdhsa_exception_fp_ieee_invalid_op 0
		.amdhsa_exception_fp_denorm_src 0
		.amdhsa_exception_fp_ieee_div_zero 0
		.amdhsa_exception_fp_ieee_overflow 0
		.amdhsa_exception_fp_ieee_underflow 0
		.amdhsa_exception_fp_ieee_inexact 0
		.amdhsa_exception_int_div_zero 0
	.end_amdhsa_kernel
	.section	.text._ZN7rocprim17ROCPRIM_400000_NS6detail17trampoline_kernelINS0_14default_configENS1_38merge_sort_block_merge_config_selectorIiNS0_10empty_typeEEEZZNS1_27merge_sort_block_merge_implIS3_N6thrust23THRUST_200600_302600_NS6detail15normal_iteratorINS9_10device_ptrIiEEEEPS5_jNS1_19radix_merge_compareILb0ELb0EiNS0_19identity_decomposerEEEEE10hipError_tT0_T1_T2_jT3_P12ihipStream_tbPNSt15iterator_traitsISK_E10value_typeEPNSQ_ISL_E10value_typeEPSM_NS1_7vsmem_tEENKUlT_SK_SL_SM_E_clISE_PiSF_SF_EESJ_SZ_SK_SL_SM_EUlSZ_E1_NS1_11comp_targetILNS1_3genE3ELNS1_11target_archE908ELNS1_3gpuE7ELNS1_3repE0EEENS1_36merge_oddeven_config_static_selectorELNS0_4arch9wavefront6targetE0EEEvSL_,"axG",@progbits,_ZN7rocprim17ROCPRIM_400000_NS6detail17trampoline_kernelINS0_14default_configENS1_38merge_sort_block_merge_config_selectorIiNS0_10empty_typeEEEZZNS1_27merge_sort_block_merge_implIS3_N6thrust23THRUST_200600_302600_NS6detail15normal_iteratorINS9_10device_ptrIiEEEEPS5_jNS1_19radix_merge_compareILb0ELb0EiNS0_19identity_decomposerEEEEE10hipError_tT0_T1_T2_jT3_P12ihipStream_tbPNSt15iterator_traitsISK_E10value_typeEPNSQ_ISL_E10value_typeEPSM_NS1_7vsmem_tEENKUlT_SK_SL_SM_E_clISE_PiSF_SF_EESJ_SZ_SK_SL_SM_EUlSZ_E1_NS1_11comp_targetILNS1_3genE3ELNS1_11target_archE908ELNS1_3gpuE7ELNS1_3repE0EEENS1_36merge_oddeven_config_static_selectorELNS0_4arch9wavefront6targetE0EEEvSL_,comdat
.Lfunc_end63:
	.size	_ZN7rocprim17ROCPRIM_400000_NS6detail17trampoline_kernelINS0_14default_configENS1_38merge_sort_block_merge_config_selectorIiNS0_10empty_typeEEEZZNS1_27merge_sort_block_merge_implIS3_N6thrust23THRUST_200600_302600_NS6detail15normal_iteratorINS9_10device_ptrIiEEEEPS5_jNS1_19radix_merge_compareILb0ELb0EiNS0_19identity_decomposerEEEEE10hipError_tT0_T1_T2_jT3_P12ihipStream_tbPNSt15iterator_traitsISK_E10value_typeEPNSQ_ISL_E10value_typeEPSM_NS1_7vsmem_tEENKUlT_SK_SL_SM_E_clISE_PiSF_SF_EESJ_SZ_SK_SL_SM_EUlSZ_E1_NS1_11comp_targetILNS1_3genE3ELNS1_11target_archE908ELNS1_3gpuE7ELNS1_3repE0EEENS1_36merge_oddeven_config_static_selectorELNS0_4arch9wavefront6targetE0EEEvSL_, .Lfunc_end63-_ZN7rocprim17ROCPRIM_400000_NS6detail17trampoline_kernelINS0_14default_configENS1_38merge_sort_block_merge_config_selectorIiNS0_10empty_typeEEEZZNS1_27merge_sort_block_merge_implIS3_N6thrust23THRUST_200600_302600_NS6detail15normal_iteratorINS9_10device_ptrIiEEEEPS5_jNS1_19radix_merge_compareILb0ELb0EiNS0_19identity_decomposerEEEEE10hipError_tT0_T1_T2_jT3_P12ihipStream_tbPNSt15iterator_traitsISK_E10value_typeEPNSQ_ISL_E10value_typeEPSM_NS1_7vsmem_tEENKUlT_SK_SL_SM_E_clISE_PiSF_SF_EESJ_SZ_SK_SL_SM_EUlSZ_E1_NS1_11comp_targetILNS1_3genE3ELNS1_11target_archE908ELNS1_3gpuE7ELNS1_3repE0EEENS1_36merge_oddeven_config_static_selectorELNS0_4arch9wavefront6targetE0EEEvSL_
                                        ; -- End function
	.set _ZN7rocprim17ROCPRIM_400000_NS6detail17trampoline_kernelINS0_14default_configENS1_38merge_sort_block_merge_config_selectorIiNS0_10empty_typeEEEZZNS1_27merge_sort_block_merge_implIS3_N6thrust23THRUST_200600_302600_NS6detail15normal_iteratorINS9_10device_ptrIiEEEEPS5_jNS1_19radix_merge_compareILb0ELb0EiNS0_19identity_decomposerEEEEE10hipError_tT0_T1_T2_jT3_P12ihipStream_tbPNSt15iterator_traitsISK_E10value_typeEPNSQ_ISL_E10value_typeEPSM_NS1_7vsmem_tEENKUlT_SK_SL_SM_E_clISE_PiSF_SF_EESJ_SZ_SK_SL_SM_EUlSZ_E1_NS1_11comp_targetILNS1_3genE3ELNS1_11target_archE908ELNS1_3gpuE7ELNS1_3repE0EEENS1_36merge_oddeven_config_static_selectorELNS0_4arch9wavefront6targetE0EEEvSL_.num_vgpr, 0
	.set _ZN7rocprim17ROCPRIM_400000_NS6detail17trampoline_kernelINS0_14default_configENS1_38merge_sort_block_merge_config_selectorIiNS0_10empty_typeEEEZZNS1_27merge_sort_block_merge_implIS3_N6thrust23THRUST_200600_302600_NS6detail15normal_iteratorINS9_10device_ptrIiEEEEPS5_jNS1_19radix_merge_compareILb0ELb0EiNS0_19identity_decomposerEEEEE10hipError_tT0_T1_T2_jT3_P12ihipStream_tbPNSt15iterator_traitsISK_E10value_typeEPNSQ_ISL_E10value_typeEPSM_NS1_7vsmem_tEENKUlT_SK_SL_SM_E_clISE_PiSF_SF_EESJ_SZ_SK_SL_SM_EUlSZ_E1_NS1_11comp_targetILNS1_3genE3ELNS1_11target_archE908ELNS1_3gpuE7ELNS1_3repE0EEENS1_36merge_oddeven_config_static_selectorELNS0_4arch9wavefront6targetE0EEEvSL_.num_agpr, 0
	.set _ZN7rocprim17ROCPRIM_400000_NS6detail17trampoline_kernelINS0_14default_configENS1_38merge_sort_block_merge_config_selectorIiNS0_10empty_typeEEEZZNS1_27merge_sort_block_merge_implIS3_N6thrust23THRUST_200600_302600_NS6detail15normal_iteratorINS9_10device_ptrIiEEEEPS5_jNS1_19radix_merge_compareILb0ELb0EiNS0_19identity_decomposerEEEEE10hipError_tT0_T1_T2_jT3_P12ihipStream_tbPNSt15iterator_traitsISK_E10value_typeEPNSQ_ISL_E10value_typeEPSM_NS1_7vsmem_tEENKUlT_SK_SL_SM_E_clISE_PiSF_SF_EESJ_SZ_SK_SL_SM_EUlSZ_E1_NS1_11comp_targetILNS1_3genE3ELNS1_11target_archE908ELNS1_3gpuE7ELNS1_3repE0EEENS1_36merge_oddeven_config_static_selectorELNS0_4arch9wavefront6targetE0EEEvSL_.numbered_sgpr, 0
	.set _ZN7rocprim17ROCPRIM_400000_NS6detail17trampoline_kernelINS0_14default_configENS1_38merge_sort_block_merge_config_selectorIiNS0_10empty_typeEEEZZNS1_27merge_sort_block_merge_implIS3_N6thrust23THRUST_200600_302600_NS6detail15normal_iteratorINS9_10device_ptrIiEEEEPS5_jNS1_19radix_merge_compareILb0ELb0EiNS0_19identity_decomposerEEEEE10hipError_tT0_T1_T2_jT3_P12ihipStream_tbPNSt15iterator_traitsISK_E10value_typeEPNSQ_ISL_E10value_typeEPSM_NS1_7vsmem_tEENKUlT_SK_SL_SM_E_clISE_PiSF_SF_EESJ_SZ_SK_SL_SM_EUlSZ_E1_NS1_11comp_targetILNS1_3genE3ELNS1_11target_archE908ELNS1_3gpuE7ELNS1_3repE0EEENS1_36merge_oddeven_config_static_selectorELNS0_4arch9wavefront6targetE0EEEvSL_.num_named_barrier, 0
	.set _ZN7rocprim17ROCPRIM_400000_NS6detail17trampoline_kernelINS0_14default_configENS1_38merge_sort_block_merge_config_selectorIiNS0_10empty_typeEEEZZNS1_27merge_sort_block_merge_implIS3_N6thrust23THRUST_200600_302600_NS6detail15normal_iteratorINS9_10device_ptrIiEEEEPS5_jNS1_19radix_merge_compareILb0ELb0EiNS0_19identity_decomposerEEEEE10hipError_tT0_T1_T2_jT3_P12ihipStream_tbPNSt15iterator_traitsISK_E10value_typeEPNSQ_ISL_E10value_typeEPSM_NS1_7vsmem_tEENKUlT_SK_SL_SM_E_clISE_PiSF_SF_EESJ_SZ_SK_SL_SM_EUlSZ_E1_NS1_11comp_targetILNS1_3genE3ELNS1_11target_archE908ELNS1_3gpuE7ELNS1_3repE0EEENS1_36merge_oddeven_config_static_selectorELNS0_4arch9wavefront6targetE0EEEvSL_.private_seg_size, 0
	.set _ZN7rocprim17ROCPRIM_400000_NS6detail17trampoline_kernelINS0_14default_configENS1_38merge_sort_block_merge_config_selectorIiNS0_10empty_typeEEEZZNS1_27merge_sort_block_merge_implIS3_N6thrust23THRUST_200600_302600_NS6detail15normal_iteratorINS9_10device_ptrIiEEEEPS5_jNS1_19radix_merge_compareILb0ELb0EiNS0_19identity_decomposerEEEEE10hipError_tT0_T1_T2_jT3_P12ihipStream_tbPNSt15iterator_traitsISK_E10value_typeEPNSQ_ISL_E10value_typeEPSM_NS1_7vsmem_tEENKUlT_SK_SL_SM_E_clISE_PiSF_SF_EESJ_SZ_SK_SL_SM_EUlSZ_E1_NS1_11comp_targetILNS1_3genE3ELNS1_11target_archE908ELNS1_3gpuE7ELNS1_3repE0EEENS1_36merge_oddeven_config_static_selectorELNS0_4arch9wavefront6targetE0EEEvSL_.uses_vcc, 0
	.set _ZN7rocprim17ROCPRIM_400000_NS6detail17trampoline_kernelINS0_14default_configENS1_38merge_sort_block_merge_config_selectorIiNS0_10empty_typeEEEZZNS1_27merge_sort_block_merge_implIS3_N6thrust23THRUST_200600_302600_NS6detail15normal_iteratorINS9_10device_ptrIiEEEEPS5_jNS1_19radix_merge_compareILb0ELb0EiNS0_19identity_decomposerEEEEE10hipError_tT0_T1_T2_jT3_P12ihipStream_tbPNSt15iterator_traitsISK_E10value_typeEPNSQ_ISL_E10value_typeEPSM_NS1_7vsmem_tEENKUlT_SK_SL_SM_E_clISE_PiSF_SF_EESJ_SZ_SK_SL_SM_EUlSZ_E1_NS1_11comp_targetILNS1_3genE3ELNS1_11target_archE908ELNS1_3gpuE7ELNS1_3repE0EEENS1_36merge_oddeven_config_static_selectorELNS0_4arch9wavefront6targetE0EEEvSL_.uses_flat_scratch, 0
	.set _ZN7rocprim17ROCPRIM_400000_NS6detail17trampoline_kernelINS0_14default_configENS1_38merge_sort_block_merge_config_selectorIiNS0_10empty_typeEEEZZNS1_27merge_sort_block_merge_implIS3_N6thrust23THRUST_200600_302600_NS6detail15normal_iteratorINS9_10device_ptrIiEEEEPS5_jNS1_19radix_merge_compareILb0ELb0EiNS0_19identity_decomposerEEEEE10hipError_tT0_T1_T2_jT3_P12ihipStream_tbPNSt15iterator_traitsISK_E10value_typeEPNSQ_ISL_E10value_typeEPSM_NS1_7vsmem_tEENKUlT_SK_SL_SM_E_clISE_PiSF_SF_EESJ_SZ_SK_SL_SM_EUlSZ_E1_NS1_11comp_targetILNS1_3genE3ELNS1_11target_archE908ELNS1_3gpuE7ELNS1_3repE0EEENS1_36merge_oddeven_config_static_selectorELNS0_4arch9wavefront6targetE0EEEvSL_.has_dyn_sized_stack, 0
	.set _ZN7rocprim17ROCPRIM_400000_NS6detail17trampoline_kernelINS0_14default_configENS1_38merge_sort_block_merge_config_selectorIiNS0_10empty_typeEEEZZNS1_27merge_sort_block_merge_implIS3_N6thrust23THRUST_200600_302600_NS6detail15normal_iteratorINS9_10device_ptrIiEEEEPS5_jNS1_19radix_merge_compareILb0ELb0EiNS0_19identity_decomposerEEEEE10hipError_tT0_T1_T2_jT3_P12ihipStream_tbPNSt15iterator_traitsISK_E10value_typeEPNSQ_ISL_E10value_typeEPSM_NS1_7vsmem_tEENKUlT_SK_SL_SM_E_clISE_PiSF_SF_EESJ_SZ_SK_SL_SM_EUlSZ_E1_NS1_11comp_targetILNS1_3genE3ELNS1_11target_archE908ELNS1_3gpuE7ELNS1_3repE0EEENS1_36merge_oddeven_config_static_selectorELNS0_4arch9wavefront6targetE0EEEvSL_.has_recursion, 0
	.set _ZN7rocprim17ROCPRIM_400000_NS6detail17trampoline_kernelINS0_14default_configENS1_38merge_sort_block_merge_config_selectorIiNS0_10empty_typeEEEZZNS1_27merge_sort_block_merge_implIS3_N6thrust23THRUST_200600_302600_NS6detail15normal_iteratorINS9_10device_ptrIiEEEEPS5_jNS1_19radix_merge_compareILb0ELb0EiNS0_19identity_decomposerEEEEE10hipError_tT0_T1_T2_jT3_P12ihipStream_tbPNSt15iterator_traitsISK_E10value_typeEPNSQ_ISL_E10value_typeEPSM_NS1_7vsmem_tEENKUlT_SK_SL_SM_E_clISE_PiSF_SF_EESJ_SZ_SK_SL_SM_EUlSZ_E1_NS1_11comp_targetILNS1_3genE3ELNS1_11target_archE908ELNS1_3gpuE7ELNS1_3repE0EEENS1_36merge_oddeven_config_static_selectorELNS0_4arch9wavefront6targetE0EEEvSL_.has_indirect_call, 0
	.section	.AMDGPU.csdata,"",@progbits
; Kernel info:
; codeLenInByte = 0
; TotalNumSgprs: 0
; NumVgprs: 0
; ScratchSize: 0
; MemoryBound: 0
; FloatMode: 240
; IeeeMode: 1
; LDSByteSize: 0 bytes/workgroup (compile time only)
; SGPRBlocks: 0
; VGPRBlocks: 0
; NumSGPRsForWavesPerEU: 1
; NumVGPRsForWavesPerEU: 1
; Occupancy: 16
; WaveLimiterHint : 0
; COMPUTE_PGM_RSRC2:SCRATCH_EN: 0
; COMPUTE_PGM_RSRC2:USER_SGPR: 6
; COMPUTE_PGM_RSRC2:TRAP_HANDLER: 0
; COMPUTE_PGM_RSRC2:TGID_X_EN: 1
; COMPUTE_PGM_RSRC2:TGID_Y_EN: 0
; COMPUTE_PGM_RSRC2:TGID_Z_EN: 0
; COMPUTE_PGM_RSRC2:TIDIG_COMP_CNT: 0
	.section	.text._ZN7rocprim17ROCPRIM_400000_NS6detail17trampoline_kernelINS0_14default_configENS1_38merge_sort_block_merge_config_selectorIiNS0_10empty_typeEEEZZNS1_27merge_sort_block_merge_implIS3_N6thrust23THRUST_200600_302600_NS6detail15normal_iteratorINS9_10device_ptrIiEEEEPS5_jNS1_19radix_merge_compareILb0ELb0EiNS0_19identity_decomposerEEEEE10hipError_tT0_T1_T2_jT3_P12ihipStream_tbPNSt15iterator_traitsISK_E10value_typeEPNSQ_ISL_E10value_typeEPSM_NS1_7vsmem_tEENKUlT_SK_SL_SM_E_clISE_PiSF_SF_EESJ_SZ_SK_SL_SM_EUlSZ_E1_NS1_11comp_targetILNS1_3genE2ELNS1_11target_archE906ELNS1_3gpuE6ELNS1_3repE0EEENS1_36merge_oddeven_config_static_selectorELNS0_4arch9wavefront6targetE0EEEvSL_,"axG",@progbits,_ZN7rocprim17ROCPRIM_400000_NS6detail17trampoline_kernelINS0_14default_configENS1_38merge_sort_block_merge_config_selectorIiNS0_10empty_typeEEEZZNS1_27merge_sort_block_merge_implIS3_N6thrust23THRUST_200600_302600_NS6detail15normal_iteratorINS9_10device_ptrIiEEEEPS5_jNS1_19radix_merge_compareILb0ELb0EiNS0_19identity_decomposerEEEEE10hipError_tT0_T1_T2_jT3_P12ihipStream_tbPNSt15iterator_traitsISK_E10value_typeEPNSQ_ISL_E10value_typeEPSM_NS1_7vsmem_tEENKUlT_SK_SL_SM_E_clISE_PiSF_SF_EESJ_SZ_SK_SL_SM_EUlSZ_E1_NS1_11comp_targetILNS1_3genE2ELNS1_11target_archE906ELNS1_3gpuE6ELNS1_3repE0EEENS1_36merge_oddeven_config_static_selectorELNS0_4arch9wavefront6targetE0EEEvSL_,comdat
	.protected	_ZN7rocprim17ROCPRIM_400000_NS6detail17trampoline_kernelINS0_14default_configENS1_38merge_sort_block_merge_config_selectorIiNS0_10empty_typeEEEZZNS1_27merge_sort_block_merge_implIS3_N6thrust23THRUST_200600_302600_NS6detail15normal_iteratorINS9_10device_ptrIiEEEEPS5_jNS1_19radix_merge_compareILb0ELb0EiNS0_19identity_decomposerEEEEE10hipError_tT0_T1_T2_jT3_P12ihipStream_tbPNSt15iterator_traitsISK_E10value_typeEPNSQ_ISL_E10value_typeEPSM_NS1_7vsmem_tEENKUlT_SK_SL_SM_E_clISE_PiSF_SF_EESJ_SZ_SK_SL_SM_EUlSZ_E1_NS1_11comp_targetILNS1_3genE2ELNS1_11target_archE906ELNS1_3gpuE6ELNS1_3repE0EEENS1_36merge_oddeven_config_static_selectorELNS0_4arch9wavefront6targetE0EEEvSL_ ; -- Begin function _ZN7rocprim17ROCPRIM_400000_NS6detail17trampoline_kernelINS0_14default_configENS1_38merge_sort_block_merge_config_selectorIiNS0_10empty_typeEEEZZNS1_27merge_sort_block_merge_implIS3_N6thrust23THRUST_200600_302600_NS6detail15normal_iteratorINS9_10device_ptrIiEEEEPS5_jNS1_19radix_merge_compareILb0ELb0EiNS0_19identity_decomposerEEEEE10hipError_tT0_T1_T2_jT3_P12ihipStream_tbPNSt15iterator_traitsISK_E10value_typeEPNSQ_ISL_E10value_typeEPSM_NS1_7vsmem_tEENKUlT_SK_SL_SM_E_clISE_PiSF_SF_EESJ_SZ_SK_SL_SM_EUlSZ_E1_NS1_11comp_targetILNS1_3genE2ELNS1_11target_archE906ELNS1_3gpuE6ELNS1_3repE0EEENS1_36merge_oddeven_config_static_selectorELNS0_4arch9wavefront6targetE0EEEvSL_
	.globl	_ZN7rocprim17ROCPRIM_400000_NS6detail17trampoline_kernelINS0_14default_configENS1_38merge_sort_block_merge_config_selectorIiNS0_10empty_typeEEEZZNS1_27merge_sort_block_merge_implIS3_N6thrust23THRUST_200600_302600_NS6detail15normal_iteratorINS9_10device_ptrIiEEEEPS5_jNS1_19radix_merge_compareILb0ELb0EiNS0_19identity_decomposerEEEEE10hipError_tT0_T1_T2_jT3_P12ihipStream_tbPNSt15iterator_traitsISK_E10value_typeEPNSQ_ISL_E10value_typeEPSM_NS1_7vsmem_tEENKUlT_SK_SL_SM_E_clISE_PiSF_SF_EESJ_SZ_SK_SL_SM_EUlSZ_E1_NS1_11comp_targetILNS1_3genE2ELNS1_11target_archE906ELNS1_3gpuE6ELNS1_3repE0EEENS1_36merge_oddeven_config_static_selectorELNS0_4arch9wavefront6targetE0EEEvSL_
	.p2align	8
	.type	_ZN7rocprim17ROCPRIM_400000_NS6detail17trampoline_kernelINS0_14default_configENS1_38merge_sort_block_merge_config_selectorIiNS0_10empty_typeEEEZZNS1_27merge_sort_block_merge_implIS3_N6thrust23THRUST_200600_302600_NS6detail15normal_iteratorINS9_10device_ptrIiEEEEPS5_jNS1_19radix_merge_compareILb0ELb0EiNS0_19identity_decomposerEEEEE10hipError_tT0_T1_T2_jT3_P12ihipStream_tbPNSt15iterator_traitsISK_E10value_typeEPNSQ_ISL_E10value_typeEPSM_NS1_7vsmem_tEENKUlT_SK_SL_SM_E_clISE_PiSF_SF_EESJ_SZ_SK_SL_SM_EUlSZ_E1_NS1_11comp_targetILNS1_3genE2ELNS1_11target_archE906ELNS1_3gpuE6ELNS1_3repE0EEENS1_36merge_oddeven_config_static_selectorELNS0_4arch9wavefront6targetE0EEEvSL_,@function
_ZN7rocprim17ROCPRIM_400000_NS6detail17trampoline_kernelINS0_14default_configENS1_38merge_sort_block_merge_config_selectorIiNS0_10empty_typeEEEZZNS1_27merge_sort_block_merge_implIS3_N6thrust23THRUST_200600_302600_NS6detail15normal_iteratorINS9_10device_ptrIiEEEEPS5_jNS1_19radix_merge_compareILb0ELb0EiNS0_19identity_decomposerEEEEE10hipError_tT0_T1_T2_jT3_P12ihipStream_tbPNSt15iterator_traitsISK_E10value_typeEPNSQ_ISL_E10value_typeEPSM_NS1_7vsmem_tEENKUlT_SK_SL_SM_E_clISE_PiSF_SF_EESJ_SZ_SK_SL_SM_EUlSZ_E1_NS1_11comp_targetILNS1_3genE2ELNS1_11target_archE906ELNS1_3gpuE6ELNS1_3repE0EEENS1_36merge_oddeven_config_static_selectorELNS0_4arch9wavefront6targetE0EEEvSL_: ; @_ZN7rocprim17ROCPRIM_400000_NS6detail17trampoline_kernelINS0_14default_configENS1_38merge_sort_block_merge_config_selectorIiNS0_10empty_typeEEEZZNS1_27merge_sort_block_merge_implIS3_N6thrust23THRUST_200600_302600_NS6detail15normal_iteratorINS9_10device_ptrIiEEEEPS5_jNS1_19radix_merge_compareILb0ELb0EiNS0_19identity_decomposerEEEEE10hipError_tT0_T1_T2_jT3_P12ihipStream_tbPNSt15iterator_traitsISK_E10value_typeEPNSQ_ISL_E10value_typeEPSM_NS1_7vsmem_tEENKUlT_SK_SL_SM_E_clISE_PiSF_SF_EESJ_SZ_SK_SL_SM_EUlSZ_E1_NS1_11comp_targetILNS1_3genE2ELNS1_11target_archE906ELNS1_3gpuE6ELNS1_3repE0EEENS1_36merge_oddeven_config_static_selectorELNS0_4arch9wavefront6targetE0EEEvSL_
; %bb.0:
	.section	.rodata,"a",@progbits
	.p2align	6, 0x0
	.amdhsa_kernel _ZN7rocprim17ROCPRIM_400000_NS6detail17trampoline_kernelINS0_14default_configENS1_38merge_sort_block_merge_config_selectorIiNS0_10empty_typeEEEZZNS1_27merge_sort_block_merge_implIS3_N6thrust23THRUST_200600_302600_NS6detail15normal_iteratorINS9_10device_ptrIiEEEEPS5_jNS1_19radix_merge_compareILb0ELb0EiNS0_19identity_decomposerEEEEE10hipError_tT0_T1_T2_jT3_P12ihipStream_tbPNSt15iterator_traitsISK_E10value_typeEPNSQ_ISL_E10value_typeEPSM_NS1_7vsmem_tEENKUlT_SK_SL_SM_E_clISE_PiSF_SF_EESJ_SZ_SK_SL_SM_EUlSZ_E1_NS1_11comp_targetILNS1_3genE2ELNS1_11target_archE906ELNS1_3gpuE6ELNS1_3repE0EEENS1_36merge_oddeven_config_static_selectorELNS0_4arch9wavefront6targetE0EEEvSL_
		.amdhsa_group_segment_fixed_size 0
		.amdhsa_private_segment_fixed_size 0
		.amdhsa_kernarg_size 48
		.amdhsa_user_sgpr_count 6
		.amdhsa_user_sgpr_private_segment_buffer 1
		.amdhsa_user_sgpr_dispatch_ptr 0
		.amdhsa_user_sgpr_queue_ptr 0
		.amdhsa_user_sgpr_kernarg_segment_ptr 1
		.amdhsa_user_sgpr_dispatch_id 0
		.amdhsa_user_sgpr_flat_scratch_init 0
		.amdhsa_user_sgpr_private_segment_size 0
		.amdhsa_wavefront_size32 1
		.amdhsa_uses_dynamic_stack 0
		.amdhsa_system_sgpr_private_segment_wavefront_offset 0
		.amdhsa_system_sgpr_workgroup_id_x 1
		.amdhsa_system_sgpr_workgroup_id_y 0
		.amdhsa_system_sgpr_workgroup_id_z 0
		.amdhsa_system_sgpr_workgroup_info 0
		.amdhsa_system_vgpr_workitem_id 0
		.amdhsa_next_free_vgpr 1
		.amdhsa_next_free_sgpr 1
		.amdhsa_reserve_vcc 0
		.amdhsa_reserve_flat_scratch 0
		.amdhsa_float_round_mode_32 0
		.amdhsa_float_round_mode_16_64 0
		.amdhsa_float_denorm_mode_32 3
		.amdhsa_float_denorm_mode_16_64 3
		.amdhsa_dx10_clamp 1
		.amdhsa_ieee_mode 1
		.amdhsa_fp16_overflow 0
		.amdhsa_workgroup_processor_mode 1
		.amdhsa_memory_ordered 1
		.amdhsa_forward_progress 1
		.amdhsa_shared_vgpr_count 0
		.amdhsa_exception_fp_ieee_invalid_op 0
		.amdhsa_exception_fp_denorm_src 0
		.amdhsa_exception_fp_ieee_div_zero 0
		.amdhsa_exception_fp_ieee_overflow 0
		.amdhsa_exception_fp_ieee_underflow 0
		.amdhsa_exception_fp_ieee_inexact 0
		.amdhsa_exception_int_div_zero 0
	.end_amdhsa_kernel
	.section	.text._ZN7rocprim17ROCPRIM_400000_NS6detail17trampoline_kernelINS0_14default_configENS1_38merge_sort_block_merge_config_selectorIiNS0_10empty_typeEEEZZNS1_27merge_sort_block_merge_implIS3_N6thrust23THRUST_200600_302600_NS6detail15normal_iteratorINS9_10device_ptrIiEEEEPS5_jNS1_19radix_merge_compareILb0ELb0EiNS0_19identity_decomposerEEEEE10hipError_tT0_T1_T2_jT3_P12ihipStream_tbPNSt15iterator_traitsISK_E10value_typeEPNSQ_ISL_E10value_typeEPSM_NS1_7vsmem_tEENKUlT_SK_SL_SM_E_clISE_PiSF_SF_EESJ_SZ_SK_SL_SM_EUlSZ_E1_NS1_11comp_targetILNS1_3genE2ELNS1_11target_archE906ELNS1_3gpuE6ELNS1_3repE0EEENS1_36merge_oddeven_config_static_selectorELNS0_4arch9wavefront6targetE0EEEvSL_,"axG",@progbits,_ZN7rocprim17ROCPRIM_400000_NS6detail17trampoline_kernelINS0_14default_configENS1_38merge_sort_block_merge_config_selectorIiNS0_10empty_typeEEEZZNS1_27merge_sort_block_merge_implIS3_N6thrust23THRUST_200600_302600_NS6detail15normal_iteratorINS9_10device_ptrIiEEEEPS5_jNS1_19radix_merge_compareILb0ELb0EiNS0_19identity_decomposerEEEEE10hipError_tT0_T1_T2_jT3_P12ihipStream_tbPNSt15iterator_traitsISK_E10value_typeEPNSQ_ISL_E10value_typeEPSM_NS1_7vsmem_tEENKUlT_SK_SL_SM_E_clISE_PiSF_SF_EESJ_SZ_SK_SL_SM_EUlSZ_E1_NS1_11comp_targetILNS1_3genE2ELNS1_11target_archE906ELNS1_3gpuE6ELNS1_3repE0EEENS1_36merge_oddeven_config_static_selectorELNS0_4arch9wavefront6targetE0EEEvSL_,comdat
.Lfunc_end64:
	.size	_ZN7rocprim17ROCPRIM_400000_NS6detail17trampoline_kernelINS0_14default_configENS1_38merge_sort_block_merge_config_selectorIiNS0_10empty_typeEEEZZNS1_27merge_sort_block_merge_implIS3_N6thrust23THRUST_200600_302600_NS6detail15normal_iteratorINS9_10device_ptrIiEEEEPS5_jNS1_19radix_merge_compareILb0ELb0EiNS0_19identity_decomposerEEEEE10hipError_tT0_T1_T2_jT3_P12ihipStream_tbPNSt15iterator_traitsISK_E10value_typeEPNSQ_ISL_E10value_typeEPSM_NS1_7vsmem_tEENKUlT_SK_SL_SM_E_clISE_PiSF_SF_EESJ_SZ_SK_SL_SM_EUlSZ_E1_NS1_11comp_targetILNS1_3genE2ELNS1_11target_archE906ELNS1_3gpuE6ELNS1_3repE0EEENS1_36merge_oddeven_config_static_selectorELNS0_4arch9wavefront6targetE0EEEvSL_, .Lfunc_end64-_ZN7rocprim17ROCPRIM_400000_NS6detail17trampoline_kernelINS0_14default_configENS1_38merge_sort_block_merge_config_selectorIiNS0_10empty_typeEEEZZNS1_27merge_sort_block_merge_implIS3_N6thrust23THRUST_200600_302600_NS6detail15normal_iteratorINS9_10device_ptrIiEEEEPS5_jNS1_19radix_merge_compareILb0ELb0EiNS0_19identity_decomposerEEEEE10hipError_tT0_T1_T2_jT3_P12ihipStream_tbPNSt15iterator_traitsISK_E10value_typeEPNSQ_ISL_E10value_typeEPSM_NS1_7vsmem_tEENKUlT_SK_SL_SM_E_clISE_PiSF_SF_EESJ_SZ_SK_SL_SM_EUlSZ_E1_NS1_11comp_targetILNS1_3genE2ELNS1_11target_archE906ELNS1_3gpuE6ELNS1_3repE0EEENS1_36merge_oddeven_config_static_selectorELNS0_4arch9wavefront6targetE0EEEvSL_
                                        ; -- End function
	.set _ZN7rocprim17ROCPRIM_400000_NS6detail17trampoline_kernelINS0_14default_configENS1_38merge_sort_block_merge_config_selectorIiNS0_10empty_typeEEEZZNS1_27merge_sort_block_merge_implIS3_N6thrust23THRUST_200600_302600_NS6detail15normal_iteratorINS9_10device_ptrIiEEEEPS5_jNS1_19radix_merge_compareILb0ELb0EiNS0_19identity_decomposerEEEEE10hipError_tT0_T1_T2_jT3_P12ihipStream_tbPNSt15iterator_traitsISK_E10value_typeEPNSQ_ISL_E10value_typeEPSM_NS1_7vsmem_tEENKUlT_SK_SL_SM_E_clISE_PiSF_SF_EESJ_SZ_SK_SL_SM_EUlSZ_E1_NS1_11comp_targetILNS1_3genE2ELNS1_11target_archE906ELNS1_3gpuE6ELNS1_3repE0EEENS1_36merge_oddeven_config_static_selectorELNS0_4arch9wavefront6targetE0EEEvSL_.num_vgpr, 0
	.set _ZN7rocprim17ROCPRIM_400000_NS6detail17trampoline_kernelINS0_14default_configENS1_38merge_sort_block_merge_config_selectorIiNS0_10empty_typeEEEZZNS1_27merge_sort_block_merge_implIS3_N6thrust23THRUST_200600_302600_NS6detail15normal_iteratorINS9_10device_ptrIiEEEEPS5_jNS1_19radix_merge_compareILb0ELb0EiNS0_19identity_decomposerEEEEE10hipError_tT0_T1_T2_jT3_P12ihipStream_tbPNSt15iterator_traitsISK_E10value_typeEPNSQ_ISL_E10value_typeEPSM_NS1_7vsmem_tEENKUlT_SK_SL_SM_E_clISE_PiSF_SF_EESJ_SZ_SK_SL_SM_EUlSZ_E1_NS1_11comp_targetILNS1_3genE2ELNS1_11target_archE906ELNS1_3gpuE6ELNS1_3repE0EEENS1_36merge_oddeven_config_static_selectorELNS0_4arch9wavefront6targetE0EEEvSL_.num_agpr, 0
	.set _ZN7rocprim17ROCPRIM_400000_NS6detail17trampoline_kernelINS0_14default_configENS1_38merge_sort_block_merge_config_selectorIiNS0_10empty_typeEEEZZNS1_27merge_sort_block_merge_implIS3_N6thrust23THRUST_200600_302600_NS6detail15normal_iteratorINS9_10device_ptrIiEEEEPS5_jNS1_19radix_merge_compareILb0ELb0EiNS0_19identity_decomposerEEEEE10hipError_tT0_T1_T2_jT3_P12ihipStream_tbPNSt15iterator_traitsISK_E10value_typeEPNSQ_ISL_E10value_typeEPSM_NS1_7vsmem_tEENKUlT_SK_SL_SM_E_clISE_PiSF_SF_EESJ_SZ_SK_SL_SM_EUlSZ_E1_NS1_11comp_targetILNS1_3genE2ELNS1_11target_archE906ELNS1_3gpuE6ELNS1_3repE0EEENS1_36merge_oddeven_config_static_selectorELNS0_4arch9wavefront6targetE0EEEvSL_.numbered_sgpr, 0
	.set _ZN7rocprim17ROCPRIM_400000_NS6detail17trampoline_kernelINS0_14default_configENS1_38merge_sort_block_merge_config_selectorIiNS0_10empty_typeEEEZZNS1_27merge_sort_block_merge_implIS3_N6thrust23THRUST_200600_302600_NS6detail15normal_iteratorINS9_10device_ptrIiEEEEPS5_jNS1_19radix_merge_compareILb0ELb0EiNS0_19identity_decomposerEEEEE10hipError_tT0_T1_T2_jT3_P12ihipStream_tbPNSt15iterator_traitsISK_E10value_typeEPNSQ_ISL_E10value_typeEPSM_NS1_7vsmem_tEENKUlT_SK_SL_SM_E_clISE_PiSF_SF_EESJ_SZ_SK_SL_SM_EUlSZ_E1_NS1_11comp_targetILNS1_3genE2ELNS1_11target_archE906ELNS1_3gpuE6ELNS1_3repE0EEENS1_36merge_oddeven_config_static_selectorELNS0_4arch9wavefront6targetE0EEEvSL_.num_named_barrier, 0
	.set _ZN7rocprim17ROCPRIM_400000_NS6detail17trampoline_kernelINS0_14default_configENS1_38merge_sort_block_merge_config_selectorIiNS0_10empty_typeEEEZZNS1_27merge_sort_block_merge_implIS3_N6thrust23THRUST_200600_302600_NS6detail15normal_iteratorINS9_10device_ptrIiEEEEPS5_jNS1_19radix_merge_compareILb0ELb0EiNS0_19identity_decomposerEEEEE10hipError_tT0_T1_T2_jT3_P12ihipStream_tbPNSt15iterator_traitsISK_E10value_typeEPNSQ_ISL_E10value_typeEPSM_NS1_7vsmem_tEENKUlT_SK_SL_SM_E_clISE_PiSF_SF_EESJ_SZ_SK_SL_SM_EUlSZ_E1_NS1_11comp_targetILNS1_3genE2ELNS1_11target_archE906ELNS1_3gpuE6ELNS1_3repE0EEENS1_36merge_oddeven_config_static_selectorELNS0_4arch9wavefront6targetE0EEEvSL_.private_seg_size, 0
	.set _ZN7rocprim17ROCPRIM_400000_NS6detail17trampoline_kernelINS0_14default_configENS1_38merge_sort_block_merge_config_selectorIiNS0_10empty_typeEEEZZNS1_27merge_sort_block_merge_implIS3_N6thrust23THRUST_200600_302600_NS6detail15normal_iteratorINS9_10device_ptrIiEEEEPS5_jNS1_19radix_merge_compareILb0ELb0EiNS0_19identity_decomposerEEEEE10hipError_tT0_T1_T2_jT3_P12ihipStream_tbPNSt15iterator_traitsISK_E10value_typeEPNSQ_ISL_E10value_typeEPSM_NS1_7vsmem_tEENKUlT_SK_SL_SM_E_clISE_PiSF_SF_EESJ_SZ_SK_SL_SM_EUlSZ_E1_NS1_11comp_targetILNS1_3genE2ELNS1_11target_archE906ELNS1_3gpuE6ELNS1_3repE0EEENS1_36merge_oddeven_config_static_selectorELNS0_4arch9wavefront6targetE0EEEvSL_.uses_vcc, 0
	.set _ZN7rocprim17ROCPRIM_400000_NS6detail17trampoline_kernelINS0_14default_configENS1_38merge_sort_block_merge_config_selectorIiNS0_10empty_typeEEEZZNS1_27merge_sort_block_merge_implIS3_N6thrust23THRUST_200600_302600_NS6detail15normal_iteratorINS9_10device_ptrIiEEEEPS5_jNS1_19radix_merge_compareILb0ELb0EiNS0_19identity_decomposerEEEEE10hipError_tT0_T1_T2_jT3_P12ihipStream_tbPNSt15iterator_traitsISK_E10value_typeEPNSQ_ISL_E10value_typeEPSM_NS1_7vsmem_tEENKUlT_SK_SL_SM_E_clISE_PiSF_SF_EESJ_SZ_SK_SL_SM_EUlSZ_E1_NS1_11comp_targetILNS1_3genE2ELNS1_11target_archE906ELNS1_3gpuE6ELNS1_3repE0EEENS1_36merge_oddeven_config_static_selectorELNS0_4arch9wavefront6targetE0EEEvSL_.uses_flat_scratch, 0
	.set _ZN7rocprim17ROCPRIM_400000_NS6detail17trampoline_kernelINS0_14default_configENS1_38merge_sort_block_merge_config_selectorIiNS0_10empty_typeEEEZZNS1_27merge_sort_block_merge_implIS3_N6thrust23THRUST_200600_302600_NS6detail15normal_iteratorINS9_10device_ptrIiEEEEPS5_jNS1_19radix_merge_compareILb0ELb0EiNS0_19identity_decomposerEEEEE10hipError_tT0_T1_T2_jT3_P12ihipStream_tbPNSt15iterator_traitsISK_E10value_typeEPNSQ_ISL_E10value_typeEPSM_NS1_7vsmem_tEENKUlT_SK_SL_SM_E_clISE_PiSF_SF_EESJ_SZ_SK_SL_SM_EUlSZ_E1_NS1_11comp_targetILNS1_3genE2ELNS1_11target_archE906ELNS1_3gpuE6ELNS1_3repE0EEENS1_36merge_oddeven_config_static_selectorELNS0_4arch9wavefront6targetE0EEEvSL_.has_dyn_sized_stack, 0
	.set _ZN7rocprim17ROCPRIM_400000_NS6detail17trampoline_kernelINS0_14default_configENS1_38merge_sort_block_merge_config_selectorIiNS0_10empty_typeEEEZZNS1_27merge_sort_block_merge_implIS3_N6thrust23THRUST_200600_302600_NS6detail15normal_iteratorINS9_10device_ptrIiEEEEPS5_jNS1_19radix_merge_compareILb0ELb0EiNS0_19identity_decomposerEEEEE10hipError_tT0_T1_T2_jT3_P12ihipStream_tbPNSt15iterator_traitsISK_E10value_typeEPNSQ_ISL_E10value_typeEPSM_NS1_7vsmem_tEENKUlT_SK_SL_SM_E_clISE_PiSF_SF_EESJ_SZ_SK_SL_SM_EUlSZ_E1_NS1_11comp_targetILNS1_3genE2ELNS1_11target_archE906ELNS1_3gpuE6ELNS1_3repE0EEENS1_36merge_oddeven_config_static_selectorELNS0_4arch9wavefront6targetE0EEEvSL_.has_recursion, 0
	.set _ZN7rocprim17ROCPRIM_400000_NS6detail17trampoline_kernelINS0_14default_configENS1_38merge_sort_block_merge_config_selectorIiNS0_10empty_typeEEEZZNS1_27merge_sort_block_merge_implIS3_N6thrust23THRUST_200600_302600_NS6detail15normal_iteratorINS9_10device_ptrIiEEEEPS5_jNS1_19radix_merge_compareILb0ELb0EiNS0_19identity_decomposerEEEEE10hipError_tT0_T1_T2_jT3_P12ihipStream_tbPNSt15iterator_traitsISK_E10value_typeEPNSQ_ISL_E10value_typeEPSM_NS1_7vsmem_tEENKUlT_SK_SL_SM_E_clISE_PiSF_SF_EESJ_SZ_SK_SL_SM_EUlSZ_E1_NS1_11comp_targetILNS1_3genE2ELNS1_11target_archE906ELNS1_3gpuE6ELNS1_3repE0EEENS1_36merge_oddeven_config_static_selectorELNS0_4arch9wavefront6targetE0EEEvSL_.has_indirect_call, 0
	.section	.AMDGPU.csdata,"",@progbits
; Kernel info:
; codeLenInByte = 0
; TotalNumSgprs: 0
; NumVgprs: 0
; ScratchSize: 0
; MemoryBound: 0
; FloatMode: 240
; IeeeMode: 1
; LDSByteSize: 0 bytes/workgroup (compile time only)
; SGPRBlocks: 0
; VGPRBlocks: 0
; NumSGPRsForWavesPerEU: 1
; NumVGPRsForWavesPerEU: 1
; Occupancy: 16
; WaveLimiterHint : 0
; COMPUTE_PGM_RSRC2:SCRATCH_EN: 0
; COMPUTE_PGM_RSRC2:USER_SGPR: 6
; COMPUTE_PGM_RSRC2:TRAP_HANDLER: 0
; COMPUTE_PGM_RSRC2:TGID_X_EN: 1
; COMPUTE_PGM_RSRC2:TGID_Y_EN: 0
; COMPUTE_PGM_RSRC2:TGID_Z_EN: 0
; COMPUTE_PGM_RSRC2:TIDIG_COMP_CNT: 0
	.section	.text._ZN7rocprim17ROCPRIM_400000_NS6detail17trampoline_kernelINS0_14default_configENS1_38merge_sort_block_merge_config_selectorIiNS0_10empty_typeEEEZZNS1_27merge_sort_block_merge_implIS3_N6thrust23THRUST_200600_302600_NS6detail15normal_iteratorINS9_10device_ptrIiEEEEPS5_jNS1_19radix_merge_compareILb0ELb0EiNS0_19identity_decomposerEEEEE10hipError_tT0_T1_T2_jT3_P12ihipStream_tbPNSt15iterator_traitsISK_E10value_typeEPNSQ_ISL_E10value_typeEPSM_NS1_7vsmem_tEENKUlT_SK_SL_SM_E_clISE_PiSF_SF_EESJ_SZ_SK_SL_SM_EUlSZ_E1_NS1_11comp_targetILNS1_3genE9ELNS1_11target_archE1100ELNS1_3gpuE3ELNS1_3repE0EEENS1_36merge_oddeven_config_static_selectorELNS0_4arch9wavefront6targetE0EEEvSL_,"axG",@progbits,_ZN7rocprim17ROCPRIM_400000_NS6detail17trampoline_kernelINS0_14default_configENS1_38merge_sort_block_merge_config_selectorIiNS0_10empty_typeEEEZZNS1_27merge_sort_block_merge_implIS3_N6thrust23THRUST_200600_302600_NS6detail15normal_iteratorINS9_10device_ptrIiEEEEPS5_jNS1_19radix_merge_compareILb0ELb0EiNS0_19identity_decomposerEEEEE10hipError_tT0_T1_T2_jT3_P12ihipStream_tbPNSt15iterator_traitsISK_E10value_typeEPNSQ_ISL_E10value_typeEPSM_NS1_7vsmem_tEENKUlT_SK_SL_SM_E_clISE_PiSF_SF_EESJ_SZ_SK_SL_SM_EUlSZ_E1_NS1_11comp_targetILNS1_3genE9ELNS1_11target_archE1100ELNS1_3gpuE3ELNS1_3repE0EEENS1_36merge_oddeven_config_static_selectorELNS0_4arch9wavefront6targetE0EEEvSL_,comdat
	.protected	_ZN7rocprim17ROCPRIM_400000_NS6detail17trampoline_kernelINS0_14default_configENS1_38merge_sort_block_merge_config_selectorIiNS0_10empty_typeEEEZZNS1_27merge_sort_block_merge_implIS3_N6thrust23THRUST_200600_302600_NS6detail15normal_iteratorINS9_10device_ptrIiEEEEPS5_jNS1_19radix_merge_compareILb0ELb0EiNS0_19identity_decomposerEEEEE10hipError_tT0_T1_T2_jT3_P12ihipStream_tbPNSt15iterator_traitsISK_E10value_typeEPNSQ_ISL_E10value_typeEPSM_NS1_7vsmem_tEENKUlT_SK_SL_SM_E_clISE_PiSF_SF_EESJ_SZ_SK_SL_SM_EUlSZ_E1_NS1_11comp_targetILNS1_3genE9ELNS1_11target_archE1100ELNS1_3gpuE3ELNS1_3repE0EEENS1_36merge_oddeven_config_static_selectorELNS0_4arch9wavefront6targetE0EEEvSL_ ; -- Begin function _ZN7rocprim17ROCPRIM_400000_NS6detail17trampoline_kernelINS0_14default_configENS1_38merge_sort_block_merge_config_selectorIiNS0_10empty_typeEEEZZNS1_27merge_sort_block_merge_implIS3_N6thrust23THRUST_200600_302600_NS6detail15normal_iteratorINS9_10device_ptrIiEEEEPS5_jNS1_19radix_merge_compareILb0ELb0EiNS0_19identity_decomposerEEEEE10hipError_tT0_T1_T2_jT3_P12ihipStream_tbPNSt15iterator_traitsISK_E10value_typeEPNSQ_ISL_E10value_typeEPSM_NS1_7vsmem_tEENKUlT_SK_SL_SM_E_clISE_PiSF_SF_EESJ_SZ_SK_SL_SM_EUlSZ_E1_NS1_11comp_targetILNS1_3genE9ELNS1_11target_archE1100ELNS1_3gpuE3ELNS1_3repE0EEENS1_36merge_oddeven_config_static_selectorELNS0_4arch9wavefront6targetE0EEEvSL_
	.globl	_ZN7rocprim17ROCPRIM_400000_NS6detail17trampoline_kernelINS0_14default_configENS1_38merge_sort_block_merge_config_selectorIiNS0_10empty_typeEEEZZNS1_27merge_sort_block_merge_implIS3_N6thrust23THRUST_200600_302600_NS6detail15normal_iteratorINS9_10device_ptrIiEEEEPS5_jNS1_19radix_merge_compareILb0ELb0EiNS0_19identity_decomposerEEEEE10hipError_tT0_T1_T2_jT3_P12ihipStream_tbPNSt15iterator_traitsISK_E10value_typeEPNSQ_ISL_E10value_typeEPSM_NS1_7vsmem_tEENKUlT_SK_SL_SM_E_clISE_PiSF_SF_EESJ_SZ_SK_SL_SM_EUlSZ_E1_NS1_11comp_targetILNS1_3genE9ELNS1_11target_archE1100ELNS1_3gpuE3ELNS1_3repE0EEENS1_36merge_oddeven_config_static_selectorELNS0_4arch9wavefront6targetE0EEEvSL_
	.p2align	8
	.type	_ZN7rocprim17ROCPRIM_400000_NS6detail17trampoline_kernelINS0_14default_configENS1_38merge_sort_block_merge_config_selectorIiNS0_10empty_typeEEEZZNS1_27merge_sort_block_merge_implIS3_N6thrust23THRUST_200600_302600_NS6detail15normal_iteratorINS9_10device_ptrIiEEEEPS5_jNS1_19radix_merge_compareILb0ELb0EiNS0_19identity_decomposerEEEEE10hipError_tT0_T1_T2_jT3_P12ihipStream_tbPNSt15iterator_traitsISK_E10value_typeEPNSQ_ISL_E10value_typeEPSM_NS1_7vsmem_tEENKUlT_SK_SL_SM_E_clISE_PiSF_SF_EESJ_SZ_SK_SL_SM_EUlSZ_E1_NS1_11comp_targetILNS1_3genE9ELNS1_11target_archE1100ELNS1_3gpuE3ELNS1_3repE0EEENS1_36merge_oddeven_config_static_selectorELNS0_4arch9wavefront6targetE0EEEvSL_,@function
_ZN7rocprim17ROCPRIM_400000_NS6detail17trampoline_kernelINS0_14default_configENS1_38merge_sort_block_merge_config_selectorIiNS0_10empty_typeEEEZZNS1_27merge_sort_block_merge_implIS3_N6thrust23THRUST_200600_302600_NS6detail15normal_iteratorINS9_10device_ptrIiEEEEPS5_jNS1_19radix_merge_compareILb0ELb0EiNS0_19identity_decomposerEEEEE10hipError_tT0_T1_T2_jT3_P12ihipStream_tbPNSt15iterator_traitsISK_E10value_typeEPNSQ_ISL_E10value_typeEPSM_NS1_7vsmem_tEENKUlT_SK_SL_SM_E_clISE_PiSF_SF_EESJ_SZ_SK_SL_SM_EUlSZ_E1_NS1_11comp_targetILNS1_3genE9ELNS1_11target_archE1100ELNS1_3gpuE3ELNS1_3repE0EEENS1_36merge_oddeven_config_static_selectorELNS0_4arch9wavefront6targetE0EEEvSL_: ; @_ZN7rocprim17ROCPRIM_400000_NS6detail17trampoline_kernelINS0_14default_configENS1_38merge_sort_block_merge_config_selectorIiNS0_10empty_typeEEEZZNS1_27merge_sort_block_merge_implIS3_N6thrust23THRUST_200600_302600_NS6detail15normal_iteratorINS9_10device_ptrIiEEEEPS5_jNS1_19radix_merge_compareILb0ELb0EiNS0_19identity_decomposerEEEEE10hipError_tT0_T1_T2_jT3_P12ihipStream_tbPNSt15iterator_traitsISK_E10value_typeEPNSQ_ISL_E10value_typeEPSM_NS1_7vsmem_tEENKUlT_SK_SL_SM_E_clISE_PiSF_SF_EESJ_SZ_SK_SL_SM_EUlSZ_E1_NS1_11comp_targetILNS1_3genE9ELNS1_11target_archE1100ELNS1_3gpuE3ELNS1_3repE0EEENS1_36merge_oddeven_config_static_selectorELNS0_4arch9wavefront6targetE0EEEvSL_
; %bb.0:
	.section	.rodata,"a",@progbits
	.p2align	6, 0x0
	.amdhsa_kernel _ZN7rocprim17ROCPRIM_400000_NS6detail17trampoline_kernelINS0_14default_configENS1_38merge_sort_block_merge_config_selectorIiNS0_10empty_typeEEEZZNS1_27merge_sort_block_merge_implIS3_N6thrust23THRUST_200600_302600_NS6detail15normal_iteratorINS9_10device_ptrIiEEEEPS5_jNS1_19radix_merge_compareILb0ELb0EiNS0_19identity_decomposerEEEEE10hipError_tT0_T1_T2_jT3_P12ihipStream_tbPNSt15iterator_traitsISK_E10value_typeEPNSQ_ISL_E10value_typeEPSM_NS1_7vsmem_tEENKUlT_SK_SL_SM_E_clISE_PiSF_SF_EESJ_SZ_SK_SL_SM_EUlSZ_E1_NS1_11comp_targetILNS1_3genE9ELNS1_11target_archE1100ELNS1_3gpuE3ELNS1_3repE0EEENS1_36merge_oddeven_config_static_selectorELNS0_4arch9wavefront6targetE0EEEvSL_
		.amdhsa_group_segment_fixed_size 0
		.amdhsa_private_segment_fixed_size 0
		.amdhsa_kernarg_size 48
		.amdhsa_user_sgpr_count 6
		.amdhsa_user_sgpr_private_segment_buffer 1
		.amdhsa_user_sgpr_dispatch_ptr 0
		.amdhsa_user_sgpr_queue_ptr 0
		.amdhsa_user_sgpr_kernarg_segment_ptr 1
		.amdhsa_user_sgpr_dispatch_id 0
		.amdhsa_user_sgpr_flat_scratch_init 0
		.amdhsa_user_sgpr_private_segment_size 0
		.amdhsa_wavefront_size32 1
		.amdhsa_uses_dynamic_stack 0
		.amdhsa_system_sgpr_private_segment_wavefront_offset 0
		.amdhsa_system_sgpr_workgroup_id_x 1
		.amdhsa_system_sgpr_workgroup_id_y 0
		.amdhsa_system_sgpr_workgroup_id_z 0
		.amdhsa_system_sgpr_workgroup_info 0
		.amdhsa_system_vgpr_workitem_id 0
		.amdhsa_next_free_vgpr 1
		.amdhsa_next_free_sgpr 1
		.amdhsa_reserve_vcc 0
		.amdhsa_reserve_flat_scratch 0
		.amdhsa_float_round_mode_32 0
		.amdhsa_float_round_mode_16_64 0
		.amdhsa_float_denorm_mode_32 3
		.amdhsa_float_denorm_mode_16_64 3
		.amdhsa_dx10_clamp 1
		.amdhsa_ieee_mode 1
		.amdhsa_fp16_overflow 0
		.amdhsa_workgroup_processor_mode 1
		.amdhsa_memory_ordered 1
		.amdhsa_forward_progress 1
		.amdhsa_shared_vgpr_count 0
		.amdhsa_exception_fp_ieee_invalid_op 0
		.amdhsa_exception_fp_denorm_src 0
		.amdhsa_exception_fp_ieee_div_zero 0
		.amdhsa_exception_fp_ieee_overflow 0
		.amdhsa_exception_fp_ieee_underflow 0
		.amdhsa_exception_fp_ieee_inexact 0
		.amdhsa_exception_int_div_zero 0
	.end_amdhsa_kernel
	.section	.text._ZN7rocprim17ROCPRIM_400000_NS6detail17trampoline_kernelINS0_14default_configENS1_38merge_sort_block_merge_config_selectorIiNS0_10empty_typeEEEZZNS1_27merge_sort_block_merge_implIS3_N6thrust23THRUST_200600_302600_NS6detail15normal_iteratorINS9_10device_ptrIiEEEEPS5_jNS1_19radix_merge_compareILb0ELb0EiNS0_19identity_decomposerEEEEE10hipError_tT0_T1_T2_jT3_P12ihipStream_tbPNSt15iterator_traitsISK_E10value_typeEPNSQ_ISL_E10value_typeEPSM_NS1_7vsmem_tEENKUlT_SK_SL_SM_E_clISE_PiSF_SF_EESJ_SZ_SK_SL_SM_EUlSZ_E1_NS1_11comp_targetILNS1_3genE9ELNS1_11target_archE1100ELNS1_3gpuE3ELNS1_3repE0EEENS1_36merge_oddeven_config_static_selectorELNS0_4arch9wavefront6targetE0EEEvSL_,"axG",@progbits,_ZN7rocprim17ROCPRIM_400000_NS6detail17trampoline_kernelINS0_14default_configENS1_38merge_sort_block_merge_config_selectorIiNS0_10empty_typeEEEZZNS1_27merge_sort_block_merge_implIS3_N6thrust23THRUST_200600_302600_NS6detail15normal_iteratorINS9_10device_ptrIiEEEEPS5_jNS1_19radix_merge_compareILb0ELb0EiNS0_19identity_decomposerEEEEE10hipError_tT0_T1_T2_jT3_P12ihipStream_tbPNSt15iterator_traitsISK_E10value_typeEPNSQ_ISL_E10value_typeEPSM_NS1_7vsmem_tEENKUlT_SK_SL_SM_E_clISE_PiSF_SF_EESJ_SZ_SK_SL_SM_EUlSZ_E1_NS1_11comp_targetILNS1_3genE9ELNS1_11target_archE1100ELNS1_3gpuE3ELNS1_3repE0EEENS1_36merge_oddeven_config_static_selectorELNS0_4arch9wavefront6targetE0EEEvSL_,comdat
.Lfunc_end65:
	.size	_ZN7rocprim17ROCPRIM_400000_NS6detail17trampoline_kernelINS0_14default_configENS1_38merge_sort_block_merge_config_selectorIiNS0_10empty_typeEEEZZNS1_27merge_sort_block_merge_implIS3_N6thrust23THRUST_200600_302600_NS6detail15normal_iteratorINS9_10device_ptrIiEEEEPS5_jNS1_19radix_merge_compareILb0ELb0EiNS0_19identity_decomposerEEEEE10hipError_tT0_T1_T2_jT3_P12ihipStream_tbPNSt15iterator_traitsISK_E10value_typeEPNSQ_ISL_E10value_typeEPSM_NS1_7vsmem_tEENKUlT_SK_SL_SM_E_clISE_PiSF_SF_EESJ_SZ_SK_SL_SM_EUlSZ_E1_NS1_11comp_targetILNS1_3genE9ELNS1_11target_archE1100ELNS1_3gpuE3ELNS1_3repE0EEENS1_36merge_oddeven_config_static_selectorELNS0_4arch9wavefront6targetE0EEEvSL_, .Lfunc_end65-_ZN7rocprim17ROCPRIM_400000_NS6detail17trampoline_kernelINS0_14default_configENS1_38merge_sort_block_merge_config_selectorIiNS0_10empty_typeEEEZZNS1_27merge_sort_block_merge_implIS3_N6thrust23THRUST_200600_302600_NS6detail15normal_iteratorINS9_10device_ptrIiEEEEPS5_jNS1_19radix_merge_compareILb0ELb0EiNS0_19identity_decomposerEEEEE10hipError_tT0_T1_T2_jT3_P12ihipStream_tbPNSt15iterator_traitsISK_E10value_typeEPNSQ_ISL_E10value_typeEPSM_NS1_7vsmem_tEENKUlT_SK_SL_SM_E_clISE_PiSF_SF_EESJ_SZ_SK_SL_SM_EUlSZ_E1_NS1_11comp_targetILNS1_3genE9ELNS1_11target_archE1100ELNS1_3gpuE3ELNS1_3repE0EEENS1_36merge_oddeven_config_static_selectorELNS0_4arch9wavefront6targetE0EEEvSL_
                                        ; -- End function
	.set _ZN7rocprim17ROCPRIM_400000_NS6detail17trampoline_kernelINS0_14default_configENS1_38merge_sort_block_merge_config_selectorIiNS0_10empty_typeEEEZZNS1_27merge_sort_block_merge_implIS3_N6thrust23THRUST_200600_302600_NS6detail15normal_iteratorINS9_10device_ptrIiEEEEPS5_jNS1_19radix_merge_compareILb0ELb0EiNS0_19identity_decomposerEEEEE10hipError_tT0_T1_T2_jT3_P12ihipStream_tbPNSt15iterator_traitsISK_E10value_typeEPNSQ_ISL_E10value_typeEPSM_NS1_7vsmem_tEENKUlT_SK_SL_SM_E_clISE_PiSF_SF_EESJ_SZ_SK_SL_SM_EUlSZ_E1_NS1_11comp_targetILNS1_3genE9ELNS1_11target_archE1100ELNS1_3gpuE3ELNS1_3repE0EEENS1_36merge_oddeven_config_static_selectorELNS0_4arch9wavefront6targetE0EEEvSL_.num_vgpr, 0
	.set _ZN7rocprim17ROCPRIM_400000_NS6detail17trampoline_kernelINS0_14default_configENS1_38merge_sort_block_merge_config_selectorIiNS0_10empty_typeEEEZZNS1_27merge_sort_block_merge_implIS3_N6thrust23THRUST_200600_302600_NS6detail15normal_iteratorINS9_10device_ptrIiEEEEPS5_jNS1_19radix_merge_compareILb0ELb0EiNS0_19identity_decomposerEEEEE10hipError_tT0_T1_T2_jT3_P12ihipStream_tbPNSt15iterator_traitsISK_E10value_typeEPNSQ_ISL_E10value_typeEPSM_NS1_7vsmem_tEENKUlT_SK_SL_SM_E_clISE_PiSF_SF_EESJ_SZ_SK_SL_SM_EUlSZ_E1_NS1_11comp_targetILNS1_3genE9ELNS1_11target_archE1100ELNS1_3gpuE3ELNS1_3repE0EEENS1_36merge_oddeven_config_static_selectorELNS0_4arch9wavefront6targetE0EEEvSL_.num_agpr, 0
	.set _ZN7rocprim17ROCPRIM_400000_NS6detail17trampoline_kernelINS0_14default_configENS1_38merge_sort_block_merge_config_selectorIiNS0_10empty_typeEEEZZNS1_27merge_sort_block_merge_implIS3_N6thrust23THRUST_200600_302600_NS6detail15normal_iteratorINS9_10device_ptrIiEEEEPS5_jNS1_19radix_merge_compareILb0ELb0EiNS0_19identity_decomposerEEEEE10hipError_tT0_T1_T2_jT3_P12ihipStream_tbPNSt15iterator_traitsISK_E10value_typeEPNSQ_ISL_E10value_typeEPSM_NS1_7vsmem_tEENKUlT_SK_SL_SM_E_clISE_PiSF_SF_EESJ_SZ_SK_SL_SM_EUlSZ_E1_NS1_11comp_targetILNS1_3genE9ELNS1_11target_archE1100ELNS1_3gpuE3ELNS1_3repE0EEENS1_36merge_oddeven_config_static_selectorELNS0_4arch9wavefront6targetE0EEEvSL_.numbered_sgpr, 0
	.set _ZN7rocprim17ROCPRIM_400000_NS6detail17trampoline_kernelINS0_14default_configENS1_38merge_sort_block_merge_config_selectorIiNS0_10empty_typeEEEZZNS1_27merge_sort_block_merge_implIS3_N6thrust23THRUST_200600_302600_NS6detail15normal_iteratorINS9_10device_ptrIiEEEEPS5_jNS1_19radix_merge_compareILb0ELb0EiNS0_19identity_decomposerEEEEE10hipError_tT0_T1_T2_jT3_P12ihipStream_tbPNSt15iterator_traitsISK_E10value_typeEPNSQ_ISL_E10value_typeEPSM_NS1_7vsmem_tEENKUlT_SK_SL_SM_E_clISE_PiSF_SF_EESJ_SZ_SK_SL_SM_EUlSZ_E1_NS1_11comp_targetILNS1_3genE9ELNS1_11target_archE1100ELNS1_3gpuE3ELNS1_3repE0EEENS1_36merge_oddeven_config_static_selectorELNS0_4arch9wavefront6targetE0EEEvSL_.num_named_barrier, 0
	.set _ZN7rocprim17ROCPRIM_400000_NS6detail17trampoline_kernelINS0_14default_configENS1_38merge_sort_block_merge_config_selectorIiNS0_10empty_typeEEEZZNS1_27merge_sort_block_merge_implIS3_N6thrust23THRUST_200600_302600_NS6detail15normal_iteratorINS9_10device_ptrIiEEEEPS5_jNS1_19radix_merge_compareILb0ELb0EiNS0_19identity_decomposerEEEEE10hipError_tT0_T1_T2_jT3_P12ihipStream_tbPNSt15iterator_traitsISK_E10value_typeEPNSQ_ISL_E10value_typeEPSM_NS1_7vsmem_tEENKUlT_SK_SL_SM_E_clISE_PiSF_SF_EESJ_SZ_SK_SL_SM_EUlSZ_E1_NS1_11comp_targetILNS1_3genE9ELNS1_11target_archE1100ELNS1_3gpuE3ELNS1_3repE0EEENS1_36merge_oddeven_config_static_selectorELNS0_4arch9wavefront6targetE0EEEvSL_.private_seg_size, 0
	.set _ZN7rocprim17ROCPRIM_400000_NS6detail17trampoline_kernelINS0_14default_configENS1_38merge_sort_block_merge_config_selectorIiNS0_10empty_typeEEEZZNS1_27merge_sort_block_merge_implIS3_N6thrust23THRUST_200600_302600_NS6detail15normal_iteratorINS9_10device_ptrIiEEEEPS5_jNS1_19radix_merge_compareILb0ELb0EiNS0_19identity_decomposerEEEEE10hipError_tT0_T1_T2_jT3_P12ihipStream_tbPNSt15iterator_traitsISK_E10value_typeEPNSQ_ISL_E10value_typeEPSM_NS1_7vsmem_tEENKUlT_SK_SL_SM_E_clISE_PiSF_SF_EESJ_SZ_SK_SL_SM_EUlSZ_E1_NS1_11comp_targetILNS1_3genE9ELNS1_11target_archE1100ELNS1_3gpuE3ELNS1_3repE0EEENS1_36merge_oddeven_config_static_selectorELNS0_4arch9wavefront6targetE0EEEvSL_.uses_vcc, 0
	.set _ZN7rocprim17ROCPRIM_400000_NS6detail17trampoline_kernelINS0_14default_configENS1_38merge_sort_block_merge_config_selectorIiNS0_10empty_typeEEEZZNS1_27merge_sort_block_merge_implIS3_N6thrust23THRUST_200600_302600_NS6detail15normal_iteratorINS9_10device_ptrIiEEEEPS5_jNS1_19radix_merge_compareILb0ELb0EiNS0_19identity_decomposerEEEEE10hipError_tT0_T1_T2_jT3_P12ihipStream_tbPNSt15iterator_traitsISK_E10value_typeEPNSQ_ISL_E10value_typeEPSM_NS1_7vsmem_tEENKUlT_SK_SL_SM_E_clISE_PiSF_SF_EESJ_SZ_SK_SL_SM_EUlSZ_E1_NS1_11comp_targetILNS1_3genE9ELNS1_11target_archE1100ELNS1_3gpuE3ELNS1_3repE0EEENS1_36merge_oddeven_config_static_selectorELNS0_4arch9wavefront6targetE0EEEvSL_.uses_flat_scratch, 0
	.set _ZN7rocprim17ROCPRIM_400000_NS6detail17trampoline_kernelINS0_14default_configENS1_38merge_sort_block_merge_config_selectorIiNS0_10empty_typeEEEZZNS1_27merge_sort_block_merge_implIS3_N6thrust23THRUST_200600_302600_NS6detail15normal_iteratorINS9_10device_ptrIiEEEEPS5_jNS1_19radix_merge_compareILb0ELb0EiNS0_19identity_decomposerEEEEE10hipError_tT0_T1_T2_jT3_P12ihipStream_tbPNSt15iterator_traitsISK_E10value_typeEPNSQ_ISL_E10value_typeEPSM_NS1_7vsmem_tEENKUlT_SK_SL_SM_E_clISE_PiSF_SF_EESJ_SZ_SK_SL_SM_EUlSZ_E1_NS1_11comp_targetILNS1_3genE9ELNS1_11target_archE1100ELNS1_3gpuE3ELNS1_3repE0EEENS1_36merge_oddeven_config_static_selectorELNS0_4arch9wavefront6targetE0EEEvSL_.has_dyn_sized_stack, 0
	.set _ZN7rocprim17ROCPRIM_400000_NS6detail17trampoline_kernelINS0_14default_configENS1_38merge_sort_block_merge_config_selectorIiNS0_10empty_typeEEEZZNS1_27merge_sort_block_merge_implIS3_N6thrust23THRUST_200600_302600_NS6detail15normal_iteratorINS9_10device_ptrIiEEEEPS5_jNS1_19radix_merge_compareILb0ELb0EiNS0_19identity_decomposerEEEEE10hipError_tT0_T1_T2_jT3_P12ihipStream_tbPNSt15iterator_traitsISK_E10value_typeEPNSQ_ISL_E10value_typeEPSM_NS1_7vsmem_tEENKUlT_SK_SL_SM_E_clISE_PiSF_SF_EESJ_SZ_SK_SL_SM_EUlSZ_E1_NS1_11comp_targetILNS1_3genE9ELNS1_11target_archE1100ELNS1_3gpuE3ELNS1_3repE0EEENS1_36merge_oddeven_config_static_selectorELNS0_4arch9wavefront6targetE0EEEvSL_.has_recursion, 0
	.set _ZN7rocprim17ROCPRIM_400000_NS6detail17trampoline_kernelINS0_14default_configENS1_38merge_sort_block_merge_config_selectorIiNS0_10empty_typeEEEZZNS1_27merge_sort_block_merge_implIS3_N6thrust23THRUST_200600_302600_NS6detail15normal_iteratorINS9_10device_ptrIiEEEEPS5_jNS1_19radix_merge_compareILb0ELb0EiNS0_19identity_decomposerEEEEE10hipError_tT0_T1_T2_jT3_P12ihipStream_tbPNSt15iterator_traitsISK_E10value_typeEPNSQ_ISL_E10value_typeEPSM_NS1_7vsmem_tEENKUlT_SK_SL_SM_E_clISE_PiSF_SF_EESJ_SZ_SK_SL_SM_EUlSZ_E1_NS1_11comp_targetILNS1_3genE9ELNS1_11target_archE1100ELNS1_3gpuE3ELNS1_3repE0EEENS1_36merge_oddeven_config_static_selectorELNS0_4arch9wavefront6targetE0EEEvSL_.has_indirect_call, 0
	.section	.AMDGPU.csdata,"",@progbits
; Kernel info:
; codeLenInByte = 0
; TotalNumSgprs: 0
; NumVgprs: 0
; ScratchSize: 0
; MemoryBound: 0
; FloatMode: 240
; IeeeMode: 1
; LDSByteSize: 0 bytes/workgroup (compile time only)
; SGPRBlocks: 0
; VGPRBlocks: 0
; NumSGPRsForWavesPerEU: 1
; NumVGPRsForWavesPerEU: 1
; Occupancy: 16
; WaveLimiterHint : 0
; COMPUTE_PGM_RSRC2:SCRATCH_EN: 0
; COMPUTE_PGM_RSRC2:USER_SGPR: 6
; COMPUTE_PGM_RSRC2:TRAP_HANDLER: 0
; COMPUTE_PGM_RSRC2:TGID_X_EN: 1
; COMPUTE_PGM_RSRC2:TGID_Y_EN: 0
; COMPUTE_PGM_RSRC2:TGID_Z_EN: 0
; COMPUTE_PGM_RSRC2:TIDIG_COMP_CNT: 0
	.section	.text._ZN7rocprim17ROCPRIM_400000_NS6detail17trampoline_kernelINS0_14default_configENS1_38merge_sort_block_merge_config_selectorIiNS0_10empty_typeEEEZZNS1_27merge_sort_block_merge_implIS3_N6thrust23THRUST_200600_302600_NS6detail15normal_iteratorINS9_10device_ptrIiEEEEPS5_jNS1_19radix_merge_compareILb0ELb0EiNS0_19identity_decomposerEEEEE10hipError_tT0_T1_T2_jT3_P12ihipStream_tbPNSt15iterator_traitsISK_E10value_typeEPNSQ_ISL_E10value_typeEPSM_NS1_7vsmem_tEENKUlT_SK_SL_SM_E_clISE_PiSF_SF_EESJ_SZ_SK_SL_SM_EUlSZ_E1_NS1_11comp_targetILNS1_3genE8ELNS1_11target_archE1030ELNS1_3gpuE2ELNS1_3repE0EEENS1_36merge_oddeven_config_static_selectorELNS0_4arch9wavefront6targetE0EEEvSL_,"axG",@progbits,_ZN7rocprim17ROCPRIM_400000_NS6detail17trampoline_kernelINS0_14default_configENS1_38merge_sort_block_merge_config_selectorIiNS0_10empty_typeEEEZZNS1_27merge_sort_block_merge_implIS3_N6thrust23THRUST_200600_302600_NS6detail15normal_iteratorINS9_10device_ptrIiEEEEPS5_jNS1_19radix_merge_compareILb0ELb0EiNS0_19identity_decomposerEEEEE10hipError_tT0_T1_T2_jT3_P12ihipStream_tbPNSt15iterator_traitsISK_E10value_typeEPNSQ_ISL_E10value_typeEPSM_NS1_7vsmem_tEENKUlT_SK_SL_SM_E_clISE_PiSF_SF_EESJ_SZ_SK_SL_SM_EUlSZ_E1_NS1_11comp_targetILNS1_3genE8ELNS1_11target_archE1030ELNS1_3gpuE2ELNS1_3repE0EEENS1_36merge_oddeven_config_static_selectorELNS0_4arch9wavefront6targetE0EEEvSL_,comdat
	.protected	_ZN7rocprim17ROCPRIM_400000_NS6detail17trampoline_kernelINS0_14default_configENS1_38merge_sort_block_merge_config_selectorIiNS0_10empty_typeEEEZZNS1_27merge_sort_block_merge_implIS3_N6thrust23THRUST_200600_302600_NS6detail15normal_iteratorINS9_10device_ptrIiEEEEPS5_jNS1_19radix_merge_compareILb0ELb0EiNS0_19identity_decomposerEEEEE10hipError_tT0_T1_T2_jT3_P12ihipStream_tbPNSt15iterator_traitsISK_E10value_typeEPNSQ_ISL_E10value_typeEPSM_NS1_7vsmem_tEENKUlT_SK_SL_SM_E_clISE_PiSF_SF_EESJ_SZ_SK_SL_SM_EUlSZ_E1_NS1_11comp_targetILNS1_3genE8ELNS1_11target_archE1030ELNS1_3gpuE2ELNS1_3repE0EEENS1_36merge_oddeven_config_static_selectorELNS0_4arch9wavefront6targetE0EEEvSL_ ; -- Begin function _ZN7rocprim17ROCPRIM_400000_NS6detail17trampoline_kernelINS0_14default_configENS1_38merge_sort_block_merge_config_selectorIiNS0_10empty_typeEEEZZNS1_27merge_sort_block_merge_implIS3_N6thrust23THRUST_200600_302600_NS6detail15normal_iteratorINS9_10device_ptrIiEEEEPS5_jNS1_19radix_merge_compareILb0ELb0EiNS0_19identity_decomposerEEEEE10hipError_tT0_T1_T2_jT3_P12ihipStream_tbPNSt15iterator_traitsISK_E10value_typeEPNSQ_ISL_E10value_typeEPSM_NS1_7vsmem_tEENKUlT_SK_SL_SM_E_clISE_PiSF_SF_EESJ_SZ_SK_SL_SM_EUlSZ_E1_NS1_11comp_targetILNS1_3genE8ELNS1_11target_archE1030ELNS1_3gpuE2ELNS1_3repE0EEENS1_36merge_oddeven_config_static_selectorELNS0_4arch9wavefront6targetE0EEEvSL_
	.globl	_ZN7rocprim17ROCPRIM_400000_NS6detail17trampoline_kernelINS0_14default_configENS1_38merge_sort_block_merge_config_selectorIiNS0_10empty_typeEEEZZNS1_27merge_sort_block_merge_implIS3_N6thrust23THRUST_200600_302600_NS6detail15normal_iteratorINS9_10device_ptrIiEEEEPS5_jNS1_19radix_merge_compareILb0ELb0EiNS0_19identity_decomposerEEEEE10hipError_tT0_T1_T2_jT3_P12ihipStream_tbPNSt15iterator_traitsISK_E10value_typeEPNSQ_ISL_E10value_typeEPSM_NS1_7vsmem_tEENKUlT_SK_SL_SM_E_clISE_PiSF_SF_EESJ_SZ_SK_SL_SM_EUlSZ_E1_NS1_11comp_targetILNS1_3genE8ELNS1_11target_archE1030ELNS1_3gpuE2ELNS1_3repE0EEENS1_36merge_oddeven_config_static_selectorELNS0_4arch9wavefront6targetE0EEEvSL_
	.p2align	8
	.type	_ZN7rocprim17ROCPRIM_400000_NS6detail17trampoline_kernelINS0_14default_configENS1_38merge_sort_block_merge_config_selectorIiNS0_10empty_typeEEEZZNS1_27merge_sort_block_merge_implIS3_N6thrust23THRUST_200600_302600_NS6detail15normal_iteratorINS9_10device_ptrIiEEEEPS5_jNS1_19radix_merge_compareILb0ELb0EiNS0_19identity_decomposerEEEEE10hipError_tT0_T1_T2_jT3_P12ihipStream_tbPNSt15iterator_traitsISK_E10value_typeEPNSQ_ISL_E10value_typeEPSM_NS1_7vsmem_tEENKUlT_SK_SL_SM_E_clISE_PiSF_SF_EESJ_SZ_SK_SL_SM_EUlSZ_E1_NS1_11comp_targetILNS1_3genE8ELNS1_11target_archE1030ELNS1_3gpuE2ELNS1_3repE0EEENS1_36merge_oddeven_config_static_selectorELNS0_4arch9wavefront6targetE0EEEvSL_,@function
_ZN7rocprim17ROCPRIM_400000_NS6detail17trampoline_kernelINS0_14default_configENS1_38merge_sort_block_merge_config_selectorIiNS0_10empty_typeEEEZZNS1_27merge_sort_block_merge_implIS3_N6thrust23THRUST_200600_302600_NS6detail15normal_iteratorINS9_10device_ptrIiEEEEPS5_jNS1_19radix_merge_compareILb0ELb0EiNS0_19identity_decomposerEEEEE10hipError_tT0_T1_T2_jT3_P12ihipStream_tbPNSt15iterator_traitsISK_E10value_typeEPNSQ_ISL_E10value_typeEPSM_NS1_7vsmem_tEENKUlT_SK_SL_SM_E_clISE_PiSF_SF_EESJ_SZ_SK_SL_SM_EUlSZ_E1_NS1_11comp_targetILNS1_3genE8ELNS1_11target_archE1030ELNS1_3gpuE2ELNS1_3repE0EEENS1_36merge_oddeven_config_static_selectorELNS0_4arch9wavefront6targetE0EEEvSL_: ; @_ZN7rocprim17ROCPRIM_400000_NS6detail17trampoline_kernelINS0_14default_configENS1_38merge_sort_block_merge_config_selectorIiNS0_10empty_typeEEEZZNS1_27merge_sort_block_merge_implIS3_N6thrust23THRUST_200600_302600_NS6detail15normal_iteratorINS9_10device_ptrIiEEEEPS5_jNS1_19radix_merge_compareILb0ELb0EiNS0_19identity_decomposerEEEEE10hipError_tT0_T1_T2_jT3_P12ihipStream_tbPNSt15iterator_traitsISK_E10value_typeEPNSQ_ISL_E10value_typeEPSM_NS1_7vsmem_tEENKUlT_SK_SL_SM_E_clISE_PiSF_SF_EESJ_SZ_SK_SL_SM_EUlSZ_E1_NS1_11comp_targetILNS1_3genE8ELNS1_11target_archE1030ELNS1_3gpuE2ELNS1_3repE0EEENS1_36merge_oddeven_config_static_selectorELNS0_4arch9wavefront6targetE0EEEvSL_
; %bb.0:
	s_load_dword s7, s[4:5], 0x20
	s_waitcnt lgkmcnt(0)
	s_lshr_b32 s0, s7, 8
	s_cmp_lg_u32 s6, s0
	s_cselect_b32 s13, -1, 0
	s_cmp_eq_u32 s6, s0
	s_cselect_b32 s12, -1, 0
	s_lshl_b32 s2, s6, 8
	s_sub_i32 s0, s7, s2
	v_cmp_gt_u32_e64 s1, s0, v0
	s_or_b32 s0, s13, s1
	s_and_saveexec_b32 s3, s0
	s_cbranch_execz .LBB66_20
; %bb.1:
	s_load_dwordx4 s[8:11], s[4:5], 0x0
	s_mov_b32 s3, 0
	v_lshlrev_b32_e32 v1, 2, v0
	s_lshl_b64 s[14:15], s[2:3], 2
	s_load_dword s5, s[4:5], 0x24
	v_add_nc_u32_e32 v0, s2, v0
	s_waitcnt lgkmcnt(0)
	s_add_u32 s14, s8, s14
	s_addc_u32 s15, s9, s15
	global_load_dword v2, v1, s[14:15]
	s_lshr_b32 s0, s5, 8
	s_sub_i32 s4, 0, s0
	s_and_b32 s4, s6, s4
	s_and_b32 s0, s4, s0
	s_lshl_b32 s6, s4, 8
	s_sub_i32 s4, 0, s5
	s_cmp_eq_u32 s0, 0
	s_cselect_b32 s0, -1, 0
	s_and_b32 s14, s0, exec_lo
	s_cselect_b32 s4, s5, s4
	s_add_i32 s4, s4, s6
	s_cmp_gt_u32 s7, s4
	s_cbranch_scc1 .LBB66_3
; %bb.2:
	v_cmp_gt_u32_e32 vcc_lo, s7, v0
	s_or_b32 s3, vcc_lo, s13
	s_and_b32 s3, s3, exec_lo
	s_cbranch_execz .LBB66_4
	s_branch .LBB66_18
.LBB66_3:
.LBB66_4:
	s_min_u32 s2, s4, s7
	s_and_b32 vcc_lo, exec_lo, s12
	s_add_i32 s13, s6, s2
	s_min_u32 s6, s6, s2
	v_subrev_nc_u32_e32 v0, s13, v0
	s_add_i32 s5, s2, s5
	s_min_u32 s5, s5, s7
	v_add_nc_u32_e32 v3, s6, v0
	s_cbranch_vccz .LBB66_12
; %bb.5:
                                        ; implicit-def: $vgpr0
	s_and_saveexec_b32 s6, s1
	s_cbranch_execz .LBB66_11
; %bb.6:
	v_mov_b32_e32 v4, s2
	s_cmp_ge_u32 s4, s5
	s_cbranch_scc1 .LBB66_10
; %bb.7:
	v_mov_b32_e32 v5, s5
	v_mov_b32_e32 v4, s2
	;; [unrolled: 1-line block ×3, first 2 shown]
	s_mov_b32 s1, 0
	.p2align	6
.LBB66_8:                               ; =>This Inner Loop Header: Depth=1
	v_add_nc_u32_e32 v0, v4, v5
	v_lshrrev_b32_e32 v0, 1, v0
	v_lshlrev_b64 v[6:7], 2, v[0:1]
	v_add_co_u32 v6, vcc_lo, s8, v6
	v_add_co_ci_u32_e64 v7, null, s9, v7, vcc_lo
	global_load_dword v6, v[6:7], off
	s_waitcnt vmcnt(0)
	v_cmp_gt_i32_e32 vcc_lo, v2, v6
	v_cndmask_b32_e64 v7, 0, 1, vcc_lo
	v_cmp_le_i32_e32 vcc_lo, v6, v2
	v_cndmask_b32_e64 v6, 0, 1, vcc_lo
	v_cndmask_b32_e64 v6, v6, v7, s0
	v_add_nc_u32_e32 v7, 1, v0
	v_and_b32_e32 v6, 1, v6
	v_cmp_eq_u32_e32 vcc_lo, 1, v6
	v_cndmask_b32_e32 v5, v0, v5, vcc_lo
	v_cndmask_b32_e32 v4, v4, v7, vcc_lo
	v_cmp_ge_u32_e32 vcc_lo, v4, v5
	s_or_b32 s1, vcc_lo, s1
	s_andn2_b32 exec_lo, exec_lo, s1
	s_cbranch_execnz .LBB66_8
; %bb.9:
	s_or_b32 exec_lo, exec_lo, s1
.LBB66_10:
	v_add_nc_u32_e32 v0, v4, v3
	s_or_b32 s3, s3, exec_lo
.LBB66_11:
	s_or_b32 exec_lo, exec_lo, s6
	s_branch .LBB66_18
.LBB66_12:
                                        ; implicit-def: $vgpr0
	s_cbranch_execz .LBB66_18
; %bb.13:
	v_mov_b32_e32 v4, s2
	s_cmp_ge_u32 s4, s5
	s_cbranch_scc1 .LBB66_17
; %bb.14:
	v_mov_b32_e32 v5, s5
	v_mov_b32_e32 v4, s2
	;; [unrolled: 1-line block ×3, first 2 shown]
	s_mov_b32 s1, 0
	.p2align	6
.LBB66_15:                              ; =>This Inner Loop Header: Depth=1
	v_add_nc_u32_e32 v0, v4, v5
	v_lshrrev_b32_e32 v0, 1, v0
	v_lshlrev_b64 v[6:7], 2, v[0:1]
	v_add_co_u32 v6, vcc_lo, s8, v6
	v_add_co_ci_u32_e64 v7, null, s9, v7, vcc_lo
	global_load_dword v6, v[6:7], off
	s_waitcnt vmcnt(0)
	v_cmp_gt_i32_e32 vcc_lo, v2, v6
	v_cndmask_b32_e64 v7, 0, 1, vcc_lo
	v_cmp_le_i32_e32 vcc_lo, v6, v2
	v_cndmask_b32_e64 v6, 0, 1, vcc_lo
	v_cndmask_b32_e64 v6, v6, v7, s0
	v_add_nc_u32_e32 v7, 1, v0
	v_and_b32_e32 v6, 1, v6
	v_cmp_eq_u32_e32 vcc_lo, 1, v6
	v_cndmask_b32_e32 v5, v0, v5, vcc_lo
	v_cndmask_b32_e32 v4, v4, v7, vcc_lo
	v_cmp_ge_u32_e32 vcc_lo, v4, v5
	s_or_b32 s1, vcc_lo, s1
	s_andn2_b32 exec_lo, exec_lo, s1
	s_cbranch_execnz .LBB66_15
; %bb.16:
	s_or_b32 exec_lo, exec_lo, s1
.LBB66_17:
	v_add_nc_u32_e32 v0, v4, v3
	s_mov_b32 s3, -1
.LBB66_18:
	s_and_b32 exec_lo, exec_lo, s3
	s_cbranch_execz .LBB66_20
; %bb.19:
	v_mov_b32_e32 v1, 0
	v_lshlrev_b64 v[0:1], 2, v[0:1]
	v_add_co_u32 v0, vcc_lo, s10, v0
	v_add_co_ci_u32_e64 v1, null, s11, v1, vcc_lo
	s_waitcnt vmcnt(0)
	global_store_dword v[0:1], v2, off
.LBB66_20:
	s_endpgm
	.section	.rodata,"a",@progbits
	.p2align	6, 0x0
	.amdhsa_kernel _ZN7rocprim17ROCPRIM_400000_NS6detail17trampoline_kernelINS0_14default_configENS1_38merge_sort_block_merge_config_selectorIiNS0_10empty_typeEEEZZNS1_27merge_sort_block_merge_implIS3_N6thrust23THRUST_200600_302600_NS6detail15normal_iteratorINS9_10device_ptrIiEEEEPS5_jNS1_19radix_merge_compareILb0ELb0EiNS0_19identity_decomposerEEEEE10hipError_tT0_T1_T2_jT3_P12ihipStream_tbPNSt15iterator_traitsISK_E10value_typeEPNSQ_ISL_E10value_typeEPSM_NS1_7vsmem_tEENKUlT_SK_SL_SM_E_clISE_PiSF_SF_EESJ_SZ_SK_SL_SM_EUlSZ_E1_NS1_11comp_targetILNS1_3genE8ELNS1_11target_archE1030ELNS1_3gpuE2ELNS1_3repE0EEENS1_36merge_oddeven_config_static_selectorELNS0_4arch9wavefront6targetE0EEEvSL_
		.amdhsa_group_segment_fixed_size 0
		.amdhsa_private_segment_fixed_size 0
		.amdhsa_kernarg_size 48
		.amdhsa_user_sgpr_count 6
		.amdhsa_user_sgpr_private_segment_buffer 1
		.amdhsa_user_sgpr_dispatch_ptr 0
		.amdhsa_user_sgpr_queue_ptr 0
		.amdhsa_user_sgpr_kernarg_segment_ptr 1
		.amdhsa_user_sgpr_dispatch_id 0
		.amdhsa_user_sgpr_flat_scratch_init 0
		.amdhsa_user_sgpr_private_segment_size 0
		.amdhsa_wavefront_size32 1
		.amdhsa_uses_dynamic_stack 0
		.amdhsa_system_sgpr_private_segment_wavefront_offset 0
		.amdhsa_system_sgpr_workgroup_id_x 1
		.amdhsa_system_sgpr_workgroup_id_y 0
		.amdhsa_system_sgpr_workgroup_id_z 0
		.amdhsa_system_sgpr_workgroup_info 0
		.amdhsa_system_vgpr_workitem_id 0
		.amdhsa_next_free_vgpr 8
		.amdhsa_next_free_sgpr 16
		.amdhsa_reserve_vcc 1
		.amdhsa_reserve_flat_scratch 0
		.amdhsa_float_round_mode_32 0
		.amdhsa_float_round_mode_16_64 0
		.amdhsa_float_denorm_mode_32 3
		.amdhsa_float_denorm_mode_16_64 3
		.amdhsa_dx10_clamp 1
		.amdhsa_ieee_mode 1
		.amdhsa_fp16_overflow 0
		.amdhsa_workgroup_processor_mode 1
		.amdhsa_memory_ordered 1
		.amdhsa_forward_progress 1
		.amdhsa_shared_vgpr_count 0
		.amdhsa_exception_fp_ieee_invalid_op 0
		.amdhsa_exception_fp_denorm_src 0
		.amdhsa_exception_fp_ieee_div_zero 0
		.amdhsa_exception_fp_ieee_overflow 0
		.amdhsa_exception_fp_ieee_underflow 0
		.amdhsa_exception_fp_ieee_inexact 0
		.amdhsa_exception_int_div_zero 0
	.end_amdhsa_kernel
	.section	.text._ZN7rocprim17ROCPRIM_400000_NS6detail17trampoline_kernelINS0_14default_configENS1_38merge_sort_block_merge_config_selectorIiNS0_10empty_typeEEEZZNS1_27merge_sort_block_merge_implIS3_N6thrust23THRUST_200600_302600_NS6detail15normal_iteratorINS9_10device_ptrIiEEEEPS5_jNS1_19radix_merge_compareILb0ELb0EiNS0_19identity_decomposerEEEEE10hipError_tT0_T1_T2_jT3_P12ihipStream_tbPNSt15iterator_traitsISK_E10value_typeEPNSQ_ISL_E10value_typeEPSM_NS1_7vsmem_tEENKUlT_SK_SL_SM_E_clISE_PiSF_SF_EESJ_SZ_SK_SL_SM_EUlSZ_E1_NS1_11comp_targetILNS1_3genE8ELNS1_11target_archE1030ELNS1_3gpuE2ELNS1_3repE0EEENS1_36merge_oddeven_config_static_selectorELNS0_4arch9wavefront6targetE0EEEvSL_,"axG",@progbits,_ZN7rocprim17ROCPRIM_400000_NS6detail17trampoline_kernelINS0_14default_configENS1_38merge_sort_block_merge_config_selectorIiNS0_10empty_typeEEEZZNS1_27merge_sort_block_merge_implIS3_N6thrust23THRUST_200600_302600_NS6detail15normal_iteratorINS9_10device_ptrIiEEEEPS5_jNS1_19radix_merge_compareILb0ELb0EiNS0_19identity_decomposerEEEEE10hipError_tT0_T1_T2_jT3_P12ihipStream_tbPNSt15iterator_traitsISK_E10value_typeEPNSQ_ISL_E10value_typeEPSM_NS1_7vsmem_tEENKUlT_SK_SL_SM_E_clISE_PiSF_SF_EESJ_SZ_SK_SL_SM_EUlSZ_E1_NS1_11comp_targetILNS1_3genE8ELNS1_11target_archE1030ELNS1_3gpuE2ELNS1_3repE0EEENS1_36merge_oddeven_config_static_selectorELNS0_4arch9wavefront6targetE0EEEvSL_,comdat
.Lfunc_end66:
	.size	_ZN7rocprim17ROCPRIM_400000_NS6detail17trampoline_kernelINS0_14default_configENS1_38merge_sort_block_merge_config_selectorIiNS0_10empty_typeEEEZZNS1_27merge_sort_block_merge_implIS3_N6thrust23THRUST_200600_302600_NS6detail15normal_iteratorINS9_10device_ptrIiEEEEPS5_jNS1_19radix_merge_compareILb0ELb0EiNS0_19identity_decomposerEEEEE10hipError_tT0_T1_T2_jT3_P12ihipStream_tbPNSt15iterator_traitsISK_E10value_typeEPNSQ_ISL_E10value_typeEPSM_NS1_7vsmem_tEENKUlT_SK_SL_SM_E_clISE_PiSF_SF_EESJ_SZ_SK_SL_SM_EUlSZ_E1_NS1_11comp_targetILNS1_3genE8ELNS1_11target_archE1030ELNS1_3gpuE2ELNS1_3repE0EEENS1_36merge_oddeven_config_static_selectorELNS0_4arch9wavefront6targetE0EEEvSL_, .Lfunc_end66-_ZN7rocprim17ROCPRIM_400000_NS6detail17trampoline_kernelINS0_14default_configENS1_38merge_sort_block_merge_config_selectorIiNS0_10empty_typeEEEZZNS1_27merge_sort_block_merge_implIS3_N6thrust23THRUST_200600_302600_NS6detail15normal_iteratorINS9_10device_ptrIiEEEEPS5_jNS1_19radix_merge_compareILb0ELb0EiNS0_19identity_decomposerEEEEE10hipError_tT0_T1_T2_jT3_P12ihipStream_tbPNSt15iterator_traitsISK_E10value_typeEPNSQ_ISL_E10value_typeEPSM_NS1_7vsmem_tEENKUlT_SK_SL_SM_E_clISE_PiSF_SF_EESJ_SZ_SK_SL_SM_EUlSZ_E1_NS1_11comp_targetILNS1_3genE8ELNS1_11target_archE1030ELNS1_3gpuE2ELNS1_3repE0EEENS1_36merge_oddeven_config_static_selectorELNS0_4arch9wavefront6targetE0EEEvSL_
                                        ; -- End function
	.set _ZN7rocprim17ROCPRIM_400000_NS6detail17trampoline_kernelINS0_14default_configENS1_38merge_sort_block_merge_config_selectorIiNS0_10empty_typeEEEZZNS1_27merge_sort_block_merge_implIS3_N6thrust23THRUST_200600_302600_NS6detail15normal_iteratorINS9_10device_ptrIiEEEEPS5_jNS1_19radix_merge_compareILb0ELb0EiNS0_19identity_decomposerEEEEE10hipError_tT0_T1_T2_jT3_P12ihipStream_tbPNSt15iterator_traitsISK_E10value_typeEPNSQ_ISL_E10value_typeEPSM_NS1_7vsmem_tEENKUlT_SK_SL_SM_E_clISE_PiSF_SF_EESJ_SZ_SK_SL_SM_EUlSZ_E1_NS1_11comp_targetILNS1_3genE8ELNS1_11target_archE1030ELNS1_3gpuE2ELNS1_3repE0EEENS1_36merge_oddeven_config_static_selectorELNS0_4arch9wavefront6targetE0EEEvSL_.num_vgpr, 8
	.set _ZN7rocprim17ROCPRIM_400000_NS6detail17trampoline_kernelINS0_14default_configENS1_38merge_sort_block_merge_config_selectorIiNS0_10empty_typeEEEZZNS1_27merge_sort_block_merge_implIS3_N6thrust23THRUST_200600_302600_NS6detail15normal_iteratorINS9_10device_ptrIiEEEEPS5_jNS1_19radix_merge_compareILb0ELb0EiNS0_19identity_decomposerEEEEE10hipError_tT0_T1_T2_jT3_P12ihipStream_tbPNSt15iterator_traitsISK_E10value_typeEPNSQ_ISL_E10value_typeEPSM_NS1_7vsmem_tEENKUlT_SK_SL_SM_E_clISE_PiSF_SF_EESJ_SZ_SK_SL_SM_EUlSZ_E1_NS1_11comp_targetILNS1_3genE8ELNS1_11target_archE1030ELNS1_3gpuE2ELNS1_3repE0EEENS1_36merge_oddeven_config_static_selectorELNS0_4arch9wavefront6targetE0EEEvSL_.num_agpr, 0
	.set _ZN7rocprim17ROCPRIM_400000_NS6detail17trampoline_kernelINS0_14default_configENS1_38merge_sort_block_merge_config_selectorIiNS0_10empty_typeEEEZZNS1_27merge_sort_block_merge_implIS3_N6thrust23THRUST_200600_302600_NS6detail15normal_iteratorINS9_10device_ptrIiEEEEPS5_jNS1_19radix_merge_compareILb0ELb0EiNS0_19identity_decomposerEEEEE10hipError_tT0_T1_T2_jT3_P12ihipStream_tbPNSt15iterator_traitsISK_E10value_typeEPNSQ_ISL_E10value_typeEPSM_NS1_7vsmem_tEENKUlT_SK_SL_SM_E_clISE_PiSF_SF_EESJ_SZ_SK_SL_SM_EUlSZ_E1_NS1_11comp_targetILNS1_3genE8ELNS1_11target_archE1030ELNS1_3gpuE2ELNS1_3repE0EEENS1_36merge_oddeven_config_static_selectorELNS0_4arch9wavefront6targetE0EEEvSL_.numbered_sgpr, 16
	.set _ZN7rocprim17ROCPRIM_400000_NS6detail17trampoline_kernelINS0_14default_configENS1_38merge_sort_block_merge_config_selectorIiNS0_10empty_typeEEEZZNS1_27merge_sort_block_merge_implIS3_N6thrust23THRUST_200600_302600_NS6detail15normal_iteratorINS9_10device_ptrIiEEEEPS5_jNS1_19radix_merge_compareILb0ELb0EiNS0_19identity_decomposerEEEEE10hipError_tT0_T1_T2_jT3_P12ihipStream_tbPNSt15iterator_traitsISK_E10value_typeEPNSQ_ISL_E10value_typeEPSM_NS1_7vsmem_tEENKUlT_SK_SL_SM_E_clISE_PiSF_SF_EESJ_SZ_SK_SL_SM_EUlSZ_E1_NS1_11comp_targetILNS1_3genE8ELNS1_11target_archE1030ELNS1_3gpuE2ELNS1_3repE0EEENS1_36merge_oddeven_config_static_selectorELNS0_4arch9wavefront6targetE0EEEvSL_.num_named_barrier, 0
	.set _ZN7rocprim17ROCPRIM_400000_NS6detail17trampoline_kernelINS0_14default_configENS1_38merge_sort_block_merge_config_selectorIiNS0_10empty_typeEEEZZNS1_27merge_sort_block_merge_implIS3_N6thrust23THRUST_200600_302600_NS6detail15normal_iteratorINS9_10device_ptrIiEEEEPS5_jNS1_19radix_merge_compareILb0ELb0EiNS0_19identity_decomposerEEEEE10hipError_tT0_T1_T2_jT3_P12ihipStream_tbPNSt15iterator_traitsISK_E10value_typeEPNSQ_ISL_E10value_typeEPSM_NS1_7vsmem_tEENKUlT_SK_SL_SM_E_clISE_PiSF_SF_EESJ_SZ_SK_SL_SM_EUlSZ_E1_NS1_11comp_targetILNS1_3genE8ELNS1_11target_archE1030ELNS1_3gpuE2ELNS1_3repE0EEENS1_36merge_oddeven_config_static_selectorELNS0_4arch9wavefront6targetE0EEEvSL_.private_seg_size, 0
	.set _ZN7rocprim17ROCPRIM_400000_NS6detail17trampoline_kernelINS0_14default_configENS1_38merge_sort_block_merge_config_selectorIiNS0_10empty_typeEEEZZNS1_27merge_sort_block_merge_implIS3_N6thrust23THRUST_200600_302600_NS6detail15normal_iteratorINS9_10device_ptrIiEEEEPS5_jNS1_19radix_merge_compareILb0ELb0EiNS0_19identity_decomposerEEEEE10hipError_tT0_T1_T2_jT3_P12ihipStream_tbPNSt15iterator_traitsISK_E10value_typeEPNSQ_ISL_E10value_typeEPSM_NS1_7vsmem_tEENKUlT_SK_SL_SM_E_clISE_PiSF_SF_EESJ_SZ_SK_SL_SM_EUlSZ_E1_NS1_11comp_targetILNS1_3genE8ELNS1_11target_archE1030ELNS1_3gpuE2ELNS1_3repE0EEENS1_36merge_oddeven_config_static_selectorELNS0_4arch9wavefront6targetE0EEEvSL_.uses_vcc, 1
	.set _ZN7rocprim17ROCPRIM_400000_NS6detail17trampoline_kernelINS0_14default_configENS1_38merge_sort_block_merge_config_selectorIiNS0_10empty_typeEEEZZNS1_27merge_sort_block_merge_implIS3_N6thrust23THRUST_200600_302600_NS6detail15normal_iteratorINS9_10device_ptrIiEEEEPS5_jNS1_19radix_merge_compareILb0ELb0EiNS0_19identity_decomposerEEEEE10hipError_tT0_T1_T2_jT3_P12ihipStream_tbPNSt15iterator_traitsISK_E10value_typeEPNSQ_ISL_E10value_typeEPSM_NS1_7vsmem_tEENKUlT_SK_SL_SM_E_clISE_PiSF_SF_EESJ_SZ_SK_SL_SM_EUlSZ_E1_NS1_11comp_targetILNS1_3genE8ELNS1_11target_archE1030ELNS1_3gpuE2ELNS1_3repE0EEENS1_36merge_oddeven_config_static_selectorELNS0_4arch9wavefront6targetE0EEEvSL_.uses_flat_scratch, 0
	.set _ZN7rocprim17ROCPRIM_400000_NS6detail17trampoline_kernelINS0_14default_configENS1_38merge_sort_block_merge_config_selectorIiNS0_10empty_typeEEEZZNS1_27merge_sort_block_merge_implIS3_N6thrust23THRUST_200600_302600_NS6detail15normal_iteratorINS9_10device_ptrIiEEEEPS5_jNS1_19radix_merge_compareILb0ELb0EiNS0_19identity_decomposerEEEEE10hipError_tT0_T1_T2_jT3_P12ihipStream_tbPNSt15iterator_traitsISK_E10value_typeEPNSQ_ISL_E10value_typeEPSM_NS1_7vsmem_tEENKUlT_SK_SL_SM_E_clISE_PiSF_SF_EESJ_SZ_SK_SL_SM_EUlSZ_E1_NS1_11comp_targetILNS1_3genE8ELNS1_11target_archE1030ELNS1_3gpuE2ELNS1_3repE0EEENS1_36merge_oddeven_config_static_selectorELNS0_4arch9wavefront6targetE0EEEvSL_.has_dyn_sized_stack, 0
	.set _ZN7rocprim17ROCPRIM_400000_NS6detail17trampoline_kernelINS0_14default_configENS1_38merge_sort_block_merge_config_selectorIiNS0_10empty_typeEEEZZNS1_27merge_sort_block_merge_implIS3_N6thrust23THRUST_200600_302600_NS6detail15normal_iteratorINS9_10device_ptrIiEEEEPS5_jNS1_19radix_merge_compareILb0ELb0EiNS0_19identity_decomposerEEEEE10hipError_tT0_T1_T2_jT3_P12ihipStream_tbPNSt15iterator_traitsISK_E10value_typeEPNSQ_ISL_E10value_typeEPSM_NS1_7vsmem_tEENKUlT_SK_SL_SM_E_clISE_PiSF_SF_EESJ_SZ_SK_SL_SM_EUlSZ_E1_NS1_11comp_targetILNS1_3genE8ELNS1_11target_archE1030ELNS1_3gpuE2ELNS1_3repE0EEENS1_36merge_oddeven_config_static_selectorELNS0_4arch9wavefront6targetE0EEEvSL_.has_recursion, 0
	.set _ZN7rocprim17ROCPRIM_400000_NS6detail17trampoline_kernelINS0_14default_configENS1_38merge_sort_block_merge_config_selectorIiNS0_10empty_typeEEEZZNS1_27merge_sort_block_merge_implIS3_N6thrust23THRUST_200600_302600_NS6detail15normal_iteratorINS9_10device_ptrIiEEEEPS5_jNS1_19radix_merge_compareILb0ELb0EiNS0_19identity_decomposerEEEEE10hipError_tT0_T1_T2_jT3_P12ihipStream_tbPNSt15iterator_traitsISK_E10value_typeEPNSQ_ISL_E10value_typeEPSM_NS1_7vsmem_tEENKUlT_SK_SL_SM_E_clISE_PiSF_SF_EESJ_SZ_SK_SL_SM_EUlSZ_E1_NS1_11comp_targetILNS1_3genE8ELNS1_11target_archE1030ELNS1_3gpuE2ELNS1_3repE0EEENS1_36merge_oddeven_config_static_selectorELNS0_4arch9wavefront6targetE0EEEvSL_.has_indirect_call, 0
	.section	.AMDGPU.csdata,"",@progbits
; Kernel info:
; codeLenInByte = 624
; TotalNumSgprs: 18
; NumVgprs: 8
; ScratchSize: 0
; MemoryBound: 0
; FloatMode: 240
; IeeeMode: 1
; LDSByteSize: 0 bytes/workgroup (compile time only)
; SGPRBlocks: 0
; VGPRBlocks: 0
; NumSGPRsForWavesPerEU: 18
; NumVGPRsForWavesPerEU: 8
; Occupancy: 16
; WaveLimiterHint : 0
; COMPUTE_PGM_RSRC2:SCRATCH_EN: 0
; COMPUTE_PGM_RSRC2:USER_SGPR: 6
; COMPUTE_PGM_RSRC2:TRAP_HANDLER: 0
; COMPUTE_PGM_RSRC2:TGID_X_EN: 1
; COMPUTE_PGM_RSRC2:TGID_Y_EN: 0
; COMPUTE_PGM_RSRC2:TGID_Z_EN: 0
; COMPUTE_PGM_RSRC2:TIDIG_COMP_CNT: 0
	.section	.text._ZN7rocprim17ROCPRIM_400000_NS6detail17trampoline_kernelINS0_14default_configENS1_25transform_config_selectorIiLb0EEEZNS1_14transform_implILb0ES3_S5_PiN6thrust23THRUST_200600_302600_NS6detail15normal_iteratorINS9_10device_ptrIiEEEENS0_8identityIiEEEE10hipError_tT2_T3_mT4_P12ihipStream_tbEUlT_E_NS1_11comp_targetILNS1_3genE0ELNS1_11target_archE4294967295ELNS1_3gpuE0ELNS1_3repE0EEENS1_30default_config_static_selectorELNS0_4arch9wavefront6targetE0EEEvT1_,"axG",@progbits,_ZN7rocprim17ROCPRIM_400000_NS6detail17trampoline_kernelINS0_14default_configENS1_25transform_config_selectorIiLb0EEEZNS1_14transform_implILb0ES3_S5_PiN6thrust23THRUST_200600_302600_NS6detail15normal_iteratorINS9_10device_ptrIiEEEENS0_8identityIiEEEE10hipError_tT2_T3_mT4_P12ihipStream_tbEUlT_E_NS1_11comp_targetILNS1_3genE0ELNS1_11target_archE4294967295ELNS1_3gpuE0ELNS1_3repE0EEENS1_30default_config_static_selectorELNS0_4arch9wavefront6targetE0EEEvT1_,comdat
	.protected	_ZN7rocprim17ROCPRIM_400000_NS6detail17trampoline_kernelINS0_14default_configENS1_25transform_config_selectorIiLb0EEEZNS1_14transform_implILb0ES3_S5_PiN6thrust23THRUST_200600_302600_NS6detail15normal_iteratorINS9_10device_ptrIiEEEENS0_8identityIiEEEE10hipError_tT2_T3_mT4_P12ihipStream_tbEUlT_E_NS1_11comp_targetILNS1_3genE0ELNS1_11target_archE4294967295ELNS1_3gpuE0ELNS1_3repE0EEENS1_30default_config_static_selectorELNS0_4arch9wavefront6targetE0EEEvT1_ ; -- Begin function _ZN7rocprim17ROCPRIM_400000_NS6detail17trampoline_kernelINS0_14default_configENS1_25transform_config_selectorIiLb0EEEZNS1_14transform_implILb0ES3_S5_PiN6thrust23THRUST_200600_302600_NS6detail15normal_iteratorINS9_10device_ptrIiEEEENS0_8identityIiEEEE10hipError_tT2_T3_mT4_P12ihipStream_tbEUlT_E_NS1_11comp_targetILNS1_3genE0ELNS1_11target_archE4294967295ELNS1_3gpuE0ELNS1_3repE0EEENS1_30default_config_static_selectorELNS0_4arch9wavefront6targetE0EEEvT1_
	.globl	_ZN7rocprim17ROCPRIM_400000_NS6detail17trampoline_kernelINS0_14default_configENS1_25transform_config_selectorIiLb0EEEZNS1_14transform_implILb0ES3_S5_PiN6thrust23THRUST_200600_302600_NS6detail15normal_iteratorINS9_10device_ptrIiEEEENS0_8identityIiEEEE10hipError_tT2_T3_mT4_P12ihipStream_tbEUlT_E_NS1_11comp_targetILNS1_3genE0ELNS1_11target_archE4294967295ELNS1_3gpuE0ELNS1_3repE0EEENS1_30default_config_static_selectorELNS0_4arch9wavefront6targetE0EEEvT1_
	.p2align	8
	.type	_ZN7rocprim17ROCPRIM_400000_NS6detail17trampoline_kernelINS0_14default_configENS1_25transform_config_selectorIiLb0EEEZNS1_14transform_implILb0ES3_S5_PiN6thrust23THRUST_200600_302600_NS6detail15normal_iteratorINS9_10device_ptrIiEEEENS0_8identityIiEEEE10hipError_tT2_T3_mT4_P12ihipStream_tbEUlT_E_NS1_11comp_targetILNS1_3genE0ELNS1_11target_archE4294967295ELNS1_3gpuE0ELNS1_3repE0EEENS1_30default_config_static_selectorELNS0_4arch9wavefront6targetE0EEEvT1_,@function
_ZN7rocprim17ROCPRIM_400000_NS6detail17trampoline_kernelINS0_14default_configENS1_25transform_config_selectorIiLb0EEEZNS1_14transform_implILb0ES3_S5_PiN6thrust23THRUST_200600_302600_NS6detail15normal_iteratorINS9_10device_ptrIiEEEENS0_8identityIiEEEE10hipError_tT2_T3_mT4_P12ihipStream_tbEUlT_E_NS1_11comp_targetILNS1_3genE0ELNS1_11target_archE4294967295ELNS1_3gpuE0ELNS1_3repE0EEENS1_30default_config_static_selectorELNS0_4arch9wavefront6targetE0EEEvT1_: ; @_ZN7rocprim17ROCPRIM_400000_NS6detail17trampoline_kernelINS0_14default_configENS1_25transform_config_selectorIiLb0EEEZNS1_14transform_implILb0ES3_S5_PiN6thrust23THRUST_200600_302600_NS6detail15normal_iteratorINS9_10device_ptrIiEEEENS0_8identityIiEEEE10hipError_tT2_T3_mT4_P12ihipStream_tbEUlT_E_NS1_11comp_targetILNS1_3genE0ELNS1_11target_archE4294967295ELNS1_3gpuE0ELNS1_3repE0EEENS1_30default_config_static_selectorELNS0_4arch9wavefront6targetE0EEEvT1_
; %bb.0:
	.section	.rodata,"a",@progbits
	.p2align	6, 0x0
	.amdhsa_kernel _ZN7rocprim17ROCPRIM_400000_NS6detail17trampoline_kernelINS0_14default_configENS1_25transform_config_selectorIiLb0EEEZNS1_14transform_implILb0ES3_S5_PiN6thrust23THRUST_200600_302600_NS6detail15normal_iteratorINS9_10device_ptrIiEEEENS0_8identityIiEEEE10hipError_tT2_T3_mT4_P12ihipStream_tbEUlT_E_NS1_11comp_targetILNS1_3genE0ELNS1_11target_archE4294967295ELNS1_3gpuE0ELNS1_3repE0EEENS1_30default_config_static_selectorELNS0_4arch9wavefront6targetE0EEEvT1_
		.amdhsa_group_segment_fixed_size 0
		.amdhsa_private_segment_fixed_size 0
		.amdhsa_kernarg_size 40
		.amdhsa_user_sgpr_count 6
		.amdhsa_user_sgpr_private_segment_buffer 1
		.amdhsa_user_sgpr_dispatch_ptr 0
		.amdhsa_user_sgpr_queue_ptr 0
		.amdhsa_user_sgpr_kernarg_segment_ptr 1
		.amdhsa_user_sgpr_dispatch_id 0
		.amdhsa_user_sgpr_flat_scratch_init 0
		.amdhsa_user_sgpr_private_segment_size 0
		.amdhsa_wavefront_size32 1
		.amdhsa_uses_dynamic_stack 0
		.amdhsa_system_sgpr_private_segment_wavefront_offset 0
		.amdhsa_system_sgpr_workgroup_id_x 1
		.amdhsa_system_sgpr_workgroup_id_y 0
		.amdhsa_system_sgpr_workgroup_id_z 0
		.amdhsa_system_sgpr_workgroup_info 0
		.amdhsa_system_vgpr_workitem_id 0
		.amdhsa_next_free_vgpr 1
		.amdhsa_next_free_sgpr 1
		.amdhsa_reserve_vcc 0
		.amdhsa_reserve_flat_scratch 0
		.amdhsa_float_round_mode_32 0
		.amdhsa_float_round_mode_16_64 0
		.amdhsa_float_denorm_mode_32 3
		.amdhsa_float_denorm_mode_16_64 3
		.amdhsa_dx10_clamp 1
		.amdhsa_ieee_mode 1
		.amdhsa_fp16_overflow 0
		.amdhsa_workgroup_processor_mode 1
		.amdhsa_memory_ordered 1
		.amdhsa_forward_progress 1
		.amdhsa_shared_vgpr_count 0
		.amdhsa_exception_fp_ieee_invalid_op 0
		.amdhsa_exception_fp_denorm_src 0
		.amdhsa_exception_fp_ieee_div_zero 0
		.amdhsa_exception_fp_ieee_overflow 0
		.amdhsa_exception_fp_ieee_underflow 0
		.amdhsa_exception_fp_ieee_inexact 0
		.amdhsa_exception_int_div_zero 0
	.end_amdhsa_kernel
	.section	.text._ZN7rocprim17ROCPRIM_400000_NS6detail17trampoline_kernelINS0_14default_configENS1_25transform_config_selectorIiLb0EEEZNS1_14transform_implILb0ES3_S5_PiN6thrust23THRUST_200600_302600_NS6detail15normal_iteratorINS9_10device_ptrIiEEEENS0_8identityIiEEEE10hipError_tT2_T3_mT4_P12ihipStream_tbEUlT_E_NS1_11comp_targetILNS1_3genE0ELNS1_11target_archE4294967295ELNS1_3gpuE0ELNS1_3repE0EEENS1_30default_config_static_selectorELNS0_4arch9wavefront6targetE0EEEvT1_,"axG",@progbits,_ZN7rocprim17ROCPRIM_400000_NS6detail17trampoline_kernelINS0_14default_configENS1_25transform_config_selectorIiLb0EEEZNS1_14transform_implILb0ES3_S5_PiN6thrust23THRUST_200600_302600_NS6detail15normal_iteratorINS9_10device_ptrIiEEEENS0_8identityIiEEEE10hipError_tT2_T3_mT4_P12ihipStream_tbEUlT_E_NS1_11comp_targetILNS1_3genE0ELNS1_11target_archE4294967295ELNS1_3gpuE0ELNS1_3repE0EEENS1_30default_config_static_selectorELNS0_4arch9wavefront6targetE0EEEvT1_,comdat
.Lfunc_end67:
	.size	_ZN7rocprim17ROCPRIM_400000_NS6detail17trampoline_kernelINS0_14default_configENS1_25transform_config_selectorIiLb0EEEZNS1_14transform_implILb0ES3_S5_PiN6thrust23THRUST_200600_302600_NS6detail15normal_iteratorINS9_10device_ptrIiEEEENS0_8identityIiEEEE10hipError_tT2_T3_mT4_P12ihipStream_tbEUlT_E_NS1_11comp_targetILNS1_3genE0ELNS1_11target_archE4294967295ELNS1_3gpuE0ELNS1_3repE0EEENS1_30default_config_static_selectorELNS0_4arch9wavefront6targetE0EEEvT1_, .Lfunc_end67-_ZN7rocprim17ROCPRIM_400000_NS6detail17trampoline_kernelINS0_14default_configENS1_25transform_config_selectorIiLb0EEEZNS1_14transform_implILb0ES3_S5_PiN6thrust23THRUST_200600_302600_NS6detail15normal_iteratorINS9_10device_ptrIiEEEENS0_8identityIiEEEE10hipError_tT2_T3_mT4_P12ihipStream_tbEUlT_E_NS1_11comp_targetILNS1_3genE0ELNS1_11target_archE4294967295ELNS1_3gpuE0ELNS1_3repE0EEENS1_30default_config_static_selectorELNS0_4arch9wavefront6targetE0EEEvT1_
                                        ; -- End function
	.set _ZN7rocprim17ROCPRIM_400000_NS6detail17trampoline_kernelINS0_14default_configENS1_25transform_config_selectorIiLb0EEEZNS1_14transform_implILb0ES3_S5_PiN6thrust23THRUST_200600_302600_NS6detail15normal_iteratorINS9_10device_ptrIiEEEENS0_8identityIiEEEE10hipError_tT2_T3_mT4_P12ihipStream_tbEUlT_E_NS1_11comp_targetILNS1_3genE0ELNS1_11target_archE4294967295ELNS1_3gpuE0ELNS1_3repE0EEENS1_30default_config_static_selectorELNS0_4arch9wavefront6targetE0EEEvT1_.num_vgpr, 0
	.set _ZN7rocprim17ROCPRIM_400000_NS6detail17trampoline_kernelINS0_14default_configENS1_25transform_config_selectorIiLb0EEEZNS1_14transform_implILb0ES3_S5_PiN6thrust23THRUST_200600_302600_NS6detail15normal_iteratorINS9_10device_ptrIiEEEENS0_8identityIiEEEE10hipError_tT2_T3_mT4_P12ihipStream_tbEUlT_E_NS1_11comp_targetILNS1_3genE0ELNS1_11target_archE4294967295ELNS1_3gpuE0ELNS1_3repE0EEENS1_30default_config_static_selectorELNS0_4arch9wavefront6targetE0EEEvT1_.num_agpr, 0
	.set _ZN7rocprim17ROCPRIM_400000_NS6detail17trampoline_kernelINS0_14default_configENS1_25transform_config_selectorIiLb0EEEZNS1_14transform_implILb0ES3_S5_PiN6thrust23THRUST_200600_302600_NS6detail15normal_iteratorINS9_10device_ptrIiEEEENS0_8identityIiEEEE10hipError_tT2_T3_mT4_P12ihipStream_tbEUlT_E_NS1_11comp_targetILNS1_3genE0ELNS1_11target_archE4294967295ELNS1_3gpuE0ELNS1_3repE0EEENS1_30default_config_static_selectorELNS0_4arch9wavefront6targetE0EEEvT1_.numbered_sgpr, 0
	.set _ZN7rocprim17ROCPRIM_400000_NS6detail17trampoline_kernelINS0_14default_configENS1_25transform_config_selectorIiLb0EEEZNS1_14transform_implILb0ES3_S5_PiN6thrust23THRUST_200600_302600_NS6detail15normal_iteratorINS9_10device_ptrIiEEEENS0_8identityIiEEEE10hipError_tT2_T3_mT4_P12ihipStream_tbEUlT_E_NS1_11comp_targetILNS1_3genE0ELNS1_11target_archE4294967295ELNS1_3gpuE0ELNS1_3repE0EEENS1_30default_config_static_selectorELNS0_4arch9wavefront6targetE0EEEvT1_.num_named_barrier, 0
	.set _ZN7rocprim17ROCPRIM_400000_NS6detail17trampoline_kernelINS0_14default_configENS1_25transform_config_selectorIiLb0EEEZNS1_14transform_implILb0ES3_S5_PiN6thrust23THRUST_200600_302600_NS6detail15normal_iteratorINS9_10device_ptrIiEEEENS0_8identityIiEEEE10hipError_tT2_T3_mT4_P12ihipStream_tbEUlT_E_NS1_11comp_targetILNS1_3genE0ELNS1_11target_archE4294967295ELNS1_3gpuE0ELNS1_3repE0EEENS1_30default_config_static_selectorELNS0_4arch9wavefront6targetE0EEEvT1_.private_seg_size, 0
	.set _ZN7rocprim17ROCPRIM_400000_NS6detail17trampoline_kernelINS0_14default_configENS1_25transform_config_selectorIiLb0EEEZNS1_14transform_implILb0ES3_S5_PiN6thrust23THRUST_200600_302600_NS6detail15normal_iteratorINS9_10device_ptrIiEEEENS0_8identityIiEEEE10hipError_tT2_T3_mT4_P12ihipStream_tbEUlT_E_NS1_11comp_targetILNS1_3genE0ELNS1_11target_archE4294967295ELNS1_3gpuE0ELNS1_3repE0EEENS1_30default_config_static_selectorELNS0_4arch9wavefront6targetE0EEEvT1_.uses_vcc, 0
	.set _ZN7rocprim17ROCPRIM_400000_NS6detail17trampoline_kernelINS0_14default_configENS1_25transform_config_selectorIiLb0EEEZNS1_14transform_implILb0ES3_S5_PiN6thrust23THRUST_200600_302600_NS6detail15normal_iteratorINS9_10device_ptrIiEEEENS0_8identityIiEEEE10hipError_tT2_T3_mT4_P12ihipStream_tbEUlT_E_NS1_11comp_targetILNS1_3genE0ELNS1_11target_archE4294967295ELNS1_3gpuE0ELNS1_3repE0EEENS1_30default_config_static_selectorELNS0_4arch9wavefront6targetE0EEEvT1_.uses_flat_scratch, 0
	.set _ZN7rocprim17ROCPRIM_400000_NS6detail17trampoline_kernelINS0_14default_configENS1_25transform_config_selectorIiLb0EEEZNS1_14transform_implILb0ES3_S5_PiN6thrust23THRUST_200600_302600_NS6detail15normal_iteratorINS9_10device_ptrIiEEEENS0_8identityIiEEEE10hipError_tT2_T3_mT4_P12ihipStream_tbEUlT_E_NS1_11comp_targetILNS1_3genE0ELNS1_11target_archE4294967295ELNS1_3gpuE0ELNS1_3repE0EEENS1_30default_config_static_selectorELNS0_4arch9wavefront6targetE0EEEvT1_.has_dyn_sized_stack, 0
	.set _ZN7rocprim17ROCPRIM_400000_NS6detail17trampoline_kernelINS0_14default_configENS1_25transform_config_selectorIiLb0EEEZNS1_14transform_implILb0ES3_S5_PiN6thrust23THRUST_200600_302600_NS6detail15normal_iteratorINS9_10device_ptrIiEEEENS0_8identityIiEEEE10hipError_tT2_T3_mT4_P12ihipStream_tbEUlT_E_NS1_11comp_targetILNS1_3genE0ELNS1_11target_archE4294967295ELNS1_3gpuE0ELNS1_3repE0EEENS1_30default_config_static_selectorELNS0_4arch9wavefront6targetE0EEEvT1_.has_recursion, 0
	.set _ZN7rocprim17ROCPRIM_400000_NS6detail17trampoline_kernelINS0_14default_configENS1_25transform_config_selectorIiLb0EEEZNS1_14transform_implILb0ES3_S5_PiN6thrust23THRUST_200600_302600_NS6detail15normal_iteratorINS9_10device_ptrIiEEEENS0_8identityIiEEEE10hipError_tT2_T3_mT4_P12ihipStream_tbEUlT_E_NS1_11comp_targetILNS1_3genE0ELNS1_11target_archE4294967295ELNS1_3gpuE0ELNS1_3repE0EEENS1_30default_config_static_selectorELNS0_4arch9wavefront6targetE0EEEvT1_.has_indirect_call, 0
	.section	.AMDGPU.csdata,"",@progbits
; Kernel info:
; codeLenInByte = 0
; TotalNumSgprs: 0
; NumVgprs: 0
; ScratchSize: 0
; MemoryBound: 0
; FloatMode: 240
; IeeeMode: 1
; LDSByteSize: 0 bytes/workgroup (compile time only)
; SGPRBlocks: 0
; VGPRBlocks: 0
; NumSGPRsForWavesPerEU: 1
; NumVGPRsForWavesPerEU: 1
; Occupancy: 16
; WaveLimiterHint : 0
; COMPUTE_PGM_RSRC2:SCRATCH_EN: 0
; COMPUTE_PGM_RSRC2:USER_SGPR: 6
; COMPUTE_PGM_RSRC2:TRAP_HANDLER: 0
; COMPUTE_PGM_RSRC2:TGID_X_EN: 1
; COMPUTE_PGM_RSRC2:TGID_Y_EN: 0
; COMPUTE_PGM_RSRC2:TGID_Z_EN: 0
; COMPUTE_PGM_RSRC2:TIDIG_COMP_CNT: 0
	.section	.text._ZN7rocprim17ROCPRIM_400000_NS6detail17trampoline_kernelINS0_14default_configENS1_25transform_config_selectorIiLb0EEEZNS1_14transform_implILb0ES3_S5_PiN6thrust23THRUST_200600_302600_NS6detail15normal_iteratorINS9_10device_ptrIiEEEENS0_8identityIiEEEE10hipError_tT2_T3_mT4_P12ihipStream_tbEUlT_E_NS1_11comp_targetILNS1_3genE5ELNS1_11target_archE942ELNS1_3gpuE9ELNS1_3repE0EEENS1_30default_config_static_selectorELNS0_4arch9wavefront6targetE0EEEvT1_,"axG",@progbits,_ZN7rocprim17ROCPRIM_400000_NS6detail17trampoline_kernelINS0_14default_configENS1_25transform_config_selectorIiLb0EEEZNS1_14transform_implILb0ES3_S5_PiN6thrust23THRUST_200600_302600_NS6detail15normal_iteratorINS9_10device_ptrIiEEEENS0_8identityIiEEEE10hipError_tT2_T3_mT4_P12ihipStream_tbEUlT_E_NS1_11comp_targetILNS1_3genE5ELNS1_11target_archE942ELNS1_3gpuE9ELNS1_3repE0EEENS1_30default_config_static_selectorELNS0_4arch9wavefront6targetE0EEEvT1_,comdat
	.protected	_ZN7rocprim17ROCPRIM_400000_NS6detail17trampoline_kernelINS0_14default_configENS1_25transform_config_selectorIiLb0EEEZNS1_14transform_implILb0ES3_S5_PiN6thrust23THRUST_200600_302600_NS6detail15normal_iteratorINS9_10device_ptrIiEEEENS0_8identityIiEEEE10hipError_tT2_T3_mT4_P12ihipStream_tbEUlT_E_NS1_11comp_targetILNS1_3genE5ELNS1_11target_archE942ELNS1_3gpuE9ELNS1_3repE0EEENS1_30default_config_static_selectorELNS0_4arch9wavefront6targetE0EEEvT1_ ; -- Begin function _ZN7rocprim17ROCPRIM_400000_NS6detail17trampoline_kernelINS0_14default_configENS1_25transform_config_selectorIiLb0EEEZNS1_14transform_implILb0ES3_S5_PiN6thrust23THRUST_200600_302600_NS6detail15normal_iteratorINS9_10device_ptrIiEEEENS0_8identityIiEEEE10hipError_tT2_T3_mT4_P12ihipStream_tbEUlT_E_NS1_11comp_targetILNS1_3genE5ELNS1_11target_archE942ELNS1_3gpuE9ELNS1_3repE0EEENS1_30default_config_static_selectorELNS0_4arch9wavefront6targetE0EEEvT1_
	.globl	_ZN7rocprim17ROCPRIM_400000_NS6detail17trampoline_kernelINS0_14default_configENS1_25transform_config_selectorIiLb0EEEZNS1_14transform_implILb0ES3_S5_PiN6thrust23THRUST_200600_302600_NS6detail15normal_iteratorINS9_10device_ptrIiEEEENS0_8identityIiEEEE10hipError_tT2_T3_mT4_P12ihipStream_tbEUlT_E_NS1_11comp_targetILNS1_3genE5ELNS1_11target_archE942ELNS1_3gpuE9ELNS1_3repE0EEENS1_30default_config_static_selectorELNS0_4arch9wavefront6targetE0EEEvT1_
	.p2align	8
	.type	_ZN7rocprim17ROCPRIM_400000_NS6detail17trampoline_kernelINS0_14default_configENS1_25transform_config_selectorIiLb0EEEZNS1_14transform_implILb0ES3_S5_PiN6thrust23THRUST_200600_302600_NS6detail15normal_iteratorINS9_10device_ptrIiEEEENS0_8identityIiEEEE10hipError_tT2_T3_mT4_P12ihipStream_tbEUlT_E_NS1_11comp_targetILNS1_3genE5ELNS1_11target_archE942ELNS1_3gpuE9ELNS1_3repE0EEENS1_30default_config_static_selectorELNS0_4arch9wavefront6targetE0EEEvT1_,@function
_ZN7rocprim17ROCPRIM_400000_NS6detail17trampoline_kernelINS0_14default_configENS1_25transform_config_selectorIiLb0EEEZNS1_14transform_implILb0ES3_S5_PiN6thrust23THRUST_200600_302600_NS6detail15normal_iteratorINS9_10device_ptrIiEEEENS0_8identityIiEEEE10hipError_tT2_T3_mT4_P12ihipStream_tbEUlT_E_NS1_11comp_targetILNS1_3genE5ELNS1_11target_archE942ELNS1_3gpuE9ELNS1_3repE0EEENS1_30default_config_static_selectorELNS0_4arch9wavefront6targetE0EEEvT1_: ; @_ZN7rocprim17ROCPRIM_400000_NS6detail17trampoline_kernelINS0_14default_configENS1_25transform_config_selectorIiLb0EEEZNS1_14transform_implILb0ES3_S5_PiN6thrust23THRUST_200600_302600_NS6detail15normal_iteratorINS9_10device_ptrIiEEEENS0_8identityIiEEEE10hipError_tT2_T3_mT4_P12ihipStream_tbEUlT_E_NS1_11comp_targetILNS1_3genE5ELNS1_11target_archE942ELNS1_3gpuE9ELNS1_3repE0EEENS1_30default_config_static_selectorELNS0_4arch9wavefront6targetE0EEEvT1_
; %bb.0:
	.section	.rodata,"a",@progbits
	.p2align	6, 0x0
	.amdhsa_kernel _ZN7rocprim17ROCPRIM_400000_NS6detail17trampoline_kernelINS0_14default_configENS1_25transform_config_selectorIiLb0EEEZNS1_14transform_implILb0ES3_S5_PiN6thrust23THRUST_200600_302600_NS6detail15normal_iteratorINS9_10device_ptrIiEEEENS0_8identityIiEEEE10hipError_tT2_T3_mT4_P12ihipStream_tbEUlT_E_NS1_11comp_targetILNS1_3genE5ELNS1_11target_archE942ELNS1_3gpuE9ELNS1_3repE0EEENS1_30default_config_static_selectorELNS0_4arch9wavefront6targetE0EEEvT1_
		.amdhsa_group_segment_fixed_size 0
		.amdhsa_private_segment_fixed_size 0
		.amdhsa_kernarg_size 40
		.amdhsa_user_sgpr_count 6
		.amdhsa_user_sgpr_private_segment_buffer 1
		.amdhsa_user_sgpr_dispatch_ptr 0
		.amdhsa_user_sgpr_queue_ptr 0
		.amdhsa_user_sgpr_kernarg_segment_ptr 1
		.amdhsa_user_sgpr_dispatch_id 0
		.amdhsa_user_sgpr_flat_scratch_init 0
		.amdhsa_user_sgpr_private_segment_size 0
		.amdhsa_wavefront_size32 1
		.amdhsa_uses_dynamic_stack 0
		.amdhsa_system_sgpr_private_segment_wavefront_offset 0
		.amdhsa_system_sgpr_workgroup_id_x 1
		.amdhsa_system_sgpr_workgroup_id_y 0
		.amdhsa_system_sgpr_workgroup_id_z 0
		.amdhsa_system_sgpr_workgroup_info 0
		.amdhsa_system_vgpr_workitem_id 0
		.amdhsa_next_free_vgpr 1
		.amdhsa_next_free_sgpr 1
		.amdhsa_reserve_vcc 0
		.amdhsa_reserve_flat_scratch 0
		.amdhsa_float_round_mode_32 0
		.amdhsa_float_round_mode_16_64 0
		.amdhsa_float_denorm_mode_32 3
		.amdhsa_float_denorm_mode_16_64 3
		.amdhsa_dx10_clamp 1
		.amdhsa_ieee_mode 1
		.amdhsa_fp16_overflow 0
		.amdhsa_workgroup_processor_mode 1
		.amdhsa_memory_ordered 1
		.amdhsa_forward_progress 1
		.amdhsa_shared_vgpr_count 0
		.amdhsa_exception_fp_ieee_invalid_op 0
		.amdhsa_exception_fp_denorm_src 0
		.amdhsa_exception_fp_ieee_div_zero 0
		.amdhsa_exception_fp_ieee_overflow 0
		.amdhsa_exception_fp_ieee_underflow 0
		.amdhsa_exception_fp_ieee_inexact 0
		.amdhsa_exception_int_div_zero 0
	.end_amdhsa_kernel
	.section	.text._ZN7rocprim17ROCPRIM_400000_NS6detail17trampoline_kernelINS0_14default_configENS1_25transform_config_selectorIiLb0EEEZNS1_14transform_implILb0ES3_S5_PiN6thrust23THRUST_200600_302600_NS6detail15normal_iteratorINS9_10device_ptrIiEEEENS0_8identityIiEEEE10hipError_tT2_T3_mT4_P12ihipStream_tbEUlT_E_NS1_11comp_targetILNS1_3genE5ELNS1_11target_archE942ELNS1_3gpuE9ELNS1_3repE0EEENS1_30default_config_static_selectorELNS0_4arch9wavefront6targetE0EEEvT1_,"axG",@progbits,_ZN7rocprim17ROCPRIM_400000_NS6detail17trampoline_kernelINS0_14default_configENS1_25transform_config_selectorIiLb0EEEZNS1_14transform_implILb0ES3_S5_PiN6thrust23THRUST_200600_302600_NS6detail15normal_iteratorINS9_10device_ptrIiEEEENS0_8identityIiEEEE10hipError_tT2_T3_mT4_P12ihipStream_tbEUlT_E_NS1_11comp_targetILNS1_3genE5ELNS1_11target_archE942ELNS1_3gpuE9ELNS1_3repE0EEENS1_30default_config_static_selectorELNS0_4arch9wavefront6targetE0EEEvT1_,comdat
.Lfunc_end68:
	.size	_ZN7rocprim17ROCPRIM_400000_NS6detail17trampoline_kernelINS0_14default_configENS1_25transform_config_selectorIiLb0EEEZNS1_14transform_implILb0ES3_S5_PiN6thrust23THRUST_200600_302600_NS6detail15normal_iteratorINS9_10device_ptrIiEEEENS0_8identityIiEEEE10hipError_tT2_T3_mT4_P12ihipStream_tbEUlT_E_NS1_11comp_targetILNS1_3genE5ELNS1_11target_archE942ELNS1_3gpuE9ELNS1_3repE0EEENS1_30default_config_static_selectorELNS0_4arch9wavefront6targetE0EEEvT1_, .Lfunc_end68-_ZN7rocprim17ROCPRIM_400000_NS6detail17trampoline_kernelINS0_14default_configENS1_25transform_config_selectorIiLb0EEEZNS1_14transform_implILb0ES3_S5_PiN6thrust23THRUST_200600_302600_NS6detail15normal_iteratorINS9_10device_ptrIiEEEENS0_8identityIiEEEE10hipError_tT2_T3_mT4_P12ihipStream_tbEUlT_E_NS1_11comp_targetILNS1_3genE5ELNS1_11target_archE942ELNS1_3gpuE9ELNS1_3repE0EEENS1_30default_config_static_selectorELNS0_4arch9wavefront6targetE0EEEvT1_
                                        ; -- End function
	.set _ZN7rocprim17ROCPRIM_400000_NS6detail17trampoline_kernelINS0_14default_configENS1_25transform_config_selectorIiLb0EEEZNS1_14transform_implILb0ES3_S5_PiN6thrust23THRUST_200600_302600_NS6detail15normal_iteratorINS9_10device_ptrIiEEEENS0_8identityIiEEEE10hipError_tT2_T3_mT4_P12ihipStream_tbEUlT_E_NS1_11comp_targetILNS1_3genE5ELNS1_11target_archE942ELNS1_3gpuE9ELNS1_3repE0EEENS1_30default_config_static_selectorELNS0_4arch9wavefront6targetE0EEEvT1_.num_vgpr, 0
	.set _ZN7rocprim17ROCPRIM_400000_NS6detail17trampoline_kernelINS0_14default_configENS1_25transform_config_selectorIiLb0EEEZNS1_14transform_implILb0ES3_S5_PiN6thrust23THRUST_200600_302600_NS6detail15normal_iteratorINS9_10device_ptrIiEEEENS0_8identityIiEEEE10hipError_tT2_T3_mT4_P12ihipStream_tbEUlT_E_NS1_11comp_targetILNS1_3genE5ELNS1_11target_archE942ELNS1_3gpuE9ELNS1_3repE0EEENS1_30default_config_static_selectorELNS0_4arch9wavefront6targetE0EEEvT1_.num_agpr, 0
	.set _ZN7rocprim17ROCPRIM_400000_NS6detail17trampoline_kernelINS0_14default_configENS1_25transform_config_selectorIiLb0EEEZNS1_14transform_implILb0ES3_S5_PiN6thrust23THRUST_200600_302600_NS6detail15normal_iteratorINS9_10device_ptrIiEEEENS0_8identityIiEEEE10hipError_tT2_T3_mT4_P12ihipStream_tbEUlT_E_NS1_11comp_targetILNS1_3genE5ELNS1_11target_archE942ELNS1_3gpuE9ELNS1_3repE0EEENS1_30default_config_static_selectorELNS0_4arch9wavefront6targetE0EEEvT1_.numbered_sgpr, 0
	.set _ZN7rocprim17ROCPRIM_400000_NS6detail17trampoline_kernelINS0_14default_configENS1_25transform_config_selectorIiLb0EEEZNS1_14transform_implILb0ES3_S5_PiN6thrust23THRUST_200600_302600_NS6detail15normal_iteratorINS9_10device_ptrIiEEEENS0_8identityIiEEEE10hipError_tT2_T3_mT4_P12ihipStream_tbEUlT_E_NS1_11comp_targetILNS1_3genE5ELNS1_11target_archE942ELNS1_3gpuE9ELNS1_3repE0EEENS1_30default_config_static_selectorELNS0_4arch9wavefront6targetE0EEEvT1_.num_named_barrier, 0
	.set _ZN7rocprim17ROCPRIM_400000_NS6detail17trampoline_kernelINS0_14default_configENS1_25transform_config_selectorIiLb0EEEZNS1_14transform_implILb0ES3_S5_PiN6thrust23THRUST_200600_302600_NS6detail15normal_iteratorINS9_10device_ptrIiEEEENS0_8identityIiEEEE10hipError_tT2_T3_mT4_P12ihipStream_tbEUlT_E_NS1_11comp_targetILNS1_3genE5ELNS1_11target_archE942ELNS1_3gpuE9ELNS1_3repE0EEENS1_30default_config_static_selectorELNS0_4arch9wavefront6targetE0EEEvT1_.private_seg_size, 0
	.set _ZN7rocprim17ROCPRIM_400000_NS6detail17trampoline_kernelINS0_14default_configENS1_25transform_config_selectorIiLb0EEEZNS1_14transform_implILb0ES3_S5_PiN6thrust23THRUST_200600_302600_NS6detail15normal_iteratorINS9_10device_ptrIiEEEENS0_8identityIiEEEE10hipError_tT2_T3_mT4_P12ihipStream_tbEUlT_E_NS1_11comp_targetILNS1_3genE5ELNS1_11target_archE942ELNS1_3gpuE9ELNS1_3repE0EEENS1_30default_config_static_selectorELNS0_4arch9wavefront6targetE0EEEvT1_.uses_vcc, 0
	.set _ZN7rocprim17ROCPRIM_400000_NS6detail17trampoline_kernelINS0_14default_configENS1_25transform_config_selectorIiLb0EEEZNS1_14transform_implILb0ES3_S5_PiN6thrust23THRUST_200600_302600_NS6detail15normal_iteratorINS9_10device_ptrIiEEEENS0_8identityIiEEEE10hipError_tT2_T3_mT4_P12ihipStream_tbEUlT_E_NS1_11comp_targetILNS1_3genE5ELNS1_11target_archE942ELNS1_3gpuE9ELNS1_3repE0EEENS1_30default_config_static_selectorELNS0_4arch9wavefront6targetE0EEEvT1_.uses_flat_scratch, 0
	.set _ZN7rocprim17ROCPRIM_400000_NS6detail17trampoline_kernelINS0_14default_configENS1_25transform_config_selectorIiLb0EEEZNS1_14transform_implILb0ES3_S5_PiN6thrust23THRUST_200600_302600_NS6detail15normal_iteratorINS9_10device_ptrIiEEEENS0_8identityIiEEEE10hipError_tT2_T3_mT4_P12ihipStream_tbEUlT_E_NS1_11comp_targetILNS1_3genE5ELNS1_11target_archE942ELNS1_3gpuE9ELNS1_3repE0EEENS1_30default_config_static_selectorELNS0_4arch9wavefront6targetE0EEEvT1_.has_dyn_sized_stack, 0
	.set _ZN7rocprim17ROCPRIM_400000_NS6detail17trampoline_kernelINS0_14default_configENS1_25transform_config_selectorIiLb0EEEZNS1_14transform_implILb0ES3_S5_PiN6thrust23THRUST_200600_302600_NS6detail15normal_iteratorINS9_10device_ptrIiEEEENS0_8identityIiEEEE10hipError_tT2_T3_mT4_P12ihipStream_tbEUlT_E_NS1_11comp_targetILNS1_3genE5ELNS1_11target_archE942ELNS1_3gpuE9ELNS1_3repE0EEENS1_30default_config_static_selectorELNS0_4arch9wavefront6targetE0EEEvT1_.has_recursion, 0
	.set _ZN7rocprim17ROCPRIM_400000_NS6detail17trampoline_kernelINS0_14default_configENS1_25transform_config_selectorIiLb0EEEZNS1_14transform_implILb0ES3_S5_PiN6thrust23THRUST_200600_302600_NS6detail15normal_iteratorINS9_10device_ptrIiEEEENS0_8identityIiEEEE10hipError_tT2_T3_mT4_P12ihipStream_tbEUlT_E_NS1_11comp_targetILNS1_3genE5ELNS1_11target_archE942ELNS1_3gpuE9ELNS1_3repE0EEENS1_30default_config_static_selectorELNS0_4arch9wavefront6targetE0EEEvT1_.has_indirect_call, 0
	.section	.AMDGPU.csdata,"",@progbits
; Kernel info:
; codeLenInByte = 0
; TotalNumSgprs: 0
; NumVgprs: 0
; ScratchSize: 0
; MemoryBound: 0
; FloatMode: 240
; IeeeMode: 1
; LDSByteSize: 0 bytes/workgroup (compile time only)
; SGPRBlocks: 0
; VGPRBlocks: 0
; NumSGPRsForWavesPerEU: 1
; NumVGPRsForWavesPerEU: 1
; Occupancy: 16
; WaveLimiterHint : 0
; COMPUTE_PGM_RSRC2:SCRATCH_EN: 0
; COMPUTE_PGM_RSRC2:USER_SGPR: 6
; COMPUTE_PGM_RSRC2:TRAP_HANDLER: 0
; COMPUTE_PGM_RSRC2:TGID_X_EN: 1
; COMPUTE_PGM_RSRC2:TGID_Y_EN: 0
; COMPUTE_PGM_RSRC2:TGID_Z_EN: 0
; COMPUTE_PGM_RSRC2:TIDIG_COMP_CNT: 0
	.section	.text._ZN7rocprim17ROCPRIM_400000_NS6detail17trampoline_kernelINS0_14default_configENS1_25transform_config_selectorIiLb0EEEZNS1_14transform_implILb0ES3_S5_PiN6thrust23THRUST_200600_302600_NS6detail15normal_iteratorINS9_10device_ptrIiEEEENS0_8identityIiEEEE10hipError_tT2_T3_mT4_P12ihipStream_tbEUlT_E_NS1_11comp_targetILNS1_3genE4ELNS1_11target_archE910ELNS1_3gpuE8ELNS1_3repE0EEENS1_30default_config_static_selectorELNS0_4arch9wavefront6targetE0EEEvT1_,"axG",@progbits,_ZN7rocprim17ROCPRIM_400000_NS6detail17trampoline_kernelINS0_14default_configENS1_25transform_config_selectorIiLb0EEEZNS1_14transform_implILb0ES3_S5_PiN6thrust23THRUST_200600_302600_NS6detail15normal_iteratorINS9_10device_ptrIiEEEENS0_8identityIiEEEE10hipError_tT2_T3_mT4_P12ihipStream_tbEUlT_E_NS1_11comp_targetILNS1_3genE4ELNS1_11target_archE910ELNS1_3gpuE8ELNS1_3repE0EEENS1_30default_config_static_selectorELNS0_4arch9wavefront6targetE0EEEvT1_,comdat
	.protected	_ZN7rocprim17ROCPRIM_400000_NS6detail17trampoline_kernelINS0_14default_configENS1_25transform_config_selectorIiLb0EEEZNS1_14transform_implILb0ES3_S5_PiN6thrust23THRUST_200600_302600_NS6detail15normal_iteratorINS9_10device_ptrIiEEEENS0_8identityIiEEEE10hipError_tT2_T3_mT4_P12ihipStream_tbEUlT_E_NS1_11comp_targetILNS1_3genE4ELNS1_11target_archE910ELNS1_3gpuE8ELNS1_3repE0EEENS1_30default_config_static_selectorELNS0_4arch9wavefront6targetE0EEEvT1_ ; -- Begin function _ZN7rocprim17ROCPRIM_400000_NS6detail17trampoline_kernelINS0_14default_configENS1_25transform_config_selectorIiLb0EEEZNS1_14transform_implILb0ES3_S5_PiN6thrust23THRUST_200600_302600_NS6detail15normal_iteratorINS9_10device_ptrIiEEEENS0_8identityIiEEEE10hipError_tT2_T3_mT4_P12ihipStream_tbEUlT_E_NS1_11comp_targetILNS1_3genE4ELNS1_11target_archE910ELNS1_3gpuE8ELNS1_3repE0EEENS1_30default_config_static_selectorELNS0_4arch9wavefront6targetE0EEEvT1_
	.globl	_ZN7rocprim17ROCPRIM_400000_NS6detail17trampoline_kernelINS0_14default_configENS1_25transform_config_selectorIiLb0EEEZNS1_14transform_implILb0ES3_S5_PiN6thrust23THRUST_200600_302600_NS6detail15normal_iteratorINS9_10device_ptrIiEEEENS0_8identityIiEEEE10hipError_tT2_T3_mT4_P12ihipStream_tbEUlT_E_NS1_11comp_targetILNS1_3genE4ELNS1_11target_archE910ELNS1_3gpuE8ELNS1_3repE0EEENS1_30default_config_static_selectorELNS0_4arch9wavefront6targetE0EEEvT1_
	.p2align	8
	.type	_ZN7rocprim17ROCPRIM_400000_NS6detail17trampoline_kernelINS0_14default_configENS1_25transform_config_selectorIiLb0EEEZNS1_14transform_implILb0ES3_S5_PiN6thrust23THRUST_200600_302600_NS6detail15normal_iteratorINS9_10device_ptrIiEEEENS0_8identityIiEEEE10hipError_tT2_T3_mT4_P12ihipStream_tbEUlT_E_NS1_11comp_targetILNS1_3genE4ELNS1_11target_archE910ELNS1_3gpuE8ELNS1_3repE0EEENS1_30default_config_static_selectorELNS0_4arch9wavefront6targetE0EEEvT1_,@function
_ZN7rocprim17ROCPRIM_400000_NS6detail17trampoline_kernelINS0_14default_configENS1_25transform_config_selectorIiLb0EEEZNS1_14transform_implILb0ES3_S5_PiN6thrust23THRUST_200600_302600_NS6detail15normal_iteratorINS9_10device_ptrIiEEEENS0_8identityIiEEEE10hipError_tT2_T3_mT4_P12ihipStream_tbEUlT_E_NS1_11comp_targetILNS1_3genE4ELNS1_11target_archE910ELNS1_3gpuE8ELNS1_3repE0EEENS1_30default_config_static_selectorELNS0_4arch9wavefront6targetE0EEEvT1_: ; @_ZN7rocprim17ROCPRIM_400000_NS6detail17trampoline_kernelINS0_14default_configENS1_25transform_config_selectorIiLb0EEEZNS1_14transform_implILb0ES3_S5_PiN6thrust23THRUST_200600_302600_NS6detail15normal_iteratorINS9_10device_ptrIiEEEENS0_8identityIiEEEE10hipError_tT2_T3_mT4_P12ihipStream_tbEUlT_E_NS1_11comp_targetILNS1_3genE4ELNS1_11target_archE910ELNS1_3gpuE8ELNS1_3repE0EEENS1_30default_config_static_selectorELNS0_4arch9wavefront6targetE0EEEvT1_
; %bb.0:
	.section	.rodata,"a",@progbits
	.p2align	6, 0x0
	.amdhsa_kernel _ZN7rocprim17ROCPRIM_400000_NS6detail17trampoline_kernelINS0_14default_configENS1_25transform_config_selectorIiLb0EEEZNS1_14transform_implILb0ES3_S5_PiN6thrust23THRUST_200600_302600_NS6detail15normal_iteratorINS9_10device_ptrIiEEEENS0_8identityIiEEEE10hipError_tT2_T3_mT4_P12ihipStream_tbEUlT_E_NS1_11comp_targetILNS1_3genE4ELNS1_11target_archE910ELNS1_3gpuE8ELNS1_3repE0EEENS1_30default_config_static_selectorELNS0_4arch9wavefront6targetE0EEEvT1_
		.amdhsa_group_segment_fixed_size 0
		.amdhsa_private_segment_fixed_size 0
		.amdhsa_kernarg_size 40
		.amdhsa_user_sgpr_count 6
		.amdhsa_user_sgpr_private_segment_buffer 1
		.amdhsa_user_sgpr_dispatch_ptr 0
		.amdhsa_user_sgpr_queue_ptr 0
		.amdhsa_user_sgpr_kernarg_segment_ptr 1
		.amdhsa_user_sgpr_dispatch_id 0
		.amdhsa_user_sgpr_flat_scratch_init 0
		.amdhsa_user_sgpr_private_segment_size 0
		.amdhsa_wavefront_size32 1
		.amdhsa_uses_dynamic_stack 0
		.amdhsa_system_sgpr_private_segment_wavefront_offset 0
		.amdhsa_system_sgpr_workgroup_id_x 1
		.amdhsa_system_sgpr_workgroup_id_y 0
		.amdhsa_system_sgpr_workgroup_id_z 0
		.amdhsa_system_sgpr_workgroup_info 0
		.amdhsa_system_vgpr_workitem_id 0
		.amdhsa_next_free_vgpr 1
		.amdhsa_next_free_sgpr 1
		.amdhsa_reserve_vcc 0
		.amdhsa_reserve_flat_scratch 0
		.amdhsa_float_round_mode_32 0
		.amdhsa_float_round_mode_16_64 0
		.amdhsa_float_denorm_mode_32 3
		.amdhsa_float_denorm_mode_16_64 3
		.amdhsa_dx10_clamp 1
		.amdhsa_ieee_mode 1
		.amdhsa_fp16_overflow 0
		.amdhsa_workgroup_processor_mode 1
		.amdhsa_memory_ordered 1
		.amdhsa_forward_progress 1
		.amdhsa_shared_vgpr_count 0
		.amdhsa_exception_fp_ieee_invalid_op 0
		.amdhsa_exception_fp_denorm_src 0
		.amdhsa_exception_fp_ieee_div_zero 0
		.amdhsa_exception_fp_ieee_overflow 0
		.amdhsa_exception_fp_ieee_underflow 0
		.amdhsa_exception_fp_ieee_inexact 0
		.amdhsa_exception_int_div_zero 0
	.end_amdhsa_kernel
	.section	.text._ZN7rocprim17ROCPRIM_400000_NS6detail17trampoline_kernelINS0_14default_configENS1_25transform_config_selectorIiLb0EEEZNS1_14transform_implILb0ES3_S5_PiN6thrust23THRUST_200600_302600_NS6detail15normal_iteratorINS9_10device_ptrIiEEEENS0_8identityIiEEEE10hipError_tT2_T3_mT4_P12ihipStream_tbEUlT_E_NS1_11comp_targetILNS1_3genE4ELNS1_11target_archE910ELNS1_3gpuE8ELNS1_3repE0EEENS1_30default_config_static_selectorELNS0_4arch9wavefront6targetE0EEEvT1_,"axG",@progbits,_ZN7rocprim17ROCPRIM_400000_NS6detail17trampoline_kernelINS0_14default_configENS1_25transform_config_selectorIiLb0EEEZNS1_14transform_implILb0ES3_S5_PiN6thrust23THRUST_200600_302600_NS6detail15normal_iteratorINS9_10device_ptrIiEEEENS0_8identityIiEEEE10hipError_tT2_T3_mT4_P12ihipStream_tbEUlT_E_NS1_11comp_targetILNS1_3genE4ELNS1_11target_archE910ELNS1_3gpuE8ELNS1_3repE0EEENS1_30default_config_static_selectorELNS0_4arch9wavefront6targetE0EEEvT1_,comdat
.Lfunc_end69:
	.size	_ZN7rocprim17ROCPRIM_400000_NS6detail17trampoline_kernelINS0_14default_configENS1_25transform_config_selectorIiLb0EEEZNS1_14transform_implILb0ES3_S5_PiN6thrust23THRUST_200600_302600_NS6detail15normal_iteratorINS9_10device_ptrIiEEEENS0_8identityIiEEEE10hipError_tT2_T3_mT4_P12ihipStream_tbEUlT_E_NS1_11comp_targetILNS1_3genE4ELNS1_11target_archE910ELNS1_3gpuE8ELNS1_3repE0EEENS1_30default_config_static_selectorELNS0_4arch9wavefront6targetE0EEEvT1_, .Lfunc_end69-_ZN7rocprim17ROCPRIM_400000_NS6detail17trampoline_kernelINS0_14default_configENS1_25transform_config_selectorIiLb0EEEZNS1_14transform_implILb0ES3_S5_PiN6thrust23THRUST_200600_302600_NS6detail15normal_iteratorINS9_10device_ptrIiEEEENS0_8identityIiEEEE10hipError_tT2_T3_mT4_P12ihipStream_tbEUlT_E_NS1_11comp_targetILNS1_3genE4ELNS1_11target_archE910ELNS1_3gpuE8ELNS1_3repE0EEENS1_30default_config_static_selectorELNS0_4arch9wavefront6targetE0EEEvT1_
                                        ; -- End function
	.set _ZN7rocprim17ROCPRIM_400000_NS6detail17trampoline_kernelINS0_14default_configENS1_25transform_config_selectorIiLb0EEEZNS1_14transform_implILb0ES3_S5_PiN6thrust23THRUST_200600_302600_NS6detail15normal_iteratorINS9_10device_ptrIiEEEENS0_8identityIiEEEE10hipError_tT2_T3_mT4_P12ihipStream_tbEUlT_E_NS1_11comp_targetILNS1_3genE4ELNS1_11target_archE910ELNS1_3gpuE8ELNS1_3repE0EEENS1_30default_config_static_selectorELNS0_4arch9wavefront6targetE0EEEvT1_.num_vgpr, 0
	.set _ZN7rocprim17ROCPRIM_400000_NS6detail17trampoline_kernelINS0_14default_configENS1_25transform_config_selectorIiLb0EEEZNS1_14transform_implILb0ES3_S5_PiN6thrust23THRUST_200600_302600_NS6detail15normal_iteratorINS9_10device_ptrIiEEEENS0_8identityIiEEEE10hipError_tT2_T3_mT4_P12ihipStream_tbEUlT_E_NS1_11comp_targetILNS1_3genE4ELNS1_11target_archE910ELNS1_3gpuE8ELNS1_3repE0EEENS1_30default_config_static_selectorELNS0_4arch9wavefront6targetE0EEEvT1_.num_agpr, 0
	.set _ZN7rocprim17ROCPRIM_400000_NS6detail17trampoline_kernelINS0_14default_configENS1_25transform_config_selectorIiLb0EEEZNS1_14transform_implILb0ES3_S5_PiN6thrust23THRUST_200600_302600_NS6detail15normal_iteratorINS9_10device_ptrIiEEEENS0_8identityIiEEEE10hipError_tT2_T3_mT4_P12ihipStream_tbEUlT_E_NS1_11comp_targetILNS1_3genE4ELNS1_11target_archE910ELNS1_3gpuE8ELNS1_3repE0EEENS1_30default_config_static_selectorELNS0_4arch9wavefront6targetE0EEEvT1_.numbered_sgpr, 0
	.set _ZN7rocprim17ROCPRIM_400000_NS6detail17trampoline_kernelINS0_14default_configENS1_25transform_config_selectorIiLb0EEEZNS1_14transform_implILb0ES3_S5_PiN6thrust23THRUST_200600_302600_NS6detail15normal_iteratorINS9_10device_ptrIiEEEENS0_8identityIiEEEE10hipError_tT2_T3_mT4_P12ihipStream_tbEUlT_E_NS1_11comp_targetILNS1_3genE4ELNS1_11target_archE910ELNS1_3gpuE8ELNS1_3repE0EEENS1_30default_config_static_selectorELNS0_4arch9wavefront6targetE0EEEvT1_.num_named_barrier, 0
	.set _ZN7rocprim17ROCPRIM_400000_NS6detail17trampoline_kernelINS0_14default_configENS1_25transform_config_selectorIiLb0EEEZNS1_14transform_implILb0ES3_S5_PiN6thrust23THRUST_200600_302600_NS6detail15normal_iteratorINS9_10device_ptrIiEEEENS0_8identityIiEEEE10hipError_tT2_T3_mT4_P12ihipStream_tbEUlT_E_NS1_11comp_targetILNS1_3genE4ELNS1_11target_archE910ELNS1_3gpuE8ELNS1_3repE0EEENS1_30default_config_static_selectorELNS0_4arch9wavefront6targetE0EEEvT1_.private_seg_size, 0
	.set _ZN7rocprim17ROCPRIM_400000_NS6detail17trampoline_kernelINS0_14default_configENS1_25transform_config_selectorIiLb0EEEZNS1_14transform_implILb0ES3_S5_PiN6thrust23THRUST_200600_302600_NS6detail15normal_iteratorINS9_10device_ptrIiEEEENS0_8identityIiEEEE10hipError_tT2_T3_mT4_P12ihipStream_tbEUlT_E_NS1_11comp_targetILNS1_3genE4ELNS1_11target_archE910ELNS1_3gpuE8ELNS1_3repE0EEENS1_30default_config_static_selectorELNS0_4arch9wavefront6targetE0EEEvT1_.uses_vcc, 0
	.set _ZN7rocprim17ROCPRIM_400000_NS6detail17trampoline_kernelINS0_14default_configENS1_25transform_config_selectorIiLb0EEEZNS1_14transform_implILb0ES3_S5_PiN6thrust23THRUST_200600_302600_NS6detail15normal_iteratorINS9_10device_ptrIiEEEENS0_8identityIiEEEE10hipError_tT2_T3_mT4_P12ihipStream_tbEUlT_E_NS1_11comp_targetILNS1_3genE4ELNS1_11target_archE910ELNS1_3gpuE8ELNS1_3repE0EEENS1_30default_config_static_selectorELNS0_4arch9wavefront6targetE0EEEvT1_.uses_flat_scratch, 0
	.set _ZN7rocprim17ROCPRIM_400000_NS6detail17trampoline_kernelINS0_14default_configENS1_25transform_config_selectorIiLb0EEEZNS1_14transform_implILb0ES3_S5_PiN6thrust23THRUST_200600_302600_NS6detail15normal_iteratorINS9_10device_ptrIiEEEENS0_8identityIiEEEE10hipError_tT2_T3_mT4_P12ihipStream_tbEUlT_E_NS1_11comp_targetILNS1_3genE4ELNS1_11target_archE910ELNS1_3gpuE8ELNS1_3repE0EEENS1_30default_config_static_selectorELNS0_4arch9wavefront6targetE0EEEvT1_.has_dyn_sized_stack, 0
	.set _ZN7rocprim17ROCPRIM_400000_NS6detail17trampoline_kernelINS0_14default_configENS1_25transform_config_selectorIiLb0EEEZNS1_14transform_implILb0ES3_S5_PiN6thrust23THRUST_200600_302600_NS6detail15normal_iteratorINS9_10device_ptrIiEEEENS0_8identityIiEEEE10hipError_tT2_T3_mT4_P12ihipStream_tbEUlT_E_NS1_11comp_targetILNS1_3genE4ELNS1_11target_archE910ELNS1_3gpuE8ELNS1_3repE0EEENS1_30default_config_static_selectorELNS0_4arch9wavefront6targetE0EEEvT1_.has_recursion, 0
	.set _ZN7rocprim17ROCPRIM_400000_NS6detail17trampoline_kernelINS0_14default_configENS1_25transform_config_selectorIiLb0EEEZNS1_14transform_implILb0ES3_S5_PiN6thrust23THRUST_200600_302600_NS6detail15normal_iteratorINS9_10device_ptrIiEEEENS0_8identityIiEEEE10hipError_tT2_T3_mT4_P12ihipStream_tbEUlT_E_NS1_11comp_targetILNS1_3genE4ELNS1_11target_archE910ELNS1_3gpuE8ELNS1_3repE0EEENS1_30default_config_static_selectorELNS0_4arch9wavefront6targetE0EEEvT1_.has_indirect_call, 0
	.section	.AMDGPU.csdata,"",@progbits
; Kernel info:
; codeLenInByte = 0
; TotalNumSgprs: 0
; NumVgprs: 0
; ScratchSize: 0
; MemoryBound: 0
; FloatMode: 240
; IeeeMode: 1
; LDSByteSize: 0 bytes/workgroup (compile time only)
; SGPRBlocks: 0
; VGPRBlocks: 0
; NumSGPRsForWavesPerEU: 1
; NumVGPRsForWavesPerEU: 1
; Occupancy: 16
; WaveLimiterHint : 0
; COMPUTE_PGM_RSRC2:SCRATCH_EN: 0
; COMPUTE_PGM_RSRC2:USER_SGPR: 6
; COMPUTE_PGM_RSRC2:TRAP_HANDLER: 0
; COMPUTE_PGM_RSRC2:TGID_X_EN: 1
; COMPUTE_PGM_RSRC2:TGID_Y_EN: 0
; COMPUTE_PGM_RSRC2:TGID_Z_EN: 0
; COMPUTE_PGM_RSRC2:TIDIG_COMP_CNT: 0
	.section	.text._ZN7rocprim17ROCPRIM_400000_NS6detail17trampoline_kernelINS0_14default_configENS1_25transform_config_selectorIiLb0EEEZNS1_14transform_implILb0ES3_S5_PiN6thrust23THRUST_200600_302600_NS6detail15normal_iteratorINS9_10device_ptrIiEEEENS0_8identityIiEEEE10hipError_tT2_T3_mT4_P12ihipStream_tbEUlT_E_NS1_11comp_targetILNS1_3genE3ELNS1_11target_archE908ELNS1_3gpuE7ELNS1_3repE0EEENS1_30default_config_static_selectorELNS0_4arch9wavefront6targetE0EEEvT1_,"axG",@progbits,_ZN7rocprim17ROCPRIM_400000_NS6detail17trampoline_kernelINS0_14default_configENS1_25transform_config_selectorIiLb0EEEZNS1_14transform_implILb0ES3_S5_PiN6thrust23THRUST_200600_302600_NS6detail15normal_iteratorINS9_10device_ptrIiEEEENS0_8identityIiEEEE10hipError_tT2_T3_mT4_P12ihipStream_tbEUlT_E_NS1_11comp_targetILNS1_3genE3ELNS1_11target_archE908ELNS1_3gpuE7ELNS1_3repE0EEENS1_30default_config_static_selectorELNS0_4arch9wavefront6targetE0EEEvT1_,comdat
	.protected	_ZN7rocprim17ROCPRIM_400000_NS6detail17trampoline_kernelINS0_14default_configENS1_25transform_config_selectorIiLb0EEEZNS1_14transform_implILb0ES3_S5_PiN6thrust23THRUST_200600_302600_NS6detail15normal_iteratorINS9_10device_ptrIiEEEENS0_8identityIiEEEE10hipError_tT2_T3_mT4_P12ihipStream_tbEUlT_E_NS1_11comp_targetILNS1_3genE3ELNS1_11target_archE908ELNS1_3gpuE7ELNS1_3repE0EEENS1_30default_config_static_selectorELNS0_4arch9wavefront6targetE0EEEvT1_ ; -- Begin function _ZN7rocprim17ROCPRIM_400000_NS6detail17trampoline_kernelINS0_14default_configENS1_25transform_config_selectorIiLb0EEEZNS1_14transform_implILb0ES3_S5_PiN6thrust23THRUST_200600_302600_NS6detail15normal_iteratorINS9_10device_ptrIiEEEENS0_8identityIiEEEE10hipError_tT2_T3_mT4_P12ihipStream_tbEUlT_E_NS1_11comp_targetILNS1_3genE3ELNS1_11target_archE908ELNS1_3gpuE7ELNS1_3repE0EEENS1_30default_config_static_selectorELNS0_4arch9wavefront6targetE0EEEvT1_
	.globl	_ZN7rocprim17ROCPRIM_400000_NS6detail17trampoline_kernelINS0_14default_configENS1_25transform_config_selectorIiLb0EEEZNS1_14transform_implILb0ES3_S5_PiN6thrust23THRUST_200600_302600_NS6detail15normal_iteratorINS9_10device_ptrIiEEEENS0_8identityIiEEEE10hipError_tT2_T3_mT4_P12ihipStream_tbEUlT_E_NS1_11comp_targetILNS1_3genE3ELNS1_11target_archE908ELNS1_3gpuE7ELNS1_3repE0EEENS1_30default_config_static_selectorELNS0_4arch9wavefront6targetE0EEEvT1_
	.p2align	8
	.type	_ZN7rocprim17ROCPRIM_400000_NS6detail17trampoline_kernelINS0_14default_configENS1_25transform_config_selectorIiLb0EEEZNS1_14transform_implILb0ES3_S5_PiN6thrust23THRUST_200600_302600_NS6detail15normal_iteratorINS9_10device_ptrIiEEEENS0_8identityIiEEEE10hipError_tT2_T3_mT4_P12ihipStream_tbEUlT_E_NS1_11comp_targetILNS1_3genE3ELNS1_11target_archE908ELNS1_3gpuE7ELNS1_3repE0EEENS1_30default_config_static_selectorELNS0_4arch9wavefront6targetE0EEEvT1_,@function
_ZN7rocprim17ROCPRIM_400000_NS6detail17trampoline_kernelINS0_14default_configENS1_25transform_config_selectorIiLb0EEEZNS1_14transform_implILb0ES3_S5_PiN6thrust23THRUST_200600_302600_NS6detail15normal_iteratorINS9_10device_ptrIiEEEENS0_8identityIiEEEE10hipError_tT2_T3_mT4_P12ihipStream_tbEUlT_E_NS1_11comp_targetILNS1_3genE3ELNS1_11target_archE908ELNS1_3gpuE7ELNS1_3repE0EEENS1_30default_config_static_selectorELNS0_4arch9wavefront6targetE0EEEvT1_: ; @_ZN7rocprim17ROCPRIM_400000_NS6detail17trampoline_kernelINS0_14default_configENS1_25transform_config_selectorIiLb0EEEZNS1_14transform_implILb0ES3_S5_PiN6thrust23THRUST_200600_302600_NS6detail15normal_iteratorINS9_10device_ptrIiEEEENS0_8identityIiEEEE10hipError_tT2_T3_mT4_P12ihipStream_tbEUlT_E_NS1_11comp_targetILNS1_3genE3ELNS1_11target_archE908ELNS1_3gpuE7ELNS1_3repE0EEENS1_30default_config_static_selectorELNS0_4arch9wavefront6targetE0EEEvT1_
; %bb.0:
	.section	.rodata,"a",@progbits
	.p2align	6, 0x0
	.amdhsa_kernel _ZN7rocprim17ROCPRIM_400000_NS6detail17trampoline_kernelINS0_14default_configENS1_25transform_config_selectorIiLb0EEEZNS1_14transform_implILb0ES3_S5_PiN6thrust23THRUST_200600_302600_NS6detail15normal_iteratorINS9_10device_ptrIiEEEENS0_8identityIiEEEE10hipError_tT2_T3_mT4_P12ihipStream_tbEUlT_E_NS1_11comp_targetILNS1_3genE3ELNS1_11target_archE908ELNS1_3gpuE7ELNS1_3repE0EEENS1_30default_config_static_selectorELNS0_4arch9wavefront6targetE0EEEvT1_
		.amdhsa_group_segment_fixed_size 0
		.amdhsa_private_segment_fixed_size 0
		.amdhsa_kernarg_size 40
		.amdhsa_user_sgpr_count 6
		.amdhsa_user_sgpr_private_segment_buffer 1
		.amdhsa_user_sgpr_dispatch_ptr 0
		.amdhsa_user_sgpr_queue_ptr 0
		.amdhsa_user_sgpr_kernarg_segment_ptr 1
		.amdhsa_user_sgpr_dispatch_id 0
		.amdhsa_user_sgpr_flat_scratch_init 0
		.amdhsa_user_sgpr_private_segment_size 0
		.amdhsa_wavefront_size32 1
		.amdhsa_uses_dynamic_stack 0
		.amdhsa_system_sgpr_private_segment_wavefront_offset 0
		.amdhsa_system_sgpr_workgroup_id_x 1
		.amdhsa_system_sgpr_workgroup_id_y 0
		.amdhsa_system_sgpr_workgroup_id_z 0
		.amdhsa_system_sgpr_workgroup_info 0
		.amdhsa_system_vgpr_workitem_id 0
		.amdhsa_next_free_vgpr 1
		.amdhsa_next_free_sgpr 1
		.amdhsa_reserve_vcc 0
		.amdhsa_reserve_flat_scratch 0
		.amdhsa_float_round_mode_32 0
		.amdhsa_float_round_mode_16_64 0
		.amdhsa_float_denorm_mode_32 3
		.amdhsa_float_denorm_mode_16_64 3
		.amdhsa_dx10_clamp 1
		.amdhsa_ieee_mode 1
		.amdhsa_fp16_overflow 0
		.amdhsa_workgroup_processor_mode 1
		.amdhsa_memory_ordered 1
		.amdhsa_forward_progress 1
		.amdhsa_shared_vgpr_count 0
		.amdhsa_exception_fp_ieee_invalid_op 0
		.amdhsa_exception_fp_denorm_src 0
		.amdhsa_exception_fp_ieee_div_zero 0
		.amdhsa_exception_fp_ieee_overflow 0
		.amdhsa_exception_fp_ieee_underflow 0
		.amdhsa_exception_fp_ieee_inexact 0
		.amdhsa_exception_int_div_zero 0
	.end_amdhsa_kernel
	.section	.text._ZN7rocprim17ROCPRIM_400000_NS6detail17trampoline_kernelINS0_14default_configENS1_25transform_config_selectorIiLb0EEEZNS1_14transform_implILb0ES3_S5_PiN6thrust23THRUST_200600_302600_NS6detail15normal_iteratorINS9_10device_ptrIiEEEENS0_8identityIiEEEE10hipError_tT2_T3_mT4_P12ihipStream_tbEUlT_E_NS1_11comp_targetILNS1_3genE3ELNS1_11target_archE908ELNS1_3gpuE7ELNS1_3repE0EEENS1_30default_config_static_selectorELNS0_4arch9wavefront6targetE0EEEvT1_,"axG",@progbits,_ZN7rocprim17ROCPRIM_400000_NS6detail17trampoline_kernelINS0_14default_configENS1_25transform_config_selectorIiLb0EEEZNS1_14transform_implILb0ES3_S5_PiN6thrust23THRUST_200600_302600_NS6detail15normal_iteratorINS9_10device_ptrIiEEEENS0_8identityIiEEEE10hipError_tT2_T3_mT4_P12ihipStream_tbEUlT_E_NS1_11comp_targetILNS1_3genE3ELNS1_11target_archE908ELNS1_3gpuE7ELNS1_3repE0EEENS1_30default_config_static_selectorELNS0_4arch9wavefront6targetE0EEEvT1_,comdat
.Lfunc_end70:
	.size	_ZN7rocprim17ROCPRIM_400000_NS6detail17trampoline_kernelINS0_14default_configENS1_25transform_config_selectorIiLb0EEEZNS1_14transform_implILb0ES3_S5_PiN6thrust23THRUST_200600_302600_NS6detail15normal_iteratorINS9_10device_ptrIiEEEENS0_8identityIiEEEE10hipError_tT2_T3_mT4_P12ihipStream_tbEUlT_E_NS1_11comp_targetILNS1_3genE3ELNS1_11target_archE908ELNS1_3gpuE7ELNS1_3repE0EEENS1_30default_config_static_selectorELNS0_4arch9wavefront6targetE0EEEvT1_, .Lfunc_end70-_ZN7rocprim17ROCPRIM_400000_NS6detail17trampoline_kernelINS0_14default_configENS1_25transform_config_selectorIiLb0EEEZNS1_14transform_implILb0ES3_S5_PiN6thrust23THRUST_200600_302600_NS6detail15normal_iteratorINS9_10device_ptrIiEEEENS0_8identityIiEEEE10hipError_tT2_T3_mT4_P12ihipStream_tbEUlT_E_NS1_11comp_targetILNS1_3genE3ELNS1_11target_archE908ELNS1_3gpuE7ELNS1_3repE0EEENS1_30default_config_static_selectorELNS0_4arch9wavefront6targetE0EEEvT1_
                                        ; -- End function
	.set _ZN7rocprim17ROCPRIM_400000_NS6detail17trampoline_kernelINS0_14default_configENS1_25transform_config_selectorIiLb0EEEZNS1_14transform_implILb0ES3_S5_PiN6thrust23THRUST_200600_302600_NS6detail15normal_iteratorINS9_10device_ptrIiEEEENS0_8identityIiEEEE10hipError_tT2_T3_mT4_P12ihipStream_tbEUlT_E_NS1_11comp_targetILNS1_3genE3ELNS1_11target_archE908ELNS1_3gpuE7ELNS1_3repE0EEENS1_30default_config_static_selectorELNS0_4arch9wavefront6targetE0EEEvT1_.num_vgpr, 0
	.set _ZN7rocprim17ROCPRIM_400000_NS6detail17trampoline_kernelINS0_14default_configENS1_25transform_config_selectorIiLb0EEEZNS1_14transform_implILb0ES3_S5_PiN6thrust23THRUST_200600_302600_NS6detail15normal_iteratorINS9_10device_ptrIiEEEENS0_8identityIiEEEE10hipError_tT2_T3_mT4_P12ihipStream_tbEUlT_E_NS1_11comp_targetILNS1_3genE3ELNS1_11target_archE908ELNS1_3gpuE7ELNS1_3repE0EEENS1_30default_config_static_selectorELNS0_4arch9wavefront6targetE0EEEvT1_.num_agpr, 0
	.set _ZN7rocprim17ROCPRIM_400000_NS6detail17trampoline_kernelINS0_14default_configENS1_25transform_config_selectorIiLb0EEEZNS1_14transform_implILb0ES3_S5_PiN6thrust23THRUST_200600_302600_NS6detail15normal_iteratorINS9_10device_ptrIiEEEENS0_8identityIiEEEE10hipError_tT2_T3_mT4_P12ihipStream_tbEUlT_E_NS1_11comp_targetILNS1_3genE3ELNS1_11target_archE908ELNS1_3gpuE7ELNS1_3repE0EEENS1_30default_config_static_selectorELNS0_4arch9wavefront6targetE0EEEvT1_.numbered_sgpr, 0
	.set _ZN7rocprim17ROCPRIM_400000_NS6detail17trampoline_kernelINS0_14default_configENS1_25transform_config_selectorIiLb0EEEZNS1_14transform_implILb0ES3_S5_PiN6thrust23THRUST_200600_302600_NS6detail15normal_iteratorINS9_10device_ptrIiEEEENS0_8identityIiEEEE10hipError_tT2_T3_mT4_P12ihipStream_tbEUlT_E_NS1_11comp_targetILNS1_3genE3ELNS1_11target_archE908ELNS1_3gpuE7ELNS1_3repE0EEENS1_30default_config_static_selectorELNS0_4arch9wavefront6targetE0EEEvT1_.num_named_barrier, 0
	.set _ZN7rocprim17ROCPRIM_400000_NS6detail17trampoline_kernelINS0_14default_configENS1_25transform_config_selectorIiLb0EEEZNS1_14transform_implILb0ES3_S5_PiN6thrust23THRUST_200600_302600_NS6detail15normal_iteratorINS9_10device_ptrIiEEEENS0_8identityIiEEEE10hipError_tT2_T3_mT4_P12ihipStream_tbEUlT_E_NS1_11comp_targetILNS1_3genE3ELNS1_11target_archE908ELNS1_3gpuE7ELNS1_3repE0EEENS1_30default_config_static_selectorELNS0_4arch9wavefront6targetE0EEEvT1_.private_seg_size, 0
	.set _ZN7rocprim17ROCPRIM_400000_NS6detail17trampoline_kernelINS0_14default_configENS1_25transform_config_selectorIiLb0EEEZNS1_14transform_implILb0ES3_S5_PiN6thrust23THRUST_200600_302600_NS6detail15normal_iteratorINS9_10device_ptrIiEEEENS0_8identityIiEEEE10hipError_tT2_T3_mT4_P12ihipStream_tbEUlT_E_NS1_11comp_targetILNS1_3genE3ELNS1_11target_archE908ELNS1_3gpuE7ELNS1_3repE0EEENS1_30default_config_static_selectorELNS0_4arch9wavefront6targetE0EEEvT1_.uses_vcc, 0
	.set _ZN7rocprim17ROCPRIM_400000_NS6detail17trampoline_kernelINS0_14default_configENS1_25transform_config_selectorIiLb0EEEZNS1_14transform_implILb0ES3_S5_PiN6thrust23THRUST_200600_302600_NS6detail15normal_iteratorINS9_10device_ptrIiEEEENS0_8identityIiEEEE10hipError_tT2_T3_mT4_P12ihipStream_tbEUlT_E_NS1_11comp_targetILNS1_3genE3ELNS1_11target_archE908ELNS1_3gpuE7ELNS1_3repE0EEENS1_30default_config_static_selectorELNS0_4arch9wavefront6targetE0EEEvT1_.uses_flat_scratch, 0
	.set _ZN7rocprim17ROCPRIM_400000_NS6detail17trampoline_kernelINS0_14default_configENS1_25transform_config_selectorIiLb0EEEZNS1_14transform_implILb0ES3_S5_PiN6thrust23THRUST_200600_302600_NS6detail15normal_iteratorINS9_10device_ptrIiEEEENS0_8identityIiEEEE10hipError_tT2_T3_mT4_P12ihipStream_tbEUlT_E_NS1_11comp_targetILNS1_3genE3ELNS1_11target_archE908ELNS1_3gpuE7ELNS1_3repE0EEENS1_30default_config_static_selectorELNS0_4arch9wavefront6targetE0EEEvT1_.has_dyn_sized_stack, 0
	.set _ZN7rocprim17ROCPRIM_400000_NS6detail17trampoline_kernelINS0_14default_configENS1_25transform_config_selectorIiLb0EEEZNS1_14transform_implILb0ES3_S5_PiN6thrust23THRUST_200600_302600_NS6detail15normal_iteratorINS9_10device_ptrIiEEEENS0_8identityIiEEEE10hipError_tT2_T3_mT4_P12ihipStream_tbEUlT_E_NS1_11comp_targetILNS1_3genE3ELNS1_11target_archE908ELNS1_3gpuE7ELNS1_3repE0EEENS1_30default_config_static_selectorELNS0_4arch9wavefront6targetE0EEEvT1_.has_recursion, 0
	.set _ZN7rocprim17ROCPRIM_400000_NS6detail17trampoline_kernelINS0_14default_configENS1_25transform_config_selectorIiLb0EEEZNS1_14transform_implILb0ES3_S5_PiN6thrust23THRUST_200600_302600_NS6detail15normal_iteratorINS9_10device_ptrIiEEEENS0_8identityIiEEEE10hipError_tT2_T3_mT4_P12ihipStream_tbEUlT_E_NS1_11comp_targetILNS1_3genE3ELNS1_11target_archE908ELNS1_3gpuE7ELNS1_3repE0EEENS1_30default_config_static_selectorELNS0_4arch9wavefront6targetE0EEEvT1_.has_indirect_call, 0
	.section	.AMDGPU.csdata,"",@progbits
; Kernel info:
; codeLenInByte = 0
; TotalNumSgprs: 0
; NumVgprs: 0
; ScratchSize: 0
; MemoryBound: 0
; FloatMode: 240
; IeeeMode: 1
; LDSByteSize: 0 bytes/workgroup (compile time only)
; SGPRBlocks: 0
; VGPRBlocks: 0
; NumSGPRsForWavesPerEU: 1
; NumVGPRsForWavesPerEU: 1
; Occupancy: 16
; WaveLimiterHint : 0
; COMPUTE_PGM_RSRC2:SCRATCH_EN: 0
; COMPUTE_PGM_RSRC2:USER_SGPR: 6
; COMPUTE_PGM_RSRC2:TRAP_HANDLER: 0
; COMPUTE_PGM_RSRC2:TGID_X_EN: 1
; COMPUTE_PGM_RSRC2:TGID_Y_EN: 0
; COMPUTE_PGM_RSRC2:TGID_Z_EN: 0
; COMPUTE_PGM_RSRC2:TIDIG_COMP_CNT: 0
	.section	.text._ZN7rocprim17ROCPRIM_400000_NS6detail17trampoline_kernelINS0_14default_configENS1_25transform_config_selectorIiLb0EEEZNS1_14transform_implILb0ES3_S5_PiN6thrust23THRUST_200600_302600_NS6detail15normal_iteratorINS9_10device_ptrIiEEEENS0_8identityIiEEEE10hipError_tT2_T3_mT4_P12ihipStream_tbEUlT_E_NS1_11comp_targetILNS1_3genE2ELNS1_11target_archE906ELNS1_3gpuE6ELNS1_3repE0EEENS1_30default_config_static_selectorELNS0_4arch9wavefront6targetE0EEEvT1_,"axG",@progbits,_ZN7rocprim17ROCPRIM_400000_NS6detail17trampoline_kernelINS0_14default_configENS1_25transform_config_selectorIiLb0EEEZNS1_14transform_implILb0ES3_S5_PiN6thrust23THRUST_200600_302600_NS6detail15normal_iteratorINS9_10device_ptrIiEEEENS0_8identityIiEEEE10hipError_tT2_T3_mT4_P12ihipStream_tbEUlT_E_NS1_11comp_targetILNS1_3genE2ELNS1_11target_archE906ELNS1_3gpuE6ELNS1_3repE0EEENS1_30default_config_static_selectorELNS0_4arch9wavefront6targetE0EEEvT1_,comdat
	.protected	_ZN7rocprim17ROCPRIM_400000_NS6detail17trampoline_kernelINS0_14default_configENS1_25transform_config_selectorIiLb0EEEZNS1_14transform_implILb0ES3_S5_PiN6thrust23THRUST_200600_302600_NS6detail15normal_iteratorINS9_10device_ptrIiEEEENS0_8identityIiEEEE10hipError_tT2_T3_mT4_P12ihipStream_tbEUlT_E_NS1_11comp_targetILNS1_3genE2ELNS1_11target_archE906ELNS1_3gpuE6ELNS1_3repE0EEENS1_30default_config_static_selectorELNS0_4arch9wavefront6targetE0EEEvT1_ ; -- Begin function _ZN7rocprim17ROCPRIM_400000_NS6detail17trampoline_kernelINS0_14default_configENS1_25transform_config_selectorIiLb0EEEZNS1_14transform_implILb0ES3_S5_PiN6thrust23THRUST_200600_302600_NS6detail15normal_iteratorINS9_10device_ptrIiEEEENS0_8identityIiEEEE10hipError_tT2_T3_mT4_P12ihipStream_tbEUlT_E_NS1_11comp_targetILNS1_3genE2ELNS1_11target_archE906ELNS1_3gpuE6ELNS1_3repE0EEENS1_30default_config_static_selectorELNS0_4arch9wavefront6targetE0EEEvT1_
	.globl	_ZN7rocprim17ROCPRIM_400000_NS6detail17trampoline_kernelINS0_14default_configENS1_25transform_config_selectorIiLb0EEEZNS1_14transform_implILb0ES3_S5_PiN6thrust23THRUST_200600_302600_NS6detail15normal_iteratorINS9_10device_ptrIiEEEENS0_8identityIiEEEE10hipError_tT2_T3_mT4_P12ihipStream_tbEUlT_E_NS1_11comp_targetILNS1_3genE2ELNS1_11target_archE906ELNS1_3gpuE6ELNS1_3repE0EEENS1_30default_config_static_selectorELNS0_4arch9wavefront6targetE0EEEvT1_
	.p2align	8
	.type	_ZN7rocprim17ROCPRIM_400000_NS6detail17trampoline_kernelINS0_14default_configENS1_25transform_config_selectorIiLb0EEEZNS1_14transform_implILb0ES3_S5_PiN6thrust23THRUST_200600_302600_NS6detail15normal_iteratorINS9_10device_ptrIiEEEENS0_8identityIiEEEE10hipError_tT2_T3_mT4_P12ihipStream_tbEUlT_E_NS1_11comp_targetILNS1_3genE2ELNS1_11target_archE906ELNS1_3gpuE6ELNS1_3repE0EEENS1_30default_config_static_selectorELNS0_4arch9wavefront6targetE0EEEvT1_,@function
_ZN7rocprim17ROCPRIM_400000_NS6detail17trampoline_kernelINS0_14default_configENS1_25transform_config_selectorIiLb0EEEZNS1_14transform_implILb0ES3_S5_PiN6thrust23THRUST_200600_302600_NS6detail15normal_iteratorINS9_10device_ptrIiEEEENS0_8identityIiEEEE10hipError_tT2_T3_mT4_P12ihipStream_tbEUlT_E_NS1_11comp_targetILNS1_3genE2ELNS1_11target_archE906ELNS1_3gpuE6ELNS1_3repE0EEENS1_30default_config_static_selectorELNS0_4arch9wavefront6targetE0EEEvT1_: ; @_ZN7rocprim17ROCPRIM_400000_NS6detail17trampoline_kernelINS0_14default_configENS1_25transform_config_selectorIiLb0EEEZNS1_14transform_implILb0ES3_S5_PiN6thrust23THRUST_200600_302600_NS6detail15normal_iteratorINS9_10device_ptrIiEEEENS0_8identityIiEEEE10hipError_tT2_T3_mT4_P12ihipStream_tbEUlT_E_NS1_11comp_targetILNS1_3genE2ELNS1_11target_archE906ELNS1_3gpuE6ELNS1_3repE0EEENS1_30default_config_static_selectorELNS0_4arch9wavefront6targetE0EEEvT1_
; %bb.0:
	.section	.rodata,"a",@progbits
	.p2align	6, 0x0
	.amdhsa_kernel _ZN7rocprim17ROCPRIM_400000_NS6detail17trampoline_kernelINS0_14default_configENS1_25transform_config_selectorIiLb0EEEZNS1_14transform_implILb0ES3_S5_PiN6thrust23THRUST_200600_302600_NS6detail15normal_iteratorINS9_10device_ptrIiEEEENS0_8identityIiEEEE10hipError_tT2_T3_mT4_P12ihipStream_tbEUlT_E_NS1_11comp_targetILNS1_3genE2ELNS1_11target_archE906ELNS1_3gpuE6ELNS1_3repE0EEENS1_30default_config_static_selectorELNS0_4arch9wavefront6targetE0EEEvT1_
		.amdhsa_group_segment_fixed_size 0
		.amdhsa_private_segment_fixed_size 0
		.amdhsa_kernarg_size 40
		.amdhsa_user_sgpr_count 6
		.amdhsa_user_sgpr_private_segment_buffer 1
		.amdhsa_user_sgpr_dispatch_ptr 0
		.amdhsa_user_sgpr_queue_ptr 0
		.amdhsa_user_sgpr_kernarg_segment_ptr 1
		.amdhsa_user_sgpr_dispatch_id 0
		.amdhsa_user_sgpr_flat_scratch_init 0
		.amdhsa_user_sgpr_private_segment_size 0
		.amdhsa_wavefront_size32 1
		.amdhsa_uses_dynamic_stack 0
		.amdhsa_system_sgpr_private_segment_wavefront_offset 0
		.amdhsa_system_sgpr_workgroup_id_x 1
		.amdhsa_system_sgpr_workgroup_id_y 0
		.amdhsa_system_sgpr_workgroup_id_z 0
		.amdhsa_system_sgpr_workgroup_info 0
		.amdhsa_system_vgpr_workitem_id 0
		.amdhsa_next_free_vgpr 1
		.amdhsa_next_free_sgpr 1
		.amdhsa_reserve_vcc 0
		.amdhsa_reserve_flat_scratch 0
		.amdhsa_float_round_mode_32 0
		.amdhsa_float_round_mode_16_64 0
		.amdhsa_float_denorm_mode_32 3
		.amdhsa_float_denorm_mode_16_64 3
		.amdhsa_dx10_clamp 1
		.amdhsa_ieee_mode 1
		.amdhsa_fp16_overflow 0
		.amdhsa_workgroup_processor_mode 1
		.amdhsa_memory_ordered 1
		.amdhsa_forward_progress 1
		.amdhsa_shared_vgpr_count 0
		.amdhsa_exception_fp_ieee_invalid_op 0
		.amdhsa_exception_fp_denorm_src 0
		.amdhsa_exception_fp_ieee_div_zero 0
		.amdhsa_exception_fp_ieee_overflow 0
		.amdhsa_exception_fp_ieee_underflow 0
		.amdhsa_exception_fp_ieee_inexact 0
		.amdhsa_exception_int_div_zero 0
	.end_amdhsa_kernel
	.section	.text._ZN7rocprim17ROCPRIM_400000_NS6detail17trampoline_kernelINS0_14default_configENS1_25transform_config_selectorIiLb0EEEZNS1_14transform_implILb0ES3_S5_PiN6thrust23THRUST_200600_302600_NS6detail15normal_iteratorINS9_10device_ptrIiEEEENS0_8identityIiEEEE10hipError_tT2_T3_mT4_P12ihipStream_tbEUlT_E_NS1_11comp_targetILNS1_3genE2ELNS1_11target_archE906ELNS1_3gpuE6ELNS1_3repE0EEENS1_30default_config_static_selectorELNS0_4arch9wavefront6targetE0EEEvT1_,"axG",@progbits,_ZN7rocprim17ROCPRIM_400000_NS6detail17trampoline_kernelINS0_14default_configENS1_25transform_config_selectorIiLb0EEEZNS1_14transform_implILb0ES3_S5_PiN6thrust23THRUST_200600_302600_NS6detail15normal_iteratorINS9_10device_ptrIiEEEENS0_8identityIiEEEE10hipError_tT2_T3_mT4_P12ihipStream_tbEUlT_E_NS1_11comp_targetILNS1_3genE2ELNS1_11target_archE906ELNS1_3gpuE6ELNS1_3repE0EEENS1_30default_config_static_selectorELNS0_4arch9wavefront6targetE0EEEvT1_,comdat
.Lfunc_end71:
	.size	_ZN7rocprim17ROCPRIM_400000_NS6detail17trampoline_kernelINS0_14default_configENS1_25transform_config_selectorIiLb0EEEZNS1_14transform_implILb0ES3_S5_PiN6thrust23THRUST_200600_302600_NS6detail15normal_iteratorINS9_10device_ptrIiEEEENS0_8identityIiEEEE10hipError_tT2_T3_mT4_P12ihipStream_tbEUlT_E_NS1_11comp_targetILNS1_3genE2ELNS1_11target_archE906ELNS1_3gpuE6ELNS1_3repE0EEENS1_30default_config_static_selectorELNS0_4arch9wavefront6targetE0EEEvT1_, .Lfunc_end71-_ZN7rocprim17ROCPRIM_400000_NS6detail17trampoline_kernelINS0_14default_configENS1_25transform_config_selectorIiLb0EEEZNS1_14transform_implILb0ES3_S5_PiN6thrust23THRUST_200600_302600_NS6detail15normal_iteratorINS9_10device_ptrIiEEEENS0_8identityIiEEEE10hipError_tT2_T3_mT4_P12ihipStream_tbEUlT_E_NS1_11comp_targetILNS1_3genE2ELNS1_11target_archE906ELNS1_3gpuE6ELNS1_3repE0EEENS1_30default_config_static_selectorELNS0_4arch9wavefront6targetE0EEEvT1_
                                        ; -- End function
	.set _ZN7rocprim17ROCPRIM_400000_NS6detail17trampoline_kernelINS0_14default_configENS1_25transform_config_selectorIiLb0EEEZNS1_14transform_implILb0ES3_S5_PiN6thrust23THRUST_200600_302600_NS6detail15normal_iteratorINS9_10device_ptrIiEEEENS0_8identityIiEEEE10hipError_tT2_T3_mT4_P12ihipStream_tbEUlT_E_NS1_11comp_targetILNS1_3genE2ELNS1_11target_archE906ELNS1_3gpuE6ELNS1_3repE0EEENS1_30default_config_static_selectorELNS0_4arch9wavefront6targetE0EEEvT1_.num_vgpr, 0
	.set _ZN7rocprim17ROCPRIM_400000_NS6detail17trampoline_kernelINS0_14default_configENS1_25transform_config_selectorIiLb0EEEZNS1_14transform_implILb0ES3_S5_PiN6thrust23THRUST_200600_302600_NS6detail15normal_iteratorINS9_10device_ptrIiEEEENS0_8identityIiEEEE10hipError_tT2_T3_mT4_P12ihipStream_tbEUlT_E_NS1_11comp_targetILNS1_3genE2ELNS1_11target_archE906ELNS1_3gpuE6ELNS1_3repE0EEENS1_30default_config_static_selectorELNS0_4arch9wavefront6targetE0EEEvT1_.num_agpr, 0
	.set _ZN7rocprim17ROCPRIM_400000_NS6detail17trampoline_kernelINS0_14default_configENS1_25transform_config_selectorIiLb0EEEZNS1_14transform_implILb0ES3_S5_PiN6thrust23THRUST_200600_302600_NS6detail15normal_iteratorINS9_10device_ptrIiEEEENS0_8identityIiEEEE10hipError_tT2_T3_mT4_P12ihipStream_tbEUlT_E_NS1_11comp_targetILNS1_3genE2ELNS1_11target_archE906ELNS1_3gpuE6ELNS1_3repE0EEENS1_30default_config_static_selectorELNS0_4arch9wavefront6targetE0EEEvT1_.numbered_sgpr, 0
	.set _ZN7rocprim17ROCPRIM_400000_NS6detail17trampoline_kernelINS0_14default_configENS1_25transform_config_selectorIiLb0EEEZNS1_14transform_implILb0ES3_S5_PiN6thrust23THRUST_200600_302600_NS6detail15normal_iteratorINS9_10device_ptrIiEEEENS0_8identityIiEEEE10hipError_tT2_T3_mT4_P12ihipStream_tbEUlT_E_NS1_11comp_targetILNS1_3genE2ELNS1_11target_archE906ELNS1_3gpuE6ELNS1_3repE0EEENS1_30default_config_static_selectorELNS0_4arch9wavefront6targetE0EEEvT1_.num_named_barrier, 0
	.set _ZN7rocprim17ROCPRIM_400000_NS6detail17trampoline_kernelINS0_14default_configENS1_25transform_config_selectorIiLb0EEEZNS1_14transform_implILb0ES3_S5_PiN6thrust23THRUST_200600_302600_NS6detail15normal_iteratorINS9_10device_ptrIiEEEENS0_8identityIiEEEE10hipError_tT2_T3_mT4_P12ihipStream_tbEUlT_E_NS1_11comp_targetILNS1_3genE2ELNS1_11target_archE906ELNS1_3gpuE6ELNS1_3repE0EEENS1_30default_config_static_selectorELNS0_4arch9wavefront6targetE0EEEvT1_.private_seg_size, 0
	.set _ZN7rocprim17ROCPRIM_400000_NS6detail17trampoline_kernelINS0_14default_configENS1_25transform_config_selectorIiLb0EEEZNS1_14transform_implILb0ES3_S5_PiN6thrust23THRUST_200600_302600_NS6detail15normal_iteratorINS9_10device_ptrIiEEEENS0_8identityIiEEEE10hipError_tT2_T3_mT4_P12ihipStream_tbEUlT_E_NS1_11comp_targetILNS1_3genE2ELNS1_11target_archE906ELNS1_3gpuE6ELNS1_3repE0EEENS1_30default_config_static_selectorELNS0_4arch9wavefront6targetE0EEEvT1_.uses_vcc, 0
	.set _ZN7rocprim17ROCPRIM_400000_NS6detail17trampoline_kernelINS0_14default_configENS1_25transform_config_selectorIiLb0EEEZNS1_14transform_implILb0ES3_S5_PiN6thrust23THRUST_200600_302600_NS6detail15normal_iteratorINS9_10device_ptrIiEEEENS0_8identityIiEEEE10hipError_tT2_T3_mT4_P12ihipStream_tbEUlT_E_NS1_11comp_targetILNS1_3genE2ELNS1_11target_archE906ELNS1_3gpuE6ELNS1_3repE0EEENS1_30default_config_static_selectorELNS0_4arch9wavefront6targetE0EEEvT1_.uses_flat_scratch, 0
	.set _ZN7rocprim17ROCPRIM_400000_NS6detail17trampoline_kernelINS0_14default_configENS1_25transform_config_selectorIiLb0EEEZNS1_14transform_implILb0ES3_S5_PiN6thrust23THRUST_200600_302600_NS6detail15normal_iteratorINS9_10device_ptrIiEEEENS0_8identityIiEEEE10hipError_tT2_T3_mT4_P12ihipStream_tbEUlT_E_NS1_11comp_targetILNS1_3genE2ELNS1_11target_archE906ELNS1_3gpuE6ELNS1_3repE0EEENS1_30default_config_static_selectorELNS0_4arch9wavefront6targetE0EEEvT1_.has_dyn_sized_stack, 0
	.set _ZN7rocprim17ROCPRIM_400000_NS6detail17trampoline_kernelINS0_14default_configENS1_25transform_config_selectorIiLb0EEEZNS1_14transform_implILb0ES3_S5_PiN6thrust23THRUST_200600_302600_NS6detail15normal_iteratorINS9_10device_ptrIiEEEENS0_8identityIiEEEE10hipError_tT2_T3_mT4_P12ihipStream_tbEUlT_E_NS1_11comp_targetILNS1_3genE2ELNS1_11target_archE906ELNS1_3gpuE6ELNS1_3repE0EEENS1_30default_config_static_selectorELNS0_4arch9wavefront6targetE0EEEvT1_.has_recursion, 0
	.set _ZN7rocprim17ROCPRIM_400000_NS6detail17trampoline_kernelINS0_14default_configENS1_25transform_config_selectorIiLb0EEEZNS1_14transform_implILb0ES3_S5_PiN6thrust23THRUST_200600_302600_NS6detail15normal_iteratorINS9_10device_ptrIiEEEENS0_8identityIiEEEE10hipError_tT2_T3_mT4_P12ihipStream_tbEUlT_E_NS1_11comp_targetILNS1_3genE2ELNS1_11target_archE906ELNS1_3gpuE6ELNS1_3repE0EEENS1_30default_config_static_selectorELNS0_4arch9wavefront6targetE0EEEvT1_.has_indirect_call, 0
	.section	.AMDGPU.csdata,"",@progbits
; Kernel info:
; codeLenInByte = 0
; TotalNumSgprs: 0
; NumVgprs: 0
; ScratchSize: 0
; MemoryBound: 0
; FloatMode: 240
; IeeeMode: 1
; LDSByteSize: 0 bytes/workgroup (compile time only)
; SGPRBlocks: 0
; VGPRBlocks: 0
; NumSGPRsForWavesPerEU: 1
; NumVGPRsForWavesPerEU: 1
; Occupancy: 16
; WaveLimiterHint : 0
; COMPUTE_PGM_RSRC2:SCRATCH_EN: 0
; COMPUTE_PGM_RSRC2:USER_SGPR: 6
; COMPUTE_PGM_RSRC2:TRAP_HANDLER: 0
; COMPUTE_PGM_RSRC2:TGID_X_EN: 1
; COMPUTE_PGM_RSRC2:TGID_Y_EN: 0
; COMPUTE_PGM_RSRC2:TGID_Z_EN: 0
; COMPUTE_PGM_RSRC2:TIDIG_COMP_CNT: 0
	.section	.text._ZN7rocprim17ROCPRIM_400000_NS6detail17trampoline_kernelINS0_14default_configENS1_25transform_config_selectorIiLb0EEEZNS1_14transform_implILb0ES3_S5_PiN6thrust23THRUST_200600_302600_NS6detail15normal_iteratorINS9_10device_ptrIiEEEENS0_8identityIiEEEE10hipError_tT2_T3_mT4_P12ihipStream_tbEUlT_E_NS1_11comp_targetILNS1_3genE10ELNS1_11target_archE1201ELNS1_3gpuE5ELNS1_3repE0EEENS1_30default_config_static_selectorELNS0_4arch9wavefront6targetE0EEEvT1_,"axG",@progbits,_ZN7rocprim17ROCPRIM_400000_NS6detail17trampoline_kernelINS0_14default_configENS1_25transform_config_selectorIiLb0EEEZNS1_14transform_implILb0ES3_S5_PiN6thrust23THRUST_200600_302600_NS6detail15normal_iteratorINS9_10device_ptrIiEEEENS0_8identityIiEEEE10hipError_tT2_T3_mT4_P12ihipStream_tbEUlT_E_NS1_11comp_targetILNS1_3genE10ELNS1_11target_archE1201ELNS1_3gpuE5ELNS1_3repE0EEENS1_30default_config_static_selectorELNS0_4arch9wavefront6targetE0EEEvT1_,comdat
	.protected	_ZN7rocprim17ROCPRIM_400000_NS6detail17trampoline_kernelINS0_14default_configENS1_25transform_config_selectorIiLb0EEEZNS1_14transform_implILb0ES3_S5_PiN6thrust23THRUST_200600_302600_NS6detail15normal_iteratorINS9_10device_ptrIiEEEENS0_8identityIiEEEE10hipError_tT2_T3_mT4_P12ihipStream_tbEUlT_E_NS1_11comp_targetILNS1_3genE10ELNS1_11target_archE1201ELNS1_3gpuE5ELNS1_3repE0EEENS1_30default_config_static_selectorELNS0_4arch9wavefront6targetE0EEEvT1_ ; -- Begin function _ZN7rocprim17ROCPRIM_400000_NS6detail17trampoline_kernelINS0_14default_configENS1_25transform_config_selectorIiLb0EEEZNS1_14transform_implILb0ES3_S5_PiN6thrust23THRUST_200600_302600_NS6detail15normal_iteratorINS9_10device_ptrIiEEEENS0_8identityIiEEEE10hipError_tT2_T3_mT4_P12ihipStream_tbEUlT_E_NS1_11comp_targetILNS1_3genE10ELNS1_11target_archE1201ELNS1_3gpuE5ELNS1_3repE0EEENS1_30default_config_static_selectorELNS0_4arch9wavefront6targetE0EEEvT1_
	.globl	_ZN7rocprim17ROCPRIM_400000_NS6detail17trampoline_kernelINS0_14default_configENS1_25transform_config_selectorIiLb0EEEZNS1_14transform_implILb0ES3_S5_PiN6thrust23THRUST_200600_302600_NS6detail15normal_iteratorINS9_10device_ptrIiEEEENS0_8identityIiEEEE10hipError_tT2_T3_mT4_P12ihipStream_tbEUlT_E_NS1_11comp_targetILNS1_3genE10ELNS1_11target_archE1201ELNS1_3gpuE5ELNS1_3repE0EEENS1_30default_config_static_selectorELNS0_4arch9wavefront6targetE0EEEvT1_
	.p2align	8
	.type	_ZN7rocprim17ROCPRIM_400000_NS6detail17trampoline_kernelINS0_14default_configENS1_25transform_config_selectorIiLb0EEEZNS1_14transform_implILb0ES3_S5_PiN6thrust23THRUST_200600_302600_NS6detail15normal_iteratorINS9_10device_ptrIiEEEENS0_8identityIiEEEE10hipError_tT2_T3_mT4_P12ihipStream_tbEUlT_E_NS1_11comp_targetILNS1_3genE10ELNS1_11target_archE1201ELNS1_3gpuE5ELNS1_3repE0EEENS1_30default_config_static_selectorELNS0_4arch9wavefront6targetE0EEEvT1_,@function
_ZN7rocprim17ROCPRIM_400000_NS6detail17trampoline_kernelINS0_14default_configENS1_25transform_config_selectorIiLb0EEEZNS1_14transform_implILb0ES3_S5_PiN6thrust23THRUST_200600_302600_NS6detail15normal_iteratorINS9_10device_ptrIiEEEENS0_8identityIiEEEE10hipError_tT2_T3_mT4_P12ihipStream_tbEUlT_E_NS1_11comp_targetILNS1_3genE10ELNS1_11target_archE1201ELNS1_3gpuE5ELNS1_3repE0EEENS1_30default_config_static_selectorELNS0_4arch9wavefront6targetE0EEEvT1_: ; @_ZN7rocprim17ROCPRIM_400000_NS6detail17trampoline_kernelINS0_14default_configENS1_25transform_config_selectorIiLb0EEEZNS1_14transform_implILb0ES3_S5_PiN6thrust23THRUST_200600_302600_NS6detail15normal_iteratorINS9_10device_ptrIiEEEENS0_8identityIiEEEE10hipError_tT2_T3_mT4_P12ihipStream_tbEUlT_E_NS1_11comp_targetILNS1_3genE10ELNS1_11target_archE1201ELNS1_3gpuE5ELNS1_3repE0EEENS1_30default_config_static_selectorELNS0_4arch9wavefront6targetE0EEEvT1_
; %bb.0:
	.section	.rodata,"a",@progbits
	.p2align	6, 0x0
	.amdhsa_kernel _ZN7rocprim17ROCPRIM_400000_NS6detail17trampoline_kernelINS0_14default_configENS1_25transform_config_selectorIiLb0EEEZNS1_14transform_implILb0ES3_S5_PiN6thrust23THRUST_200600_302600_NS6detail15normal_iteratorINS9_10device_ptrIiEEEENS0_8identityIiEEEE10hipError_tT2_T3_mT4_P12ihipStream_tbEUlT_E_NS1_11comp_targetILNS1_3genE10ELNS1_11target_archE1201ELNS1_3gpuE5ELNS1_3repE0EEENS1_30default_config_static_selectorELNS0_4arch9wavefront6targetE0EEEvT1_
		.amdhsa_group_segment_fixed_size 0
		.amdhsa_private_segment_fixed_size 0
		.amdhsa_kernarg_size 40
		.amdhsa_user_sgpr_count 6
		.amdhsa_user_sgpr_private_segment_buffer 1
		.amdhsa_user_sgpr_dispatch_ptr 0
		.amdhsa_user_sgpr_queue_ptr 0
		.amdhsa_user_sgpr_kernarg_segment_ptr 1
		.amdhsa_user_sgpr_dispatch_id 0
		.amdhsa_user_sgpr_flat_scratch_init 0
		.amdhsa_user_sgpr_private_segment_size 0
		.amdhsa_wavefront_size32 1
		.amdhsa_uses_dynamic_stack 0
		.amdhsa_system_sgpr_private_segment_wavefront_offset 0
		.amdhsa_system_sgpr_workgroup_id_x 1
		.amdhsa_system_sgpr_workgroup_id_y 0
		.amdhsa_system_sgpr_workgroup_id_z 0
		.amdhsa_system_sgpr_workgroup_info 0
		.amdhsa_system_vgpr_workitem_id 0
		.amdhsa_next_free_vgpr 1
		.amdhsa_next_free_sgpr 1
		.amdhsa_reserve_vcc 0
		.amdhsa_reserve_flat_scratch 0
		.amdhsa_float_round_mode_32 0
		.amdhsa_float_round_mode_16_64 0
		.amdhsa_float_denorm_mode_32 3
		.amdhsa_float_denorm_mode_16_64 3
		.amdhsa_dx10_clamp 1
		.amdhsa_ieee_mode 1
		.amdhsa_fp16_overflow 0
		.amdhsa_workgroup_processor_mode 1
		.amdhsa_memory_ordered 1
		.amdhsa_forward_progress 1
		.amdhsa_shared_vgpr_count 0
		.amdhsa_exception_fp_ieee_invalid_op 0
		.amdhsa_exception_fp_denorm_src 0
		.amdhsa_exception_fp_ieee_div_zero 0
		.amdhsa_exception_fp_ieee_overflow 0
		.amdhsa_exception_fp_ieee_underflow 0
		.amdhsa_exception_fp_ieee_inexact 0
		.amdhsa_exception_int_div_zero 0
	.end_amdhsa_kernel
	.section	.text._ZN7rocprim17ROCPRIM_400000_NS6detail17trampoline_kernelINS0_14default_configENS1_25transform_config_selectorIiLb0EEEZNS1_14transform_implILb0ES3_S5_PiN6thrust23THRUST_200600_302600_NS6detail15normal_iteratorINS9_10device_ptrIiEEEENS0_8identityIiEEEE10hipError_tT2_T3_mT4_P12ihipStream_tbEUlT_E_NS1_11comp_targetILNS1_3genE10ELNS1_11target_archE1201ELNS1_3gpuE5ELNS1_3repE0EEENS1_30default_config_static_selectorELNS0_4arch9wavefront6targetE0EEEvT1_,"axG",@progbits,_ZN7rocprim17ROCPRIM_400000_NS6detail17trampoline_kernelINS0_14default_configENS1_25transform_config_selectorIiLb0EEEZNS1_14transform_implILb0ES3_S5_PiN6thrust23THRUST_200600_302600_NS6detail15normal_iteratorINS9_10device_ptrIiEEEENS0_8identityIiEEEE10hipError_tT2_T3_mT4_P12ihipStream_tbEUlT_E_NS1_11comp_targetILNS1_3genE10ELNS1_11target_archE1201ELNS1_3gpuE5ELNS1_3repE0EEENS1_30default_config_static_selectorELNS0_4arch9wavefront6targetE0EEEvT1_,comdat
.Lfunc_end72:
	.size	_ZN7rocprim17ROCPRIM_400000_NS6detail17trampoline_kernelINS0_14default_configENS1_25transform_config_selectorIiLb0EEEZNS1_14transform_implILb0ES3_S5_PiN6thrust23THRUST_200600_302600_NS6detail15normal_iteratorINS9_10device_ptrIiEEEENS0_8identityIiEEEE10hipError_tT2_T3_mT4_P12ihipStream_tbEUlT_E_NS1_11comp_targetILNS1_3genE10ELNS1_11target_archE1201ELNS1_3gpuE5ELNS1_3repE0EEENS1_30default_config_static_selectorELNS0_4arch9wavefront6targetE0EEEvT1_, .Lfunc_end72-_ZN7rocprim17ROCPRIM_400000_NS6detail17trampoline_kernelINS0_14default_configENS1_25transform_config_selectorIiLb0EEEZNS1_14transform_implILb0ES3_S5_PiN6thrust23THRUST_200600_302600_NS6detail15normal_iteratorINS9_10device_ptrIiEEEENS0_8identityIiEEEE10hipError_tT2_T3_mT4_P12ihipStream_tbEUlT_E_NS1_11comp_targetILNS1_3genE10ELNS1_11target_archE1201ELNS1_3gpuE5ELNS1_3repE0EEENS1_30default_config_static_selectorELNS0_4arch9wavefront6targetE0EEEvT1_
                                        ; -- End function
	.set _ZN7rocprim17ROCPRIM_400000_NS6detail17trampoline_kernelINS0_14default_configENS1_25transform_config_selectorIiLb0EEEZNS1_14transform_implILb0ES3_S5_PiN6thrust23THRUST_200600_302600_NS6detail15normal_iteratorINS9_10device_ptrIiEEEENS0_8identityIiEEEE10hipError_tT2_T3_mT4_P12ihipStream_tbEUlT_E_NS1_11comp_targetILNS1_3genE10ELNS1_11target_archE1201ELNS1_3gpuE5ELNS1_3repE0EEENS1_30default_config_static_selectorELNS0_4arch9wavefront6targetE0EEEvT1_.num_vgpr, 0
	.set _ZN7rocprim17ROCPRIM_400000_NS6detail17trampoline_kernelINS0_14default_configENS1_25transform_config_selectorIiLb0EEEZNS1_14transform_implILb0ES3_S5_PiN6thrust23THRUST_200600_302600_NS6detail15normal_iteratorINS9_10device_ptrIiEEEENS0_8identityIiEEEE10hipError_tT2_T3_mT4_P12ihipStream_tbEUlT_E_NS1_11comp_targetILNS1_3genE10ELNS1_11target_archE1201ELNS1_3gpuE5ELNS1_3repE0EEENS1_30default_config_static_selectorELNS0_4arch9wavefront6targetE0EEEvT1_.num_agpr, 0
	.set _ZN7rocprim17ROCPRIM_400000_NS6detail17trampoline_kernelINS0_14default_configENS1_25transform_config_selectorIiLb0EEEZNS1_14transform_implILb0ES3_S5_PiN6thrust23THRUST_200600_302600_NS6detail15normal_iteratorINS9_10device_ptrIiEEEENS0_8identityIiEEEE10hipError_tT2_T3_mT4_P12ihipStream_tbEUlT_E_NS1_11comp_targetILNS1_3genE10ELNS1_11target_archE1201ELNS1_3gpuE5ELNS1_3repE0EEENS1_30default_config_static_selectorELNS0_4arch9wavefront6targetE0EEEvT1_.numbered_sgpr, 0
	.set _ZN7rocprim17ROCPRIM_400000_NS6detail17trampoline_kernelINS0_14default_configENS1_25transform_config_selectorIiLb0EEEZNS1_14transform_implILb0ES3_S5_PiN6thrust23THRUST_200600_302600_NS6detail15normal_iteratorINS9_10device_ptrIiEEEENS0_8identityIiEEEE10hipError_tT2_T3_mT4_P12ihipStream_tbEUlT_E_NS1_11comp_targetILNS1_3genE10ELNS1_11target_archE1201ELNS1_3gpuE5ELNS1_3repE0EEENS1_30default_config_static_selectorELNS0_4arch9wavefront6targetE0EEEvT1_.num_named_barrier, 0
	.set _ZN7rocprim17ROCPRIM_400000_NS6detail17trampoline_kernelINS0_14default_configENS1_25transform_config_selectorIiLb0EEEZNS1_14transform_implILb0ES3_S5_PiN6thrust23THRUST_200600_302600_NS6detail15normal_iteratorINS9_10device_ptrIiEEEENS0_8identityIiEEEE10hipError_tT2_T3_mT4_P12ihipStream_tbEUlT_E_NS1_11comp_targetILNS1_3genE10ELNS1_11target_archE1201ELNS1_3gpuE5ELNS1_3repE0EEENS1_30default_config_static_selectorELNS0_4arch9wavefront6targetE0EEEvT1_.private_seg_size, 0
	.set _ZN7rocprim17ROCPRIM_400000_NS6detail17trampoline_kernelINS0_14default_configENS1_25transform_config_selectorIiLb0EEEZNS1_14transform_implILb0ES3_S5_PiN6thrust23THRUST_200600_302600_NS6detail15normal_iteratorINS9_10device_ptrIiEEEENS0_8identityIiEEEE10hipError_tT2_T3_mT4_P12ihipStream_tbEUlT_E_NS1_11comp_targetILNS1_3genE10ELNS1_11target_archE1201ELNS1_3gpuE5ELNS1_3repE0EEENS1_30default_config_static_selectorELNS0_4arch9wavefront6targetE0EEEvT1_.uses_vcc, 0
	.set _ZN7rocprim17ROCPRIM_400000_NS6detail17trampoline_kernelINS0_14default_configENS1_25transform_config_selectorIiLb0EEEZNS1_14transform_implILb0ES3_S5_PiN6thrust23THRUST_200600_302600_NS6detail15normal_iteratorINS9_10device_ptrIiEEEENS0_8identityIiEEEE10hipError_tT2_T3_mT4_P12ihipStream_tbEUlT_E_NS1_11comp_targetILNS1_3genE10ELNS1_11target_archE1201ELNS1_3gpuE5ELNS1_3repE0EEENS1_30default_config_static_selectorELNS0_4arch9wavefront6targetE0EEEvT1_.uses_flat_scratch, 0
	.set _ZN7rocprim17ROCPRIM_400000_NS6detail17trampoline_kernelINS0_14default_configENS1_25transform_config_selectorIiLb0EEEZNS1_14transform_implILb0ES3_S5_PiN6thrust23THRUST_200600_302600_NS6detail15normal_iteratorINS9_10device_ptrIiEEEENS0_8identityIiEEEE10hipError_tT2_T3_mT4_P12ihipStream_tbEUlT_E_NS1_11comp_targetILNS1_3genE10ELNS1_11target_archE1201ELNS1_3gpuE5ELNS1_3repE0EEENS1_30default_config_static_selectorELNS0_4arch9wavefront6targetE0EEEvT1_.has_dyn_sized_stack, 0
	.set _ZN7rocprim17ROCPRIM_400000_NS6detail17trampoline_kernelINS0_14default_configENS1_25transform_config_selectorIiLb0EEEZNS1_14transform_implILb0ES3_S5_PiN6thrust23THRUST_200600_302600_NS6detail15normal_iteratorINS9_10device_ptrIiEEEENS0_8identityIiEEEE10hipError_tT2_T3_mT4_P12ihipStream_tbEUlT_E_NS1_11comp_targetILNS1_3genE10ELNS1_11target_archE1201ELNS1_3gpuE5ELNS1_3repE0EEENS1_30default_config_static_selectorELNS0_4arch9wavefront6targetE0EEEvT1_.has_recursion, 0
	.set _ZN7rocprim17ROCPRIM_400000_NS6detail17trampoline_kernelINS0_14default_configENS1_25transform_config_selectorIiLb0EEEZNS1_14transform_implILb0ES3_S5_PiN6thrust23THRUST_200600_302600_NS6detail15normal_iteratorINS9_10device_ptrIiEEEENS0_8identityIiEEEE10hipError_tT2_T3_mT4_P12ihipStream_tbEUlT_E_NS1_11comp_targetILNS1_3genE10ELNS1_11target_archE1201ELNS1_3gpuE5ELNS1_3repE0EEENS1_30default_config_static_selectorELNS0_4arch9wavefront6targetE0EEEvT1_.has_indirect_call, 0
	.section	.AMDGPU.csdata,"",@progbits
; Kernel info:
; codeLenInByte = 0
; TotalNumSgprs: 0
; NumVgprs: 0
; ScratchSize: 0
; MemoryBound: 0
; FloatMode: 240
; IeeeMode: 1
; LDSByteSize: 0 bytes/workgroup (compile time only)
; SGPRBlocks: 0
; VGPRBlocks: 0
; NumSGPRsForWavesPerEU: 1
; NumVGPRsForWavesPerEU: 1
; Occupancy: 16
; WaveLimiterHint : 0
; COMPUTE_PGM_RSRC2:SCRATCH_EN: 0
; COMPUTE_PGM_RSRC2:USER_SGPR: 6
; COMPUTE_PGM_RSRC2:TRAP_HANDLER: 0
; COMPUTE_PGM_RSRC2:TGID_X_EN: 1
; COMPUTE_PGM_RSRC2:TGID_Y_EN: 0
; COMPUTE_PGM_RSRC2:TGID_Z_EN: 0
; COMPUTE_PGM_RSRC2:TIDIG_COMP_CNT: 0
	.section	.text._ZN7rocprim17ROCPRIM_400000_NS6detail17trampoline_kernelINS0_14default_configENS1_25transform_config_selectorIiLb0EEEZNS1_14transform_implILb0ES3_S5_PiN6thrust23THRUST_200600_302600_NS6detail15normal_iteratorINS9_10device_ptrIiEEEENS0_8identityIiEEEE10hipError_tT2_T3_mT4_P12ihipStream_tbEUlT_E_NS1_11comp_targetILNS1_3genE10ELNS1_11target_archE1200ELNS1_3gpuE4ELNS1_3repE0EEENS1_30default_config_static_selectorELNS0_4arch9wavefront6targetE0EEEvT1_,"axG",@progbits,_ZN7rocprim17ROCPRIM_400000_NS6detail17trampoline_kernelINS0_14default_configENS1_25transform_config_selectorIiLb0EEEZNS1_14transform_implILb0ES3_S5_PiN6thrust23THRUST_200600_302600_NS6detail15normal_iteratorINS9_10device_ptrIiEEEENS0_8identityIiEEEE10hipError_tT2_T3_mT4_P12ihipStream_tbEUlT_E_NS1_11comp_targetILNS1_3genE10ELNS1_11target_archE1200ELNS1_3gpuE4ELNS1_3repE0EEENS1_30default_config_static_selectorELNS0_4arch9wavefront6targetE0EEEvT1_,comdat
	.protected	_ZN7rocprim17ROCPRIM_400000_NS6detail17trampoline_kernelINS0_14default_configENS1_25transform_config_selectorIiLb0EEEZNS1_14transform_implILb0ES3_S5_PiN6thrust23THRUST_200600_302600_NS6detail15normal_iteratorINS9_10device_ptrIiEEEENS0_8identityIiEEEE10hipError_tT2_T3_mT4_P12ihipStream_tbEUlT_E_NS1_11comp_targetILNS1_3genE10ELNS1_11target_archE1200ELNS1_3gpuE4ELNS1_3repE0EEENS1_30default_config_static_selectorELNS0_4arch9wavefront6targetE0EEEvT1_ ; -- Begin function _ZN7rocprim17ROCPRIM_400000_NS6detail17trampoline_kernelINS0_14default_configENS1_25transform_config_selectorIiLb0EEEZNS1_14transform_implILb0ES3_S5_PiN6thrust23THRUST_200600_302600_NS6detail15normal_iteratorINS9_10device_ptrIiEEEENS0_8identityIiEEEE10hipError_tT2_T3_mT4_P12ihipStream_tbEUlT_E_NS1_11comp_targetILNS1_3genE10ELNS1_11target_archE1200ELNS1_3gpuE4ELNS1_3repE0EEENS1_30default_config_static_selectorELNS0_4arch9wavefront6targetE0EEEvT1_
	.globl	_ZN7rocprim17ROCPRIM_400000_NS6detail17trampoline_kernelINS0_14default_configENS1_25transform_config_selectorIiLb0EEEZNS1_14transform_implILb0ES3_S5_PiN6thrust23THRUST_200600_302600_NS6detail15normal_iteratorINS9_10device_ptrIiEEEENS0_8identityIiEEEE10hipError_tT2_T3_mT4_P12ihipStream_tbEUlT_E_NS1_11comp_targetILNS1_3genE10ELNS1_11target_archE1200ELNS1_3gpuE4ELNS1_3repE0EEENS1_30default_config_static_selectorELNS0_4arch9wavefront6targetE0EEEvT1_
	.p2align	8
	.type	_ZN7rocprim17ROCPRIM_400000_NS6detail17trampoline_kernelINS0_14default_configENS1_25transform_config_selectorIiLb0EEEZNS1_14transform_implILb0ES3_S5_PiN6thrust23THRUST_200600_302600_NS6detail15normal_iteratorINS9_10device_ptrIiEEEENS0_8identityIiEEEE10hipError_tT2_T3_mT4_P12ihipStream_tbEUlT_E_NS1_11comp_targetILNS1_3genE10ELNS1_11target_archE1200ELNS1_3gpuE4ELNS1_3repE0EEENS1_30default_config_static_selectorELNS0_4arch9wavefront6targetE0EEEvT1_,@function
_ZN7rocprim17ROCPRIM_400000_NS6detail17trampoline_kernelINS0_14default_configENS1_25transform_config_selectorIiLb0EEEZNS1_14transform_implILb0ES3_S5_PiN6thrust23THRUST_200600_302600_NS6detail15normal_iteratorINS9_10device_ptrIiEEEENS0_8identityIiEEEE10hipError_tT2_T3_mT4_P12ihipStream_tbEUlT_E_NS1_11comp_targetILNS1_3genE10ELNS1_11target_archE1200ELNS1_3gpuE4ELNS1_3repE0EEENS1_30default_config_static_selectorELNS0_4arch9wavefront6targetE0EEEvT1_: ; @_ZN7rocprim17ROCPRIM_400000_NS6detail17trampoline_kernelINS0_14default_configENS1_25transform_config_selectorIiLb0EEEZNS1_14transform_implILb0ES3_S5_PiN6thrust23THRUST_200600_302600_NS6detail15normal_iteratorINS9_10device_ptrIiEEEENS0_8identityIiEEEE10hipError_tT2_T3_mT4_P12ihipStream_tbEUlT_E_NS1_11comp_targetILNS1_3genE10ELNS1_11target_archE1200ELNS1_3gpuE4ELNS1_3repE0EEENS1_30default_config_static_selectorELNS0_4arch9wavefront6targetE0EEEvT1_
; %bb.0:
	.section	.rodata,"a",@progbits
	.p2align	6, 0x0
	.amdhsa_kernel _ZN7rocprim17ROCPRIM_400000_NS6detail17trampoline_kernelINS0_14default_configENS1_25transform_config_selectorIiLb0EEEZNS1_14transform_implILb0ES3_S5_PiN6thrust23THRUST_200600_302600_NS6detail15normal_iteratorINS9_10device_ptrIiEEEENS0_8identityIiEEEE10hipError_tT2_T3_mT4_P12ihipStream_tbEUlT_E_NS1_11comp_targetILNS1_3genE10ELNS1_11target_archE1200ELNS1_3gpuE4ELNS1_3repE0EEENS1_30default_config_static_selectorELNS0_4arch9wavefront6targetE0EEEvT1_
		.amdhsa_group_segment_fixed_size 0
		.amdhsa_private_segment_fixed_size 0
		.amdhsa_kernarg_size 40
		.amdhsa_user_sgpr_count 6
		.amdhsa_user_sgpr_private_segment_buffer 1
		.amdhsa_user_sgpr_dispatch_ptr 0
		.amdhsa_user_sgpr_queue_ptr 0
		.amdhsa_user_sgpr_kernarg_segment_ptr 1
		.amdhsa_user_sgpr_dispatch_id 0
		.amdhsa_user_sgpr_flat_scratch_init 0
		.amdhsa_user_sgpr_private_segment_size 0
		.amdhsa_wavefront_size32 1
		.amdhsa_uses_dynamic_stack 0
		.amdhsa_system_sgpr_private_segment_wavefront_offset 0
		.amdhsa_system_sgpr_workgroup_id_x 1
		.amdhsa_system_sgpr_workgroup_id_y 0
		.amdhsa_system_sgpr_workgroup_id_z 0
		.amdhsa_system_sgpr_workgroup_info 0
		.amdhsa_system_vgpr_workitem_id 0
		.amdhsa_next_free_vgpr 1
		.amdhsa_next_free_sgpr 1
		.amdhsa_reserve_vcc 0
		.amdhsa_reserve_flat_scratch 0
		.amdhsa_float_round_mode_32 0
		.amdhsa_float_round_mode_16_64 0
		.amdhsa_float_denorm_mode_32 3
		.amdhsa_float_denorm_mode_16_64 3
		.amdhsa_dx10_clamp 1
		.amdhsa_ieee_mode 1
		.amdhsa_fp16_overflow 0
		.amdhsa_workgroup_processor_mode 1
		.amdhsa_memory_ordered 1
		.amdhsa_forward_progress 1
		.amdhsa_shared_vgpr_count 0
		.amdhsa_exception_fp_ieee_invalid_op 0
		.amdhsa_exception_fp_denorm_src 0
		.amdhsa_exception_fp_ieee_div_zero 0
		.amdhsa_exception_fp_ieee_overflow 0
		.amdhsa_exception_fp_ieee_underflow 0
		.amdhsa_exception_fp_ieee_inexact 0
		.amdhsa_exception_int_div_zero 0
	.end_amdhsa_kernel
	.section	.text._ZN7rocprim17ROCPRIM_400000_NS6detail17trampoline_kernelINS0_14default_configENS1_25transform_config_selectorIiLb0EEEZNS1_14transform_implILb0ES3_S5_PiN6thrust23THRUST_200600_302600_NS6detail15normal_iteratorINS9_10device_ptrIiEEEENS0_8identityIiEEEE10hipError_tT2_T3_mT4_P12ihipStream_tbEUlT_E_NS1_11comp_targetILNS1_3genE10ELNS1_11target_archE1200ELNS1_3gpuE4ELNS1_3repE0EEENS1_30default_config_static_selectorELNS0_4arch9wavefront6targetE0EEEvT1_,"axG",@progbits,_ZN7rocprim17ROCPRIM_400000_NS6detail17trampoline_kernelINS0_14default_configENS1_25transform_config_selectorIiLb0EEEZNS1_14transform_implILb0ES3_S5_PiN6thrust23THRUST_200600_302600_NS6detail15normal_iteratorINS9_10device_ptrIiEEEENS0_8identityIiEEEE10hipError_tT2_T3_mT4_P12ihipStream_tbEUlT_E_NS1_11comp_targetILNS1_3genE10ELNS1_11target_archE1200ELNS1_3gpuE4ELNS1_3repE0EEENS1_30default_config_static_selectorELNS0_4arch9wavefront6targetE0EEEvT1_,comdat
.Lfunc_end73:
	.size	_ZN7rocprim17ROCPRIM_400000_NS6detail17trampoline_kernelINS0_14default_configENS1_25transform_config_selectorIiLb0EEEZNS1_14transform_implILb0ES3_S5_PiN6thrust23THRUST_200600_302600_NS6detail15normal_iteratorINS9_10device_ptrIiEEEENS0_8identityIiEEEE10hipError_tT2_T3_mT4_P12ihipStream_tbEUlT_E_NS1_11comp_targetILNS1_3genE10ELNS1_11target_archE1200ELNS1_3gpuE4ELNS1_3repE0EEENS1_30default_config_static_selectorELNS0_4arch9wavefront6targetE0EEEvT1_, .Lfunc_end73-_ZN7rocprim17ROCPRIM_400000_NS6detail17trampoline_kernelINS0_14default_configENS1_25transform_config_selectorIiLb0EEEZNS1_14transform_implILb0ES3_S5_PiN6thrust23THRUST_200600_302600_NS6detail15normal_iteratorINS9_10device_ptrIiEEEENS0_8identityIiEEEE10hipError_tT2_T3_mT4_P12ihipStream_tbEUlT_E_NS1_11comp_targetILNS1_3genE10ELNS1_11target_archE1200ELNS1_3gpuE4ELNS1_3repE0EEENS1_30default_config_static_selectorELNS0_4arch9wavefront6targetE0EEEvT1_
                                        ; -- End function
	.set _ZN7rocprim17ROCPRIM_400000_NS6detail17trampoline_kernelINS0_14default_configENS1_25transform_config_selectorIiLb0EEEZNS1_14transform_implILb0ES3_S5_PiN6thrust23THRUST_200600_302600_NS6detail15normal_iteratorINS9_10device_ptrIiEEEENS0_8identityIiEEEE10hipError_tT2_T3_mT4_P12ihipStream_tbEUlT_E_NS1_11comp_targetILNS1_3genE10ELNS1_11target_archE1200ELNS1_3gpuE4ELNS1_3repE0EEENS1_30default_config_static_selectorELNS0_4arch9wavefront6targetE0EEEvT1_.num_vgpr, 0
	.set _ZN7rocprim17ROCPRIM_400000_NS6detail17trampoline_kernelINS0_14default_configENS1_25transform_config_selectorIiLb0EEEZNS1_14transform_implILb0ES3_S5_PiN6thrust23THRUST_200600_302600_NS6detail15normal_iteratorINS9_10device_ptrIiEEEENS0_8identityIiEEEE10hipError_tT2_T3_mT4_P12ihipStream_tbEUlT_E_NS1_11comp_targetILNS1_3genE10ELNS1_11target_archE1200ELNS1_3gpuE4ELNS1_3repE0EEENS1_30default_config_static_selectorELNS0_4arch9wavefront6targetE0EEEvT1_.num_agpr, 0
	.set _ZN7rocprim17ROCPRIM_400000_NS6detail17trampoline_kernelINS0_14default_configENS1_25transform_config_selectorIiLb0EEEZNS1_14transform_implILb0ES3_S5_PiN6thrust23THRUST_200600_302600_NS6detail15normal_iteratorINS9_10device_ptrIiEEEENS0_8identityIiEEEE10hipError_tT2_T3_mT4_P12ihipStream_tbEUlT_E_NS1_11comp_targetILNS1_3genE10ELNS1_11target_archE1200ELNS1_3gpuE4ELNS1_3repE0EEENS1_30default_config_static_selectorELNS0_4arch9wavefront6targetE0EEEvT1_.numbered_sgpr, 0
	.set _ZN7rocprim17ROCPRIM_400000_NS6detail17trampoline_kernelINS0_14default_configENS1_25transform_config_selectorIiLb0EEEZNS1_14transform_implILb0ES3_S5_PiN6thrust23THRUST_200600_302600_NS6detail15normal_iteratorINS9_10device_ptrIiEEEENS0_8identityIiEEEE10hipError_tT2_T3_mT4_P12ihipStream_tbEUlT_E_NS1_11comp_targetILNS1_3genE10ELNS1_11target_archE1200ELNS1_3gpuE4ELNS1_3repE0EEENS1_30default_config_static_selectorELNS0_4arch9wavefront6targetE0EEEvT1_.num_named_barrier, 0
	.set _ZN7rocprim17ROCPRIM_400000_NS6detail17trampoline_kernelINS0_14default_configENS1_25transform_config_selectorIiLb0EEEZNS1_14transform_implILb0ES3_S5_PiN6thrust23THRUST_200600_302600_NS6detail15normal_iteratorINS9_10device_ptrIiEEEENS0_8identityIiEEEE10hipError_tT2_T3_mT4_P12ihipStream_tbEUlT_E_NS1_11comp_targetILNS1_3genE10ELNS1_11target_archE1200ELNS1_3gpuE4ELNS1_3repE0EEENS1_30default_config_static_selectorELNS0_4arch9wavefront6targetE0EEEvT1_.private_seg_size, 0
	.set _ZN7rocprim17ROCPRIM_400000_NS6detail17trampoline_kernelINS0_14default_configENS1_25transform_config_selectorIiLb0EEEZNS1_14transform_implILb0ES3_S5_PiN6thrust23THRUST_200600_302600_NS6detail15normal_iteratorINS9_10device_ptrIiEEEENS0_8identityIiEEEE10hipError_tT2_T3_mT4_P12ihipStream_tbEUlT_E_NS1_11comp_targetILNS1_3genE10ELNS1_11target_archE1200ELNS1_3gpuE4ELNS1_3repE0EEENS1_30default_config_static_selectorELNS0_4arch9wavefront6targetE0EEEvT1_.uses_vcc, 0
	.set _ZN7rocprim17ROCPRIM_400000_NS6detail17trampoline_kernelINS0_14default_configENS1_25transform_config_selectorIiLb0EEEZNS1_14transform_implILb0ES3_S5_PiN6thrust23THRUST_200600_302600_NS6detail15normal_iteratorINS9_10device_ptrIiEEEENS0_8identityIiEEEE10hipError_tT2_T3_mT4_P12ihipStream_tbEUlT_E_NS1_11comp_targetILNS1_3genE10ELNS1_11target_archE1200ELNS1_3gpuE4ELNS1_3repE0EEENS1_30default_config_static_selectorELNS0_4arch9wavefront6targetE0EEEvT1_.uses_flat_scratch, 0
	.set _ZN7rocprim17ROCPRIM_400000_NS6detail17trampoline_kernelINS0_14default_configENS1_25transform_config_selectorIiLb0EEEZNS1_14transform_implILb0ES3_S5_PiN6thrust23THRUST_200600_302600_NS6detail15normal_iteratorINS9_10device_ptrIiEEEENS0_8identityIiEEEE10hipError_tT2_T3_mT4_P12ihipStream_tbEUlT_E_NS1_11comp_targetILNS1_3genE10ELNS1_11target_archE1200ELNS1_3gpuE4ELNS1_3repE0EEENS1_30default_config_static_selectorELNS0_4arch9wavefront6targetE0EEEvT1_.has_dyn_sized_stack, 0
	.set _ZN7rocprim17ROCPRIM_400000_NS6detail17trampoline_kernelINS0_14default_configENS1_25transform_config_selectorIiLb0EEEZNS1_14transform_implILb0ES3_S5_PiN6thrust23THRUST_200600_302600_NS6detail15normal_iteratorINS9_10device_ptrIiEEEENS0_8identityIiEEEE10hipError_tT2_T3_mT4_P12ihipStream_tbEUlT_E_NS1_11comp_targetILNS1_3genE10ELNS1_11target_archE1200ELNS1_3gpuE4ELNS1_3repE0EEENS1_30default_config_static_selectorELNS0_4arch9wavefront6targetE0EEEvT1_.has_recursion, 0
	.set _ZN7rocprim17ROCPRIM_400000_NS6detail17trampoline_kernelINS0_14default_configENS1_25transform_config_selectorIiLb0EEEZNS1_14transform_implILb0ES3_S5_PiN6thrust23THRUST_200600_302600_NS6detail15normal_iteratorINS9_10device_ptrIiEEEENS0_8identityIiEEEE10hipError_tT2_T3_mT4_P12ihipStream_tbEUlT_E_NS1_11comp_targetILNS1_3genE10ELNS1_11target_archE1200ELNS1_3gpuE4ELNS1_3repE0EEENS1_30default_config_static_selectorELNS0_4arch9wavefront6targetE0EEEvT1_.has_indirect_call, 0
	.section	.AMDGPU.csdata,"",@progbits
; Kernel info:
; codeLenInByte = 0
; TotalNumSgprs: 0
; NumVgprs: 0
; ScratchSize: 0
; MemoryBound: 0
; FloatMode: 240
; IeeeMode: 1
; LDSByteSize: 0 bytes/workgroup (compile time only)
; SGPRBlocks: 0
; VGPRBlocks: 0
; NumSGPRsForWavesPerEU: 1
; NumVGPRsForWavesPerEU: 1
; Occupancy: 16
; WaveLimiterHint : 0
; COMPUTE_PGM_RSRC2:SCRATCH_EN: 0
; COMPUTE_PGM_RSRC2:USER_SGPR: 6
; COMPUTE_PGM_RSRC2:TRAP_HANDLER: 0
; COMPUTE_PGM_RSRC2:TGID_X_EN: 1
; COMPUTE_PGM_RSRC2:TGID_Y_EN: 0
; COMPUTE_PGM_RSRC2:TGID_Z_EN: 0
; COMPUTE_PGM_RSRC2:TIDIG_COMP_CNT: 0
	.section	.text._ZN7rocprim17ROCPRIM_400000_NS6detail17trampoline_kernelINS0_14default_configENS1_25transform_config_selectorIiLb0EEEZNS1_14transform_implILb0ES3_S5_PiN6thrust23THRUST_200600_302600_NS6detail15normal_iteratorINS9_10device_ptrIiEEEENS0_8identityIiEEEE10hipError_tT2_T3_mT4_P12ihipStream_tbEUlT_E_NS1_11comp_targetILNS1_3genE9ELNS1_11target_archE1100ELNS1_3gpuE3ELNS1_3repE0EEENS1_30default_config_static_selectorELNS0_4arch9wavefront6targetE0EEEvT1_,"axG",@progbits,_ZN7rocprim17ROCPRIM_400000_NS6detail17trampoline_kernelINS0_14default_configENS1_25transform_config_selectorIiLb0EEEZNS1_14transform_implILb0ES3_S5_PiN6thrust23THRUST_200600_302600_NS6detail15normal_iteratorINS9_10device_ptrIiEEEENS0_8identityIiEEEE10hipError_tT2_T3_mT4_P12ihipStream_tbEUlT_E_NS1_11comp_targetILNS1_3genE9ELNS1_11target_archE1100ELNS1_3gpuE3ELNS1_3repE0EEENS1_30default_config_static_selectorELNS0_4arch9wavefront6targetE0EEEvT1_,comdat
	.protected	_ZN7rocprim17ROCPRIM_400000_NS6detail17trampoline_kernelINS0_14default_configENS1_25transform_config_selectorIiLb0EEEZNS1_14transform_implILb0ES3_S5_PiN6thrust23THRUST_200600_302600_NS6detail15normal_iteratorINS9_10device_ptrIiEEEENS0_8identityIiEEEE10hipError_tT2_T3_mT4_P12ihipStream_tbEUlT_E_NS1_11comp_targetILNS1_3genE9ELNS1_11target_archE1100ELNS1_3gpuE3ELNS1_3repE0EEENS1_30default_config_static_selectorELNS0_4arch9wavefront6targetE0EEEvT1_ ; -- Begin function _ZN7rocprim17ROCPRIM_400000_NS6detail17trampoline_kernelINS0_14default_configENS1_25transform_config_selectorIiLb0EEEZNS1_14transform_implILb0ES3_S5_PiN6thrust23THRUST_200600_302600_NS6detail15normal_iteratorINS9_10device_ptrIiEEEENS0_8identityIiEEEE10hipError_tT2_T3_mT4_P12ihipStream_tbEUlT_E_NS1_11comp_targetILNS1_3genE9ELNS1_11target_archE1100ELNS1_3gpuE3ELNS1_3repE0EEENS1_30default_config_static_selectorELNS0_4arch9wavefront6targetE0EEEvT1_
	.globl	_ZN7rocprim17ROCPRIM_400000_NS6detail17trampoline_kernelINS0_14default_configENS1_25transform_config_selectorIiLb0EEEZNS1_14transform_implILb0ES3_S5_PiN6thrust23THRUST_200600_302600_NS6detail15normal_iteratorINS9_10device_ptrIiEEEENS0_8identityIiEEEE10hipError_tT2_T3_mT4_P12ihipStream_tbEUlT_E_NS1_11comp_targetILNS1_3genE9ELNS1_11target_archE1100ELNS1_3gpuE3ELNS1_3repE0EEENS1_30default_config_static_selectorELNS0_4arch9wavefront6targetE0EEEvT1_
	.p2align	8
	.type	_ZN7rocprim17ROCPRIM_400000_NS6detail17trampoline_kernelINS0_14default_configENS1_25transform_config_selectorIiLb0EEEZNS1_14transform_implILb0ES3_S5_PiN6thrust23THRUST_200600_302600_NS6detail15normal_iteratorINS9_10device_ptrIiEEEENS0_8identityIiEEEE10hipError_tT2_T3_mT4_P12ihipStream_tbEUlT_E_NS1_11comp_targetILNS1_3genE9ELNS1_11target_archE1100ELNS1_3gpuE3ELNS1_3repE0EEENS1_30default_config_static_selectorELNS0_4arch9wavefront6targetE0EEEvT1_,@function
_ZN7rocprim17ROCPRIM_400000_NS6detail17trampoline_kernelINS0_14default_configENS1_25transform_config_selectorIiLb0EEEZNS1_14transform_implILb0ES3_S5_PiN6thrust23THRUST_200600_302600_NS6detail15normal_iteratorINS9_10device_ptrIiEEEENS0_8identityIiEEEE10hipError_tT2_T3_mT4_P12ihipStream_tbEUlT_E_NS1_11comp_targetILNS1_3genE9ELNS1_11target_archE1100ELNS1_3gpuE3ELNS1_3repE0EEENS1_30default_config_static_selectorELNS0_4arch9wavefront6targetE0EEEvT1_: ; @_ZN7rocprim17ROCPRIM_400000_NS6detail17trampoline_kernelINS0_14default_configENS1_25transform_config_selectorIiLb0EEEZNS1_14transform_implILb0ES3_S5_PiN6thrust23THRUST_200600_302600_NS6detail15normal_iteratorINS9_10device_ptrIiEEEENS0_8identityIiEEEE10hipError_tT2_T3_mT4_P12ihipStream_tbEUlT_E_NS1_11comp_targetILNS1_3genE9ELNS1_11target_archE1100ELNS1_3gpuE3ELNS1_3repE0EEENS1_30default_config_static_selectorELNS0_4arch9wavefront6targetE0EEEvT1_
; %bb.0:
	.section	.rodata,"a",@progbits
	.p2align	6, 0x0
	.amdhsa_kernel _ZN7rocprim17ROCPRIM_400000_NS6detail17trampoline_kernelINS0_14default_configENS1_25transform_config_selectorIiLb0EEEZNS1_14transform_implILb0ES3_S5_PiN6thrust23THRUST_200600_302600_NS6detail15normal_iteratorINS9_10device_ptrIiEEEENS0_8identityIiEEEE10hipError_tT2_T3_mT4_P12ihipStream_tbEUlT_E_NS1_11comp_targetILNS1_3genE9ELNS1_11target_archE1100ELNS1_3gpuE3ELNS1_3repE0EEENS1_30default_config_static_selectorELNS0_4arch9wavefront6targetE0EEEvT1_
		.amdhsa_group_segment_fixed_size 0
		.amdhsa_private_segment_fixed_size 0
		.amdhsa_kernarg_size 40
		.amdhsa_user_sgpr_count 6
		.amdhsa_user_sgpr_private_segment_buffer 1
		.amdhsa_user_sgpr_dispatch_ptr 0
		.amdhsa_user_sgpr_queue_ptr 0
		.amdhsa_user_sgpr_kernarg_segment_ptr 1
		.amdhsa_user_sgpr_dispatch_id 0
		.amdhsa_user_sgpr_flat_scratch_init 0
		.amdhsa_user_sgpr_private_segment_size 0
		.amdhsa_wavefront_size32 1
		.amdhsa_uses_dynamic_stack 0
		.amdhsa_system_sgpr_private_segment_wavefront_offset 0
		.amdhsa_system_sgpr_workgroup_id_x 1
		.amdhsa_system_sgpr_workgroup_id_y 0
		.amdhsa_system_sgpr_workgroup_id_z 0
		.amdhsa_system_sgpr_workgroup_info 0
		.amdhsa_system_vgpr_workitem_id 0
		.amdhsa_next_free_vgpr 1
		.amdhsa_next_free_sgpr 1
		.amdhsa_reserve_vcc 0
		.amdhsa_reserve_flat_scratch 0
		.amdhsa_float_round_mode_32 0
		.amdhsa_float_round_mode_16_64 0
		.amdhsa_float_denorm_mode_32 3
		.amdhsa_float_denorm_mode_16_64 3
		.amdhsa_dx10_clamp 1
		.amdhsa_ieee_mode 1
		.amdhsa_fp16_overflow 0
		.amdhsa_workgroup_processor_mode 1
		.amdhsa_memory_ordered 1
		.amdhsa_forward_progress 1
		.amdhsa_shared_vgpr_count 0
		.amdhsa_exception_fp_ieee_invalid_op 0
		.amdhsa_exception_fp_denorm_src 0
		.amdhsa_exception_fp_ieee_div_zero 0
		.amdhsa_exception_fp_ieee_overflow 0
		.amdhsa_exception_fp_ieee_underflow 0
		.amdhsa_exception_fp_ieee_inexact 0
		.amdhsa_exception_int_div_zero 0
	.end_amdhsa_kernel
	.section	.text._ZN7rocprim17ROCPRIM_400000_NS6detail17trampoline_kernelINS0_14default_configENS1_25transform_config_selectorIiLb0EEEZNS1_14transform_implILb0ES3_S5_PiN6thrust23THRUST_200600_302600_NS6detail15normal_iteratorINS9_10device_ptrIiEEEENS0_8identityIiEEEE10hipError_tT2_T3_mT4_P12ihipStream_tbEUlT_E_NS1_11comp_targetILNS1_3genE9ELNS1_11target_archE1100ELNS1_3gpuE3ELNS1_3repE0EEENS1_30default_config_static_selectorELNS0_4arch9wavefront6targetE0EEEvT1_,"axG",@progbits,_ZN7rocprim17ROCPRIM_400000_NS6detail17trampoline_kernelINS0_14default_configENS1_25transform_config_selectorIiLb0EEEZNS1_14transform_implILb0ES3_S5_PiN6thrust23THRUST_200600_302600_NS6detail15normal_iteratorINS9_10device_ptrIiEEEENS0_8identityIiEEEE10hipError_tT2_T3_mT4_P12ihipStream_tbEUlT_E_NS1_11comp_targetILNS1_3genE9ELNS1_11target_archE1100ELNS1_3gpuE3ELNS1_3repE0EEENS1_30default_config_static_selectorELNS0_4arch9wavefront6targetE0EEEvT1_,comdat
.Lfunc_end74:
	.size	_ZN7rocprim17ROCPRIM_400000_NS6detail17trampoline_kernelINS0_14default_configENS1_25transform_config_selectorIiLb0EEEZNS1_14transform_implILb0ES3_S5_PiN6thrust23THRUST_200600_302600_NS6detail15normal_iteratorINS9_10device_ptrIiEEEENS0_8identityIiEEEE10hipError_tT2_T3_mT4_P12ihipStream_tbEUlT_E_NS1_11comp_targetILNS1_3genE9ELNS1_11target_archE1100ELNS1_3gpuE3ELNS1_3repE0EEENS1_30default_config_static_selectorELNS0_4arch9wavefront6targetE0EEEvT1_, .Lfunc_end74-_ZN7rocprim17ROCPRIM_400000_NS6detail17trampoline_kernelINS0_14default_configENS1_25transform_config_selectorIiLb0EEEZNS1_14transform_implILb0ES3_S5_PiN6thrust23THRUST_200600_302600_NS6detail15normal_iteratorINS9_10device_ptrIiEEEENS0_8identityIiEEEE10hipError_tT2_T3_mT4_P12ihipStream_tbEUlT_E_NS1_11comp_targetILNS1_3genE9ELNS1_11target_archE1100ELNS1_3gpuE3ELNS1_3repE0EEENS1_30default_config_static_selectorELNS0_4arch9wavefront6targetE0EEEvT1_
                                        ; -- End function
	.set _ZN7rocprim17ROCPRIM_400000_NS6detail17trampoline_kernelINS0_14default_configENS1_25transform_config_selectorIiLb0EEEZNS1_14transform_implILb0ES3_S5_PiN6thrust23THRUST_200600_302600_NS6detail15normal_iteratorINS9_10device_ptrIiEEEENS0_8identityIiEEEE10hipError_tT2_T3_mT4_P12ihipStream_tbEUlT_E_NS1_11comp_targetILNS1_3genE9ELNS1_11target_archE1100ELNS1_3gpuE3ELNS1_3repE0EEENS1_30default_config_static_selectorELNS0_4arch9wavefront6targetE0EEEvT1_.num_vgpr, 0
	.set _ZN7rocprim17ROCPRIM_400000_NS6detail17trampoline_kernelINS0_14default_configENS1_25transform_config_selectorIiLb0EEEZNS1_14transform_implILb0ES3_S5_PiN6thrust23THRUST_200600_302600_NS6detail15normal_iteratorINS9_10device_ptrIiEEEENS0_8identityIiEEEE10hipError_tT2_T3_mT4_P12ihipStream_tbEUlT_E_NS1_11comp_targetILNS1_3genE9ELNS1_11target_archE1100ELNS1_3gpuE3ELNS1_3repE0EEENS1_30default_config_static_selectorELNS0_4arch9wavefront6targetE0EEEvT1_.num_agpr, 0
	.set _ZN7rocprim17ROCPRIM_400000_NS6detail17trampoline_kernelINS0_14default_configENS1_25transform_config_selectorIiLb0EEEZNS1_14transform_implILb0ES3_S5_PiN6thrust23THRUST_200600_302600_NS6detail15normal_iteratorINS9_10device_ptrIiEEEENS0_8identityIiEEEE10hipError_tT2_T3_mT4_P12ihipStream_tbEUlT_E_NS1_11comp_targetILNS1_3genE9ELNS1_11target_archE1100ELNS1_3gpuE3ELNS1_3repE0EEENS1_30default_config_static_selectorELNS0_4arch9wavefront6targetE0EEEvT1_.numbered_sgpr, 0
	.set _ZN7rocprim17ROCPRIM_400000_NS6detail17trampoline_kernelINS0_14default_configENS1_25transform_config_selectorIiLb0EEEZNS1_14transform_implILb0ES3_S5_PiN6thrust23THRUST_200600_302600_NS6detail15normal_iteratorINS9_10device_ptrIiEEEENS0_8identityIiEEEE10hipError_tT2_T3_mT4_P12ihipStream_tbEUlT_E_NS1_11comp_targetILNS1_3genE9ELNS1_11target_archE1100ELNS1_3gpuE3ELNS1_3repE0EEENS1_30default_config_static_selectorELNS0_4arch9wavefront6targetE0EEEvT1_.num_named_barrier, 0
	.set _ZN7rocprim17ROCPRIM_400000_NS6detail17trampoline_kernelINS0_14default_configENS1_25transform_config_selectorIiLb0EEEZNS1_14transform_implILb0ES3_S5_PiN6thrust23THRUST_200600_302600_NS6detail15normal_iteratorINS9_10device_ptrIiEEEENS0_8identityIiEEEE10hipError_tT2_T3_mT4_P12ihipStream_tbEUlT_E_NS1_11comp_targetILNS1_3genE9ELNS1_11target_archE1100ELNS1_3gpuE3ELNS1_3repE0EEENS1_30default_config_static_selectorELNS0_4arch9wavefront6targetE0EEEvT1_.private_seg_size, 0
	.set _ZN7rocprim17ROCPRIM_400000_NS6detail17trampoline_kernelINS0_14default_configENS1_25transform_config_selectorIiLb0EEEZNS1_14transform_implILb0ES3_S5_PiN6thrust23THRUST_200600_302600_NS6detail15normal_iteratorINS9_10device_ptrIiEEEENS0_8identityIiEEEE10hipError_tT2_T3_mT4_P12ihipStream_tbEUlT_E_NS1_11comp_targetILNS1_3genE9ELNS1_11target_archE1100ELNS1_3gpuE3ELNS1_3repE0EEENS1_30default_config_static_selectorELNS0_4arch9wavefront6targetE0EEEvT1_.uses_vcc, 0
	.set _ZN7rocprim17ROCPRIM_400000_NS6detail17trampoline_kernelINS0_14default_configENS1_25transform_config_selectorIiLb0EEEZNS1_14transform_implILb0ES3_S5_PiN6thrust23THRUST_200600_302600_NS6detail15normal_iteratorINS9_10device_ptrIiEEEENS0_8identityIiEEEE10hipError_tT2_T3_mT4_P12ihipStream_tbEUlT_E_NS1_11comp_targetILNS1_3genE9ELNS1_11target_archE1100ELNS1_3gpuE3ELNS1_3repE0EEENS1_30default_config_static_selectorELNS0_4arch9wavefront6targetE0EEEvT1_.uses_flat_scratch, 0
	.set _ZN7rocprim17ROCPRIM_400000_NS6detail17trampoline_kernelINS0_14default_configENS1_25transform_config_selectorIiLb0EEEZNS1_14transform_implILb0ES3_S5_PiN6thrust23THRUST_200600_302600_NS6detail15normal_iteratorINS9_10device_ptrIiEEEENS0_8identityIiEEEE10hipError_tT2_T3_mT4_P12ihipStream_tbEUlT_E_NS1_11comp_targetILNS1_3genE9ELNS1_11target_archE1100ELNS1_3gpuE3ELNS1_3repE0EEENS1_30default_config_static_selectorELNS0_4arch9wavefront6targetE0EEEvT1_.has_dyn_sized_stack, 0
	.set _ZN7rocprim17ROCPRIM_400000_NS6detail17trampoline_kernelINS0_14default_configENS1_25transform_config_selectorIiLb0EEEZNS1_14transform_implILb0ES3_S5_PiN6thrust23THRUST_200600_302600_NS6detail15normal_iteratorINS9_10device_ptrIiEEEENS0_8identityIiEEEE10hipError_tT2_T3_mT4_P12ihipStream_tbEUlT_E_NS1_11comp_targetILNS1_3genE9ELNS1_11target_archE1100ELNS1_3gpuE3ELNS1_3repE0EEENS1_30default_config_static_selectorELNS0_4arch9wavefront6targetE0EEEvT1_.has_recursion, 0
	.set _ZN7rocprim17ROCPRIM_400000_NS6detail17trampoline_kernelINS0_14default_configENS1_25transform_config_selectorIiLb0EEEZNS1_14transform_implILb0ES3_S5_PiN6thrust23THRUST_200600_302600_NS6detail15normal_iteratorINS9_10device_ptrIiEEEENS0_8identityIiEEEE10hipError_tT2_T3_mT4_P12ihipStream_tbEUlT_E_NS1_11comp_targetILNS1_3genE9ELNS1_11target_archE1100ELNS1_3gpuE3ELNS1_3repE0EEENS1_30default_config_static_selectorELNS0_4arch9wavefront6targetE0EEEvT1_.has_indirect_call, 0
	.section	.AMDGPU.csdata,"",@progbits
; Kernel info:
; codeLenInByte = 0
; TotalNumSgprs: 0
; NumVgprs: 0
; ScratchSize: 0
; MemoryBound: 0
; FloatMode: 240
; IeeeMode: 1
; LDSByteSize: 0 bytes/workgroup (compile time only)
; SGPRBlocks: 0
; VGPRBlocks: 0
; NumSGPRsForWavesPerEU: 1
; NumVGPRsForWavesPerEU: 1
; Occupancy: 16
; WaveLimiterHint : 0
; COMPUTE_PGM_RSRC2:SCRATCH_EN: 0
; COMPUTE_PGM_RSRC2:USER_SGPR: 6
; COMPUTE_PGM_RSRC2:TRAP_HANDLER: 0
; COMPUTE_PGM_RSRC2:TGID_X_EN: 1
; COMPUTE_PGM_RSRC2:TGID_Y_EN: 0
; COMPUTE_PGM_RSRC2:TGID_Z_EN: 0
; COMPUTE_PGM_RSRC2:TIDIG_COMP_CNT: 0
	.section	.text._ZN7rocprim17ROCPRIM_400000_NS6detail17trampoline_kernelINS0_14default_configENS1_25transform_config_selectorIiLb0EEEZNS1_14transform_implILb0ES3_S5_PiN6thrust23THRUST_200600_302600_NS6detail15normal_iteratorINS9_10device_ptrIiEEEENS0_8identityIiEEEE10hipError_tT2_T3_mT4_P12ihipStream_tbEUlT_E_NS1_11comp_targetILNS1_3genE8ELNS1_11target_archE1030ELNS1_3gpuE2ELNS1_3repE0EEENS1_30default_config_static_selectorELNS0_4arch9wavefront6targetE0EEEvT1_,"axG",@progbits,_ZN7rocprim17ROCPRIM_400000_NS6detail17trampoline_kernelINS0_14default_configENS1_25transform_config_selectorIiLb0EEEZNS1_14transform_implILb0ES3_S5_PiN6thrust23THRUST_200600_302600_NS6detail15normal_iteratorINS9_10device_ptrIiEEEENS0_8identityIiEEEE10hipError_tT2_T3_mT4_P12ihipStream_tbEUlT_E_NS1_11comp_targetILNS1_3genE8ELNS1_11target_archE1030ELNS1_3gpuE2ELNS1_3repE0EEENS1_30default_config_static_selectorELNS0_4arch9wavefront6targetE0EEEvT1_,comdat
	.protected	_ZN7rocprim17ROCPRIM_400000_NS6detail17trampoline_kernelINS0_14default_configENS1_25transform_config_selectorIiLb0EEEZNS1_14transform_implILb0ES3_S5_PiN6thrust23THRUST_200600_302600_NS6detail15normal_iteratorINS9_10device_ptrIiEEEENS0_8identityIiEEEE10hipError_tT2_T3_mT4_P12ihipStream_tbEUlT_E_NS1_11comp_targetILNS1_3genE8ELNS1_11target_archE1030ELNS1_3gpuE2ELNS1_3repE0EEENS1_30default_config_static_selectorELNS0_4arch9wavefront6targetE0EEEvT1_ ; -- Begin function _ZN7rocprim17ROCPRIM_400000_NS6detail17trampoline_kernelINS0_14default_configENS1_25transform_config_selectorIiLb0EEEZNS1_14transform_implILb0ES3_S5_PiN6thrust23THRUST_200600_302600_NS6detail15normal_iteratorINS9_10device_ptrIiEEEENS0_8identityIiEEEE10hipError_tT2_T3_mT4_P12ihipStream_tbEUlT_E_NS1_11comp_targetILNS1_3genE8ELNS1_11target_archE1030ELNS1_3gpuE2ELNS1_3repE0EEENS1_30default_config_static_selectorELNS0_4arch9wavefront6targetE0EEEvT1_
	.globl	_ZN7rocprim17ROCPRIM_400000_NS6detail17trampoline_kernelINS0_14default_configENS1_25transform_config_selectorIiLb0EEEZNS1_14transform_implILb0ES3_S5_PiN6thrust23THRUST_200600_302600_NS6detail15normal_iteratorINS9_10device_ptrIiEEEENS0_8identityIiEEEE10hipError_tT2_T3_mT4_P12ihipStream_tbEUlT_E_NS1_11comp_targetILNS1_3genE8ELNS1_11target_archE1030ELNS1_3gpuE2ELNS1_3repE0EEENS1_30default_config_static_selectorELNS0_4arch9wavefront6targetE0EEEvT1_
	.p2align	8
	.type	_ZN7rocprim17ROCPRIM_400000_NS6detail17trampoline_kernelINS0_14default_configENS1_25transform_config_selectorIiLb0EEEZNS1_14transform_implILb0ES3_S5_PiN6thrust23THRUST_200600_302600_NS6detail15normal_iteratorINS9_10device_ptrIiEEEENS0_8identityIiEEEE10hipError_tT2_T3_mT4_P12ihipStream_tbEUlT_E_NS1_11comp_targetILNS1_3genE8ELNS1_11target_archE1030ELNS1_3gpuE2ELNS1_3repE0EEENS1_30default_config_static_selectorELNS0_4arch9wavefront6targetE0EEEvT1_,@function
_ZN7rocprim17ROCPRIM_400000_NS6detail17trampoline_kernelINS0_14default_configENS1_25transform_config_selectorIiLb0EEEZNS1_14transform_implILb0ES3_S5_PiN6thrust23THRUST_200600_302600_NS6detail15normal_iteratorINS9_10device_ptrIiEEEENS0_8identityIiEEEE10hipError_tT2_T3_mT4_P12ihipStream_tbEUlT_E_NS1_11comp_targetILNS1_3genE8ELNS1_11target_archE1030ELNS1_3gpuE2ELNS1_3repE0EEENS1_30default_config_static_selectorELNS0_4arch9wavefront6targetE0EEEvT1_: ; @_ZN7rocprim17ROCPRIM_400000_NS6detail17trampoline_kernelINS0_14default_configENS1_25transform_config_selectorIiLb0EEEZNS1_14transform_implILb0ES3_S5_PiN6thrust23THRUST_200600_302600_NS6detail15normal_iteratorINS9_10device_ptrIiEEEENS0_8identityIiEEEE10hipError_tT2_T3_mT4_P12ihipStream_tbEUlT_E_NS1_11comp_targetILNS1_3genE8ELNS1_11target_archE1030ELNS1_3gpuE2ELNS1_3repE0EEENS1_30default_config_static_selectorELNS0_4arch9wavefront6targetE0EEEvT1_
; %bb.0:
	s_clause 0x1
	s_load_dword s0, s[4:5], 0x28
	s_load_dword s1, s[4:5], 0x10
	s_waitcnt lgkmcnt(0)
	s_add_i32 s2, s0, -1
	s_lshl_b32 s0, s6, 8
	s_cmp_lg_u32 s6, s2
	s_cselect_b32 s2, -1, 0
	s_sub_i32 s1, s1, s0
	v_cmp_gt_u32_e32 vcc_lo, s1, v0
	s_or_b32 s1, vcc_lo, s2
	s_and_saveexec_b32 s2, s1
	s_cbranch_execz .LBB75_2
; %bb.1:
	s_clause 0x1
	s_load_dwordx4 s[8:11], s[4:5], 0x0
	s_load_dwordx2 s[2:3], s[4:5], 0x18
	s_mov_b32 s1, 0
	v_lshlrev_b32_e32 v0, 2, v0
	s_waitcnt lgkmcnt(0)
	s_lshl_b64 s[4:5], s[10:11], 2
	s_add_u32 s6, s8, s4
	s_addc_u32 s7, s9, s5
	s_lshl_b64 s[0:1], s[0:1], 2
	s_add_u32 s6, s6, s0
	s_addc_u32 s7, s7, s1
	s_add_u32 s2, s2, s4
	global_load_dword v2, v0, s[6:7]
	s_addc_u32 s3, s3, s5
	s_add_u32 s0, s2, s0
	s_addc_u32 s1, s3, s1
	v_add_co_u32 v0, s0, s0, v0
	v_add_co_ci_u32_e64 v1, null, s1, 0, s0
	s_waitcnt vmcnt(0)
	flat_store_dword v[0:1], v2
.LBB75_2:
	s_endpgm
	.section	.rodata,"a",@progbits
	.p2align	6, 0x0
	.amdhsa_kernel _ZN7rocprim17ROCPRIM_400000_NS6detail17trampoline_kernelINS0_14default_configENS1_25transform_config_selectorIiLb0EEEZNS1_14transform_implILb0ES3_S5_PiN6thrust23THRUST_200600_302600_NS6detail15normal_iteratorINS9_10device_ptrIiEEEENS0_8identityIiEEEE10hipError_tT2_T3_mT4_P12ihipStream_tbEUlT_E_NS1_11comp_targetILNS1_3genE8ELNS1_11target_archE1030ELNS1_3gpuE2ELNS1_3repE0EEENS1_30default_config_static_selectorELNS0_4arch9wavefront6targetE0EEEvT1_
		.amdhsa_group_segment_fixed_size 0
		.amdhsa_private_segment_fixed_size 0
		.amdhsa_kernarg_size 296
		.amdhsa_user_sgpr_count 6
		.amdhsa_user_sgpr_private_segment_buffer 1
		.amdhsa_user_sgpr_dispatch_ptr 0
		.amdhsa_user_sgpr_queue_ptr 0
		.amdhsa_user_sgpr_kernarg_segment_ptr 1
		.amdhsa_user_sgpr_dispatch_id 0
		.amdhsa_user_sgpr_flat_scratch_init 0
		.amdhsa_user_sgpr_private_segment_size 0
		.amdhsa_wavefront_size32 1
		.amdhsa_uses_dynamic_stack 0
		.amdhsa_system_sgpr_private_segment_wavefront_offset 0
		.amdhsa_system_sgpr_workgroup_id_x 1
		.amdhsa_system_sgpr_workgroup_id_y 0
		.amdhsa_system_sgpr_workgroup_id_z 0
		.amdhsa_system_sgpr_workgroup_info 0
		.amdhsa_system_vgpr_workitem_id 0
		.amdhsa_next_free_vgpr 3
		.amdhsa_next_free_sgpr 12
		.amdhsa_reserve_vcc 1
		.amdhsa_reserve_flat_scratch 0
		.amdhsa_float_round_mode_32 0
		.amdhsa_float_round_mode_16_64 0
		.amdhsa_float_denorm_mode_32 3
		.amdhsa_float_denorm_mode_16_64 3
		.amdhsa_dx10_clamp 1
		.amdhsa_ieee_mode 1
		.amdhsa_fp16_overflow 0
		.amdhsa_workgroup_processor_mode 1
		.amdhsa_memory_ordered 1
		.amdhsa_forward_progress 1
		.amdhsa_shared_vgpr_count 0
		.amdhsa_exception_fp_ieee_invalid_op 0
		.amdhsa_exception_fp_denorm_src 0
		.amdhsa_exception_fp_ieee_div_zero 0
		.amdhsa_exception_fp_ieee_overflow 0
		.amdhsa_exception_fp_ieee_underflow 0
		.amdhsa_exception_fp_ieee_inexact 0
		.amdhsa_exception_int_div_zero 0
	.end_amdhsa_kernel
	.section	.text._ZN7rocprim17ROCPRIM_400000_NS6detail17trampoline_kernelINS0_14default_configENS1_25transform_config_selectorIiLb0EEEZNS1_14transform_implILb0ES3_S5_PiN6thrust23THRUST_200600_302600_NS6detail15normal_iteratorINS9_10device_ptrIiEEEENS0_8identityIiEEEE10hipError_tT2_T3_mT4_P12ihipStream_tbEUlT_E_NS1_11comp_targetILNS1_3genE8ELNS1_11target_archE1030ELNS1_3gpuE2ELNS1_3repE0EEENS1_30default_config_static_selectorELNS0_4arch9wavefront6targetE0EEEvT1_,"axG",@progbits,_ZN7rocprim17ROCPRIM_400000_NS6detail17trampoline_kernelINS0_14default_configENS1_25transform_config_selectorIiLb0EEEZNS1_14transform_implILb0ES3_S5_PiN6thrust23THRUST_200600_302600_NS6detail15normal_iteratorINS9_10device_ptrIiEEEENS0_8identityIiEEEE10hipError_tT2_T3_mT4_P12ihipStream_tbEUlT_E_NS1_11comp_targetILNS1_3genE8ELNS1_11target_archE1030ELNS1_3gpuE2ELNS1_3repE0EEENS1_30default_config_static_selectorELNS0_4arch9wavefront6targetE0EEEvT1_,comdat
.Lfunc_end75:
	.size	_ZN7rocprim17ROCPRIM_400000_NS6detail17trampoline_kernelINS0_14default_configENS1_25transform_config_selectorIiLb0EEEZNS1_14transform_implILb0ES3_S5_PiN6thrust23THRUST_200600_302600_NS6detail15normal_iteratorINS9_10device_ptrIiEEEENS0_8identityIiEEEE10hipError_tT2_T3_mT4_P12ihipStream_tbEUlT_E_NS1_11comp_targetILNS1_3genE8ELNS1_11target_archE1030ELNS1_3gpuE2ELNS1_3repE0EEENS1_30default_config_static_selectorELNS0_4arch9wavefront6targetE0EEEvT1_, .Lfunc_end75-_ZN7rocprim17ROCPRIM_400000_NS6detail17trampoline_kernelINS0_14default_configENS1_25transform_config_selectorIiLb0EEEZNS1_14transform_implILb0ES3_S5_PiN6thrust23THRUST_200600_302600_NS6detail15normal_iteratorINS9_10device_ptrIiEEEENS0_8identityIiEEEE10hipError_tT2_T3_mT4_P12ihipStream_tbEUlT_E_NS1_11comp_targetILNS1_3genE8ELNS1_11target_archE1030ELNS1_3gpuE2ELNS1_3repE0EEENS1_30default_config_static_selectorELNS0_4arch9wavefront6targetE0EEEvT1_
                                        ; -- End function
	.set _ZN7rocprim17ROCPRIM_400000_NS6detail17trampoline_kernelINS0_14default_configENS1_25transform_config_selectorIiLb0EEEZNS1_14transform_implILb0ES3_S5_PiN6thrust23THRUST_200600_302600_NS6detail15normal_iteratorINS9_10device_ptrIiEEEENS0_8identityIiEEEE10hipError_tT2_T3_mT4_P12ihipStream_tbEUlT_E_NS1_11comp_targetILNS1_3genE8ELNS1_11target_archE1030ELNS1_3gpuE2ELNS1_3repE0EEENS1_30default_config_static_selectorELNS0_4arch9wavefront6targetE0EEEvT1_.num_vgpr, 3
	.set _ZN7rocprim17ROCPRIM_400000_NS6detail17trampoline_kernelINS0_14default_configENS1_25transform_config_selectorIiLb0EEEZNS1_14transform_implILb0ES3_S5_PiN6thrust23THRUST_200600_302600_NS6detail15normal_iteratorINS9_10device_ptrIiEEEENS0_8identityIiEEEE10hipError_tT2_T3_mT4_P12ihipStream_tbEUlT_E_NS1_11comp_targetILNS1_3genE8ELNS1_11target_archE1030ELNS1_3gpuE2ELNS1_3repE0EEENS1_30default_config_static_selectorELNS0_4arch9wavefront6targetE0EEEvT1_.num_agpr, 0
	.set _ZN7rocprim17ROCPRIM_400000_NS6detail17trampoline_kernelINS0_14default_configENS1_25transform_config_selectorIiLb0EEEZNS1_14transform_implILb0ES3_S5_PiN6thrust23THRUST_200600_302600_NS6detail15normal_iteratorINS9_10device_ptrIiEEEENS0_8identityIiEEEE10hipError_tT2_T3_mT4_P12ihipStream_tbEUlT_E_NS1_11comp_targetILNS1_3genE8ELNS1_11target_archE1030ELNS1_3gpuE2ELNS1_3repE0EEENS1_30default_config_static_selectorELNS0_4arch9wavefront6targetE0EEEvT1_.numbered_sgpr, 12
	.set _ZN7rocprim17ROCPRIM_400000_NS6detail17trampoline_kernelINS0_14default_configENS1_25transform_config_selectorIiLb0EEEZNS1_14transform_implILb0ES3_S5_PiN6thrust23THRUST_200600_302600_NS6detail15normal_iteratorINS9_10device_ptrIiEEEENS0_8identityIiEEEE10hipError_tT2_T3_mT4_P12ihipStream_tbEUlT_E_NS1_11comp_targetILNS1_3genE8ELNS1_11target_archE1030ELNS1_3gpuE2ELNS1_3repE0EEENS1_30default_config_static_selectorELNS0_4arch9wavefront6targetE0EEEvT1_.num_named_barrier, 0
	.set _ZN7rocprim17ROCPRIM_400000_NS6detail17trampoline_kernelINS0_14default_configENS1_25transform_config_selectorIiLb0EEEZNS1_14transform_implILb0ES3_S5_PiN6thrust23THRUST_200600_302600_NS6detail15normal_iteratorINS9_10device_ptrIiEEEENS0_8identityIiEEEE10hipError_tT2_T3_mT4_P12ihipStream_tbEUlT_E_NS1_11comp_targetILNS1_3genE8ELNS1_11target_archE1030ELNS1_3gpuE2ELNS1_3repE0EEENS1_30default_config_static_selectorELNS0_4arch9wavefront6targetE0EEEvT1_.private_seg_size, 0
	.set _ZN7rocprim17ROCPRIM_400000_NS6detail17trampoline_kernelINS0_14default_configENS1_25transform_config_selectorIiLb0EEEZNS1_14transform_implILb0ES3_S5_PiN6thrust23THRUST_200600_302600_NS6detail15normal_iteratorINS9_10device_ptrIiEEEENS0_8identityIiEEEE10hipError_tT2_T3_mT4_P12ihipStream_tbEUlT_E_NS1_11comp_targetILNS1_3genE8ELNS1_11target_archE1030ELNS1_3gpuE2ELNS1_3repE0EEENS1_30default_config_static_selectorELNS0_4arch9wavefront6targetE0EEEvT1_.uses_vcc, 1
	.set _ZN7rocprim17ROCPRIM_400000_NS6detail17trampoline_kernelINS0_14default_configENS1_25transform_config_selectorIiLb0EEEZNS1_14transform_implILb0ES3_S5_PiN6thrust23THRUST_200600_302600_NS6detail15normal_iteratorINS9_10device_ptrIiEEEENS0_8identityIiEEEE10hipError_tT2_T3_mT4_P12ihipStream_tbEUlT_E_NS1_11comp_targetILNS1_3genE8ELNS1_11target_archE1030ELNS1_3gpuE2ELNS1_3repE0EEENS1_30default_config_static_selectorELNS0_4arch9wavefront6targetE0EEEvT1_.uses_flat_scratch, 0
	.set _ZN7rocprim17ROCPRIM_400000_NS6detail17trampoline_kernelINS0_14default_configENS1_25transform_config_selectorIiLb0EEEZNS1_14transform_implILb0ES3_S5_PiN6thrust23THRUST_200600_302600_NS6detail15normal_iteratorINS9_10device_ptrIiEEEENS0_8identityIiEEEE10hipError_tT2_T3_mT4_P12ihipStream_tbEUlT_E_NS1_11comp_targetILNS1_3genE8ELNS1_11target_archE1030ELNS1_3gpuE2ELNS1_3repE0EEENS1_30default_config_static_selectorELNS0_4arch9wavefront6targetE0EEEvT1_.has_dyn_sized_stack, 0
	.set _ZN7rocprim17ROCPRIM_400000_NS6detail17trampoline_kernelINS0_14default_configENS1_25transform_config_selectorIiLb0EEEZNS1_14transform_implILb0ES3_S5_PiN6thrust23THRUST_200600_302600_NS6detail15normal_iteratorINS9_10device_ptrIiEEEENS0_8identityIiEEEE10hipError_tT2_T3_mT4_P12ihipStream_tbEUlT_E_NS1_11comp_targetILNS1_3genE8ELNS1_11target_archE1030ELNS1_3gpuE2ELNS1_3repE0EEENS1_30default_config_static_selectorELNS0_4arch9wavefront6targetE0EEEvT1_.has_recursion, 0
	.set _ZN7rocprim17ROCPRIM_400000_NS6detail17trampoline_kernelINS0_14default_configENS1_25transform_config_selectorIiLb0EEEZNS1_14transform_implILb0ES3_S5_PiN6thrust23THRUST_200600_302600_NS6detail15normal_iteratorINS9_10device_ptrIiEEEENS0_8identityIiEEEE10hipError_tT2_T3_mT4_P12ihipStream_tbEUlT_E_NS1_11comp_targetILNS1_3genE8ELNS1_11target_archE1030ELNS1_3gpuE2ELNS1_3repE0EEENS1_30default_config_static_selectorELNS0_4arch9wavefront6targetE0EEEvT1_.has_indirect_call, 0
	.section	.AMDGPU.csdata,"",@progbits
; Kernel info:
; codeLenInByte = 172
; TotalNumSgprs: 14
; NumVgprs: 3
; ScratchSize: 0
; MemoryBound: 0
; FloatMode: 240
; IeeeMode: 1
; LDSByteSize: 0 bytes/workgroup (compile time only)
; SGPRBlocks: 0
; VGPRBlocks: 0
; NumSGPRsForWavesPerEU: 14
; NumVGPRsForWavesPerEU: 3
; Occupancy: 16
; WaveLimiterHint : 0
; COMPUTE_PGM_RSRC2:SCRATCH_EN: 0
; COMPUTE_PGM_RSRC2:USER_SGPR: 6
; COMPUTE_PGM_RSRC2:TRAP_HANDLER: 0
; COMPUTE_PGM_RSRC2:TGID_X_EN: 1
; COMPUTE_PGM_RSRC2:TGID_Y_EN: 0
; COMPUTE_PGM_RSRC2:TGID_Z_EN: 0
; COMPUTE_PGM_RSRC2:TIDIG_COMP_CNT: 0
	.section	.text._ZN7rocprim17ROCPRIM_400000_NS6detail17trampoline_kernelINS0_14default_configENS1_25transform_config_selectorINS0_10empty_typeELb1EEEZNS1_14transform_implILb1ES3_S6_PS5_S8_NS0_8identityIS5_EEEE10hipError_tT2_T3_mT4_P12ihipStream_tbEUlT_E_NS1_11comp_targetILNS1_3genE0ELNS1_11target_archE4294967295ELNS1_3gpuE0ELNS1_3repE0EEENS1_30default_config_static_selectorELNS0_4arch9wavefront6targetE0EEEvT1_,"axG",@progbits,_ZN7rocprim17ROCPRIM_400000_NS6detail17trampoline_kernelINS0_14default_configENS1_25transform_config_selectorINS0_10empty_typeELb1EEEZNS1_14transform_implILb1ES3_S6_PS5_S8_NS0_8identityIS5_EEEE10hipError_tT2_T3_mT4_P12ihipStream_tbEUlT_E_NS1_11comp_targetILNS1_3genE0ELNS1_11target_archE4294967295ELNS1_3gpuE0ELNS1_3repE0EEENS1_30default_config_static_selectorELNS0_4arch9wavefront6targetE0EEEvT1_,comdat
	.protected	_ZN7rocprim17ROCPRIM_400000_NS6detail17trampoline_kernelINS0_14default_configENS1_25transform_config_selectorINS0_10empty_typeELb1EEEZNS1_14transform_implILb1ES3_S6_PS5_S8_NS0_8identityIS5_EEEE10hipError_tT2_T3_mT4_P12ihipStream_tbEUlT_E_NS1_11comp_targetILNS1_3genE0ELNS1_11target_archE4294967295ELNS1_3gpuE0ELNS1_3repE0EEENS1_30default_config_static_selectorELNS0_4arch9wavefront6targetE0EEEvT1_ ; -- Begin function _ZN7rocprim17ROCPRIM_400000_NS6detail17trampoline_kernelINS0_14default_configENS1_25transform_config_selectorINS0_10empty_typeELb1EEEZNS1_14transform_implILb1ES3_S6_PS5_S8_NS0_8identityIS5_EEEE10hipError_tT2_T3_mT4_P12ihipStream_tbEUlT_E_NS1_11comp_targetILNS1_3genE0ELNS1_11target_archE4294967295ELNS1_3gpuE0ELNS1_3repE0EEENS1_30default_config_static_selectorELNS0_4arch9wavefront6targetE0EEEvT1_
	.globl	_ZN7rocprim17ROCPRIM_400000_NS6detail17trampoline_kernelINS0_14default_configENS1_25transform_config_selectorINS0_10empty_typeELb1EEEZNS1_14transform_implILb1ES3_S6_PS5_S8_NS0_8identityIS5_EEEE10hipError_tT2_T3_mT4_P12ihipStream_tbEUlT_E_NS1_11comp_targetILNS1_3genE0ELNS1_11target_archE4294967295ELNS1_3gpuE0ELNS1_3repE0EEENS1_30default_config_static_selectorELNS0_4arch9wavefront6targetE0EEEvT1_
	.p2align	8
	.type	_ZN7rocprim17ROCPRIM_400000_NS6detail17trampoline_kernelINS0_14default_configENS1_25transform_config_selectorINS0_10empty_typeELb1EEEZNS1_14transform_implILb1ES3_S6_PS5_S8_NS0_8identityIS5_EEEE10hipError_tT2_T3_mT4_P12ihipStream_tbEUlT_E_NS1_11comp_targetILNS1_3genE0ELNS1_11target_archE4294967295ELNS1_3gpuE0ELNS1_3repE0EEENS1_30default_config_static_selectorELNS0_4arch9wavefront6targetE0EEEvT1_,@function
_ZN7rocprim17ROCPRIM_400000_NS6detail17trampoline_kernelINS0_14default_configENS1_25transform_config_selectorINS0_10empty_typeELb1EEEZNS1_14transform_implILb1ES3_S6_PS5_S8_NS0_8identityIS5_EEEE10hipError_tT2_T3_mT4_P12ihipStream_tbEUlT_E_NS1_11comp_targetILNS1_3genE0ELNS1_11target_archE4294967295ELNS1_3gpuE0ELNS1_3repE0EEENS1_30default_config_static_selectorELNS0_4arch9wavefront6targetE0EEEvT1_: ; @_ZN7rocprim17ROCPRIM_400000_NS6detail17trampoline_kernelINS0_14default_configENS1_25transform_config_selectorINS0_10empty_typeELb1EEEZNS1_14transform_implILb1ES3_S6_PS5_S8_NS0_8identityIS5_EEEE10hipError_tT2_T3_mT4_P12ihipStream_tbEUlT_E_NS1_11comp_targetILNS1_3genE0ELNS1_11target_archE4294967295ELNS1_3gpuE0ELNS1_3repE0EEENS1_30default_config_static_selectorELNS0_4arch9wavefront6targetE0EEEvT1_
; %bb.0:
	.section	.rodata,"a",@progbits
	.p2align	6, 0x0
	.amdhsa_kernel _ZN7rocprim17ROCPRIM_400000_NS6detail17trampoline_kernelINS0_14default_configENS1_25transform_config_selectorINS0_10empty_typeELb1EEEZNS1_14transform_implILb1ES3_S6_PS5_S8_NS0_8identityIS5_EEEE10hipError_tT2_T3_mT4_P12ihipStream_tbEUlT_E_NS1_11comp_targetILNS1_3genE0ELNS1_11target_archE4294967295ELNS1_3gpuE0ELNS1_3repE0EEENS1_30default_config_static_selectorELNS0_4arch9wavefront6targetE0EEEvT1_
		.amdhsa_group_segment_fixed_size 0
		.amdhsa_private_segment_fixed_size 0
		.amdhsa_kernarg_size 40
		.amdhsa_user_sgpr_count 6
		.amdhsa_user_sgpr_private_segment_buffer 1
		.amdhsa_user_sgpr_dispatch_ptr 0
		.amdhsa_user_sgpr_queue_ptr 0
		.amdhsa_user_sgpr_kernarg_segment_ptr 1
		.amdhsa_user_sgpr_dispatch_id 0
		.amdhsa_user_sgpr_flat_scratch_init 0
		.amdhsa_user_sgpr_private_segment_size 0
		.amdhsa_wavefront_size32 1
		.amdhsa_uses_dynamic_stack 0
		.amdhsa_system_sgpr_private_segment_wavefront_offset 0
		.amdhsa_system_sgpr_workgroup_id_x 1
		.amdhsa_system_sgpr_workgroup_id_y 0
		.amdhsa_system_sgpr_workgroup_id_z 0
		.amdhsa_system_sgpr_workgroup_info 0
		.amdhsa_system_vgpr_workitem_id 0
		.amdhsa_next_free_vgpr 1
		.amdhsa_next_free_sgpr 1
		.amdhsa_reserve_vcc 0
		.amdhsa_reserve_flat_scratch 0
		.amdhsa_float_round_mode_32 0
		.amdhsa_float_round_mode_16_64 0
		.amdhsa_float_denorm_mode_32 3
		.amdhsa_float_denorm_mode_16_64 3
		.amdhsa_dx10_clamp 1
		.amdhsa_ieee_mode 1
		.amdhsa_fp16_overflow 0
		.amdhsa_workgroup_processor_mode 1
		.amdhsa_memory_ordered 1
		.amdhsa_forward_progress 1
		.amdhsa_shared_vgpr_count 0
		.amdhsa_exception_fp_ieee_invalid_op 0
		.amdhsa_exception_fp_denorm_src 0
		.amdhsa_exception_fp_ieee_div_zero 0
		.amdhsa_exception_fp_ieee_overflow 0
		.amdhsa_exception_fp_ieee_underflow 0
		.amdhsa_exception_fp_ieee_inexact 0
		.amdhsa_exception_int_div_zero 0
	.end_amdhsa_kernel
	.section	.text._ZN7rocprim17ROCPRIM_400000_NS6detail17trampoline_kernelINS0_14default_configENS1_25transform_config_selectorINS0_10empty_typeELb1EEEZNS1_14transform_implILb1ES3_S6_PS5_S8_NS0_8identityIS5_EEEE10hipError_tT2_T3_mT4_P12ihipStream_tbEUlT_E_NS1_11comp_targetILNS1_3genE0ELNS1_11target_archE4294967295ELNS1_3gpuE0ELNS1_3repE0EEENS1_30default_config_static_selectorELNS0_4arch9wavefront6targetE0EEEvT1_,"axG",@progbits,_ZN7rocprim17ROCPRIM_400000_NS6detail17trampoline_kernelINS0_14default_configENS1_25transform_config_selectorINS0_10empty_typeELb1EEEZNS1_14transform_implILb1ES3_S6_PS5_S8_NS0_8identityIS5_EEEE10hipError_tT2_T3_mT4_P12ihipStream_tbEUlT_E_NS1_11comp_targetILNS1_3genE0ELNS1_11target_archE4294967295ELNS1_3gpuE0ELNS1_3repE0EEENS1_30default_config_static_selectorELNS0_4arch9wavefront6targetE0EEEvT1_,comdat
.Lfunc_end76:
	.size	_ZN7rocprim17ROCPRIM_400000_NS6detail17trampoline_kernelINS0_14default_configENS1_25transform_config_selectorINS0_10empty_typeELb1EEEZNS1_14transform_implILb1ES3_S6_PS5_S8_NS0_8identityIS5_EEEE10hipError_tT2_T3_mT4_P12ihipStream_tbEUlT_E_NS1_11comp_targetILNS1_3genE0ELNS1_11target_archE4294967295ELNS1_3gpuE0ELNS1_3repE0EEENS1_30default_config_static_selectorELNS0_4arch9wavefront6targetE0EEEvT1_, .Lfunc_end76-_ZN7rocprim17ROCPRIM_400000_NS6detail17trampoline_kernelINS0_14default_configENS1_25transform_config_selectorINS0_10empty_typeELb1EEEZNS1_14transform_implILb1ES3_S6_PS5_S8_NS0_8identityIS5_EEEE10hipError_tT2_T3_mT4_P12ihipStream_tbEUlT_E_NS1_11comp_targetILNS1_3genE0ELNS1_11target_archE4294967295ELNS1_3gpuE0ELNS1_3repE0EEENS1_30default_config_static_selectorELNS0_4arch9wavefront6targetE0EEEvT1_
                                        ; -- End function
	.set _ZN7rocprim17ROCPRIM_400000_NS6detail17trampoline_kernelINS0_14default_configENS1_25transform_config_selectorINS0_10empty_typeELb1EEEZNS1_14transform_implILb1ES3_S6_PS5_S8_NS0_8identityIS5_EEEE10hipError_tT2_T3_mT4_P12ihipStream_tbEUlT_E_NS1_11comp_targetILNS1_3genE0ELNS1_11target_archE4294967295ELNS1_3gpuE0ELNS1_3repE0EEENS1_30default_config_static_selectorELNS0_4arch9wavefront6targetE0EEEvT1_.num_vgpr, 0
	.set _ZN7rocprim17ROCPRIM_400000_NS6detail17trampoline_kernelINS0_14default_configENS1_25transform_config_selectorINS0_10empty_typeELb1EEEZNS1_14transform_implILb1ES3_S6_PS5_S8_NS0_8identityIS5_EEEE10hipError_tT2_T3_mT4_P12ihipStream_tbEUlT_E_NS1_11comp_targetILNS1_3genE0ELNS1_11target_archE4294967295ELNS1_3gpuE0ELNS1_3repE0EEENS1_30default_config_static_selectorELNS0_4arch9wavefront6targetE0EEEvT1_.num_agpr, 0
	.set _ZN7rocprim17ROCPRIM_400000_NS6detail17trampoline_kernelINS0_14default_configENS1_25transform_config_selectorINS0_10empty_typeELb1EEEZNS1_14transform_implILb1ES3_S6_PS5_S8_NS0_8identityIS5_EEEE10hipError_tT2_T3_mT4_P12ihipStream_tbEUlT_E_NS1_11comp_targetILNS1_3genE0ELNS1_11target_archE4294967295ELNS1_3gpuE0ELNS1_3repE0EEENS1_30default_config_static_selectorELNS0_4arch9wavefront6targetE0EEEvT1_.numbered_sgpr, 0
	.set _ZN7rocprim17ROCPRIM_400000_NS6detail17trampoline_kernelINS0_14default_configENS1_25transform_config_selectorINS0_10empty_typeELb1EEEZNS1_14transform_implILb1ES3_S6_PS5_S8_NS0_8identityIS5_EEEE10hipError_tT2_T3_mT4_P12ihipStream_tbEUlT_E_NS1_11comp_targetILNS1_3genE0ELNS1_11target_archE4294967295ELNS1_3gpuE0ELNS1_3repE0EEENS1_30default_config_static_selectorELNS0_4arch9wavefront6targetE0EEEvT1_.num_named_barrier, 0
	.set _ZN7rocprim17ROCPRIM_400000_NS6detail17trampoline_kernelINS0_14default_configENS1_25transform_config_selectorINS0_10empty_typeELb1EEEZNS1_14transform_implILb1ES3_S6_PS5_S8_NS0_8identityIS5_EEEE10hipError_tT2_T3_mT4_P12ihipStream_tbEUlT_E_NS1_11comp_targetILNS1_3genE0ELNS1_11target_archE4294967295ELNS1_3gpuE0ELNS1_3repE0EEENS1_30default_config_static_selectorELNS0_4arch9wavefront6targetE0EEEvT1_.private_seg_size, 0
	.set _ZN7rocprim17ROCPRIM_400000_NS6detail17trampoline_kernelINS0_14default_configENS1_25transform_config_selectorINS0_10empty_typeELb1EEEZNS1_14transform_implILb1ES3_S6_PS5_S8_NS0_8identityIS5_EEEE10hipError_tT2_T3_mT4_P12ihipStream_tbEUlT_E_NS1_11comp_targetILNS1_3genE0ELNS1_11target_archE4294967295ELNS1_3gpuE0ELNS1_3repE0EEENS1_30default_config_static_selectorELNS0_4arch9wavefront6targetE0EEEvT1_.uses_vcc, 0
	.set _ZN7rocprim17ROCPRIM_400000_NS6detail17trampoline_kernelINS0_14default_configENS1_25transform_config_selectorINS0_10empty_typeELb1EEEZNS1_14transform_implILb1ES3_S6_PS5_S8_NS0_8identityIS5_EEEE10hipError_tT2_T3_mT4_P12ihipStream_tbEUlT_E_NS1_11comp_targetILNS1_3genE0ELNS1_11target_archE4294967295ELNS1_3gpuE0ELNS1_3repE0EEENS1_30default_config_static_selectorELNS0_4arch9wavefront6targetE0EEEvT1_.uses_flat_scratch, 0
	.set _ZN7rocprim17ROCPRIM_400000_NS6detail17trampoline_kernelINS0_14default_configENS1_25transform_config_selectorINS0_10empty_typeELb1EEEZNS1_14transform_implILb1ES3_S6_PS5_S8_NS0_8identityIS5_EEEE10hipError_tT2_T3_mT4_P12ihipStream_tbEUlT_E_NS1_11comp_targetILNS1_3genE0ELNS1_11target_archE4294967295ELNS1_3gpuE0ELNS1_3repE0EEENS1_30default_config_static_selectorELNS0_4arch9wavefront6targetE0EEEvT1_.has_dyn_sized_stack, 0
	.set _ZN7rocprim17ROCPRIM_400000_NS6detail17trampoline_kernelINS0_14default_configENS1_25transform_config_selectorINS0_10empty_typeELb1EEEZNS1_14transform_implILb1ES3_S6_PS5_S8_NS0_8identityIS5_EEEE10hipError_tT2_T3_mT4_P12ihipStream_tbEUlT_E_NS1_11comp_targetILNS1_3genE0ELNS1_11target_archE4294967295ELNS1_3gpuE0ELNS1_3repE0EEENS1_30default_config_static_selectorELNS0_4arch9wavefront6targetE0EEEvT1_.has_recursion, 0
	.set _ZN7rocprim17ROCPRIM_400000_NS6detail17trampoline_kernelINS0_14default_configENS1_25transform_config_selectorINS0_10empty_typeELb1EEEZNS1_14transform_implILb1ES3_S6_PS5_S8_NS0_8identityIS5_EEEE10hipError_tT2_T3_mT4_P12ihipStream_tbEUlT_E_NS1_11comp_targetILNS1_3genE0ELNS1_11target_archE4294967295ELNS1_3gpuE0ELNS1_3repE0EEENS1_30default_config_static_selectorELNS0_4arch9wavefront6targetE0EEEvT1_.has_indirect_call, 0
	.section	.AMDGPU.csdata,"",@progbits
; Kernel info:
; codeLenInByte = 0
; TotalNumSgprs: 0
; NumVgprs: 0
; ScratchSize: 0
; MemoryBound: 0
; FloatMode: 240
; IeeeMode: 1
; LDSByteSize: 0 bytes/workgroup (compile time only)
; SGPRBlocks: 0
; VGPRBlocks: 0
; NumSGPRsForWavesPerEU: 1
; NumVGPRsForWavesPerEU: 1
; Occupancy: 16
; WaveLimiterHint : 0
; COMPUTE_PGM_RSRC2:SCRATCH_EN: 0
; COMPUTE_PGM_RSRC2:USER_SGPR: 6
; COMPUTE_PGM_RSRC2:TRAP_HANDLER: 0
; COMPUTE_PGM_RSRC2:TGID_X_EN: 1
; COMPUTE_PGM_RSRC2:TGID_Y_EN: 0
; COMPUTE_PGM_RSRC2:TGID_Z_EN: 0
; COMPUTE_PGM_RSRC2:TIDIG_COMP_CNT: 0
	.section	.text._ZN7rocprim17ROCPRIM_400000_NS6detail17trampoline_kernelINS0_14default_configENS1_25transform_config_selectorINS0_10empty_typeELb1EEEZNS1_14transform_implILb1ES3_S6_PS5_S8_NS0_8identityIS5_EEEE10hipError_tT2_T3_mT4_P12ihipStream_tbEUlT_E_NS1_11comp_targetILNS1_3genE10ELNS1_11target_archE1201ELNS1_3gpuE5ELNS1_3repE0EEENS1_30default_config_static_selectorELNS0_4arch9wavefront6targetE0EEEvT1_,"axG",@progbits,_ZN7rocprim17ROCPRIM_400000_NS6detail17trampoline_kernelINS0_14default_configENS1_25transform_config_selectorINS0_10empty_typeELb1EEEZNS1_14transform_implILb1ES3_S6_PS5_S8_NS0_8identityIS5_EEEE10hipError_tT2_T3_mT4_P12ihipStream_tbEUlT_E_NS1_11comp_targetILNS1_3genE10ELNS1_11target_archE1201ELNS1_3gpuE5ELNS1_3repE0EEENS1_30default_config_static_selectorELNS0_4arch9wavefront6targetE0EEEvT1_,comdat
	.protected	_ZN7rocprim17ROCPRIM_400000_NS6detail17trampoline_kernelINS0_14default_configENS1_25transform_config_selectorINS0_10empty_typeELb1EEEZNS1_14transform_implILb1ES3_S6_PS5_S8_NS0_8identityIS5_EEEE10hipError_tT2_T3_mT4_P12ihipStream_tbEUlT_E_NS1_11comp_targetILNS1_3genE10ELNS1_11target_archE1201ELNS1_3gpuE5ELNS1_3repE0EEENS1_30default_config_static_selectorELNS0_4arch9wavefront6targetE0EEEvT1_ ; -- Begin function _ZN7rocprim17ROCPRIM_400000_NS6detail17trampoline_kernelINS0_14default_configENS1_25transform_config_selectorINS0_10empty_typeELb1EEEZNS1_14transform_implILb1ES3_S6_PS5_S8_NS0_8identityIS5_EEEE10hipError_tT2_T3_mT4_P12ihipStream_tbEUlT_E_NS1_11comp_targetILNS1_3genE10ELNS1_11target_archE1201ELNS1_3gpuE5ELNS1_3repE0EEENS1_30default_config_static_selectorELNS0_4arch9wavefront6targetE0EEEvT1_
	.globl	_ZN7rocprim17ROCPRIM_400000_NS6detail17trampoline_kernelINS0_14default_configENS1_25transform_config_selectorINS0_10empty_typeELb1EEEZNS1_14transform_implILb1ES3_S6_PS5_S8_NS0_8identityIS5_EEEE10hipError_tT2_T3_mT4_P12ihipStream_tbEUlT_E_NS1_11comp_targetILNS1_3genE10ELNS1_11target_archE1201ELNS1_3gpuE5ELNS1_3repE0EEENS1_30default_config_static_selectorELNS0_4arch9wavefront6targetE0EEEvT1_
	.p2align	8
	.type	_ZN7rocprim17ROCPRIM_400000_NS6detail17trampoline_kernelINS0_14default_configENS1_25transform_config_selectorINS0_10empty_typeELb1EEEZNS1_14transform_implILb1ES3_S6_PS5_S8_NS0_8identityIS5_EEEE10hipError_tT2_T3_mT4_P12ihipStream_tbEUlT_E_NS1_11comp_targetILNS1_3genE10ELNS1_11target_archE1201ELNS1_3gpuE5ELNS1_3repE0EEENS1_30default_config_static_selectorELNS0_4arch9wavefront6targetE0EEEvT1_,@function
_ZN7rocprim17ROCPRIM_400000_NS6detail17trampoline_kernelINS0_14default_configENS1_25transform_config_selectorINS0_10empty_typeELb1EEEZNS1_14transform_implILb1ES3_S6_PS5_S8_NS0_8identityIS5_EEEE10hipError_tT2_T3_mT4_P12ihipStream_tbEUlT_E_NS1_11comp_targetILNS1_3genE10ELNS1_11target_archE1201ELNS1_3gpuE5ELNS1_3repE0EEENS1_30default_config_static_selectorELNS0_4arch9wavefront6targetE0EEEvT1_: ; @_ZN7rocprim17ROCPRIM_400000_NS6detail17trampoline_kernelINS0_14default_configENS1_25transform_config_selectorINS0_10empty_typeELb1EEEZNS1_14transform_implILb1ES3_S6_PS5_S8_NS0_8identityIS5_EEEE10hipError_tT2_T3_mT4_P12ihipStream_tbEUlT_E_NS1_11comp_targetILNS1_3genE10ELNS1_11target_archE1201ELNS1_3gpuE5ELNS1_3repE0EEENS1_30default_config_static_selectorELNS0_4arch9wavefront6targetE0EEEvT1_
; %bb.0:
	.section	.rodata,"a",@progbits
	.p2align	6, 0x0
	.amdhsa_kernel _ZN7rocprim17ROCPRIM_400000_NS6detail17trampoline_kernelINS0_14default_configENS1_25transform_config_selectorINS0_10empty_typeELb1EEEZNS1_14transform_implILb1ES3_S6_PS5_S8_NS0_8identityIS5_EEEE10hipError_tT2_T3_mT4_P12ihipStream_tbEUlT_E_NS1_11comp_targetILNS1_3genE10ELNS1_11target_archE1201ELNS1_3gpuE5ELNS1_3repE0EEENS1_30default_config_static_selectorELNS0_4arch9wavefront6targetE0EEEvT1_
		.amdhsa_group_segment_fixed_size 0
		.amdhsa_private_segment_fixed_size 0
		.amdhsa_kernarg_size 40
		.amdhsa_user_sgpr_count 6
		.amdhsa_user_sgpr_private_segment_buffer 1
		.amdhsa_user_sgpr_dispatch_ptr 0
		.amdhsa_user_sgpr_queue_ptr 0
		.amdhsa_user_sgpr_kernarg_segment_ptr 1
		.amdhsa_user_sgpr_dispatch_id 0
		.amdhsa_user_sgpr_flat_scratch_init 0
		.amdhsa_user_sgpr_private_segment_size 0
		.amdhsa_wavefront_size32 1
		.amdhsa_uses_dynamic_stack 0
		.amdhsa_system_sgpr_private_segment_wavefront_offset 0
		.amdhsa_system_sgpr_workgroup_id_x 1
		.amdhsa_system_sgpr_workgroup_id_y 0
		.amdhsa_system_sgpr_workgroup_id_z 0
		.amdhsa_system_sgpr_workgroup_info 0
		.amdhsa_system_vgpr_workitem_id 0
		.amdhsa_next_free_vgpr 1
		.amdhsa_next_free_sgpr 1
		.amdhsa_reserve_vcc 0
		.amdhsa_reserve_flat_scratch 0
		.amdhsa_float_round_mode_32 0
		.amdhsa_float_round_mode_16_64 0
		.amdhsa_float_denorm_mode_32 3
		.amdhsa_float_denorm_mode_16_64 3
		.amdhsa_dx10_clamp 1
		.amdhsa_ieee_mode 1
		.amdhsa_fp16_overflow 0
		.amdhsa_workgroup_processor_mode 1
		.amdhsa_memory_ordered 1
		.amdhsa_forward_progress 1
		.amdhsa_shared_vgpr_count 0
		.amdhsa_exception_fp_ieee_invalid_op 0
		.amdhsa_exception_fp_denorm_src 0
		.amdhsa_exception_fp_ieee_div_zero 0
		.amdhsa_exception_fp_ieee_overflow 0
		.amdhsa_exception_fp_ieee_underflow 0
		.amdhsa_exception_fp_ieee_inexact 0
		.amdhsa_exception_int_div_zero 0
	.end_amdhsa_kernel
	.section	.text._ZN7rocprim17ROCPRIM_400000_NS6detail17trampoline_kernelINS0_14default_configENS1_25transform_config_selectorINS0_10empty_typeELb1EEEZNS1_14transform_implILb1ES3_S6_PS5_S8_NS0_8identityIS5_EEEE10hipError_tT2_T3_mT4_P12ihipStream_tbEUlT_E_NS1_11comp_targetILNS1_3genE10ELNS1_11target_archE1201ELNS1_3gpuE5ELNS1_3repE0EEENS1_30default_config_static_selectorELNS0_4arch9wavefront6targetE0EEEvT1_,"axG",@progbits,_ZN7rocprim17ROCPRIM_400000_NS6detail17trampoline_kernelINS0_14default_configENS1_25transform_config_selectorINS0_10empty_typeELb1EEEZNS1_14transform_implILb1ES3_S6_PS5_S8_NS0_8identityIS5_EEEE10hipError_tT2_T3_mT4_P12ihipStream_tbEUlT_E_NS1_11comp_targetILNS1_3genE10ELNS1_11target_archE1201ELNS1_3gpuE5ELNS1_3repE0EEENS1_30default_config_static_selectorELNS0_4arch9wavefront6targetE0EEEvT1_,comdat
.Lfunc_end77:
	.size	_ZN7rocprim17ROCPRIM_400000_NS6detail17trampoline_kernelINS0_14default_configENS1_25transform_config_selectorINS0_10empty_typeELb1EEEZNS1_14transform_implILb1ES3_S6_PS5_S8_NS0_8identityIS5_EEEE10hipError_tT2_T3_mT4_P12ihipStream_tbEUlT_E_NS1_11comp_targetILNS1_3genE10ELNS1_11target_archE1201ELNS1_3gpuE5ELNS1_3repE0EEENS1_30default_config_static_selectorELNS0_4arch9wavefront6targetE0EEEvT1_, .Lfunc_end77-_ZN7rocprim17ROCPRIM_400000_NS6detail17trampoline_kernelINS0_14default_configENS1_25transform_config_selectorINS0_10empty_typeELb1EEEZNS1_14transform_implILb1ES3_S6_PS5_S8_NS0_8identityIS5_EEEE10hipError_tT2_T3_mT4_P12ihipStream_tbEUlT_E_NS1_11comp_targetILNS1_3genE10ELNS1_11target_archE1201ELNS1_3gpuE5ELNS1_3repE0EEENS1_30default_config_static_selectorELNS0_4arch9wavefront6targetE0EEEvT1_
                                        ; -- End function
	.set _ZN7rocprim17ROCPRIM_400000_NS6detail17trampoline_kernelINS0_14default_configENS1_25transform_config_selectorINS0_10empty_typeELb1EEEZNS1_14transform_implILb1ES3_S6_PS5_S8_NS0_8identityIS5_EEEE10hipError_tT2_T3_mT4_P12ihipStream_tbEUlT_E_NS1_11comp_targetILNS1_3genE10ELNS1_11target_archE1201ELNS1_3gpuE5ELNS1_3repE0EEENS1_30default_config_static_selectorELNS0_4arch9wavefront6targetE0EEEvT1_.num_vgpr, 0
	.set _ZN7rocprim17ROCPRIM_400000_NS6detail17trampoline_kernelINS0_14default_configENS1_25transform_config_selectorINS0_10empty_typeELb1EEEZNS1_14transform_implILb1ES3_S6_PS5_S8_NS0_8identityIS5_EEEE10hipError_tT2_T3_mT4_P12ihipStream_tbEUlT_E_NS1_11comp_targetILNS1_3genE10ELNS1_11target_archE1201ELNS1_3gpuE5ELNS1_3repE0EEENS1_30default_config_static_selectorELNS0_4arch9wavefront6targetE0EEEvT1_.num_agpr, 0
	.set _ZN7rocprim17ROCPRIM_400000_NS6detail17trampoline_kernelINS0_14default_configENS1_25transform_config_selectorINS0_10empty_typeELb1EEEZNS1_14transform_implILb1ES3_S6_PS5_S8_NS0_8identityIS5_EEEE10hipError_tT2_T3_mT4_P12ihipStream_tbEUlT_E_NS1_11comp_targetILNS1_3genE10ELNS1_11target_archE1201ELNS1_3gpuE5ELNS1_3repE0EEENS1_30default_config_static_selectorELNS0_4arch9wavefront6targetE0EEEvT1_.numbered_sgpr, 0
	.set _ZN7rocprim17ROCPRIM_400000_NS6detail17trampoline_kernelINS0_14default_configENS1_25transform_config_selectorINS0_10empty_typeELb1EEEZNS1_14transform_implILb1ES3_S6_PS5_S8_NS0_8identityIS5_EEEE10hipError_tT2_T3_mT4_P12ihipStream_tbEUlT_E_NS1_11comp_targetILNS1_3genE10ELNS1_11target_archE1201ELNS1_3gpuE5ELNS1_3repE0EEENS1_30default_config_static_selectorELNS0_4arch9wavefront6targetE0EEEvT1_.num_named_barrier, 0
	.set _ZN7rocprim17ROCPRIM_400000_NS6detail17trampoline_kernelINS0_14default_configENS1_25transform_config_selectorINS0_10empty_typeELb1EEEZNS1_14transform_implILb1ES3_S6_PS5_S8_NS0_8identityIS5_EEEE10hipError_tT2_T3_mT4_P12ihipStream_tbEUlT_E_NS1_11comp_targetILNS1_3genE10ELNS1_11target_archE1201ELNS1_3gpuE5ELNS1_3repE0EEENS1_30default_config_static_selectorELNS0_4arch9wavefront6targetE0EEEvT1_.private_seg_size, 0
	.set _ZN7rocprim17ROCPRIM_400000_NS6detail17trampoline_kernelINS0_14default_configENS1_25transform_config_selectorINS0_10empty_typeELb1EEEZNS1_14transform_implILb1ES3_S6_PS5_S8_NS0_8identityIS5_EEEE10hipError_tT2_T3_mT4_P12ihipStream_tbEUlT_E_NS1_11comp_targetILNS1_3genE10ELNS1_11target_archE1201ELNS1_3gpuE5ELNS1_3repE0EEENS1_30default_config_static_selectorELNS0_4arch9wavefront6targetE0EEEvT1_.uses_vcc, 0
	.set _ZN7rocprim17ROCPRIM_400000_NS6detail17trampoline_kernelINS0_14default_configENS1_25transform_config_selectorINS0_10empty_typeELb1EEEZNS1_14transform_implILb1ES3_S6_PS5_S8_NS0_8identityIS5_EEEE10hipError_tT2_T3_mT4_P12ihipStream_tbEUlT_E_NS1_11comp_targetILNS1_3genE10ELNS1_11target_archE1201ELNS1_3gpuE5ELNS1_3repE0EEENS1_30default_config_static_selectorELNS0_4arch9wavefront6targetE0EEEvT1_.uses_flat_scratch, 0
	.set _ZN7rocprim17ROCPRIM_400000_NS6detail17trampoline_kernelINS0_14default_configENS1_25transform_config_selectorINS0_10empty_typeELb1EEEZNS1_14transform_implILb1ES3_S6_PS5_S8_NS0_8identityIS5_EEEE10hipError_tT2_T3_mT4_P12ihipStream_tbEUlT_E_NS1_11comp_targetILNS1_3genE10ELNS1_11target_archE1201ELNS1_3gpuE5ELNS1_3repE0EEENS1_30default_config_static_selectorELNS0_4arch9wavefront6targetE0EEEvT1_.has_dyn_sized_stack, 0
	.set _ZN7rocprim17ROCPRIM_400000_NS6detail17trampoline_kernelINS0_14default_configENS1_25transform_config_selectorINS0_10empty_typeELb1EEEZNS1_14transform_implILb1ES3_S6_PS5_S8_NS0_8identityIS5_EEEE10hipError_tT2_T3_mT4_P12ihipStream_tbEUlT_E_NS1_11comp_targetILNS1_3genE10ELNS1_11target_archE1201ELNS1_3gpuE5ELNS1_3repE0EEENS1_30default_config_static_selectorELNS0_4arch9wavefront6targetE0EEEvT1_.has_recursion, 0
	.set _ZN7rocprim17ROCPRIM_400000_NS6detail17trampoline_kernelINS0_14default_configENS1_25transform_config_selectorINS0_10empty_typeELb1EEEZNS1_14transform_implILb1ES3_S6_PS5_S8_NS0_8identityIS5_EEEE10hipError_tT2_T3_mT4_P12ihipStream_tbEUlT_E_NS1_11comp_targetILNS1_3genE10ELNS1_11target_archE1201ELNS1_3gpuE5ELNS1_3repE0EEENS1_30default_config_static_selectorELNS0_4arch9wavefront6targetE0EEEvT1_.has_indirect_call, 0
	.section	.AMDGPU.csdata,"",@progbits
; Kernel info:
; codeLenInByte = 0
; TotalNumSgprs: 0
; NumVgprs: 0
; ScratchSize: 0
; MemoryBound: 0
; FloatMode: 240
; IeeeMode: 1
; LDSByteSize: 0 bytes/workgroup (compile time only)
; SGPRBlocks: 0
; VGPRBlocks: 0
; NumSGPRsForWavesPerEU: 1
; NumVGPRsForWavesPerEU: 1
; Occupancy: 16
; WaveLimiterHint : 0
; COMPUTE_PGM_RSRC2:SCRATCH_EN: 0
; COMPUTE_PGM_RSRC2:USER_SGPR: 6
; COMPUTE_PGM_RSRC2:TRAP_HANDLER: 0
; COMPUTE_PGM_RSRC2:TGID_X_EN: 1
; COMPUTE_PGM_RSRC2:TGID_Y_EN: 0
; COMPUTE_PGM_RSRC2:TGID_Z_EN: 0
; COMPUTE_PGM_RSRC2:TIDIG_COMP_CNT: 0
	.section	.text._ZN7rocprim17ROCPRIM_400000_NS6detail17trampoline_kernelINS0_14default_configENS1_25transform_config_selectorINS0_10empty_typeELb1EEEZNS1_14transform_implILb1ES3_S6_PS5_S8_NS0_8identityIS5_EEEE10hipError_tT2_T3_mT4_P12ihipStream_tbEUlT_E_NS1_11comp_targetILNS1_3genE5ELNS1_11target_archE942ELNS1_3gpuE9ELNS1_3repE0EEENS1_30default_config_static_selectorELNS0_4arch9wavefront6targetE0EEEvT1_,"axG",@progbits,_ZN7rocprim17ROCPRIM_400000_NS6detail17trampoline_kernelINS0_14default_configENS1_25transform_config_selectorINS0_10empty_typeELb1EEEZNS1_14transform_implILb1ES3_S6_PS5_S8_NS0_8identityIS5_EEEE10hipError_tT2_T3_mT4_P12ihipStream_tbEUlT_E_NS1_11comp_targetILNS1_3genE5ELNS1_11target_archE942ELNS1_3gpuE9ELNS1_3repE0EEENS1_30default_config_static_selectorELNS0_4arch9wavefront6targetE0EEEvT1_,comdat
	.protected	_ZN7rocprim17ROCPRIM_400000_NS6detail17trampoline_kernelINS0_14default_configENS1_25transform_config_selectorINS0_10empty_typeELb1EEEZNS1_14transform_implILb1ES3_S6_PS5_S8_NS0_8identityIS5_EEEE10hipError_tT2_T3_mT4_P12ihipStream_tbEUlT_E_NS1_11comp_targetILNS1_3genE5ELNS1_11target_archE942ELNS1_3gpuE9ELNS1_3repE0EEENS1_30default_config_static_selectorELNS0_4arch9wavefront6targetE0EEEvT1_ ; -- Begin function _ZN7rocprim17ROCPRIM_400000_NS6detail17trampoline_kernelINS0_14default_configENS1_25transform_config_selectorINS0_10empty_typeELb1EEEZNS1_14transform_implILb1ES3_S6_PS5_S8_NS0_8identityIS5_EEEE10hipError_tT2_T3_mT4_P12ihipStream_tbEUlT_E_NS1_11comp_targetILNS1_3genE5ELNS1_11target_archE942ELNS1_3gpuE9ELNS1_3repE0EEENS1_30default_config_static_selectorELNS0_4arch9wavefront6targetE0EEEvT1_
	.globl	_ZN7rocprim17ROCPRIM_400000_NS6detail17trampoline_kernelINS0_14default_configENS1_25transform_config_selectorINS0_10empty_typeELb1EEEZNS1_14transform_implILb1ES3_S6_PS5_S8_NS0_8identityIS5_EEEE10hipError_tT2_T3_mT4_P12ihipStream_tbEUlT_E_NS1_11comp_targetILNS1_3genE5ELNS1_11target_archE942ELNS1_3gpuE9ELNS1_3repE0EEENS1_30default_config_static_selectorELNS0_4arch9wavefront6targetE0EEEvT1_
	.p2align	8
	.type	_ZN7rocprim17ROCPRIM_400000_NS6detail17trampoline_kernelINS0_14default_configENS1_25transform_config_selectorINS0_10empty_typeELb1EEEZNS1_14transform_implILb1ES3_S6_PS5_S8_NS0_8identityIS5_EEEE10hipError_tT2_T3_mT4_P12ihipStream_tbEUlT_E_NS1_11comp_targetILNS1_3genE5ELNS1_11target_archE942ELNS1_3gpuE9ELNS1_3repE0EEENS1_30default_config_static_selectorELNS0_4arch9wavefront6targetE0EEEvT1_,@function
_ZN7rocprim17ROCPRIM_400000_NS6detail17trampoline_kernelINS0_14default_configENS1_25transform_config_selectorINS0_10empty_typeELb1EEEZNS1_14transform_implILb1ES3_S6_PS5_S8_NS0_8identityIS5_EEEE10hipError_tT2_T3_mT4_P12ihipStream_tbEUlT_E_NS1_11comp_targetILNS1_3genE5ELNS1_11target_archE942ELNS1_3gpuE9ELNS1_3repE0EEENS1_30default_config_static_selectorELNS0_4arch9wavefront6targetE0EEEvT1_: ; @_ZN7rocprim17ROCPRIM_400000_NS6detail17trampoline_kernelINS0_14default_configENS1_25transform_config_selectorINS0_10empty_typeELb1EEEZNS1_14transform_implILb1ES3_S6_PS5_S8_NS0_8identityIS5_EEEE10hipError_tT2_T3_mT4_P12ihipStream_tbEUlT_E_NS1_11comp_targetILNS1_3genE5ELNS1_11target_archE942ELNS1_3gpuE9ELNS1_3repE0EEENS1_30default_config_static_selectorELNS0_4arch9wavefront6targetE0EEEvT1_
; %bb.0:
	.section	.rodata,"a",@progbits
	.p2align	6, 0x0
	.amdhsa_kernel _ZN7rocprim17ROCPRIM_400000_NS6detail17trampoline_kernelINS0_14default_configENS1_25transform_config_selectorINS0_10empty_typeELb1EEEZNS1_14transform_implILb1ES3_S6_PS5_S8_NS0_8identityIS5_EEEE10hipError_tT2_T3_mT4_P12ihipStream_tbEUlT_E_NS1_11comp_targetILNS1_3genE5ELNS1_11target_archE942ELNS1_3gpuE9ELNS1_3repE0EEENS1_30default_config_static_selectorELNS0_4arch9wavefront6targetE0EEEvT1_
		.amdhsa_group_segment_fixed_size 0
		.amdhsa_private_segment_fixed_size 0
		.amdhsa_kernarg_size 40
		.amdhsa_user_sgpr_count 6
		.amdhsa_user_sgpr_private_segment_buffer 1
		.amdhsa_user_sgpr_dispatch_ptr 0
		.amdhsa_user_sgpr_queue_ptr 0
		.amdhsa_user_sgpr_kernarg_segment_ptr 1
		.amdhsa_user_sgpr_dispatch_id 0
		.amdhsa_user_sgpr_flat_scratch_init 0
		.amdhsa_user_sgpr_private_segment_size 0
		.amdhsa_wavefront_size32 1
		.amdhsa_uses_dynamic_stack 0
		.amdhsa_system_sgpr_private_segment_wavefront_offset 0
		.amdhsa_system_sgpr_workgroup_id_x 1
		.amdhsa_system_sgpr_workgroup_id_y 0
		.amdhsa_system_sgpr_workgroup_id_z 0
		.amdhsa_system_sgpr_workgroup_info 0
		.amdhsa_system_vgpr_workitem_id 0
		.amdhsa_next_free_vgpr 1
		.amdhsa_next_free_sgpr 1
		.amdhsa_reserve_vcc 0
		.amdhsa_reserve_flat_scratch 0
		.amdhsa_float_round_mode_32 0
		.amdhsa_float_round_mode_16_64 0
		.amdhsa_float_denorm_mode_32 3
		.amdhsa_float_denorm_mode_16_64 3
		.amdhsa_dx10_clamp 1
		.amdhsa_ieee_mode 1
		.amdhsa_fp16_overflow 0
		.amdhsa_workgroup_processor_mode 1
		.amdhsa_memory_ordered 1
		.amdhsa_forward_progress 1
		.amdhsa_shared_vgpr_count 0
		.amdhsa_exception_fp_ieee_invalid_op 0
		.amdhsa_exception_fp_denorm_src 0
		.amdhsa_exception_fp_ieee_div_zero 0
		.amdhsa_exception_fp_ieee_overflow 0
		.amdhsa_exception_fp_ieee_underflow 0
		.amdhsa_exception_fp_ieee_inexact 0
		.amdhsa_exception_int_div_zero 0
	.end_amdhsa_kernel
	.section	.text._ZN7rocprim17ROCPRIM_400000_NS6detail17trampoline_kernelINS0_14default_configENS1_25transform_config_selectorINS0_10empty_typeELb1EEEZNS1_14transform_implILb1ES3_S6_PS5_S8_NS0_8identityIS5_EEEE10hipError_tT2_T3_mT4_P12ihipStream_tbEUlT_E_NS1_11comp_targetILNS1_3genE5ELNS1_11target_archE942ELNS1_3gpuE9ELNS1_3repE0EEENS1_30default_config_static_selectorELNS0_4arch9wavefront6targetE0EEEvT1_,"axG",@progbits,_ZN7rocprim17ROCPRIM_400000_NS6detail17trampoline_kernelINS0_14default_configENS1_25transform_config_selectorINS0_10empty_typeELb1EEEZNS1_14transform_implILb1ES3_S6_PS5_S8_NS0_8identityIS5_EEEE10hipError_tT2_T3_mT4_P12ihipStream_tbEUlT_E_NS1_11comp_targetILNS1_3genE5ELNS1_11target_archE942ELNS1_3gpuE9ELNS1_3repE0EEENS1_30default_config_static_selectorELNS0_4arch9wavefront6targetE0EEEvT1_,comdat
.Lfunc_end78:
	.size	_ZN7rocprim17ROCPRIM_400000_NS6detail17trampoline_kernelINS0_14default_configENS1_25transform_config_selectorINS0_10empty_typeELb1EEEZNS1_14transform_implILb1ES3_S6_PS5_S8_NS0_8identityIS5_EEEE10hipError_tT2_T3_mT4_P12ihipStream_tbEUlT_E_NS1_11comp_targetILNS1_3genE5ELNS1_11target_archE942ELNS1_3gpuE9ELNS1_3repE0EEENS1_30default_config_static_selectorELNS0_4arch9wavefront6targetE0EEEvT1_, .Lfunc_end78-_ZN7rocprim17ROCPRIM_400000_NS6detail17trampoline_kernelINS0_14default_configENS1_25transform_config_selectorINS0_10empty_typeELb1EEEZNS1_14transform_implILb1ES3_S6_PS5_S8_NS0_8identityIS5_EEEE10hipError_tT2_T3_mT4_P12ihipStream_tbEUlT_E_NS1_11comp_targetILNS1_3genE5ELNS1_11target_archE942ELNS1_3gpuE9ELNS1_3repE0EEENS1_30default_config_static_selectorELNS0_4arch9wavefront6targetE0EEEvT1_
                                        ; -- End function
	.set _ZN7rocprim17ROCPRIM_400000_NS6detail17trampoline_kernelINS0_14default_configENS1_25transform_config_selectorINS0_10empty_typeELb1EEEZNS1_14transform_implILb1ES3_S6_PS5_S8_NS0_8identityIS5_EEEE10hipError_tT2_T3_mT4_P12ihipStream_tbEUlT_E_NS1_11comp_targetILNS1_3genE5ELNS1_11target_archE942ELNS1_3gpuE9ELNS1_3repE0EEENS1_30default_config_static_selectorELNS0_4arch9wavefront6targetE0EEEvT1_.num_vgpr, 0
	.set _ZN7rocprim17ROCPRIM_400000_NS6detail17trampoline_kernelINS0_14default_configENS1_25transform_config_selectorINS0_10empty_typeELb1EEEZNS1_14transform_implILb1ES3_S6_PS5_S8_NS0_8identityIS5_EEEE10hipError_tT2_T3_mT4_P12ihipStream_tbEUlT_E_NS1_11comp_targetILNS1_3genE5ELNS1_11target_archE942ELNS1_3gpuE9ELNS1_3repE0EEENS1_30default_config_static_selectorELNS0_4arch9wavefront6targetE0EEEvT1_.num_agpr, 0
	.set _ZN7rocprim17ROCPRIM_400000_NS6detail17trampoline_kernelINS0_14default_configENS1_25transform_config_selectorINS0_10empty_typeELb1EEEZNS1_14transform_implILb1ES3_S6_PS5_S8_NS0_8identityIS5_EEEE10hipError_tT2_T3_mT4_P12ihipStream_tbEUlT_E_NS1_11comp_targetILNS1_3genE5ELNS1_11target_archE942ELNS1_3gpuE9ELNS1_3repE0EEENS1_30default_config_static_selectorELNS0_4arch9wavefront6targetE0EEEvT1_.numbered_sgpr, 0
	.set _ZN7rocprim17ROCPRIM_400000_NS6detail17trampoline_kernelINS0_14default_configENS1_25transform_config_selectorINS0_10empty_typeELb1EEEZNS1_14transform_implILb1ES3_S6_PS5_S8_NS0_8identityIS5_EEEE10hipError_tT2_T3_mT4_P12ihipStream_tbEUlT_E_NS1_11comp_targetILNS1_3genE5ELNS1_11target_archE942ELNS1_3gpuE9ELNS1_3repE0EEENS1_30default_config_static_selectorELNS0_4arch9wavefront6targetE0EEEvT1_.num_named_barrier, 0
	.set _ZN7rocprim17ROCPRIM_400000_NS6detail17trampoline_kernelINS0_14default_configENS1_25transform_config_selectorINS0_10empty_typeELb1EEEZNS1_14transform_implILb1ES3_S6_PS5_S8_NS0_8identityIS5_EEEE10hipError_tT2_T3_mT4_P12ihipStream_tbEUlT_E_NS1_11comp_targetILNS1_3genE5ELNS1_11target_archE942ELNS1_3gpuE9ELNS1_3repE0EEENS1_30default_config_static_selectorELNS0_4arch9wavefront6targetE0EEEvT1_.private_seg_size, 0
	.set _ZN7rocprim17ROCPRIM_400000_NS6detail17trampoline_kernelINS0_14default_configENS1_25transform_config_selectorINS0_10empty_typeELb1EEEZNS1_14transform_implILb1ES3_S6_PS5_S8_NS0_8identityIS5_EEEE10hipError_tT2_T3_mT4_P12ihipStream_tbEUlT_E_NS1_11comp_targetILNS1_3genE5ELNS1_11target_archE942ELNS1_3gpuE9ELNS1_3repE0EEENS1_30default_config_static_selectorELNS0_4arch9wavefront6targetE0EEEvT1_.uses_vcc, 0
	.set _ZN7rocprim17ROCPRIM_400000_NS6detail17trampoline_kernelINS0_14default_configENS1_25transform_config_selectorINS0_10empty_typeELb1EEEZNS1_14transform_implILb1ES3_S6_PS5_S8_NS0_8identityIS5_EEEE10hipError_tT2_T3_mT4_P12ihipStream_tbEUlT_E_NS1_11comp_targetILNS1_3genE5ELNS1_11target_archE942ELNS1_3gpuE9ELNS1_3repE0EEENS1_30default_config_static_selectorELNS0_4arch9wavefront6targetE0EEEvT1_.uses_flat_scratch, 0
	.set _ZN7rocprim17ROCPRIM_400000_NS6detail17trampoline_kernelINS0_14default_configENS1_25transform_config_selectorINS0_10empty_typeELb1EEEZNS1_14transform_implILb1ES3_S6_PS5_S8_NS0_8identityIS5_EEEE10hipError_tT2_T3_mT4_P12ihipStream_tbEUlT_E_NS1_11comp_targetILNS1_3genE5ELNS1_11target_archE942ELNS1_3gpuE9ELNS1_3repE0EEENS1_30default_config_static_selectorELNS0_4arch9wavefront6targetE0EEEvT1_.has_dyn_sized_stack, 0
	.set _ZN7rocprim17ROCPRIM_400000_NS6detail17trampoline_kernelINS0_14default_configENS1_25transform_config_selectorINS0_10empty_typeELb1EEEZNS1_14transform_implILb1ES3_S6_PS5_S8_NS0_8identityIS5_EEEE10hipError_tT2_T3_mT4_P12ihipStream_tbEUlT_E_NS1_11comp_targetILNS1_3genE5ELNS1_11target_archE942ELNS1_3gpuE9ELNS1_3repE0EEENS1_30default_config_static_selectorELNS0_4arch9wavefront6targetE0EEEvT1_.has_recursion, 0
	.set _ZN7rocprim17ROCPRIM_400000_NS6detail17trampoline_kernelINS0_14default_configENS1_25transform_config_selectorINS0_10empty_typeELb1EEEZNS1_14transform_implILb1ES3_S6_PS5_S8_NS0_8identityIS5_EEEE10hipError_tT2_T3_mT4_P12ihipStream_tbEUlT_E_NS1_11comp_targetILNS1_3genE5ELNS1_11target_archE942ELNS1_3gpuE9ELNS1_3repE0EEENS1_30default_config_static_selectorELNS0_4arch9wavefront6targetE0EEEvT1_.has_indirect_call, 0
	.section	.AMDGPU.csdata,"",@progbits
; Kernel info:
; codeLenInByte = 0
; TotalNumSgprs: 0
; NumVgprs: 0
; ScratchSize: 0
; MemoryBound: 0
; FloatMode: 240
; IeeeMode: 1
; LDSByteSize: 0 bytes/workgroup (compile time only)
; SGPRBlocks: 0
; VGPRBlocks: 0
; NumSGPRsForWavesPerEU: 1
; NumVGPRsForWavesPerEU: 1
; Occupancy: 16
; WaveLimiterHint : 0
; COMPUTE_PGM_RSRC2:SCRATCH_EN: 0
; COMPUTE_PGM_RSRC2:USER_SGPR: 6
; COMPUTE_PGM_RSRC2:TRAP_HANDLER: 0
; COMPUTE_PGM_RSRC2:TGID_X_EN: 1
; COMPUTE_PGM_RSRC2:TGID_Y_EN: 0
; COMPUTE_PGM_RSRC2:TGID_Z_EN: 0
; COMPUTE_PGM_RSRC2:TIDIG_COMP_CNT: 0
	.section	.text._ZN7rocprim17ROCPRIM_400000_NS6detail17trampoline_kernelINS0_14default_configENS1_25transform_config_selectorINS0_10empty_typeELb1EEEZNS1_14transform_implILb1ES3_S6_PS5_S8_NS0_8identityIS5_EEEE10hipError_tT2_T3_mT4_P12ihipStream_tbEUlT_E_NS1_11comp_targetILNS1_3genE4ELNS1_11target_archE910ELNS1_3gpuE8ELNS1_3repE0EEENS1_30default_config_static_selectorELNS0_4arch9wavefront6targetE0EEEvT1_,"axG",@progbits,_ZN7rocprim17ROCPRIM_400000_NS6detail17trampoline_kernelINS0_14default_configENS1_25transform_config_selectorINS0_10empty_typeELb1EEEZNS1_14transform_implILb1ES3_S6_PS5_S8_NS0_8identityIS5_EEEE10hipError_tT2_T3_mT4_P12ihipStream_tbEUlT_E_NS1_11comp_targetILNS1_3genE4ELNS1_11target_archE910ELNS1_3gpuE8ELNS1_3repE0EEENS1_30default_config_static_selectorELNS0_4arch9wavefront6targetE0EEEvT1_,comdat
	.protected	_ZN7rocprim17ROCPRIM_400000_NS6detail17trampoline_kernelINS0_14default_configENS1_25transform_config_selectorINS0_10empty_typeELb1EEEZNS1_14transform_implILb1ES3_S6_PS5_S8_NS0_8identityIS5_EEEE10hipError_tT2_T3_mT4_P12ihipStream_tbEUlT_E_NS1_11comp_targetILNS1_3genE4ELNS1_11target_archE910ELNS1_3gpuE8ELNS1_3repE0EEENS1_30default_config_static_selectorELNS0_4arch9wavefront6targetE0EEEvT1_ ; -- Begin function _ZN7rocprim17ROCPRIM_400000_NS6detail17trampoline_kernelINS0_14default_configENS1_25transform_config_selectorINS0_10empty_typeELb1EEEZNS1_14transform_implILb1ES3_S6_PS5_S8_NS0_8identityIS5_EEEE10hipError_tT2_T3_mT4_P12ihipStream_tbEUlT_E_NS1_11comp_targetILNS1_3genE4ELNS1_11target_archE910ELNS1_3gpuE8ELNS1_3repE0EEENS1_30default_config_static_selectorELNS0_4arch9wavefront6targetE0EEEvT1_
	.globl	_ZN7rocprim17ROCPRIM_400000_NS6detail17trampoline_kernelINS0_14default_configENS1_25transform_config_selectorINS0_10empty_typeELb1EEEZNS1_14transform_implILb1ES3_S6_PS5_S8_NS0_8identityIS5_EEEE10hipError_tT2_T3_mT4_P12ihipStream_tbEUlT_E_NS1_11comp_targetILNS1_3genE4ELNS1_11target_archE910ELNS1_3gpuE8ELNS1_3repE0EEENS1_30default_config_static_selectorELNS0_4arch9wavefront6targetE0EEEvT1_
	.p2align	8
	.type	_ZN7rocprim17ROCPRIM_400000_NS6detail17trampoline_kernelINS0_14default_configENS1_25transform_config_selectorINS0_10empty_typeELb1EEEZNS1_14transform_implILb1ES3_S6_PS5_S8_NS0_8identityIS5_EEEE10hipError_tT2_T3_mT4_P12ihipStream_tbEUlT_E_NS1_11comp_targetILNS1_3genE4ELNS1_11target_archE910ELNS1_3gpuE8ELNS1_3repE0EEENS1_30default_config_static_selectorELNS0_4arch9wavefront6targetE0EEEvT1_,@function
_ZN7rocprim17ROCPRIM_400000_NS6detail17trampoline_kernelINS0_14default_configENS1_25transform_config_selectorINS0_10empty_typeELb1EEEZNS1_14transform_implILb1ES3_S6_PS5_S8_NS0_8identityIS5_EEEE10hipError_tT2_T3_mT4_P12ihipStream_tbEUlT_E_NS1_11comp_targetILNS1_3genE4ELNS1_11target_archE910ELNS1_3gpuE8ELNS1_3repE0EEENS1_30default_config_static_selectorELNS0_4arch9wavefront6targetE0EEEvT1_: ; @_ZN7rocprim17ROCPRIM_400000_NS6detail17trampoline_kernelINS0_14default_configENS1_25transform_config_selectorINS0_10empty_typeELb1EEEZNS1_14transform_implILb1ES3_S6_PS5_S8_NS0_8identityIS5_EEEE10hipError_tT2_T3_mT4_P12ihipStream_tbEUlT_E_NS1_11comp_targetILNS1_3genE4ELNS1_11target_archE910ELNS1_3gpuE8ELNS1_3repE0EEENS1_30default_config_static_selectorELNS0_4arch9wavefront6targetE0EEEvT1_
; %bb.0:
	.section	.rodata,"a",@progbits
	.p2align	6, 0x0
	.amdhsa_kernel _ZN7rocprim17ROCPRIM_400000_NS6detail17trampoline_kernelINS0_14default_configENS1_25transform_config_selectorINS0_10empty_typeELb1EEEZNS1_14transform_implILb1ES3_S6_PS5_S8_NS0_8identityIS5_EEEE10hipError_tT2_T3_mT4_P12ihipStream_tbEUlT_E_NS1_11comp_targetILNS1_3genE4ELNS1_11target_archE910ELNS1_3gpuE8ELNS1_3repE0EEENS1_30default_config_static_selectorELNS0_4arch9wavefront6targetE0EEEvT1_
		.amdhsa_group_segment_fixed_size 0
		.amdhsa_private_segment_fixed_size 0
		.amdhsa_kernarg_size 40
		.amdhsa_user_sgpr_count 6
		.amdhsa_user_sgpr_private_segment_buffer 1
		.amdhsa_user_sgpr_dispatch_ptr 0
		.amdhsa_user_sgpr_queue_ptr 0
		.amdhsa_user_sgpr_kernarg_segment_ptr 1
		.amdhsa_user_sgpr_dispatch_id 0
		.amdhsa_user_sgpr_flat_scratch_init 0
		.amdhsa_user_sgpr_private_segment_size 0
		.amdhsa_wavefront_size32 1
		.amdhsa_uses_dynamic_stack 0
		.amdhsa_system_sgpr_private_segment_wavefront_offset 0
		.amdhsa_system_sgpr_workgroup_id_x 1
		.amdhsa_system_sgpr_workgroup_id_y 0
		.amdhsa_system_sgpr_workgroup_id_z 0
		.amdhsa_system_sgpr_workgroup_info 0
		.amdhsa_system_vgpr_workitem_id 0
		.amdhsa_next_free_vgpr 1
		.amdhsa_next_free_sgpr 1
		.amdhsa_reserve_vcc 0
		.amdhsa_reserve_flat_scratch 0
		.amdhsa_float_round_mode_32 0
		.amdhsa_float_round_mode_16_64 0
		.amdhsa_float_denorm_mode_32 3
		.amdhsa_float_denorm_mode_16_64 3
		.amdhsa_dx10_clamp 1
		.amdhsa_ieee_mode 1
		.amdhsa_fp16_overflow 0
		.amdhsa_workgroup_processor_mode 1
		.amdhsa_memory_ordered 1
		.amdhsa_forward_progress 1
		.amdhsa_shared_vgpr_count 0
		.amdhsa_exception_fp_ieee_invalid_op 0
		.amdhsa_exception_fp_denorm_src 0
		.amdhsa_exception_fp_ieee_div_zero 0
		.amdhsa_exception_fp_ieee_overflow 0
		.amdhsa_exception_fp_ieee_underflow 0
		.amdhsa_exception_fp_ieee_inexact 0
		.amdhsa_exception_int_div_zero 0
	.end_amdhsa_kernel
	.section	.text._ZN7rocprim17ROCPRIM_400000_NS6detail17trampoline_kernelINS0_14default_configENS1_25transform_config_selectorINS0_10empty_typeELb1EEEZNS1_14transform_implILb1ES3_S6_PS5_S8_NS0_8identityIS5_EEEE10hipError_tT2_T3_mT4_P12ihipStream_tbEUlT_E_NS1_11comp_targetILNS1_3genE4ELNS1_11target_archE910ELNS1_3gpuE8ELNS1_3repE0EEENS1_30default_config_static_selectorELNS0_4arch9wavefront6targetE0EEEvT1_,"axG",@progbits,_ZN7rocprim17ROCPRIM_400000_NS6detail17trampoline_kernelINS0_14default_configENS1_25transform_config_selectorINS0_10empty_typeELb1EEEZNS1_14transform_implILb1ES3_S6_PS5_S8_NS0_8identityIS5_EEEE10hipError_tT2_T3_mT4_P12ihipStream_tbEUlT_E_NS1_11comp_targetILNS1_3genE4ELNS1_11target_archE910ELNS1_3gpuE8ELNS1_3repE0EEENS1_30default_config_static_selectorELNS0_4arch9wavefront6targetE0EEEvT1_,comdat
.Lfunc_end79:
	.size	_ZN7rocprim17ROCPRIM_400000_NS6detail17trampoline_kernelINS0_14default_configENS1_25transform_config_selectorINS0_10empty_typeELb1EEEZNS1_14transform_implILb1ES3_S6_PS5_S8_NS0_8identityIS5_EEEE10hipError_tT2_T3_mT4_P12ihipStream_tbEUlT_E_NS1_11comp_targetILNS1_3genE4ELNS1_11target_archE910ELNS1_3gpuE8ELNS1_3repE0EEENS1_30default_config_static_selectorELNS0_4arch9wavefront6targetE0EEEvT1_, .Lfunc_end79-_ZN7rocprim17ROCPRIM_400000_NS6detail17trampoline_kernelINS0_14default_configENS1_25transform_config_selectorINS0_10empty_typeELb1EEEZNS1_14transform_implILb1ES3_S6_PS5_S8_NS0_8identityIS5_EEEE10hipError_tT2_T3_mT4_P12ihipStream_tbEUlT_E_NS1_11comp_targetILNS1_3genE4ELNS1_11target_archE910ELNS1_3gpuE8ELNS1_3repE0EEENS1_30default_config_static_selectorELNS0_4arch9wavefront6targetE0EEEvT1_
                                        ; -- End function
	.set _ZN7rocprim17ROCPRIM_400000_NS6detail17trampoline_kernelINS0_14default_configENS1_25transform_config_selectorINS0_10empty_typeELb1EEEZNS1_14transform_implILb1ES3_S6_PS5_S8_NS0_8identityIS5_EEEE10hipError_tT2_T3_mT4_P12ihipStream_tbEUlT_E_NS1_11comp_targetILNS1_3genE4ELNS1_11target_archE910ELNS1_3gpuE8ELNS1_3repE0EEENS1_30default_config_static_selectorELNS0_4arch9wavefront6targetE0EEEvT1_.num_vgpr, 0
	.set _ZN7rocprim17ROCPRIM_400000_NS6detail17trampoline_kernelINS0_14default_configENS1_25transform_config_selectorINS0_10empty_typeELb1EEEZNS1_14transform_implILb1ES3_S6_PS5_S8_NS0_8identityIS5_EEEE10hipError_tT2_T3_mT4_P12ihipStream_tbEUlT_E_NS1_11comp_targetILNS1_3genE4ELNS1_11target_archE910ELNS1_3gpuE8ELNS1_3repE0EEENS1_30default_config_static_selectorELNS0_4arch9wavefront6targetE0EEEvT1_.num_agpr, 0
	.set _ZN7rocprim17ROCPRIM_400000_NS6detail17trampoline_kernelINS0_14default_configENS1_25transform_config_selectorINS0_10empty_typeELb1EEEZNS1_14transform_implILb1ES3_S6_PS5_S8_NS0_8identityIS5_EEEE10hipError_tT2_T3_mT4_P12ihipStream_tbEUlT_E_NS1_11comp_targetILNS1_3genE4ELNS1_11target_archE910ELNS1_3gpuE8ELNS1_3repE0EEENS1_30default_config_static_selectorELNS0_4arch9wavefront6targetE0EEEvT1_.numbered_sgpr, 0
	.set _ZN7rocprim17ROCPRIM_400000_NS6detail17trampoline_kernelINS0_14default_configENS1_25transform_config_selectorINS0_10empty_typeELb1EEEZNS1_14transform_implILb1ES3_S6_PS5_S8_NS0_8identityIS5_EEEE10hipError_tT2_T3_mT4_P12ihipStream_tbEUlT_E_NS1_11comp_targetILNS1_3genE4ELNS1_11target_archE910ELNS1_3gpuE8ELNS1_3repE0EEENS1_30default_config_static_selectorELNS0_4arch9wavefront6targetE0EEEvT1_.num_named_barrier, 0
	.set _ZN7rocprim17ROCPRIM_400000_NS6detail17trampoline_kernelINS0_14default_configENS1_25transform_config_selectorINS0_10empty_typeELb1EEEZNS1_14transform_implILb1ES3_S6_PS5_S8_NS0_8identityIS5_EEEE10hipError_tT2_T3_mT4_P12ihipStream_tbEUlT_E_NS1_11comp_targetILNS1_3genE4ELNS1_11target_archE910ELNS1_3gpuE8ELNS1_3repE0EEENS1_30default_config_static_selectorELNS0_4arch9wavefront6targetE0EEEvT1_.private_seg_size, 0
	.set _ZN7rocprim17ROCPRIM_400000_NS6detail17trampoline_kernelINS0_14default_configENS1_25transform_config_selectorINS0_10empty_typeELb1EEEZNS1_14transform_implILb1ES3_S6_PS5_S8_NS0_8identityIS5_EEEE10hipError_tT2_T3_mT4_P12ihipStream_tbEUlT_E_NS1_11comp_targetILNS1_3genE4ELNS1_11target_archE910ELNS1_3gpuE8ELNS1_3repE0EEENS1_30default_config_static_selectorELNS0_4arch9wavefront6targetE0EEEvT1_.uses_vcc, 0
	.set _ZN7rocprim17ROCPRIM_400000_NS6detail17trampoline_kernelINS0_14default_configENS1_25transform_config_selectorINS0_10empty_typeELb1EEEZNS1_14transform_implILb1ES3_S6_PS5_S8_NS0_8identityIS5_EEEE10hipError_tT2_T3_mT4_P12ihipStream_tbEUlT_E_NS1_11comp_targetILNS1_3genE4ELNS1_11target_archE910ELNS1_3gpuE8ELNS1_3repE0EEENS1_30default_config_static_selectorELNS0_4arch9wavefront6targetE0EEEvT1_.uses_flat_scratch, 0
	.set _ZN7rocprim17ROCPRIM_400000_NS6detail17trampoline_kernelINS0_14default_configENS1_25transform_config_selectorINS0_10empty_typeELb1EEEZNS1_14transform_implILb1ES3_S6_PS5_S8_NS0_8identityIS5_EEEE10hipError_tT2_T3_mT4_P12ihipStream_tbEUlT_E_NS1_11comp_targetILNS1_3genE4ELNS1_11target_archE910ELNS1_3gpuE8ELNS1_3repE0EEENS1_30default_config_static_selectorELNS0_4arch9wavefront6targetE0EEEvT1_.has_dyn_sized_stack, 0
	.set _ZN7rocprim17ROCPRIM_400000_NS6detail17trampoline_kernelINS0_14default_configENS1_25transform_config_selectorINS0_10empty_typeELb1EEEZNS1_14transform_implILb1ES3_S6_PS5_S8_NS0_8identityIS5_EEEE10hipError_tT2_T3_mT4_P12ihipStream_tbEUlT_E_NS1_11comp_targetILNS1_3genE4ELNS1_11target_archE910ELNS1_3gpuE8ELNS1_3repE0EEENS1_30default_config_static_selectorELNS0_4arch9wavefront6targetE0EEEvT1_.has_recursion, 0
	.set _ZN7rocprim17ROCPRIM_400000_NS6detail17trampoline_kernelINS0_14default_configENS1_25transform_config_selectorINS0_10empty_typeELb1EEEZNS1_14transform_implILb1ES3_S6_PS5_S8_NS0_8identityIS5_EEEE10hipError_tT2_T3_mT4_P12ihipStream_tbEUlT_E_NS1_11comp_targetILNS1_3genE4ELNS1_11target_archE910ELNS1_3gpuE8ELNS1_3repE0EEENS1_30default_config_static_selectorELNS0_4arch9wavefront6targetE0EEEvT1_.has_indirect_call, 0
	.section	.AMDGPU.csdata,"",@progbits
; Kernel info:
; codeLenInByte = 0
; TotalNumSgprs: 0
; NumVgprs: 0
; ScratchSize: 0
; MemoryBound: 0
; FloatMode: 240
; IeeeMode: 1
; LDSByteSize: 0 bytes/workgroup (compile time only)
; SGPRBlocks: 0
; VGPRBlocks: 0
; NumSGPRsForWavesPerEU: 1
; NumVGPRsForWavesPerEU: 1
; Occupancy: 16
; WaveLimiterHint : 0
; COMPUTE_PGM_RSRC2:SCRATCH_EN: 0
; COMPUTE_PGM_RSRC2:USER_SGPR: 6
; COMPUTE_PGM_RSRC2:TRAP_HANDLER: 0
; COMPUTE_PGM_RSRC2:TGID_X_EN: 1
; COMPUTE_PGM_RSRC2:TGID_Y_EN: 0
; COMPUTE_PGM_RSRC2:TGID_Z_EN: 0
; COMPUTE_PGM_RSRC2:TIDIG_COMP_CNT: 0
	.section	.text._ZN7rocprim17ROCPRIM_400000_NS6detail17trampoline_kernelINS0_14default_configENS1_25transform_config_selectorINS0_10empty_typeELb1EEEZNS1_14transform_implILb1ES3_S6_PS5_S8_NS0_8identityIS5_EEEE10hipError_tT2_T3_mT4_P12ihipStream_tbEUlT_E_NS1_11comp_targetILNS1_3genE3ELNS1_11target_archE908ELNS1_3gpuE7ELNS1_3repE0EEENS1_30default_config_static_selectorELNS0_4arch9wavefront6targetE0EEEvT1_,"axG",@progbits,_ZN7rocprim17ROCPRIM_400000_NS6detail17trampoline_kernelINS0_14default_configENS1_25transform_config_selectorINS0_10empty_typeELb1EEEZNS1_14transform_implILb1ES3_S6_PS5_S8_NS0_8identityIS5_EEEE10hipError_tT2_T3_mT4_P12ihipStream_tbEUlT_E_NS1_11comp_targetILNS1_3genE3ELNS1_11target_archE908ELNS1_3gpuE7ELNS1_3repE0EEENS1_30default_config_static_selectorELNS0_4arch9wavefront6targetE0EEEvT1_,comdat
	.protected	_ZN7rocprim17ROCPRIM_400000_NS6detail17trampoline_kernelINS0_14default_configENS1_25transform_config_selectorINS0_10empty_typeELb1EEEZNS1_14transform_implILb1ES3_S6_PS5_S8_NS0_8identityIS5_EEEE10hipError_tT2_T3_mT4_P12ihipStream_tbEUlT_E_NS1_11comp_targetILNS1_3genE3ELNS1_11target_archE908ELNS1_3gpuE7ELNS1_3repE0EEENS1_30default_config_static_selectorELNS0_4arch9wavefront6targetE0EEEvT1_ ; -- Begin function _ZN7rocprim17ROCPRIM_400000_NS6detail17trampoline_kernelINS0_14default_configENS1_25transform_config_selectorINS0_10empty_typeELb1EEEZNS1_14transform_implILb1ES3_S6_PS5_S8_NS0_8identityIS5_EEEE10hipError_tT2_T3_mT4_P12ihipStream_tbEUlT_E_NS1_11comp_targetILNS1_3genE3ELNS1_11target_archE908ELNS1_3gpuE7ELNS1_3repE0EEENS1_30default_config_static_selectorELNS0_4arch9wavefront6targetE0EEEvT1_
	.globl	_ZN7rocprim17ROCPRIM_400000_NS6detail17trampoline_kernelINS0_14default_configENS1_25transform_config_selectorINS0_10empty_typeELb1EEEZNS1_14transform_implILb1ES3_S6_PS5_S8_NS0_8identityIS5_EEEE10hipError_tT2_T3_mT4_P12ihipStream_tbEUlT_E_NS1_11comp_targetILNS1_3genE3ELNS1_11target_archE908ELNS1_3gpuE7ELNS1_3repE0EEENS1_30default_config_static_selectorELNS0_4arch9wavefront6targetE0EEEvT1_
	.p2align	8
	.type	_ZN7rocprim17ROCPRIM_400000_NS6detail17trampoline_kernelINS0_14default_configENS1_25transform_config_selectorINS0_10empty_typeELb1EEEZNS1_14transform_implILb1ES3_S6_PS5_S8_NS0_8identityIS5_EEEE10hipError_tT2_T3_mT4_P12ihipStream_tbEUlT_E_NS1_11comp_targetILNS1_3genE3ELNS1_11target_archE908ELNS1_3gpuE7ELNS1_3repE0EEENS1_30default_config_static_selectorELNS0_4arch9wavefront6targetE0EEEvT1_,@function
_ZN7rocprim17ROCPRIM_400000_NS6detail17trampoline_kernelINS0_14default_configENS1_25transform_config_selectorINS0_10empty_typeELb1EEEZNS1_14transform_implILb1ES3_S6_PS5_S8_NS0_8identityIS5_EEEE10hipError_tT2_T3_mT4_P12ihipStream_tbEUlT_E_NS1_11comp_targetILNS1_3genE3ELNS1_11target_archE908ELNS1_3gpuE7ELNS1_3repE0EEENS1_30default_config_static_selectorELNS0_4arch9wavefront6targetE0EEEvT1_: ; @_ZN7rocprim17ROCPRIM_400000_NS6detail17trampoline_kernelINS0_14default_configENS1_25transform_config_selectorINS0_10empty_typeELb1EEEZNS1_14transform_implILb1ES3_S6_PS5_S8_NS0_8identityIS5_EEEE10hipError_tT2_T3_mT4_P12ihipStream_tbEUlT_E_NS1_11comp_targetILNS1_3genE3ELNS1_11target_archE908ELNS1_3gpuE7ELNS1_3repE0EEENS1_30default_config_static_selectorELNS0_4arch9wavefront6targetE0EEEvT1_
; %bb.0:
	.section	.rodata,"a",@progbits
	.p2align	6, 0x0
	.amdhsa_kernel _ZN7rocprim17ROCPRIM_400000_NS6detail17trampoline_kernelINS0_14default_configENS1_25transform_config_selectorINS0_10empty_typeELb1EEEZNS1_14transform_implILb1ES3_S6_PS5_S8_NS0_8identityIS5_EEEE10hipError_tT2_T3_mT4_P12ihipStream_tbEUlT_E_NS1_11comp_targetILNS1_3genE3ELNS1_11target_archE908ELNS1_3gpuE7ELNS1_3repE0EEENS1_30default_config_static_selectorELNS0_4arch9wavefront6targetE0EEEvT1_
		.amdhsa_group_segment_fixed_size 0
		.amdhsa_private_segment_fixed_size 0
		.amdhsa_kernarg_size 40
		.amdhsa_user_sgpr_count 6
		.amdhsa_user_sgpr_private_segment_buffer 1
		.amdhsa_user_sgpr_dispatch_ptr 0
		.amdhsa_user_sgpr_queue_ptr 0
		.amdhsa_user_sgpr_kernarg_segment_ptr 1
		.amdhsa_user_sgpr_dispatch_id 0
		.amdhsa_user_sgpr_flat_scratch_init 0
		.amdhsa_user_sgpr_private_segment_size 0
		.amdhsa_wavefront_size32 1
		.amdhsa_uses_dynamic_stack 0
		.amdhsa_system_sgpr_private_segment_wavefront_offset 0
		.amdhsa_system_sgpr_workgroup_id_x 1
		.amdhsa_system_sgpr_workgroup_id_y 0
		.amdhsa_system_sgpr_workgroup_id_z 0
		.amdhsa_system_sgpr_workgroup_info 0
		.amdhsa_system_vgpr_workitem_id 0
		.amdhsa_next_free_vgpr 1
		.amdhsa_next_free_sgpr 1
		.amdhsa_reserve_vcc 0
		.amdhsa_reserve_flat_scratch 0
		.amdhsa_float_round_mode_32 0
		.amdhsa_float_round_mode_16_64 0
		.amdhsa_float_denorm_mode_32 3
		.amdhsa_float_denorm_mode_16_64 3
		.amdhsa_dx10_clamp 1
		.amdhsa_ieee_mode 1
		.amdhsa_fp16_overflow 0
		.amdhsa_workgroup_processor_mode 1
		.amdhsa_memory_ordered 1
		.amdhsa_forward_progress 1
		.amdhsa_shared_vgpr_count 0
		.amdhsa_exception_fp_ieee_invalid_op 0
		.amdhsa_exception_fp_denorm_src 0
		.amdhsa_exception_fp_ieee_div_zero 0
		.amdhsa_exception_fp_ieee_overflow 0
		.amdhsa_exception_fp_ieee_underflow 0
		.amdhsa_exception_fp_ieee_inexact 0
		.amdhsa_exception_int_div_zero 0
	.end_amdhsa_kernel
	.section	.text._ZN7rocprim17ROCPRIM_400000_NS6detail17trampoline_kernelINS0_14default_configENS1_25transform_config_selectorINS0_10empty_typeELb1EEEZNS1_14transform_implILb1ES3_S6_PS5_S8_NS0_8identityIS5_EEEE10hipError_tT2_T3_mT4_P12ihipStream_tbEUlT_E_NS1_11comp_targetILNS1_3genE3ELNS1_11target_archE908ELNS1_3gpuE7ELNS1_3repE0EEENS1_30default_config_static_selectorELNS0_4arch9wavefront6targetE0EEEvT1_,"axG",@progbits,_ZN7rocprim17ROCPRIM_400000_NS6detail17trampoline_kernelINS0_14default_configENS1_25transform_config_selectorINS0_10empty_typeELb1EEEZNS1_14transform_implILb1ES3_S6_PS5_S8_NS0_8identityIS5_EEEE10hipError_tT2_T3_mT4_P12ihipStream_tbEUlT_E_NS1_11comp_targetILNS1_3genE3ELNS1_11target_archE908ELNS1_3gpuE7ELNS1_3repE0EEENS1_30default_config_static_selectorELNS0_4arch9wavefront6targetE0EEEvT1_,comdat
.Lfunc_end80:
	.size	_ZN7rocprim17ROCPRIM_400000_NS6detail17trampoline_kernelINS0_14default_configENS1_25transform_config_selectorINS0_10empty_typeELb1EEEZNS1_14transform_implILb1ES3_S6_PS5_S8_NS0_8identityIS5_EEEE10hipError_tT2_T3_mT4_P12ihipStream_tbEUlT_E_NS1_11comp_targetILNS1_3genE3ELNS1_11target_archE908ELNS1_3gpuE7ELNS1_3repE0EEENS1_30default_config_static_selectorELNS0_4arch9wavefront6targetE0EEEvT1_, .Lfunc_end80-_ZN7rocprim17ROCPRIM_400000_NS6detail17trampoline_kernelINS0_14default_configENS1_25transform_config_selectorINS0_10empty_typeELb1EEEZNS1_14transform_implILb1ES3_S6_PS5_S8_NS0_8identityIS5_EEEE10hipError_tT2_T3_mT4_P12ihipStream_tbEUlT_E_NS1_11comp_targetILNS1_3genE3ELNS1_11target_archE908ELNS1_3gpuE7ELNS1_3repE0EEENS1_30default_config_static_selectorELNS0_4arch9wavefront6targetE0EEEvT1_
                                        ; -- End function
	.set _ZN7rocprim17ROCPRIM_400000_NS6detail17trampoline_kernelINS0_14default_configENS1_25transform_config_selectorINS0_10empty_typeELb1EEEZNS1_14transform_implILb1ES3_S6_PS5_S8_NS0_8identityIS5_EEEE10hipError_tT2_T3_mT4_P12ihipStream_tbEUlT_E_NS1_11comp_targetILNS1_3genE3ELNS1_11target_archE908ELNS1_3gpuE7ELNS1_3repE0EEENS1_30default_config_static_selectorELNS0_4arch9wavefront6targetE0EEEvT1_.num_vgpr, 0
	.set _ZN7rocprim17ROCPRIM_400000_NS6detail17trampoline_kernelINS0_14default_configENS1_25transform_config_selectorINS0_10empty_typeELb1EEEZNS1_14transform_implILb1ES3_S6_PS5_S8_NS0_8identityIS5_EEEE10hipError_tT2_T3_mT4_P12ihipStream_tbEUlT_E_NS1_11comp_targetILNS1_3genE3ELNS1_11target_archE908ELNS1_3gpuE7ELNS1_3repE0EEENS1_30default_config_static_selectorELNS0_4arch9wavefront6targetE0EEEvT1_.num_agpr, 0
	.set _ZN7rocprim17ROCPRIM_400000_NS6detail17trampoline_kernelINS0_14default_configENS1_25transform_config_selectorINS0_10empty_typeELb1EEEZNS1_14transform_implILb1ES3_S6_PS5_S8_NS0_8identityIS5_EEEE10hipError_tT2_T3_mT4_P12ihipStream_tbEUlT_E_NS1_11comp_targetILNS1_3genE3ELNS1_11target_archE908ELNS1_3gpuE7ELNS1_3repE0EEENS1_30default_config_static_selectorELNS0_4arch9wavefront6targetE0EEEvT1_.numbered_sgpr, 0
	.set _ZN7rocprim17ROCPRIM_400000_NS6detail17trampoline_kernelINS0_14default_configENS1_25transform_config_selectorINS0_10empty_typeELb1EEEZNS1_14transform_implILb1ES3_S6_PS5_S8_NS0_8identityIS5_EEEE10hipError_tT2_T3_mT4_P12ihipStream_tbEUlT_E_NS1_11comp_targetILNS1_3genE3ELNS1_11target_archE908ELNS1_3gpuE7ELNS1_3repE0EEENS1_30default_config_static_selectorELNS0_4arch9wavefront6targetE0EEEvT1_.num_named_barrier, 0
	.set _ZN7rocprim17ROCPRIM_400000_NS6detail17trampoline_kernelINS0_14default_configENS1_25transform_config_selectorINS0_10empty_typeELb1EEEZNS1_14transform_implILb1ES3_S6_PS5_S8_NS0_8identityIS5_EEEE10hipError_tT2_T3_mT4_P12ihipStream_tbEUlT_E_NS1_11comp_targetILNS1_3genE3ELNS1_11target_archE908ELNS1_3gpuE7ELNS1_3repE0EEENS1_30default_config_static_selectorELNS0_4arch9wavefront6targetE0EEEvT1_.private_seg_size, 0
	.set _ZN7rocprim17ROCPRIM_400000_NS6detail17trampoline_kernelINS0_14default_configENS1_25transform_config_selectorINS0_10empty_typeELb1EEEZNS1_14transform_implILb1ES3_S6_PS5_S8_NS0_8identityIS5_EEEE10hipError_tT2_T3_mT4_P12ihipStream_tbEUlT_E_NS1_11comp_targetILNS1_3genE3ELNS1_11target_archE908ELNS1_3gpuE7ELNS1_3repE0EEENS1_30default_config_static_selectorELNS0_4arch9wavefront6targetE0EEEvT1_.uses_vcc, 0
	.set _ZN7rocprim17ROCPRIM_400000_NS6detail17trampoline_kernelINS0_14default_configENS1_25transform_config_selectorINS0_10empty_typeELb1EEEZNS1_14transform_implILb1ES3_S6_PS5_S8_NS0_8identityIS5_EEEE10hipError_tT2_T3_mT4_P12ihipStream_tbEUlT_E_NS1_11comp_targetILNS1_3genE3ELNS1_11target_archE908ELNS1_3gpuE7ELNS1_3repE0EEENS1_30default_config_static_selectorELNS0_4arch9wavefront6targetE0EEEvT1_.uses_flat_scratch, 0
	.set _ZN7rocprim17ROCPRIM_400000_NS6detail17trampoline_kernelINS0_14default_configENS1_25transform_config_selectorINS0_10empty_typeELb1EEEZNS1_14transform_implILb1ES3_S6_PS5_S8_NS0_8identityIS5_EEEE10hipError_tT2_T3_mT4_P12ihipStream_tbEUlT_E_NS1_11comp_targetILNS1_3genE3ELNS1_11target_archE908ELNS1_3gpuE7ELNS1_3repE0EEENS1_30default_config_static_selectorELNS0_4arch9wavefront6targetE0EEEvT1_.has_dyn_sized_stack, 0
	.set _ZN7rocprim17ROCPRIM_400000_NS6detail17trampoline_kernelINS0_14default_configENS1_25transform_config_selectorINS0_10empty_typeELb1EEEZNS1_14transform_implILb1ES3_S6_PS5_S8_NS0_8identityIS5_EEEE10hipError_tT2_T3_mT4_P12ihipStream_tbEUlT_E_NS1_11comp_targetILNS1_3genE3ELNS1_11target_archE908ELNS1_3gpuE7ELNS1_3repE0EEENS1_30default_config_static_selectorELNS0_4arch9wavefront6targetE0EEEvT1_.has_recursion, 0
	.set _ZN7rocprim17ROCPRIM_400000_NS6detail17trampoline_kernelINS0_14default_configENS1_25transform_config_selectorINS0_10empty_typeELb1EEEZNS1_14transform_implILb1ES3_S6_PS5_S8_NS0_8identityIS5_EEEE10hipError_tT2_T3_mT4_P12ihipStream_tbEUlT_E_NS1_11comp_targetILNS1_3genE3ELNS1_11target_archE908ELNS1_3gpuE7ELNS1_3repE0EEENS1_30default_config_static_selectorELNS0_4arch9wavefront6targetE0EEEvT1_.has_indirect_call, 0
	.section	.AMDGPU.csdata,"",@progbits
; Kernel info:
; codeLenInByte = 0
; TotalNumSgprs: 0
; NumVgprs: 0
; ScratchSize: 0
; MemoryBound: 0
; FloatMode: 240
; IeeeMode: 1
; LDSByteSize: 0 bytes/workgroup (compile time only)
; SGPRBlocks: 0
; VGPRBlocks: 0
; NumSGPRsForWavesPerEU: 1
; NumVGPRsForWavesPerEU: 1
; Occupancy: 16
; WaveLimiterHint : 0
; COMPUTE_PGM_RSRC2:SCRATCH_EN: 0
; COMPUTE_PGM_RSRC2:USER_SGPR: 6
; COMPUTE_PGM_RSRC2:TRAP_HANDLER: 0
; COMPUTE_PGM_RSRC2:TGID_X_EN: 1
; COMPUTE_PGM_RSRC2:TGID_Y_EN: 0
; COMPUTE_PGM_RSRC2:TGID_Z_EN: 0
; COMPUTE_PGM_RSRC2:TIDIG_COMP_CNT: 0
	.section	.text._ZN7rocprim17ROCPRIM_400000_NS6detail17trampoline_kernelINS0_14default_configENS1_25transform_config_selectorINS0_10empty_typeELb1EEEZNS1_14transform_implILb1ES3_S6_PS5_S8_NS0_8identityIS5_EEEE10hipError_tT2_T3_mT4_P12ihipStream_tbEUlT_E_NS1_11comp_targetILNS1_3genE2ELNS1_11target_archE906ELNS1_3gpuE6ELNS1_3repE0EEENS1_30default_config_static_selectorELNS0_4arch9wavefront6targetE0EEEvT1_,"axG",@progbits,_ZN7rocprim17ROCPRIM_400000_NS6detail17trampoline_kernelINS0_14default_configENS1_25transform_config_selectorINS0_10empty_typeELb1EEEZNS1_14transform_implILb1ES3_S6_PS5_S8_NS0_8identityIS5_EEEE10hipError_tT2_T3_mT4_P12ihipStream_tbEUlT_E_NS1_11comp_targetILNS1_3genE2ELNS1_11target_archE906ELNS1_3gpuE6ELNS1_3repE0EEENS1_30default_config_static_selectorELNS0_4arch9wavefront6targetE0EEEvT1_,comdat
	.protected	_ZN7rocprim17ROCPRIM_400000_NS6detail17trampoline_kernelINS0_14default_configENS1_25transform_config_selectorINS0_10empty_typeELb1EEEZNS1_14transform_implILb1ES3_S6_PS5_S8_NS0_8identityIS5_EEEE10hipError_tT2_T3_mT4_P12ihipStream_tbEUlT_E_NS1_11comp_targetILNS1_3genE2ELNS1_11target_archE906ELNS1_3gpuE6ELNS1_3repE0EEENS1_30default_config_static_selectorELNS0_4arch9wavefront6targetE0EEEvT1_ ; -- Begin function _ZN7rocprim17ROCPRIM_400000_NS6detail17trampoline_kernelINS0_14default_configENS1_25transform_config_selectorINS0_10empty_typeELb1EEEZNS1_14transform_implILb1ES3_S6_PS5_S8_NS0_8identityIS5_EEEE10hipError_tT2_T3_mT4_P12ihipStream_tbEUlT_E_NS1_11comp_targetILNS1_3genE2ELNS1_11target_archE906ELNS1_3gpuE6ELNS1_3repE0EEENS1_30default_config_static_selectorELNS0_4arch9wavefront6targetE0EEEvT1_
	.globl	_ZN7rocprim17ROCPRIM_400000_NS6detail17trampoline_kernelINS0_14default_configENS1_25transform_config_selectorINS0_10empty_typeELb1EEEZNS1_14transform_implILb1ES3_S6_PS5_S8_NS0_8identityIS5_EEEE10hipError_tT2_T3_mT4_P12ihipStream_tbEUlT_E_NS1_11comp_targetILNS1_3genE2ELNS1_11target_archE906ELNS1_3gpuE6ELNS1_3repE0EEENS1_30default_config_static_selectorELNS0_4arch9wavefront6targetE0EEEvT1_
	.p2align	8
	.type	_ZN7rocprim17ROCPRIM_400000_NS6detail17trampoline_kernelINS0_14default_configENS1_25transform_config_selectorINS0_10empty_typeELb1EEEZNS1_14transform_implILb1ES3_S6_PS5_S8_NS0_8identityIS5_EEEE10hipError_tT2_T3_mT4_P12ihipStream_tbEUlT_E_NS1_11comp_targetILNS1_3genE2ELNS1_11target_archE906ELNS1_3gpuE6ELNS1_3repE0EEENS1_30default_config_static_selectorELNS0_4arch9wavefront6targetE0EEEvT1_,@function
_ZN7rocprim17ROCPRIM_400000_NS6detail17trampoline_kernelINS0_14default_configENS1_25transform_config_selectorINS0_10empty_typeELb1EEEZNS1_14transform_implILb1ES3_S6_PS5_S8_NS0_8identityIS5_EEEE10hipError_tT2_T3_mT4_P12ihipStream_tbEUlT_E_NS1_11comp_targetILNS1_3genE2ELNS1_11target_archE906ELNS1_3gpuE6ELNS1_3repE0EEENS1_30default_config_static_selectorELNS0_4arch9wavefront6targetE0EEEvT1_: ; @_ZN7rocprim17ROCPRIM_400000_NS6detail17trampoline_kernelINS0_14default_configENS1_25transform_config_selectorINS0_10empty_typeELb1EEEZNS1_14transform_implILb1ES3_S6_PS5_S8_NS0_8identityIS5_EEEE10hipError_tT2_T3_mT4_P12ihipStream_tbEUlT_E_NS1_11comp_targetILNS1_3genE2ELNS1_11target_archE906ELNS1_3gpuE6ELNS1_3repE0EEENS1_30default_config_static_selectorELNS0_4arch9wavefront6targetE0EEEvT1_
; %bb.0:
	.section	.rodata,"a",@progbits
	.p2align	6, 0x0
	.amdhsa_kernel _ZN7rocprim17ROCPRIM_400000_NS6detail17trampoline_kernelINS0_14default_configENS1_25transform_config_selectorINS0_10empty_typeELb1EEEZNS1_14transform_implILb1ES3_S6_PS5_S8_NS0_8identityIS5_EEEE10hipError_tT2_T3_mT4_P12ihipStream_tbEUlT_E_NS1_11comp_targetILNS1_3genE2ELNS1_11target_archE906ELNS1_3gpuE6ELNS1_3repE0EEENS1_30default_config_static_selectorELNS0_4arch9wavefront6targetE0EEEvT1_
		.amdhsa_group_segment_fixed_size 0
		.amdhsa_private_segment_fixed_size 0
		.amdhsa_kernarg_size 40
		.amdhsa_user_sgpr_count 6
		.amdhsa_user_sgpr_private_segment_buffer 1
		.amdhsa_user_sgpr_dispatch_ptr 0
		.amdhsa_user_sgpr_queue_ptr 0
		.amdhsa_user_sgpr_kernarg_segment_ptr 1
		.amdhsa_user_sgpr_dispatch_id 0
		.amdhsa_user_sgpr_flat_scratch_init 0
		.amdhsa_user_sgpr_private_segment_size 0
		.amdhsa_wavefront_size32 1
		.amdhsa_uses_dynamic_stack 0
		.amdhsa_system_sgpr_private_segment_wavefront_offset 0
		.amdhsa_system_sgpr_workgroup_id_x 1
		.amdhsa_system_sgpr_workgroup_id_y 0
		.amdhsa_system_sgpr_workgroup_id_z 0
		.amdhsa_system_sgpr_workgroup_info 0
		.amdhsa_system_vgpr_workitem_id 0
		.amdhsa_next_free_vgpr 1
		.amdhsa_next_free_sgpr 1
		.amdhsa_reserve_vcc 0
		.amdhsa_reserve_flat_scratch 0
		.amdhsa_float_round_mode_32 0
		.amdhsa_float_round_mode_16_64 0
		.amdhsa_float_denorm_mode_32 3
		.amdhsa_float_denorm_mode_16_64 3
		.amdhsa_dx10_clamp 1
		.amdhsa_ieee_mode 1
		.amdhsa_fp16_overflow 0
		.amdhsa_workgroup_processor_mode 1
		.amdhsa_memory_ordered 1
		.amdhsa_forward_progress 1
		.amdhsa_shared_vgpr_count 0
		.amdhsa_exception_fp_ieee_invalid_op 0
		.amdhsa_exception_fp_denorm_src 0
		.amdhsa_exception_fp_ieee_div_zero 0
		.amdhsa_exception_fp_ieee_overflow 0
		.amdhsa_exception_fp_ieee_underflow 0
		.amdhsa_exception_fp_ieee_inexact 0
		.amdhsa_exception_int_div_zero 0
	.end_amdhsa_kernel
	.section	.text._ZN7rocprim17ROCPRIM_400000_NS6detail17trampoline_kernelINS0_14default_configENS1_25transform_config_selectorINS0_10empty_typeELb1EEEZNS1_14transform_implILb1ES3_S6_PS5_S8_NS0_8identityIS5_EEEE10hipError_tT2_T3_mT4_P12ihipStream_tbEUlT_E_NS1_11comp_targetILNS1_3genE2ELNS1_11target_archE906ELNS1_3gpuE6ELNS1_3repE0EEENS1_30default_config_static_selectorELNS0_4arch9wavefront6targetE0EEEvT1_,"axG",@progbits,_ZN7rocprim17ROCPRIM_400000_NS6detail17trampoline_kernelINS0_14default_configENS1_25transform_config_selectorINS0_10empty_typeELb1EEEZNS1_14transform_implILb1ES3_S6_PS5_S8_NS0_8identityIS5_EEEE10hipError_tT2_T3_mT4_P12ihipStream_tbEUlT_E_NS1_11comp_targetILNS1_3genE2ELNS1_11target_archE906ELNS1_3gpuE6ELNS1_3repE0EEENS1_30default_config_static_selectorELNS0_4arch9wavefront6targetE0EEEvT1_,comdat
.Lfunc_end81:
	.size	_ZN7rocprim17ROCPRIM_400000_NS6detail17trampoline_kernelINS0_14default_configENS1_25transform_config_selectorINS0_10empty_typeELb1EEEZNS1_14transform_implILb1ES3_S6_PS5_S8_NS0_8identityIS5_EEEE10hipError_tT2_T3_mT4_P12ihipStream_tbEUlT_E_NS1_11comp_targetILNS1_3genE2ELNS1_11target_archE906ELNS1_3gpuE6ELNS1_3repE0EEENS1_30default_config_static_selectorELNS0_4arch9wavefront6targetE0EEEvT1_, .Lfunc_end81-_ZN7rocprim17ROCPRIM_400000_NS6detail17trampoline_kernelINS0_14default_configENS1_25transform_config_selectorINS0_10empty_typeELb1EEEZNS1_14transform_implILb1ES3_S6_PS5_S8_NS0_8identityIS5_EEEE10hipError_tT2_T3_mT4_P12ihipStream_tbEUlT_E_NS1_11comp_targetILNS1_3genE2ELNS1_11target_archE906ELNS1_3gpuE6ELNS1_3repE0EEENS1_30default_config_static_selectorELNS0_4arch9wavefront6targetE0EEEvT1_
                                        ; -- End function
	.set _ZN7rocprim17ROCPRIM_400000_NS6detail17trampoline_kernelINS0_14default_configENS1_25transform_config_selectorINS0_10empty_typeELb1EEEZNS1_14transform_implILb1ES3_S6_PS5_S8_NS0_8identityIS5_EEEE10hipError_tT2_T3_mT4_P12ihipStream_tbEUlT_E_NS1_11comp_targetILNS1_3genE2ELNS1_11target_archE906ELNS1_3gpuE6ELNS1_3repE0EEENS1_30default_config_static_selectorELNS0_4arch9wavefront6targetE0EEEvT1_.num_vgpr, 0
	.set _ZN7rocprim17ROCPRIM_400000_NS6detail17trampoline_kernelINS0_14default_configENS1_25transform_config_selectorINS0_10empty_typeELb1EEEZNS1_14transform_implILb1ES3_S6_PS5_S8_NS0_8identityIS5_EEEE10hipError_tT2_T3_mT4_P12ihipStream_tbEUlT_E_NS1_11comp_targetILNS1_3genE2ELNS1_11target_archE906ELNS1_3gpuE6ELNS1_3repE0EEENS1_30default_config_static_selectorELNS0_4arch9wavefront6targetE0EEEvT1_.num_agpr, 0
	.set _ZN7rocprim17ROCPRIM_400000_NS6detail17trampoline_kernelINS0_14default_configENS1_25transform_config_selectorINS0_10empty_typeELb1EEEZNS1_14transform_implILb1ES3_S6_PS5_S8_NS0_8identityIS5_EEEE10hipError_tT2_T3_mT4_P12ihipStream_tbEUlT_E_NS1_11comp_targetILNS1_3genE2ELNS1_11target_archE906ELNS1_3gpuE6ELNS1_3repE0EEENS1_30default_config_static_selectorELNS0_4arch9wavefront6targetE0EEEvT1_.numbered_sgpr, 0
	.set _ZN7rocprim17ROCPRIM_400000_NS6detail17trampoline_kernelINS0_14default_configENS1_25transform_config_selectorINS0_10empty_typeELb1EEEZNS1_14transform_implILb1ES3_S6_PS5_S8_NS0_8identityIS5_EEEE10hipError_tT2_T3_mT4_P12ihipStream_tbEUlT_E_NS1_11comp_targetILNS1_3genE2ELNS1_11target_archE906ELNS1_3gpuE6ELNS1_3repE0EEENS1_30default_config_static_selectorELNS0_4arch9wavefront6targetE0EEEvT1_.num_named_barrier, 0
	.set _ZN7rocprim17ROCPRIM_400000_NS6detail17trampoline_kernelINS0_14default_configENS1_25transform_config_selectorINS0_10empty_typeELb1EEEZNS1_14transform_implILb1ES3_S6_PS5_S8_NS0_8identityIS5_EEEE10hipError_tT2_T3_mT4_P12ihipStream_tbEUlT_E_NS1_11comp_targetILNS1_3genE2ELNS1_11target_archE906ELNS1_3gpuE6ELNS1_3repE0EEENS1_30default_config_static_selectorELNS0_4arch9wavefront6targetE0EEEvT1_.private_seg_size, 0
	.set _ZN7rocprim17ROCPRIM_400000_NS6detail17trampoline_kernelINS0_14default_configENS1_25transform_config_selectorINS0_10empty_typeELb1EEEZNS1_14transform_implILb1ES3_S6_PS5_S8_NS0_8identityIS5_EEEE10hipError_tT2_T3_mT4_P12ihipStream_tbEUlT_E_NS1_11comp_targetILNS1_3genE2ELNS1_11target_archE906ELNS1_3gpuE6ELNS1_3repE0EEENS1_30default_config_static_selectorELNS0_4arch9wavefront6targetE0EEEvT1_.uses_vcc, 0
	.set _ZN7rocprim17ROCPRIM_400000_NS6detail17trampoline_kernelINS0_14default_configENS1_25transform_config_selectorINS0_10empty_typeELb1EEEZNS1_14transform_implILb1ES3_S6_PS5_S8_NS0_8identityIS5_EEEE10hipError_tT2_T3_mT4_P12ihipStream_tbEUlT_E_NS1_11comp_targetILNS1_3genE2ELNS1_11target_archE906ELNS1_3gpuE6ELNS1_3repE0EEENS1_30default_config_static_selectorELNS0_4arch9wavefront6targetE0EEEvT1_.uses_flat_scratch, 0
	.set _ZN7rocprim17ROCPRIM_400000_NS6detail17trampoline_kernelINS0_14default_configENS1_25transform_config_selectorINS0_10empty_typeELb1EEEZNS1_14transform_implILb1ES3_S6_PS5_S8_NS0_8identityIS5_EEEE10hipError_tT2_T3_mT4_P12ihipStream_tbEUlT_E_NS1_11comp_targetILNS1_3genE2ELNS1_11target_archE906ELNS1_3gpuE6ELNS1_3repE0EEENS1_30default_config_static_selectorELNS0_4arch9wavefront6targetE0EEEvT1_.has_dyn_sized_stack, 0
	.set _ZN7rocprim17ROCPRIM_400000_NS6detail17trampoline_kernelINS0_14default_configENS1_25transform_config_selectorINS0_10empty_typeELb1EEEZNS1_14transform_implILb1ES3_S6_PS5_S8_NS0_8identityIS5_EEEE10hipError_tT2_T3_mT4_P12ihipStream_tbEUlT_E_NS1_11comp_targetILNS1_3genE2ELNS1_11target_archE906ELNS1_3gpuE6ELNS1_3repE0EEENS1_30default_config_static_selectorELNS0_4arch9wavefront6targetE0EEEvT1_.has_recursion, 0
	.set _ZN7rocprim17ROCPRIM_400000_NS6detail17trampoline_kernelINS0_14default_configENS1_25transform_config_selectorINS0_10empty_typeELb1EEEZNS1_14transform_implILb1ES3_S6_PS5_S8_NS0_8identityIS5_EEEE10hipError_tT2_T3_mT4_P12ihipStream_tbEUlT_E_NS1_11comp_targetILNS1_3genE2ELNS1_11target_archE906ELNS1_3gpuE6ELNS1_3repE0EEENS1_30default_config_static_selectorELNS0_4arch9wavefront6targetE0EEEvT1_.has_indirect_call, 0
	.section	.AMDGPU.csdata,"",@progbits
; Kernel info:
; codeLenInByte = 0
; TotalNumSgprs: 0
; NumVgprs: 0
; ScratchSize: 0
; MemoryBound: 0
; FloatMode: 240
; IeeeMode: 1
; LDSByteSize: 0 bytes/workgroup (compile time only)
; SGPRBlocks: 0
; VGPRBlocks: 0
; NumSGPRsForWavesPerEU: 1
; NumVGPRsForWavesPerEU: 1
; Occupancy: 16
; WaveLimiterHint : 0
; COMPUTE_PGM_RSRC2:SCRATCH_EN: 0
; COMPUTE_PGM_RSRC2:USER_SGPR: 6
; COMPUTE_PGM_RSRC2:TRAP_HANDLER: 0
; COMPUTE_PGM_RSRC2:TGID_X_EN: 1
; COMPUTE_PGM_RSRC2:TGID_Y_EN: 0
; COMPUTE_PGM_RSRC2:TGID_Z_EN: 0
; COMPUTE_PGM_RSRC2:TIDIG_COMP_CNT: 0
	.section	.text._ZN7rocprim17ROCPRIM_400000_NS6detail17trampoline_kernelINS0_14default_configENS1_25transform_config_selectorINS0_10empty_typeELb1EEEZNS1_14transform_implILb1ES3_S6_PS5_S8_NS0_8identityIS5_EEEE10hipError_tT2_T3_mT4_P12ihipStream_tbEUlT_E_NS1_11comp_targetILNS1_3genE9ELNS1_11target_archE1100ELNS1_3gpuE3ELNS1_3repE0EEENS1_30default_config_static_selectorELNS0_4arch9wavefront6targetE0EEEvT1_,"axG",@progbits,_ZN7rocprim17ROCPRIM_400000_NS6detail17trampoline_kernelINS0_14default_configENS1_25transform_config_selectorINS0_10empty_typeELb1EEEZNS1_14transform_implILb1ES3_S6_PS5_S8_NS0_8identityIS5_EEEE10hipError_tT2_T3_mT4_P12ihipStream_tbEUlT_E_NS1_11comp_targetILNS1_3genE9ELNS1_11target_archE1100ELNS1_3gpuE3ELNS1_3repE0EEENS1_30default_config_static_selectorELNS0_4arch9wavefront6targetE0EEEvT1_,comdat
	.protected	_ZN7rocprim17ROCPRIM_400000_NS6detail17trampoline_kernelINS0_14default_configENS1_25transform_config_selectorINS0_10empty_typeELb1EEEZNS1_14transform_implILb1ES3_S6_PS5_S8_NS0_8identityIS5_EEEE10hipError_tT2_T3_mT4_P12ihipStream_tbEUlT_E_NS1_11comp_targetILNS1_3genE9ELNS1_11target_archE1100ELNS1_3gpuE3ELNS1_3repE0EEENS1_30default_config_static_selectorELNS0_4arch9wavefront6targetE0EEEvT1_ ; -- Begin function _ZN7rocprim17ROCPRIM_400000_NS6detail17trampoline_kernelINS0_14default_configENS1_25transform_config_selectorINS0_10empty_typeELb1EEEZNS1_14transform_implILb1ES3_S6_PS5_S8_NS0_8identityIS5_EEEE10hipError_tT2_T3_mT4_P12ihipStream_tbEUlT_E_NS1_11comp_targetILNS1_3genE9ELNS1_11target_archE1100ELNS1_3gpuE3ELNS1_3repE0EEENS1_30default_config_static_selectorELNS0_4arch9wavefront6targetE0EEEvT1_
	.globl	_ZN7rocprim17ROCPRIM_400000_NS6detail17trampoline_kernelINS0_14default_configENS1_25transform_config_selectorINS0_10empty_typeELb1EEEZNS1_14transform_implILb1ES3_S6_PS5_S8_NS0_8identityIS5_EEEE10hipError_tT2_T3_mT4_P12ihipStream_tbEUlT_E_NS1_11comp_targetILNS1_3genE9ELNS1_11target_archE1100ELNS1_3gpuE3ELNS1_3repE0EEENS1_30default_config_static_selectorELNS0_4arch9wavefront6targetE0EEEvT1_
	.p2align	8
	.type	_ZN7rocprim17ROCPRIM_400000_NS6detail17trampoline_kernelINS0_14default_configENS1_25transform_config_selectorINS0_10empty_typeELb1EEEZNS1_14transform_implILb1ES3_S6_PS5_S8_NS0_8identityIS5_EEEE10hipError_tT2_T3_mT4_P12ihipStream_tbEUlT_E_NS1_11comp_targetILNS1_3genE9ELNS1_11target_archE1100ELNS1_3gpuE3ELNS1_3repE0EEENS1_30default_config_static_selectorELNS0_4arch9wavefront6targetE0EEEvT1_,@function
_ZN7rocprim17ROCPRIM_400000_NS6detail17trampoline_kernelINS0_14default_configENS1_25transform_config_selectorINS0_10empty_typeELb1EEEZNS1_14transform_implILb1ES3_S6_PS5_S8_NS0_8identityIS5_EEEE10hipError_tT2_T3_mT4_P12ihipStream_tbEUlT_E_NS1_11comp_targetILNS1_3genE9ELNS1_11target_archE1100ELNS1_3gpuE3ELNS1_3repE0EEENS1_30default_config_static_selectorELNS0_4arch9wavefront6targetE0EEEvT1_: ; @_ZN7rocprim17ROCPRIM_400000_NS6detail17trampoline_kernelINS0_14default_configENS1_25transform_config_selectorINS0_10empty_typeELb1EEEZNS1_14transform_implILb1ES3_S6_PS5_S8_NS0_8identityIS5_EEEE10hipError_tT2_T3_mT4_P12ihipStream_tbEUlT_E_NS1_11comp_targetILNS1_3genE9ELNS1_11target_archE1100ELNS1_3gpuE3ELNS1_3repE0EEENS1_30default_config_static_selectorELNS0_4arch9wavefront6targetE0EEEvT1_
; %bb.0:
	.section	.rodata,"a",@progbits
	.p2align	6, 0x0
	.amdhsa_kernel _ZN7rocprim17ROCPRIM_400000_NS6detail17trampoline_kernelINS0_14default_configENS1_25transform_config_selectorINS0_10empty_typeELb1EEEZNS1_14transform_implILb1ES3_S6_PS5_S8_NS0_8identityIS5_EEEE10hipError_tT2_T3_mT4_P12ihipStream_tbEUlT_E_NS1_11comp_targetILNS1_3genE9ELNS1_11target_archE1100ELNS1_3gpuE3ELNS1_3repE0EEENS1_30default_config_static_selectorELNS0_4arch9wavefront6targetE0EEEvT1_
		.amdhsa_group_segment_fixed_size 0
		.amdhsa_private_segment_fixed_size 0
		.amdhsa_kernarg_size 40
		.amdhsa_user_sgpr_count 6
		.amdhsa_user_sgpr_private_segment_buffer 1
		.amdhsa_user_sgpr_dispatch_ptr 0
		.amdhsa_user_sgpr_queue_ptr 0
		.amdhsa_user_sgpr_kernarg_segment_ptr 1
		.amdhsa_user_sgpr_dispatch_id 0
		.amdhsa_user_sgpr_flat_scratch_init 0
		.amdhsa_user_sgpr_private_segment_size 0
		.amdhsa_wavefront_size32 1
		.amdhsa_uses_dynamic_stack 0
		.amdhsa_system_sgpr_private_segment_wavefront_offset 0
		.amdhsa_system_sgpr_workgroup_id_x 1
		.amdhsa_system_sgpr_workgroup_id_y 0
		.amdhsa_system_sgpr_workgroup_id_z 0
		.amdhsa_system_sgpr_workgroup_info 0
		.amdhsa_system_vgpr_workitem_id 0
		.amdhsa_next_free_vgpr 1
		.amdhsa_next_free_sgpr 1
		.amdhsa_reserve_vcc 0
		.amdhsa_reserve_flat_scratch 0
		.amdhsa_float_round_mode_32 0
		.amdhsa_float_round_mode_16_64 0
		.amdhsa_float_denorm_mode_32 3
		.amdhsa_float_denorm_mode_16_64 3
		.amdhsa_dx10_clamp 1
		.amdhsa_ieee_mode 1
		.amdhsa_fp16_overflow 0
		.amdhsa_workgroup_processor_mode 1
		.amdhsa_memory_ordered 1
		.amdhsa_forward_progress 1
		.amdhsa_shared_vgpr_count 0
		.amdhsa_exception_fp_ieee_invalid_op 0
		.amdhsa_exception_fp_denorm_src 0
		.amdhsa_exception_fp_ieee_div_zero 0
		.amdhsa_exception_fp_ieee_overflow 0
		.amdhsa_exception_fp_ieee_underflow 0
		.amdhsa_exception_fp_ieee_inexact 0
		.amdhsa_exception_int_div_zero 0
	.end_amdhsa_kernel
	.section	.text._ZN7rocprim17ROCPRIM_400000_NS6detail17trampoline_kernelINS0_14default_configENS1_25transform_config_selectorINS0_10empty_typeELb1EEEZNS1_14transform_implILb1ES3_S6_PS5_S8_NS0_8identityIS5_EEEE10hipError_tT2_T3_mT4_P12ihipStream_tbEUlT_E_NS1_11comp_targetILNS1_3genE9ELNS1_11target_archE1100ELNS1_3gpuE3ELNS1_3repE0EEENS1_30default_config_static_selectorELNS0_4arch9wavefront6targetE0EEEvT1_,"axG",@progbits,_ZN7rocprim17ROCPRIM_400000_NS6detail17trampoline_kernelINS0_14default_configENS1_25transform_config_selectorINS0_10empty_typeELb1EEEZNS1_14transform_implILb1ES3_S6_PS5_S8_NS0_8identityIS5_EEEE10hipError_tT2_T3_mT4_P12ihipStream_tbEUlT_E_NS1_11comp_targetILNS1_3genE9ELNS1_11target_archE1100ELNS1_3gpuE3ELNS1_3repE0EEENS1_30default_config_static_selectorELNS0_4arch9wavefront6targetE0EEEvT1_,comdat
.Lfunc_end82:
	.size	_ZN7rocprim17ROCPRIM_400000_NS6detail17trampoline_kernelINS0_14default_configENS1_25transform_config_selectorINS0_10empty_typeELb1EEEZNS1_14transform_implILb1ES3_S6_PS5_S8_NS0_8identityIS5_EEEE10hipError_tT2_T3_mT4_P12ihipStream_tbEUlT_E_NS1_11comp_targetILNS1_3genE9ELNS1_11target_archE1100ELNS1_3gpuE3ELNS1_3repE0EEENS1_30default_config_static_selectorELNS0_4arch9wavefront6targetE0EEEvT1_, .Lfunc_end82-_ZN7rocprim17ROCPRIM_400000_NS6detail17trampoline_kernelINS0_14default_configENS1_25transform_config_selectorINS0_10empty_typeELb1EEEZNS1_14transform_implILb1ES3_S6_PS5_S8_NS0_8identityIS5_EEEE10hipError_tT2_T3_mT4_P12ihipStream_tbEUlT_E_NS1_11comp_targetILNS1_3genE9ELNS1_11target_archE1100ELNS1_3gpuE3ELNS1_3repE0EEENS1_30default_config_static_selectorELNS0_4arch9wavefront6targetE0EEEvT1_
                                        ; -- End function
	.set _ZN7rocprim17ROCPRIM_400000_NS6detail17trampoline_kernelINS0_14default_configENS1_25transform_config_selectorINS0_10empty_typeELb1EEEZNS1_14transform_implILb1ES3_S6_PS5_S8_NS0_8identityIS5_EEEE10hipError_tT2_T3_mT4_P12ihipStream_tbEUlT_E_NS1_11comp_targetILNS1_3genE9ELNS1_11target_archE1100ELNS1_3gpuE3ELNS1_3repE0EEENS1_30default_config_static_selectorELNS0_4arch9wavefront6targetE0EEEvT1_.num_vgpr, 0
	.set _ZN7rocprim17ROCPRIM_400000_NS6detail17trampoline_kernelINS0_14default_configENS1_25transform_config_selectorINS0_10empty_typeELb1EEEZNS1_14transform_implILb1ES3_S6_PS5_S8_NS0_8identityIS5_EEEE10hipError_tT2_T3_mT4_P12ihipStream_tbEUlT_E_NS1_11comp_targetILNS1_3genE9ELNS1_11target_archE1100ELNS1_3gpuE3ELNS1_3repE0EEENS1_30default_config_static_selectorELNS0_4arch9wavefront6targetE0EEEvT1_.num_agpr, 0
	.set _ZN7rocprim17ROCPRIM_400000_NS6detail17trampoline_kernelINS0_14default_configENS1_25transform_config_selectorINS0_10empty_typeELb1EEEZNS1_14transform_implILb1ES3_S6_PS5_S8_NS0_8identityIS5_EEEE10hipError_tT2_T3_mT4_P12ihipStream_tbEUlT_E_NS1_11comp_targetILNS1_3genE9ELNS1_11target_archE1100ELNS1_3gpuE3ELNS1_3repE0EEENS1_30default_config_static_selectorELNS0_4arch9wavefront6targetE0EEEvT1_.numbered_sgpr, 0
	.set _ZN7rocprim17ROCPRIM_400000_NS6detail17trampoline_kernelINS0_14default_configENS1_25transform_config_selectorINS0_10empty_typeELb1EEEZNS1_14transform_implILb1ES3_S6_PS5_S8_NS0_8identityIS5_EEEE10hipError_tT2_T3_mT4_P12ihipStream_tbEUlT_E_NS1_11comp_targetILNS1_3genE9ELNS1_11target_archE1100ELNS1_3gpuE3ELNS1_3repE0EEENS1_30default_config_static_selectorELNS0_4arch9wavefront6targetE0EEEvT1_.num_named_barrier, 0
	.set _ZN7rocprim17ROCPRIM_400000_NS6detail17trampoline_kernelINS0_14default_configENS1_25transform_config_selectorINS0_10empty_typeELb1EEEZNS1_14transform_implILb1ES3_S6_PS5_S8_NS0_8identityIS5_EEEE10hipError_tT2_T3_mT4_P12ihipStream_tbEUlT_E_NS1_11comp_targetILNS1_3genE9ELNS1_11target_archE1100ELNS1_3gpuE3ELNS1_3repE0EEENS1_30default_config_static_selectorELNS0_4arch9wavefront6targetE0EEEvT1_.private_seg_size, 0
	.set _ZN7rocprim17ROCPRIM_400000_NS6detail17trampoline_kernelINS0_14default_configENS1_25transform_config_selectorINS0_10empty_typeELb1EEEZNS1_14transform_implILb1ES3_S6_PS5_S8_NS0_8identityIS5_EEEE10hipError_tT2_T3_mT4_P12ihipStream_tbEUlT_E_NS1_11comp_targetILNS1_3genE9ELNS1_11target_archE1100ELNS1_3gpuE3ELNS1_3repE0EEENS1_30default_config_static_selectorELNS0_4arch9wavefront6targetE0EEEvT1_.uses_vcc, 0
	.set _ZN7rocprim17ROCPRIM_400000_NS6detail17trampoline_kernelINS0_14default_configENS1_25transform_config_selectorINS0_10empty_typeELb1EEEZNS1_14transform_implILb1ES3_S6_PS5_S8_NS0_8identityIS5_EEEE10hipError_tT2_T3_mT4_P12ihipStream_tbEUlT_E_NS1_11comp_targetILNS1_3genE9ELNS1_11target_archE1100ELNS1_3gpuE3ELNS1_3repE0EEENS1_30default_config_static_selectorELNS0_4arch9wavefront6targetE0EEEvT1_.uses_flat_scratch, 0
	.set _ZN7rocprim17ROCPRIM_400000_NS6detail17trampoline_kernelINS0_14default_configENS1_25transform_config_selectorINS0_10empty_typeELb1EEEZNS1_14transform_implILb1ES3_S6_PS5_S8_NS0_8identityIS5_EEEE10hipError_tT2_T3_mT4_P12ihipStream_tbEUlT_E_NS1_11comp_targetILNS1_3genE9ELNS1_11target_archE1100ELNS1_3gpuE3ELNS1_3repE0EEENS1_30default_config_static_selectorELNS0_4arch9wavefront6targetE0EEEvT1_.has_dyn_sized_stack, 0
	.set _ZN7rocprim17ROCPRIM_400000_NS6detail17trampoline_kernelINS0_14default_configENS1_25transform_config_selectorINS0_10empty_typeELb1EEEZNS1_14transform_implILb1ES3_S6_PS5_S8_NS0_8identityIS5_EEEE10hipError_tT2_T3_mT4_P12ihipStream_tbEUlT_E_NS1_11comp_targetILNS1_3genE9ELNS1_11target_archE1100ELNS1_3gpuE3ELNS1_3repE0EEENS1_30default_config_static_selectorELNS0_4arch9wavefront6targetE0EEEvT1_.has_recursion, 0
	.set _ZN7rocprim17ROCPRIM_400000_NS6detail17trampoline_kernelINS0_14default_configENS1_25transform_config_selectorINS0_10empty_typeELb1EEEZNS1_14transform_implILb1ES3_S6_PS5_S8_NS0_8identityIS5_EEEE10hipError_tT2_T3_mT4_P12ihipStream_tbEUlT_E_NS1_11comp_targetILNS1_3genE9ELNS1_11target_archE1100ELNS1_3gpuE3ELNS1_3repE0EEENS1_30default_config_static_selectorELNS0_4arch9wavefront6targetE0EEEvT1_.has_indirect_call, 0
	.section	.AMDGPU.csdata,"",@progbits
; Kernel info:
; codeLenInByte = 0
; TotalNumSgprs: 0
; NumVgprs: 0
; ScratchSize: 0
; MemoryBound: 0
; FloatMode: 240
; IeeeMode: 1
; LDSByteSize: 0 bytes/workgroup (compile time only)
; SGPRBlocks: 0
; VGPRBlocks: 0
; NumSGPRsForWavesPerEU: 1
; NumVGPRsForWavesPerEU: 1
; Occupancy: 16
; WaveLimiterHint : 0
; COMPUTE_PGM_RSRC2:SCRATCH_EN: 0
; COMPUTE_PGM_RSRC2:USER_SGPR: 6
; COMPUTE_PGM_RSRC2:TRAP_HANDLER: 0
; COMPUTE_PGM_RSRC2:TGID_X_EN: 1
; COMPUTE_PGM_RSRC2:TGID_Y_EN: 0
; COMPUTE_PGM_RSRC2:TGID_Z_EN: 0
; COMPUTE_PGM_RSRC2:TIDIG_COMP_CNT: 0
	.section	.text._ZN7rocprim17ROCPRIM_400000_NS6detail17trampoline_kernelINS0_14default_configENS1_25transform_config_selectorINS0_10empty_typeELb1EEEZNS1_14transform_implILb1ES3_S6_PS5_S8_NS0_8identityIS5_EEEE10hipError_tT2_T3_mT4_P12ihipStream_tbEUlT_E_NS1_11comp_targetILNS1_3genE8ELNS1_11target_archE1030ELNS1_3gpuE2ELNS1_3repE0EEENS1_30default_config_static_selectorELNS0_4arch9wavefront6targetE0EEEvT1_,"axG",@progbits,_ZN7rocprim17ROCPRIM_400000_NS6detail17trampoline_kernelINS0_14default_configENS1_25transform_config_selectorINS0_10empty_typeELb1EEEZNS1_14transform_implILb1ES3_S6_PS5_S8_NS0_8identityIS5_EEEE10hipError_tT2_T3_mT4_P12ihipStream_tbEUlT_E_NS1_11comp_targetILNS1_3genE8ELNS1_11target_archE1030ELNS1_3gpuE2ELNS1_3repE0EEENS1_30default_config_static_selectorELNS0_4arch9wavefront6targetE0EEEvT1_,comdat
	.protected	_ZN7rocprim17ROCPRIM_400000_NS6detail17trampoline_kernelINS0_14default_configENS1_25transform_config_selectorINS0_10empty_typeELb1EEEZNS1_14transform_implILb1ES3_S6_PS5_S8_NS0_8identityIS5_EEEE10hipError_tT2_T3_mT4_P12ihipStream_tbEUlT_E_NS1_11comp_targetILNS1_3genE8ELNS1_11target_archE1030ELNS1_3gpuE2ELNS1_3repE0EEENS1_30default_config_static_selectorELNS0_4arch9wavefront6targetE0EEEvT1_ ; -- Begin function _ZN7rocprim17ROCPRIM_400000_NS6detail17trampoline_kernelINS0_14default_configENS1_25transform_config_selectorINS0_10empty_typeELb1EEEZNS1_14transform_implILb1ES3_S6_PS5_S8_NS0_8identityIS5_EEEE10hipError_tT2_T3_mT4_P12ihipStream_tbEUlT_E_NS1_11comp_targetILNS1_3genE8ELNS1_11target_archE1030ELNS1_3gpuE2ELNS1_3repE0EEENS1_30default_config_static_selectorELNS0_4arch9wavefront6targetE0EEEvT1_
	.globl	_ZN7rocprim17ROCPRIM_400000_NS6detail17trampoline_kernelINS0_14default_configENS1_25transform_config_selectorINS0_10empty_typeELb1EEEZNS1_14transform_implILb1ES3_S6_PS5_S8_NS0_8identityIS5_EEEE10hipError_tT2_T3_mT4_P12ihipStream_tbEUlT_E_NS1_11comp_targetILNS1_3genE8ELNS1_11target_archE1030ELNS1_3gpuE2ELNS1_3repE0EEENS1_30default_config_static_selectorELNS0_4arch9wavefront6targetE0EEEvT1_
	.p2align	8
	.type	_ZN7rocprim17ROCPRIM_400000_NS6detail17trampoline_kernelINS0_14default_configENS1_25transform_config_selectorINS0_10empty_typeELb1EEEZNS1_14transform_implILb1ES3_S6_PS5_S8_NS0_8identityIS5_EEEE10hipError_tT2_T3_mT4_P12ihipStream_tbEUlT_E_NS1_11comp_targetILNS1_3genE8ELNS1_11target_archE1030ELNS1_3gpuE2ELNS1_3repE0EEENS1_30default_config_static_selectorELNS0_4arch9wavefront6targetE0EEEvT1_,@function
_ZN7rocprim17ROCPRIM_400000_NS6detail17trampoline_kernelINS0_14default_configENS1_25transform_config_selectorINS0_10empty_typeELb1EEEZNS1_14transform_implILb1ES3_S6_PS5_S8_NS0_8identityIS5_EEEE10hipError_tT2_T3_mT4_P12ihipStream_tbEUlT_E_NS1_11comp_targetILNS1_3genE8ELNS1_11target_archE1030ELNS1_3gpuE2ELNS1_3repE0EEENS1_30default_config_static_selectorELNS0_4arch9wavefront6targetE0EEEvT1_: ; @_ZN7rocprim17ROCPRIM_400000_NS6detail17trampoline_kernelINS0_14default_configENS1_25transform_config_selectorINS0_10empty_typeELb1EEEZNS1_14transform_implILb1ES3_S6_PS5_S8_NS0_8identityIS5_EEEE10hipError_tT2_T3_mT4_P12ihipStream_tbEUlT_E_NS1_11comp_targetILNS1_3genE8ELNS1_11target_archE1030ELNS1_3gpuE2ELNS1_3repE0EEENS1_30default_config_static_selectorELNS0_4arch9wavefront6targetE0EEEvT1_
; %bb.0:
	s_endpgm
	.section	.rodata,"a",@progbits
	.p2align	6, 0x0
	.amdhsa_kernel _ZN7rocprim17ROCPRIM_400000_NS6detail17trampoline_kernelINS0_14default_configENS1_25transform_config_selectorINS0_10empty_typeELb1EEEZNS1_14transform_implILb1ES3_S6_PS5_S8_NS0_8identityIS5_EEEE10hipError_tT2_T3_mT4_P12ihipStream_tbEUlT_E_NS1_11comp_targetILNS1_3genE8ELNS1_11target_archE1030ELNS1_3gpuE2ELNS1_3repE0EEENS1_30default_config_static_selectorELNS0_4arch9wavefront6targetE0EEEvT1_
		.amdhsa_group_segment_fixed_size 0
		.amdhsa_private_segment_fixed_size 0
		.amdhsa_kernarg_size 40
		.amdhsa_user_sgpr_count 6
		.amdhsa_user_sgpr_private_segment_buffer 1
		.amdhsa_user_sgpr_dispatch_ptr 0
		.amdhsa_user_sgpr_queue_ptr 0
		.amdhsa_user_sgpr_kernarg_segment_ptr 1
		.amdhsa_user_sgpr_dispatch_id 0
		.amdhsa_user_sgpr_flat_scratch_init 0
		.amdhsa_user_sgpr_private_segment_size 0
		.amdhsa_wavefront_size32 1
		.amdhsa_uses_dynamic_stack 0
		.amdhsa_system_sgpr_private_segment_wavefront_offset 0
		.amdhsa_system_sgpr_workgroup_id_x 1
		.amdhsa_system_sgpr_workgroup_id_y 0
		.amdhsa_system_sgpr_workgroup_id_z 0
		.amdhsa_system_sgpr_workgroup_info 0
		.amdhsa_system_vgpr_workitem_id 0
		.amdhsa_next_free_vgpr 1
		.amdhsa_next_free_sgpr 1
		.amdhsa_reserve_vcc 0
		.amdhsa_reserve_flat_scratch 0
		.amdhsa_float_round_mode_32 0
		.amdhsa_float_round_mode_16_64 0
		.amdhsa_float_denorm_mode_32 3
		.amdhsa_float_denorm_mode_16_64 3
		.amdhsa_dx10_clamp 1
		.amdhsa_ieee_mode 1
		.amdhsa_fp16_overflow 0
		.amdhsa_workgroup_processor_mode 1
		.amdhsa_memory_ordered 1
		.amdhsa_forward_progress 1
		.amdhsa_shared_vgpr_count 0
		.amdhsa_exception_fp_ieee_invalid_op 0
		.amdhsa_exception_fp_denorm_src 0
		.amdhsa_exception_fp_ieee_div_zero 0
		.amdhsa_exception_fp_ieee_overflow 0
		.amdhsa_exception_fp_ieee_underflow 0
		.amdhsa_exception_fp_ieee_inexact 0
		.amdhsa_exception_int_div_zero 0
	.end_amdhsa_kernel
	.section	.text._ZN7rocprim17ROCPRIM_400000_NS6detail17trampoline_kernelINS0_14default_configENS1_25transform_config_selectorINS0_10empty_typeELb1EEEZNS1_14transform_implILb1ES3_S6_PS5_S8_NS0_8identityIS5_EEEE10hipError_tT2_T3_mT4_P12ihipStream_tbEUlT_E_NS1_11comp_targetILNS1_3genE8ELNS1_11target_archE1030ELNS1_3gpuE2ELNS1_3repE0EEENS1_30default_config_static_selectorELNS0_4arch9wavefront6targetE0EEEvT1_,"axG",@progbits,_ZN7rocprim17ROCPRIM_400000_NS6detail17trampoline_kernelINS0_14default_configENS1_25transform_config_selectorINS0_10empty_typeELb1EEEZNS1_14transform_implILb1ES3_S6_PS5_S8_NS0_8identityIS5_EEEE10hipError_tT2_T3_mT4_P12ihipStream_tbEUlT_E_NS1_11comp_targetILNS1_3genE8ELNS1_11target_archE1030ELNS1_3gpuE2ELNS1_3repE0EEENS1_30default_config_static_selectorELNS0_4arch9wavefront6targetE0EEEvT1_,comdat
.Lfunc_end83:
	.size	_ZN7rocprim17ROCPRIM_400000_NS6detail17trampoline_kernelINS0_14default_configENS1_25transform_config_selectorINS0_10empty_typeELb1EEEZNS1_14transform_implILb1ES3_S6_PS5_S8_NS0_8identityIS5_EEEE10hipError_tT2_T3_mT4_P12ihipStream_tbEUlT_E_NS1_11comp_targetILNS1_3genE8ELNS1_11target_archE1030ELNS1_3gpuE2ELNS1_3repE0EEENS1_30default_config_static_selectorELNS0_4arch9wavefront6targetE0EEEvT1_, .Lfunc_end83-_ZN7rocprim17ROCPRIM_400000_NS6detail17trampoline_kernelINS0_14default_configENS1_25transform_config_selectorINS0_10empty_typeELb1EEEZNS1_14transform_implILb1ES3_S6_PS5_S8_NS0_8identityIS5_EEEE10hipError_tT2_T3_mT4_P12ihipStream_tbEUlT_E_NS1_11comp_targetILNS1_3genE8ELNS1_11target_archE1030ELNS1_3gpuE2ELNS1_3repE0EEENS1_30default_config_static_selectorELNS0_4arch9wavefront6targetE0EEEvT1_
                                        ; -- End function
	.set _ZN7rocprim17ROCPRIM_400000_NS6detail17trampoline_kernelINS0_14default_configENS1_25transform_config_selectorINS0_10empty_typeELb1EEEZNS1_14transform_implILb1ES3_S6_PS5_S8_NS0_8identityIS5_EEEE10hipError_tT2_T3_mT4_P12ihipStream_tbEUlT_E_NS1_11comp_targetILNS1_3genE8ELNS1_11target_archE1030ELNS1_3gpuE2ELNS1_3repE0EEENS1_30default_config_static_selectorELNS0_4arch9wavefront6targetE0EEEvT1_.num_vgpr, 0
	.set _ZN7rocprim17ROCPRIM_400000_NS6detail17trampoline_kernelINS0_14default_configENS1_25transform_config_selectorINS0_10empty_typeELb1EEEZNS1_14transform_implILb1ES3_S6_PS5_S8_NS0_8identityIS5_EEEE10hipError_tT2_T3_mT4_P12ihipStream_tbEUlT_E_NS1_11comp_targetILNS1_3genE8ELNS1_11target_archE1030ELNS1_3gpuE2ELNS1_3repE0EEENS1_30default_config_static_selectorELNS0_4arch9wavefront6targetE0EEEvT1_.num_agpr, 0
	.set _ZN7rocprim17ROCPRIM_400000_NS6detail17trampoline_kernelINS0_14default_configENS1_25transform_config_selectorINS0_10empty_typeELb1EEEZNS1_14transform_implILb1ES3_S6_PS5_S8_NS0_8identityIS5_EEEE10hipError_tT2_T3_mT4_P12ihipStream_tbEUlT_E_NS1_11comp_targetILNS1_3genE8ELNS1_11target_archE1030ELNS1_3gpuE2ELNS1_3repE0EEENS1_30default_config_static_selectorELNS0_4arch9wavefront6targetE0EEEvT1_.numbered_sgpr, 0
	.set _ZN7rocprim17ROCPRIM_400000_NS6detail17trampoline_kernelINS0_14default_configENS1_25transform_config_selectorINS0_10empty_typeELb1EEEZNS1_14transform_implILb1ES3_S6_PS5_S8_NS0_8identityIS5_EEEE10hipError_tT2_T3_mT4_P12ihipStream_tbEUlT_E_NS1_11comp_targetILNS1_3genE8ELNS1_11target_archE1030ELNS1_3gpuE2ELNS1_3repE0EEENS1_30default_config_static_selectorELNS0_4arch9wavefront6targetE0EEEvT1_.num_named_barrier, 0
	.set _ZN7rocprim17ROCPRIM_400000_NS6detail17trampoline_kernelINS0_14default_configENS1_25transform_config_selectorINS0_10empty_typeELb1EEEZNS1_14transform_implILb1ES3_S6_PS5_S8_NS0_8identityIS5_EEEE10hipError_tT2_T3_mT4_P12ihipStream_tbEUlT_E_NS1_11comp_targetILNS1_3genE8ELNS1_11target_archE1030ELNS1_3gpuE2ELNS1_3repE0EEENS1_30default_config_static_selectorELNS0_4arch9wavefront6targetE0EEEvT1_.private_seg_size, 0
	.set _ZN7rocprim17ROCPRIM_400000_NS6detail17trampoline_kernelINS0_14default_configENS1_25transform_config_selectorINS0_10empty_typeELb1EEEZNS1_14transform_implILb1ES3_S6_PS5_S8_NS0_8identityIS5_EEEE10hipError_tT2_T3_mT4_P12ihipStream_tbEUlT_E_NS1_11comp_targetILNS1_3genE8ELNS1_11target_archE1030ELNS1_3gpuE2ELNS1_3repE0EEENS1_30default_config_static_selectorELNS0_4arch9wavefront6targetE0EEEvT1_.uses_vcc, 0
	.set _ZN7rocprim17ROCPRIM_400000_NS6detail17trampoline_kernelINS0_14default_configENS1_25transform_config_selectorINS0_10empty_typeELb1EEEZNS1_14transform_implILb1ES3_S6_PS5_S8_NS0_8identityIS5_EEEE10hipError_tT2_T3_mT4_P12ihipStream_tbEUlT_E_NS1_11comp_targetILNS1_3genE8ELNS1_11target_archE1030ELNS1_3gpuE2ELNS1_3repE0EEENS1_30default_config_static_selectorELNS0_4arch9wavefront6targetE0EEEvT1_.uses_flat_scratch, 0
	.set _ZN7rocprim17ROCPRIM_400000_NS6detail17trampoline_kernelINS0_14default_configENS1_25transform_config_selectorINS0_10empty_typeELb1EEEZNS1_14transform_implILb1ES3_S6_PS5_S8_NS0_8identityIS5_EEEE10hipError_tT2_T3_mT4_P12ihipStream_tbEUlT_E_NS1_11comp_targetILNS1_3genE8ELNS1_11target_archE1030ELNS1_3gpuE2ELNS1_3repE0EEENS1_30default_config_static_selectorELNS0_4arch9wavefront6targetE0EEEvT1_.has_dyn_sized_stack, 0
	.set _ZN7rocprim17ROCPRIM_400000_NS6detail17trampoline_kernelINS0_14default_configENS1_25transform_config_selectorINS0_10empty_typeELb1EEEZNS1_14transform_implILb1ES3_S6_PS5_S8_NS0_8identityIS5_EEEE10hipError_tT2_T3_mT4_P12ihipStream_tbEUlT_E_NS1_11comp_targetILNS1_3genE8ELNS1_11target_archE1030ELNS1_3gpuE2ELNS1_3repE0EEENS1_30default_config_static_selectorELNS0_4arch9wavefront6targetE0EEEvT1_.has_recursion, 0
	.set _ZN7rocprim17ROCPRIM_400000_NS6detail17trampoline_kernelINS0_14default_configENS1_25transform_config_selectorINS0_10empty_typeELb1EEEZNS1_14transform_implILb1ES3_S6_PS5_S8_NS0_8identityIS5_EEEE10hipError_tT2_T3_mT4_P12ihipStream_tbEUlT_E_NS1_11comp_targetILNS1_3genE8ELNS1_11target_archE1030ELNS1_3gpuE2ELNS1_3repE0EEENS1_30default_config_static_selectorELNS0_4arch9wavefront6targetE0EEEvT1_.has_indirect_call, 0
	.section	.AMDGPU.csdata,"",@progbits
; Kernel info:
; codeLenInByte = 4
; TotalNumSgprs: 0
; NumVgprs: 0
; ScratchSize: 0
; MemoryBound: 0
; FloatMode: 240
; IeeeMode: 1
; LDSByteSize: 0 bytes/workgroup (compile time only)
; SGPRBlocks: 0
; VGPRBlocks: 0
; NumSGPRsForWavesPerEU: 1
; NumVGPRsForWavesPerEU: 1
; Occupancy: 16
; WaveLimiterHint : 0
; COMPUTE_PGM_RSRC2:SCRATCH_EN: 0
; COMPUTE_PGM_RSRC2:USER_SGPR: 6
; COMPUTE_PGM_RSRC2:TRAP_HANDLER: 0
; COMPUTE_PGM_RSRC2:TGID_X_EN: 1
; COMPUTE_PGM_RSRC2:TGID_Y_EN: 0
; COMPUTE_PGM_RSRC2:TGID_Z_EN: 0
; COMPUTE_PGM_RSRC2:TIDIG_COMP_CNT: 0
	.section	.text._ZN7rocprim17ROCPRIM_400000_NS6detail17trampoline_kernelINS0_14default_configENS1_38merge_sort_block_merge_config_selectorIiNS0_10empty_typeEEEZZNS1_27merge_sort_block_merge_implIS3_N6thrust23THRUST_200600_302600_NS6detail15normal_iteratorINS9_10device_ptrIiEEEEPS5_jNS1_19radix_merge_compareILb0ELb1EiNS0_19identity_decomposerEEEEE10hipError_tT0_T1_T2_jT3_P12ihipStream_tbPNSt15iterator_traitsISK_E10value_typeEPNSQ_ISL_E10value_typeEPSM_NS1_7vsmem_tEENKUlT_SK_SL_SM_E_clIPiSE_SF_SF_EESJ_SZ_SK_SL_SM_EUlSZ_E_NS1_11comp_targetILNS1_3genE0ELNS1_11target_archE4294967295ELNS1_3gpuE0ELNS1_3repE0EEENS1_48merge_mergepath_partition_config_static_selectorELNS0_4arch9wavefront6targetE0EEEvSL_,"axG",@progbits,_ZN7rocprim17ROCPRIM_400000_NS6detail17trampoline_kernelINS0_14default_configENS1_38merge_sort_block_merge_config_selectorIiNS0_10empty_typeEEEZZNS1_27merge_sort_block_merge_implIS3_N6thrust23THRUST_200600_302600_NS6detail15normal_iteratorINS9_10device_ptrIiEEEEPS5_jNS1_19radix_merge_compareILb0ELb1EiNS0_19identity_decomposerEEEEE10hipError_tT0_T1_T2_jT3_P12ihipStream_tbPNSt15iterator_traitsISK_E10value_typeEPNSQ_ISL_E10value_typeEPSM_NS1_7vsmem_tEENKUlT_SK_SL_SM_E_clIPiSE_SF_SF_EESJ_SZ_SK_SL_SM_EUlSZ_E_NS1_11comp_targetILNS1_3genE0ELNS1_11target_archE4294967295ELNS1_3gpuE0ELNS1_3repE0EEENS1_48merge_mergepath_partition_config_static_selectorELNS0_4arch9wavefront6targetE0EEEvSL_,comdat
	.protected	_ZN7rocprim17ROCPRIM_400000_NS6detail17trampoline_kernelINS0_14default_configENS1_38merge_sort_block_merge_config_selectorIiNS0_10empty_typeEEEZZNS1_27merge_sort_block_merge_implIS3_N6thrust23THRUST_200600_302600_NS6detail15normal_iteratorINS9_10device_ptrIiEEEEPS5_jNS1_19radix_merge_compareILb0ELb1EiNS0_19identity_decomposerEEEEE10hipError_tT0_T1_T2_jT3_P12ihipStream_tbPNSt15iterator_traitsISK_E10value_typeEPNSQ_ISL_E10value_typeEPSM_NS1_7vsmem_tEENKUlT_SK_SL_SM_E_clIPiSE_SF_SF_EESJ_SZ_SK_SL_SM_EUlSZ_E_NS1_11comp_targetILNS1_3genE0ELNS1_11target_archE4294967295ELNS1_3gpuE0ELNS1_3repE0EEENS1_48merge_mergepath_partition_config_static_selectorELNS0_4arch9wavefront6targetE0EEEvSL_ ; -- Begin function _ZN7rocprim17ROCPRIM_400000_NS6detail17trampoline_kernelINS0_14default_configENS1_38merge_sort_block_merge_config_selectorIiNS0_10empty_typeEEEZZNS1_27merge_sort_block_merge_implIS3_N6thrust23THRUST_200600_302600_NS6detail15normal_iteratorINS9_10device_ptrIiEEEEPS5_jNS1_19radix_merge_compareILb0ELb1EiNS0_19identity_decomposerEEEEE10hipError_tT0_T1_T2_jT3_P12ihipStream_tbPNSt15iterator_traitsISK_E10value_typeEPNSQ_ISL_E10value_typeEPSM_NS1_7vsmem_tEENKUlT_SK_SL_SM_E_clIPiSE_SF_SF_EESJ_SZ_SK_SL_SM_EUlSZ_E_NS1_11comp_targetILNS1_3genE0ELNS1_11target_archE4294967295ELNS1_3gpuE0ELNS1_3repE0EEENS1_48merge_mergepath_partition_config_static_selectorELNS0_4arch9wavefront6targetE0EEEvSL_
	.globl	_ZN7rocprim17ROCPRIM_400000_NS6detail17trampoline_kernelINS0_14default_configENS1_38merge_sort_block_merge_config_selectorIiNS0_10empty_typeEEEZZNS1_27merge_sort_block_merge_implIS3_N6thrust23THRUST_200600_302600_NS6detail15normal_iteratorINS9_10device_ptrIiEEEEPS5_jNS1_19radix_merge_compareILb0ELb1EiNS0_19identity_decomposerEEEEE10hipError_tT0_T1_T2_jT3_P12ihipStream_tbPNSt15iterator_traitsISK_E10value_typeEPNSQ_ISL_E10value_typeEPSM_NS1_7vsmem_tEENKUlT_SK_SL_SM_E_clIPiSE_SF_SF_EESJ_SZ_SK_SL_SM_EUlSZ_E_NS1_11comp_targetILNS1_3genE0ELNS1_11target_archE4294967295ELNS1_3gpuE0ELNS1_3repE0EEENS1_48merge_mergepath_partition_config_static_selectorELNS0_4arch9wavefront6targetE0EEEvSL_
	.p2align	8
	.type	_ZN7rocprim17ROCPRIM_400000_NS6detail17trampoline_kernelINS0_14default_configENS1_38merge_sort_block_merge_config_selectorIiNS0_10empty_typeEEEZZNS1_27merge_sort_block_merge_implIS3_N6thrust23THRUST_200600_302600_NS6detail15normal_iteratorINS9_10device_ptrIiEEEEPS5_jNS1_19radix_merge_compareILb0ELb1EiNS0_19identity_decomposerEEEEE10hipError_tT0_T1_T2_jT3_P12ihipStream_tbPNSt15iterator_traitsISK_E10value_typeEPNSQ_ISL_E10value_typeEPSM_NS1_7vsmem_tEENKUlT_SK_SL_SM_E_clIPiSE_SF_SF_EESJ_SZ_SK_SL_SM_EUlSZ_E_NS1_11comp_targetILNS1_3genE0ELNS1_11target_archE4294967295ELNS1_3gpuE0ELNS1_3repE0EEENS1_48merge_mergepath_partition_config_static_selectorELNS0_4arch9wavefront6targetE0EEEvSL_,@function
_ZN7rocprim17ROCPRIM_400000_NS6detail17trampoline_kernelINS0_14default_configENS1_38merge_sort_block_merge_config_selectorIiNS0_10empty_typeEEEZZNS1_27merge_sort_block_merge_implIS3_N6thrust23THRUST_200600_302600_NS6detail15normal_iteratorINS9_10device_ptrIiEEEEPS5_jNS1_19radix_merge_compareILb0ELb1EiNS0_19identity_decomposerEEEEE10hipError_tT0_T1_T2_jT3_P12ihipStream_tbPNSt15iterator_traitsISK_E10value_typeEPNSQ_ISL_E10value_typeEPSM_NS1_7vsmem_tEENKUlT_SK_SL_SM_E_clIPiSE_SF_SF_EESJ_SZ_SK_SL_SM_EUlSZ_E_NS1_11comp_targetILNS1_3genE0ELNS1_11target_archE4294967295ELNS1_3gpuE0ELNS1_3repE0EEENS1_48merge_mergepath_partition_config_static_selectorELNS0_4arch9wavefront6targetE0EEEvSL_: ; @_ZN7rocprim17ROCPRIM_400000_NS6detail17trampoline_kernelINS0_14default_configENS1_38merge_sort_block_merge_config_selectorIiNS0_10empty_typeEEEZZNS1_27merge_sort_block_merge_implIS3_N6thrust23THRUST_200600_302600_NS6detail15normal_iteratorINS9_10device_ptrIiEEEEPS5_jNS1_19radix_merge_compareILb0ELb1EiNS0_19identity_decomposerEEEEE10hipError_tT0_T1_T2_jT3_P12ihipStream_tbPNSt15iterator_traitsISK_E10value_typeEPNSQ_ISL_E10value_typeEPSM_NS1_7vsmem_tEENKUlT_SK_SL_SM_E_clIPiSE_SF_SF_EESJ_SZ_SK_SL_SM_EUlSZ_E_NS1_11comp_targetILNS1_3genE0ELNS1_11target_archE4294967295ELNS1_3gpuE0ELNS1_3repE0EEENS1_48merge_mergepath_partition_config_static_selectorELNS0_4arch9wavefront6targetE0EEEvSL_
; %bb.0:
	.section	.rodata,"a",@progbits
	.p2align	6, 0x0
	.amdhsa_kernel _ZN7rocprim17ROCPRIM_400000_NS6detail17trampoline_kernelINS0_14default_configENS1_38merge_sort_block_merge_config_selectorIiNS0_10empty_typeEEEZZNS1_27merge_sort_block_merge_implIS3_N6thrust23THRUST_200600_302600_NS6detail15normal_iteratorINS9_10device_ptrIiEEEEPS5_jNS1_19radix_merge_compareILb0ELb1EiNS0_19identity_decomposerEEEEE10hipError_tT0_T1_T2_jT3_P12ihipStream_tbPNSt15iterator_traitsISK_E10value_typeEPNSQ_ISL_E10value_typeEPSM_NS1_7vsmem_tEENKUlT_SK_SL_SM_E_clIPiSE_SF_SF_EESJ_SZ_SK_SL_SM_EUlSZ_E_NS1_11comp_targetILNS1_3genE0ELNS1_11target_archE4294967295ELNS1_3gpuE0ELNS1_3repE0EEENS1_48merge_mergepath_partition_config_static_selectorELNS0_4arch9wavefront6targetE0EEEvSL_
		.amdhsa_group_segment_fixed_size 0
		.amdhsa_private_segment_fixed_size 0
		.amdhsa_kernarg_size 40
		.amdhsa_user_sgpr_count 6
		.amdhsa_user_sgpr_private_segment_buffer 1
		.amdhsa_user_sgpr_dispatch_ptr 0
		.amdhsa_user_sgpr_queue_ptr 0
		.amdhsa_user_sgpr_kernarg_segment_ptr 1
		.amdhsa_user_sgpr_dispatch_id 0
		.amdhsa_user_sgpr_flat_scratch_init 0
		.amdhsa_user_sgpr_private_segment_size 0
		.amdhsa_wavefront_size32 1
		.amdhsa_uses_dynamic_stack 0
		.amdhsa_system_sgpr_private_segment_wavefront_offset 0
		.amdhsa_system_sgpr_workgroup_id_x 1
		.amdhsa_system_sgpr_workgroup_id_y 0
		.amdhsa_system_sgpr_workgroup_id_z 0
		.amdhsa_system_sgpr_workgroup_info 0
		.amdhsa_system_vgpr_workitem_id 0
		.amdhsa_next_free_vgpr 1
		.amdhsa_next_free_sgpr 1
		.amdhsa_reserve_vcc 0
		.amdhsa_reserve_flat_scratch 0
		.amdhsa_float_round_mode_32 0
		.amdhsa_float_round_mode_16_64 0
		.amdhsa_float_denorm_mode_32 3
		.amdhsa_float_denorm_mode_16_64 3
		.amdhsa_dx10_clamp 1
		.amdhsa_ieee_mode 1
		.amdhsa_fp16_overflow 0
		.amdhsa_workgroup_processor_mode 1
		.amdhsa_memory_ordered 1
		.amdhsa_forward_progress 1
		.amdhsa_shared_vgpr_count 0
		.amdhsa_exception_fp_ieee_invalid_op 0
		.amdhsa_exception_fp_denorm_src 0
		.amdhsa_exception_fp_ieee_div_zero 0
		.amdhsa_exception_fp_ieee_overflow 0
		.amdhsa_exception_fp_ieee_underflow 0
		.amdhsa_exception_fp_ieee_inexact 0
		.amdhsa_exception_int_div_zero 0
	.end_amdhsa_kernel
	.section	.text._ZN7rocprim17ROCPRIM_400000_NS6detail17trampoline_kernelINS0_14default_configENS1_38merge_sort_block_merge_config_selectorIiNS0_10empty_typeEEEZZNS1_27merge_sort_block_merge_implIS3_N6thrust23THRUST_200600_302600_NS6detail15normal_iteratorINS9_10device_ptrIiEEEEPS5_jNS1_19radix_merge_compareILb0ELb1EiNS0_19identity_decomposerEEEEE10hipError_tT0_T1_T2_jT3_P12ihipStream_tbPNSt15iterator_traitsISK_E10value_typeEPNSQ_ISL_E10value_typeEPSM_NS1_7vsmem_tEENKUlT_SK_SL_SM_E_clIPiSE_SF_SF_EESJ_SZ_SK_SL_SM_EUlSZ_E_NS1_11comp_targetILNS1_3genE0ELNS1_11target_archE4294967295ELNS1_3gpuE0ELNS1_3repE0EEENS1_48merge_mergepath_partition_config_static_selectorELNS0_4arch9wavefront6targetE0EEEvSL_,"axG",@progbits,_ZN7rocprim17ROCPRIM_400000_NS6detail17trampoline_kernelINS0_14default_configENS1_38merge_sort_block_merge_config_selectorIiNS0_10empty_typeEEEZZNS1_27merge_sort_block_merge_implIS3_N6thrust23THRUST_200600_302600_NS6detail15normal_iteratorINS9_10device_ptrIiEEEEPS5_jNS1_19radix_merge_compareILb0ELb1EiNS0_19identity_decomposerEEEEE10hipError_tT0_T1_T2_jT3_P12ihipStream_tbPNSt15iterator_traitsISK_E10value_typeEPNSQ_ISL_E10value_typeEPSM_NS1_7vsmem_tEENKUlT_SK_SL_SM_E_clIPiSE_SF_SF_EESJ_SZ_SK_SL_SM_EUlSZ_E_NS1_11comp_targetILNS1_3genE0ELNS1_11target_archE4294967295ELNS1_3gpuE0ELNS1_3repE0EEENS1_48merge_mergepath_partition_config_static_selectorELNS0_4arch9wavefront6targetE0EEEvSL_,comdat
.Lfunc_end84:
	.size	_ZN7rocprim17ROCPRIM_400000_NS6detail17trampoline_kernelINS0_14default_configENS1_38merge_sort_block_merge_config_selectorIiNS0_10empty_typeEEEZZNS1_27merge_sort_block_merge_implIS3_N6thrust23THRUST_200600_302600_NS6detail15normal_iteratorINS9_10device_ptrIiEEEEPS5_jNS1_19radix_merge_compareILb0ELb1EiNS0_19identity_decomposerEEEEE10hipError_tT0_T1_T2_jT3_P12ihipStream_tbPNSt15iterator_traitsISK_E10value_typeEPNSQ_ISL_E10value_typeEPSM_NS1_7vsmem_tEENKUlT_SK_SL_SM_E_clIPiSE_SF_SF_EESJ_SZ_SK_SL_SM_EUlSZ_E_NS1_11comp_targetILNS1_3genE0ELNS1_11target_archE4294967295ELNS1_3gpuE0ELNS1_3repE0EEENS1_48merge_mergepath_partition_config_static_selectorELNS0_4arch9wavefront6targetE0EEEvSL_, .Lfunc_end84-_ZN7rocprim17ROCPRIM_400000_NS6detail17trampoline_kernelINS0_14default_configENS1_38merge_sort_block_merge_config_selectorIiNS0_10empty_typeEEEZZNS1_27merge_sort_block_merge_implIS3_N6thrust23THRUST_200600_302600_NS6detail15normal_iteratorINS9_10device_ptrIiEEEEPS5_jNS1_19radix_merge_compareILb0ELb1EiNS0_19identity_decomposerEEEEE10hipError_tT0_T1_T2_jT3_P12ihipStream_tbPNSt15iterator_traitsISK_E10value_typeEPNSQ_ISL_E10value_typeEPSM_NS1_7vsmem_tEENKUlT_SK_SL_SM_E_clIPiSE_SF_SF_EESJ_SZ_SK_SL_SM_EUlSZ_E_NS1_11comp_targetILNS1_3genE0ELNS1_11target_archE4294967295ELNS1_3gpuE0ELNS1_3repE0EEENS1_48merge_mergepath_partition_config_static_selectorELNS0_4arch9wavefront6targetE0EEEvSL_
                                        ; -- End function
	.set _ZN7rocprim17ROCPRIM_400000_NS6detail17trampoline_kernelINS0_14default_configENS1_38merge_sort_block_merge_config_selectorIiNS0_10empty_typeEEEZZNS1_27merge_sort_block_merge_implIS3_N6thrust23THRUST_200600_302600_NS6detail15normal_iteratorINS9_10device_ptrIiEEEEPS5_jNS1_19radix_merge_compareILb0ELb1EiNS0_19identity_decomposerEEEEE10hipError_tT0_T1_T2_jT3_P12ihipStream_tbPNSt15iterator_traitsISK_E10value_typeEPNSQ_ISL_E10value_typeEPSM_NS1_7vsmem_tEENKUlT_SK_SL_SM_E_clIPiSE_SF_SF_EESJ_SZ_SK_SL_SM_EUlSZ_E_NS1_11comp_targetILNS1_3genE0ELNS1_11target_archE4294967295ELNS1_3gpuE0ELNS1_3repE0EEENS1_48merge_mergepath_partition_config_static_selectorELNS0_4arch9wavefront6targetE0EEEvSL_.num_vgpr, 0
	.set _ZN7rocprim17ROCPRIM_400000_NS6detail17trampoline_kernelINS0_14default_configENS1_38merge_sort_block_merge_config_selectorIiNS0_10empty_typeEEEZZNS1_27merge_sort_block_merge_implIS3_N6thrust23THRUST_200600_302600_NS6detail15normal_iteratorINS9_10device_ptrIiEEEEPS5_jNS1_19radix_merge_compareILb0ELb1EiNS0_19identity_decomposerEEEEE10hipError_tT0_T1_T2_jT3_P12ihipStream_tbPNSt15iterator_traitsISK_E10value_typeEPNSQ_ISL_E10value_typeEPSM_NS1_7vsmem_tEENKUlT_SK_SL_SM_E_clIPiSE_SF_SF_EESJ_SZ_SK_SL_SM_EUlSZ_E_NS1_11comp_targetILNS1_3genE0ELNS1_11target_archE4294967295ELNS1_3gpuE0ELNS1_3repE0EEENS1_48merge_mergepath_partition_config_static_selectorELNS0_4arch9wavefront6targetE0EEEvSL_.num_agpr, 0
	.set _ZN7rocprim17ROCPRIM_400000_NS6detail17trampoline_kernelINS0_14default_configENS1_38merge_sort_block_merge_config_selectorIiNS0_10empty_typeEEEZZNS1_27merge_sort_block_merge_implIS3_N6thrust23THRUST_200600_302600_NS6detail15normal_iteratorINS9_10device_ptrIiEEEEPS5_jNS1_19radix_merge_compareILb0ELb1EiNS0_19identity_decomposerEEEEE10hipError_tT0_T1_T2_jT3_P12ihipStream_tbPNSt15iterator_traitsISK_E10value_typeEPNSQ_ISL_E10value_typeEPSM_NS1_7vsmem_tEENKUlT_SK_SL_SM_E_clIPiSE_SF_SF_EESJ_SZ_SK_SL_SM_EUlSZ_E_NS1_11comp_targetILNS1_3genE0ELNS1_11target_archE4294967295ELNS1_3gpuE0ELNS1_3repE0EEENS1_48merge_mergepath_partition_config_static_selectorELNS0_4arch9wavefront6targetE0EEEvSL_.numbered_sgpr, 0
	.set _ZN7rocprim17ROCPRIM_400000_NS6detail17trampoline_kernelINS0_14default_configENS1_38merge_sort_block_merge_config_selectorIiNS0_10empty_typeEEEZZNS1_27merge_sort_block_merge_implIS3_N6thrust23THRUST_200600_302600_NS6detail15normal_iteratorINS9_10device_ptrIiEEEEPS5_jNS1_19radix_merge_compareILb0ELb1EiNS0_19identity_decomposerEEEEE10hipError_tT0_T1_T2_jT3_P12ihipStream_tbPNSt15iterator_traitsISK_E10value_typeEPNSQ_ISL_E10value_typeEPSM_NS1_7vsmem_tEENKUlT_SK_SL_SM_E_clIPiSE_SF_SF_EESJ_SZ_SK_SL_SM_EUlSZ_E_NS1_11comp_targetILNS1_3genE0ELNS1_11target_archE4294967295ELNS1_3gpuE0ELNS1_3repE0EEENS1_48merge_mergepath_partition_config_static_selectorELNS0_4arch9wavefront6targetE0EEEvSL_.num_named_barrier, 0
	.set _ZN7rocprim17ROCPRIM_400000_NS6detail17trampoline_kernelINS0_14default_configENS1_38merge_sort_block_merge_config_selectorIiNS0_10empty_typeEEEZZNS1_27merge_sort_block_merge_implIS3_N6thrust23THRUST_200600_302600_NS6detail15normal_iteratorINS9_10device_ptrIiEEEEPS5_jNS1_19radix_merge_compareILb0ELb1EiNS0_19identity_decomposerEEEEE10hipError_tT0_T1_T2_jT3_P12ihipStream_tbPNSt15iterator_traitsISK_E10value_typeEPNSQ_ISL_E10value_typeEPSM_NS1_7vsmem_tEENKUlT_SK_SL_SM_E_clIPiSE_SF_SF_EESJ_SZ_SK_SL_SM_EUlSZ_E_NS1_11comp_targetILNS1_3genE0ELNS1_11target_archE4294967295ELNS1_3gpuE0ELNS1_3repE0EEENS1_48merge_mergepath_partition_config_static_selectorELNS0_4arch9wavefront6targetE0EEEvSL_.private_seg_size, 0
	.set _ZN7rocprim17ROCPRIM_400000_NS6detail17trampoline_kernelINS0_14default_configENS1_38merge_sort_block_merge_config_selectorIiNS0_10empty_typeEEEZZNS1_27merge_sort_block_merge_implIS3_N6thrust23THRUST_200600_302600_NS6detail15normal_iteratorINS9_10device_ptrIiEEEEPS5_jNS1_19radix_merge_compareILb0ELb1EiNS0_19identity_decomposerEEEEE10hipError_tT0_T1_T2_jT3_P12ihipStream_tbPNSt15iterator_traitsISK_E10value_typeEPNSQ_ISL_E10value_typeEPSM_NS1_7vsmem_tEENKUlT_SK_SL_SM_E_clIPiSE_SF_SF_EESJ_SZ_SK_SL_SM_EUlSZ_E_NS1_11comp_targetILNS1_3genE0ELNS1_11target_archE4294967295ELNS1_3gpuE0ELNS1_3repE0EEENS1_48merge_mergepath_partition_config_static_selectorELNS0_4arch9wavefront6targetE0EEEvSL_.uses_vcc, 0
	.set _ZN7rocprim17ROCPRIM_400000_NS6detail17trampoline_kernelINS0_14default_configENS1_38merge_sort_block_merge_config_selectorIiNS0_10empty_typeEEEZZNS1_27merge_sort_block_merge_implIS3_N6thrust23THRUST_200600_302600_NS6detail15normal_iteratorINS9_10device_ptrIiEEEEPS5_jNS1_19radix_merge_compareILb0ELb1EiNS0_19identity_decomposerEEEEE10hipError_tT0_T1_T2_jT3_P12ihipStream_tbPNSt15iterator_traitsISK_E10value_typeEPNSQ_ISL_E10value_typeEPSM_NS1_7vsmem_tEENKUlT_SK_SL_SM_E_clIPiSE_SF_SF_EESJ_SZ_SK_SL_SM_EUlSZ_E_NS1_11comp_targetILNS1_3genE0ELNS1_11target_archE4294967295ELNS1_3gpuE0ELNS1_3repE0EEENS1_48merge_mergepath_partition_config_static_selectorELNS0_4arch9wavefront6targetE0EEEvSL_.uses_flat_scratch, 0
	.set _ZN7rocprim17ROCPRIM_400000_NS6detail17trampoline_kernelINS0_14default_configENS1_38merge_sort_block_merge_config_selectorIiNS0_10empty_typeEEEZZNS1_27merge_sort_block_merge_implIS3_N6thrust23THRUST_200600_302600_NS6detail15normal_iteratorINS9_10device_ptrIiEEEEPS5_jNS1_19radix_merge_compareILb0ELb1EiNS0_19identity_decomposerEEEEE10hipError_tT0_T1_T2_jT3_P12ihipStream_tbPNSt15iterator_traitsISK_E10value_typeEPNSQ_ISL_E10value_typeEPSM_NS1_7vsmem_tEENKUlT_SK_SL_SM_E_clIPiSE_SF_SF_EESJ_SZ_SK_SL_SM_EUlSZ_E_NS1_11comp_targetILNS1_3genE0ELNS1_11target_archE4294967295ELNS1_3gpuE0ELNS1_3repE0EEENS1_48merge_mergepath_partition_config_static_selectorELNS0_4arch9wavefront6targetE0EEEvSL_.has_dyn_sized_stack, 0
	.set _ZN7rocprim17ROCPRIM_400000_NS6detail17trampoline_kernelINS0_14default_configENS1_38merge_sort_block_merge_config_selectorIiNS0_10empty_typeEEEZZNS1_27merge_sort_block_merge_implIS3_N6thrust23THRUST_200600_302600_NS6detail15normal_iteratorINS9_10device_ptrIiEEEEPS5_jNS1_19radix_merge_compareILb0ELb1EiNS0_19identity_decomposerEEEEE10hipError_tT0_T1_T2_jT3_P12ihipStream_tbPNSt15iterator_traitsISK_E10value_typeEPNSQ_ISL_E10value_typeEPSM_NS1_7vsmem_tEENKUlT_SK_SL_SM_E_clIPiSE_SF_SF_EESJ_SZ_SK_SL_SM_EUlSZ_E_NS1_11comp_targetILNS1_3genE0ELNS1_11target_archE4294967295ELNS1_3gpuE0ELNS1_3repE0EEENS1_48merge_mergepath_partition_config_static_selectorELNS0_4arch9wavefront6targetE0EEEvSL_.has_recursion, 0
	.set _ZN7rocprim17ROCPRIM_400000_NS6detail17trampoline_kernelINS0_14default_configENS1_38merge_sort_block_merge_config_selectorIiNS0_10empty_typeEEEZZNS1_27merge_sort_block_merge_implIS3_N6thrust23THRUST_200600_302600_NS6detail15normal_iteratorINS9_10device_ptrIiEEEEPS5_jNS1_19radix_merge_compareILb0ELb1EiNS0_19identity_decomposerEEEEE10hipError_tT0_T1_T2_jT3_P12ihipStream_tbPNSt15iterator_traitsISK_E10value_typeEPNSQ_ISL_E10value_typeEPSM_NS1_7vsmem_tEENKUlT_SK_SL_SM_E_clIPiSE_SF_SF_EESJ_SZ_SK_SL_SM_EUlSZ_E_NS1_11comp_targetILNS1_3genE0ELNS1_11target_archE4294967295ELNS1_3gpuE0ELNS1_3repE0EEENS1_48merge_mergepath_partition_config_static_selectorELNS0_4arch9wavefront6targetE0EEEvSL_.has_indirect_call, 0
	.section	.AMDGPU.csdata,"",@progbits
; Kernel info:
; codeLenInByte = 0
; TotalNumSgprs: 0
; NumVgprs: 0
; ScratchSize: 0
; MemoryBound: 0
; FloatMode: 240
; IeeeMode: 1
; LDSByteSize: 0 bytes/workgroup (compile time only)
; SGPRBlocks: 0
; VGPRBlocks: 0
; NumSGPRsForWavesPerEU: 1
; NumVGPRsForWavesPerEU: 1
; Occupancy: 16
; WaveLimiterHint : 0
; COMPUTE_PGM_RSRC2:SCRATCH_EN: 0
; COMPUTE_PGM_RSRC2:USER_SGPR: 6
; COMPUTE_PGM_RSRC2:TRAP_HANDLER: 0
; COMPUTE_PGM_RSRC2:TGID_X_EN: 1
; COMPUTE_PGM_RSRC2:TGID_Y_EN: 0
; COMPUTE_PGM_RSRC2:TGID_Z_EN: 0
; COMPUTE_PGM_RSRC2:TIDIG_COMP_CNT: 0
	.section	.text._ZN7rocprim17ROCPRIM_400000_NS6detail17trampoline_kernelINS0_14default_configENS1_38merge_sort_block_merge_config_selectorIiNS0_10empty_typeEEEZZNS1_27merge_sort_block_merge_implIS3_N6thrust23THRUST_200600_302600_NS6detail15normal_iteratorINS9_10device_ptrIiEEEEPS5_jNS1_19radix_merge_compareILb0ELb1EiNS0_19identity_decomposerEEEEE10hipError_tT0_T1_T2_jT3_P12ihipStream_tbPNSt15iterator_traitsISK_E10value_typeEPNSQ_ISL_E10value_typeEPSM_NS1_7vsmem_tEENKUlT_SK_SL_SM_E_clIPiSE_SF_SF_EESJ_SZ_SK_SL_SM_EUlSZ_E_NS1_11comp_targetILNS1_3genE10ELNS1_11target_archE1201ELNS1_3gpuE5ELNS1_3repE0EEENS1_48merge_mergepath_partition_config_static_selectorELNS0_4arch9wavefront6targetE0EEEvSL_,"axG",@progbits,_ZN7rocprim17ROCPRIM_400000_NS6detail17trampoline_kernelINS0_14default_configENS1_38merge_sort_block_merge_config_selectorIiNS0_10empty_typeEEEZZNS1_27merge_sort_block_merge_implIS3_N6thrust23THRUST_200600_302600_NS6detail15normal_iteratorINS9_10device_ptrIiEEEEPS5_jNS1_19radix_merge_compareILb0ELb1EiNS0_19identity_decomposerEEEEE10hipError_tT0_T1_T2_jT3_P12ihipStream_tbPNSt15iterator_traitsISK_E10value_typeEPNSQ_ISL_E10value_typeEPSM_NS1_7vsmem_tEENKUlT_SK_SL_SM_E_clIPiSE_SF_SF_EESJ_SZ_SK_SL_SM_EUlSZ_E_NS1_11comp_targetILNS1_3genE10ELNS1_11target_archE1201ELNS1_3gpuE5ELNS1_3repE0EEENS1_48merge_mergepath_partition_config_static_selectorELNS0_4arch9wavefront6targetE0EEEvSL_,comdat
	.protected	_ZN7rocprim17ROCPRIM_400000_NS6detail17trampoline_kernelINS0_14default_configENS1_38merge_sort_block_merge_config_selectorIiNS0_10empty_typeEEEZZNS1_27merge_sort_block_merge_implIS3_N6thrust23THRUST_200600_302600_NS6detail15normal_iteratorINS9_10device_ptrIiEEEEPS5_jNS1_19radix_merge_compareILb0ELb1EiNS0_19identity_decomposerEEEEE10hipError_tT0_T1_T2_jT3_P12ihipStream_tbPNSt15iterator_traitsISK_E10value_typeEPNSQ_ISL_E10value_typeEPSM_NS1_7vsmem_tEENKUlT_SK_SL_SM_E_clIPiSE_SF_SF_EESJ_SZ_SK_SL_SM_EUlSZ_E_NS1_11comp_targetILNS1_3genE10ELNS1_11target_archE1201ELNS1_3gpuE5ELNS1_3repE0EEENS1_48merge_mergepath_partition_config_static_selectorELNS0_4arch9wavefront6targetE0EEEvSL_ ; -- Begin function _ZN7rocprim17ROCPRIM_400000_NS6detail17trampoline_kernelINS0_14default_configENS1_38merge_sort_block_merge_config_selectorIiNS0_10empty_typeEEEZZNS1_27merge_sort_block_merge_implIS3_N6thrust23THRUST_200600_302600_NS6detail15normal_iteratorINS9_10device_ptrIiEEEEPS5_jNS1_19radix_merge_compareILb0ELb1EiNS0_19identity_decomposerEEEEE10hipError_tT0_T1_T2_jT3_P12ihipStream_tbPNSt15iterator_traitsISK_E10value_typeEPNSQ_ISL_E10value_typeEPSM_NS1_7vsmem_tEENKUlT_SK_SL_SM_E_clIPiSE_SF_SF_EESJ_SZ_SK_SL_SM_EUlSZ_E_NS1_11comp_targetILNS1_3genE10ELNS1_11target_archE1201ELNS1_3gpuE5ELNS1_3repE0EEENS1_48merge_mergepath_partition_config_static_selectorELNS0_4arch9wavefront6targetE0EEEvSL_
	.globl	_ZN7rocprim17ROCPRIM_400000_NS6detail17trampoline_kernelINS0_14default_configENS1_38merge_sort_block_merge_config_selectorIiNS0_10empty_typeEEEZZNS1_27merge_sort_block_merge_implIS3_N6thrust23THRUST_200600_302600_NS6detail15normal_iteratorINS9_10device_ptrIiEEEEPS5_jNS1_19radix_merge_compareILb0ELb1EiNS0_19identity_decomposerEEEEE10hipError_tT0_T1_T2_jT3_P12ihipStream_tbPNSt15iterator_traitsISK_E10value_typeEPNSQ_ISL_E10value_typeEPSM_NS1_7vsmem_tEENKUlT_SK_SL_SM_E_clIPiSE_SF_SF_EESJ_SZ_SK_SL_SM_EUlSZ_E_NS1_11comp_targetILNS1_3genE10ELNS1_11target_archE1201ELNS1_3gpuE5ELNS1_3repE0EEENS1_48merge_mergepath_partition_config_static_selectorELNS0_4arch9wavefront6targetE0EEEvSL_
	.p2align	8
	.type	_ZN7rocprim17ROCPRIM_400000_NS6detail17trampoline_kernelINS0_14default_configENS1_38merge_sort_block_merge_config_selectorIiNS0_10empty_typeEEEZZNS1_27merge_sort_block_merge_implIS3_N6thrust23THRUST_200600_302600_NS6detail15normal_iteratorINS9_10device_ptrIiEEEEPS5_jNS1_19radix_merge_compareILb0ELb1EiNS0_19identity_decomposerEEEEE10hipError_tT0_T1_T2_jT3_P12ihipStream_tbPNSt15iterator_traitsISK_E10value_typeEPNSQ_ISL_E10value_typeEPSM_NS1_7vsmem_tEENKUlT_SK_SL_SM_E_clIPiSE_SF_SF_EESJ_SZ_SK_SL_SM_EUlSZ_E_NS1_11comp_targetILNS1_3genE10ELNS1_11target_archE1201ELNS1_3gpuE5ELNS1_3repE0EEENS1_48merge_mergepath_partition_config_static_selectorELNS0_4arch9wavefront6targetE0EEEvSL_,@function
_ZN7rocprim17ROCPRIM_400000_NS6detail17trampoline_kernelINS0_14default_configENS1_38merge_sort_block_merge_config_selectorIiNS0_10empty_typeEEEZZNS1_27merge_sort_block_merge_implIS3_N6thrust23THRUST_200600_302600_NS6detail15normal_iteratorINS9_10device_ptrIiEEEEPS5_jNS1_19radix_merge_compareILb0ELb1EiNS0_19identity_decomposerEEEEE10hipError_tT0_T1_T2_jT3_P12ihipStream_tbPNSt15iterator_traitsISK_E10value_typeEPNSQ_ISL_E10value_typeEPSM_NS1_7vsmem_tEENKUlT_SK_SL_SM_E_clIPiSE_SF_SF_EESJ_SZ_SK_SL_SM_EUlSZ_E_NS1_11comp_targetILNS1_3genE10ELNS1_11target_archE1201ELNS1_3gpuE5ELNS1_3repE0EEENS1_48merge_mergepath_partition_config_static_selectorELNS0_4arch9wavefront6targetE0EEEvSL_: ; @_ZN7rocprim17ROCPRIM_400000_NS6detail17trampoline_kernelINS0_14default_configENS1_38merge_sort_block_merge_config_selectorIiNS0_10empty_typeEEEZZNS1_27merge_sort_block_merge_implIS3_N6thrust23THRUST_200600_302600_NS6detail15normal_iteratorINS9_10device_ptrIiEEEEPS5_jNS1_19radix_merge_compareILb0ELb1EiNS0_19identity_decomposerEEEEE10hipError_tT0_T1_T2_jT3_P12ihipStream_tbPNSt15iterator_traitsISK_E10value_typeEPNSQ_ISL_E10value_typeEPSM_NS1_7vsmem_tEENKUlT_SK_SL_SM_E_clIPiSE_SF_SF_EESJ_SZ_SK_SL_SM_EUlSZ_E_NS1_11comp_targetILNS1_3genE10ELNS1_11target_archE1201ELNS1_3gpuE5ELNS1_3repE0EEENS1_48merge_mergepath_partition_config_static_selectorELNS0_4arch9wavefront6targetE0EEEvSL_
; %bb.0:
	.section	.rodata,"a",@progbits
	.p2align	6, 0x0
	.amdhsa_kernel _ZN7rocprim17ROCPRIM_400000_NS6detail17trampoline_kernelINS0_14default_configENS1_38merge_sort_block_merge_config_selectorIiNS0_10empty_typeEEEZZNS1_27merge_sort_block_merge_implIS3_N6thrust23THRUST_200600_302600_NS6detail15normal_iteratorINS9_10device_ptrIiEEEEPS5_jNS1_19radix_merge_compareILb0ELb1EiNS0_19identity_decomposerEEEEE10hipError_tT0_T1_T2_jT3_P12ihipStream_tbPNSt15iterator_traitsISK_E10value_typeEPNSQ_ISL_E10value_typeEPSM_NS1_7vsmem_tEENKUlT_SK_SL_SM_E_clIPiSE_SF_SF_EESJ_SZ_SK_SL_SM_EUlSZ_E_NS1_11comp_targetILNS1_3genE10ELNS1_11target_archE1201ELNS1_3gpuE5ELNS1_3repE0EEENS1_48merge_mergepath_partition_config_static_selectorELNS0_4arch9wavefront6targetE0EEEvSL_
		.amdhsa_group_segment_fixed_size 0
		.amdhsa_private_segment_fixed_size 0
		.amdhsa_kernarg_size 40
		.amdhsa_user_sgpr_count 6
		.amdhsa_user_sgpr_private_segment_buffer 1
		.amdhsa_user_sgpr_dispatch_ptr 0
		.amdhsa_user_sgpr_queue_ptr 0
		.amdhsa_user_sgpr_kernarg_segment_ptr 1
		.amdhsa_user_sgpr_dispatch_id 0
		.amdhsa_user_sgpr_flat_scratch_init 0
		.amdhsa_user_sgpr_private_segment_size 0
		.amdhsa_wavefront_size32 1
		.amdhsa_uses_dynamic_stack 0
		.amdhsa_system_sgpr_private_segment_wavefront_offset 0
		.amdhsa_system_sgpr_workgroup_id_x 1
		.amdhsa_system_sgpr_workgroup_id_y 0
		.amdhsa_system_sgpr_workgroup_id_z 0
		.amdhsa_system_sgpr_workgroup_info 0
		.amdhsa_system_vgpr_workitem_id 0
		.amdhsa_next_free_vgpr 1
		.amdhsa_next_free_sgpr 1
		.amdhsa_reserve_vcc 0
		.amdhsa_reserve_flat_scratch 0
		.amdhsa_float_round_mode_32 0
		.amdhsa_float_round_mode_16_64 0
		.amdhsa_float_denorm_mode_32 3
		.amdhsa_float_denorm_mode_16_64 3
		.amdhsa_dx10_clamp 1
		.amdhsa_ieee_mode 1
		.amdhsa_fp16_overflow 0
		.amdhsa_workgroup_processor_mode 1
		.amdhsa_memory_ordered 1
		.amdhsa_forward_progress 1
		.amdhsa_shared_vgpr_count 0
		.amdhsa_exception_fp_ieee_invalid_op 0
		.amdhsa_exception_fp_denorm_src 0
		.amdhsa_exception_fp_ieee_div_zero 0
		.amdhsa_exception_fp_ieee_overflow 0
		.amdhsa_exception_fp_ieee_underflow 0
		.amdhsa_exception_fp_ieee_inexact 0
		.amdhsa_exception_int_div_zero 0
	.end_amdhsa_kernel
	.section	.text._ZN7rocprim17ROCPRIM_400000_NS6detail17trampoline_kernelINS0_14default_configENS1_38merge_sort_block_merge_config_selectorIiNS0_10empty_typeEEEZZNS1_27merge_sort_block_merge_implIS3_N6thrust23THRUST_200600_302600_NS6detail15normal_iteratorINS9_10device_ptrIiEEEEPS5_jNS1_19radix_merge_compareILb0ELb1EiNS0_19identity_decomposerEEEEE10hipError_tT0_T1_T2_jT3_P12ihipStream_tbPNSt15iterator_traitsISK_E10value_typeEPNSQ_ISL_E10value_typeEPSM_NS1_7vsmem_tEENKUlT_SK_SL_SM_E_clIPiSE_SF_SF_EESJ_SZ_SK_SL_SM_EUlSZ_E_NS1_11comp_targetILNS1_3genE10ELNS1_11target_archE1201ELNS1_3gpuE5ELNS1_3repE0EEENS1_48merge_mergepath_partition_config_static_selectorELNS0_4arch9wavefront6targetE0EEEvSL_,"axG",@progbits,_ZN7rocprim17ROCPRIM_400000_NS6detail17trampoline_kernelINS0_14default_configENS1_38merge_sort_block_merge_config_selectorIiNS0_10empty_typeEEEZZNS1_27merge_sort_block_merge_implIS3_N6thrust23THRUST_200600_302600_NS6detail15normal_iteratorINS9_10device_ptrIiEEEEPS5_jNS1_19radix_merge_compareILb0ELb1EiNS0_19identity_decomposerEEEEE10hipError_tT0_T1_T2_jT3_P12ihipStream_tbPNSt15iterator_traitsISK_E10value_typeEPNSQ_ISL_E10value_typeEPSM_NS1_7vsmem_tEENKUlT_SK_SL_SM_E_clIPiSE_SF_SF_EESJ_SZ_SK_SL_SM_EUlSZ_E_NS1_11comp_targetILNS1_3genE10ELNS1_11target_archE1201ELNS1_3gpuE5ELNS1_3repE0EEENS1_48merge_mergepath_partition_config_static_selectorELNS0_4arch9wavefront6targetE0EEEvSL_,comdat
.Lfunc_end85:
	.size	_ZN7rocprim17ROCPRIM_400000_NS6detail17trampoline_kernelINS0_14default_configENS1_38merge_sort_block_merge_config_selectorIiNS0_10empty_typeEEEZZNS1_27merge_sort_block_merge_implIS3_N6thrust23THRUST_200600_302600_NS6detail15normal_iteratorINS9_10device_ptrIiEEEEPS5_jNS1_19radix_merge_compareILb0ELb1EiNS0_19identity_decomposerEEEEE10hipError_tT0_T1_T2_jT3_P12ihipStream_tbPNSt15iterator_traitsISK_E10value_typeEPNSQ_ISL_E10value_typeEPSM_NS1_7vsmem_tEENKUlT_SK_SL_SM_E_clIPiSE_SF_SF_EESJ_SZ_SK_SL_SM_EUlSZ_E_NS1_11comp_targetILNS1_3genE10ELNS1_11target_archE1201ELNS1_3gpuE5ELNS1_3repE0EEENS1_48merge_mergepath_partition_config_static_selectorELNS0_4arch9wavefront6targetE0EEEvSL_, .Lfunc_end85-_ZN7rocprim17ROCPRIM_400000_NS6detail17trampoline_kernelINS0_14default_configENS1_38merge_sort_block_merge_config_selectorIiNS0_10empty_typeEEEZZNS1_27merge_sort_block_merge_implIS3_N6thrust23THRUST_200600_302600_NS6detail15normal_iteratorINS9_10device_ptrIiEEEEPS5_jNS1_19radix_merge_compareILb0ELb1EiNS0_19identity_decomposerEEEEE10hipError_tT0_T1_T2_jT3_P12ihipStream_tbPNSt15iterator_traitsISK_E10value_typeEPNSQ_ISL_E10value_typeEPSM_NS1_7vsmem_tEENKUlT_SK_SL_SM_E_clIPiSE_SF_SF_EESJ_SZ_SK_SL_SM_EUlSZ_E_NS1_11comp_targetILNS1_3genE10ELNS1_11target_archE1201ELNS1_3gpuE5ELNS1_3repE0EEENS1_48merge_mergepath_partition_config_static_selectorELNS0_4arch9wavefront6targetE0EEEvSL_
                                        ; -- End function
	.set _ZN7rocprim17ROCPRIM_400000_NS6detail17trampoline_kernelINS0_14default_configENS1_38merge_sort_block_merge_config_selectorIiNS0_10empty_typeEEEZZNS1_27merge_sort_block_merge_implIS3_N6thrust23THRUST_200600_302600_NS6detail15normal_iteratorINS9_10device_ptrIiEEEEPS5_jNS1_19radix_merge_compareILb0ELb1EiNS0_19identity_decomposerEEEEE10hipError_tT0_T1_T2_jT3_P12ihipStream_tbPNSt15iterator_traitsISK_E10value_typeEPNSQ_ISL_E10value_typeEPSM_NS1_7vsmem_tEENKUlT_SK_SL_SM_E_clIPiSE_SF_SF_EESJ_SZ_SK_SL_SM_EUlSZ_E_NS1_11comp_targetILNS1_3genE10ELNS1_11target_archE1201ELNS1_3gpuE5ELNS1_3repE0EEENS1_48merge_mergepath_partition_config_static_selectorELNS0_4arch9wavefront6targetE0EEEvSL_.num_vgpr, 0
	.set _ZN7rocprim17ROCPRIM_400000_NS6detail17trampoline_kernelINS0_14default_configENS1_38merge_sort_block_merge_config_selectorIiNS0_10empty_typeEEEZZNS1_27merge_sort_block_merge_implIS3_N6thrust23THRUST_200600_302600_NS6detail15normal_iteratorINS9_10device_ptrIiEEEEPS5_jNS1_19radix_merge_compareILb0ELb1EiNS0_19identity_decomposerEEEEE10hipError_tT0_T1_T2_jT3_P12ihipStream_tbPNSt15iterator_traitsISK_E10value_typeEPNSQ_ISL_E10value_typeEPSM_NS1_7vsmem_tEENKUlT_SK_SL_SM_E_clIPiSE_SF_SF_EESJ_SZ_SK_SL_SM_EUlSZ_E_NS1_11comp_targetILNS1_3genE10ELNS1_11target_archE1201ELNS1_3gpuE5ELNS1_3repE0EEENS1_48merge_mergepath_partition_config_static_selectorELNS0_4arch9wavefront6targetE0EEEvSL_.num_agpr, 0
	.set _ZN7rocprim17ROCPRIM_400000_NS6detail17trampoline_kernelINS0_14default_configENS1_38merge_sort_block_merge_config_selectorIiNS0_10empty_typeEEEZZNS1_27merge_sort_block_merge_implIS3_N6thrust23THRUST_200600_302600_NS6detail15normal_iteratorINS9_10device_ptrIiEEEEPS5_jNS1_19radix_merge_compareILb0ELb1EiNS0_19identity_decomposerEEEEE10hipError_tT0_T1_T2_jT3_P12ihipStream_tbPNSt15iterator_traitsISK_E10value_typeEPNSQ_ISL_E10value_typeEPSM_NS1_7vsmem_tEENKUlT_SK_SL_SM_E_clIPiSE_SF_SF_EESJ_SZ_SK_SL_SM_EUlSZ_E_NS1_11comp_targetILNS1_3genE10ELNS1_11target_archE1201ELNS1_3gpuE5ELNS1_3repE0EEENS1_48merge_mergepath_partition_config_static_selectorELNS0_4arch9wavefront6targetE0EEEvSL_.numbered_sgpr, 0
	.set _ZN7rocprim17ROCPRIM_400000_NS6detail17trampoline_kernelINS0_14default_configENS1_38merge_sort_block_merge_config_selectorIiNS0_10empty_typeEEEZZNS1_27merge_sort_block_merge_implIS3_N6thrust23THRUST_200600_302600_NS6detail15normal_iteratorINS9_10device_ptrIiEEEEPS5_jNS1_19radix_merge_compareILb0ELb1EiNS0_19identity_decomposerEEEEE10hipError_tT0_T1_T2_jT3_P12ihipStream_tbPNSt15iterator_traitsISK_E10value_typeEPNSQ_ISL_E10value_typeEPSM_NS1_7vsmem_tEENKUlT_SK_SL_SM_E_clIPiSE_SF_SF_EESJ_SZ_SK_SL_SM_EUlSZ_E_NS1_11comp_targetILNS1_3genE10ELNS1_11target_archE1201ELNS1_3gpuE5ELNS1_3repE0EEENS1_48merge_mergepath_partition_config_static_selectorELNS0_4arch9wavefront6targetE0EEEvSL_.num_named_barrier, 0
	.set _ZN7rocprim17ROCPRIM_400000_NS6detail17trampoline_kernelINS0_14default_configENS1_38merge_sort_block_merge_config_selectorIiNS0_10empty_typeEEEZZNS1_27merge_sort_block_merge_implIS3_N6thrust23THRUST_200600_302600_NS6detail15normal_iteratorINS9_10device_ptrIiEEEEPS5_jNS1_19radix_merge_compareILb0ELb1EiNS0_19identity_decomposerEEEEE10hipError_tT0_T1_T2_jT3_P12ihipStream_tbPNSt15iterator_traitsISK_E10value_typeEPNSQ_ISL_E10value_typeEPSM_NS1_7vsmem_tEENKUlT_SK_SL_SM_E_clIPiSE_SF_SF_EESJ_SZ_SK_SL_SM_EUlSZ_E_NS1_11comp_targetILNS1_3genE10ELNS1_11target_archE1201ELNS1_3gpuE5ELNS1_3repE0EEENS1_48merge_mergepath_partition_config_static_selectorELNS0_4arch9wavefront6targetE0EEEvSL_.private_seg_size, 0
	.set _ZN7rocprim17ROCPRIM_400000_NS6detail17trampoline_kernelINS0_14default_configENS1_38merge_sort_block_merge_config_selectorIiNS0_10empty_typeEEEZZNS1_27merge_sort_block_merge_implIS3_N6thrust23THRUST_200600_302600_NS6detail15normal_iteratorINS9_10device_ptrIiEEEEPS5_jNS1_19radix_merge_compareILb0ELb1EiNS0_19identity_decomposerEEEEE10hipError_tT0_T1_T2_jT3_P12ihipStream_tbPNSt15iterator_traitsISK_E10value_typeEPNSQ_ISL_E10value_typeEPSM_NS1_7vsmem_tEENKUlT_SK_SL_SM_E_clIPiSE_SF_SF_EESJ_SZ_SK_SL_SM_EUlSZ_E_NS1_11comp_targetILNS1_3genE10ELNS1_11target_archE1201ELNS1_3gpuE5ELNS1_3repE0EEENS1_48merge_mergepath_partition_config_static_selectorELNS0_4arch9wavefront6targetE0EEEvSL_.uses_vcc, 0
	.set _ZN7rocprim17ROCPRIM_400000_NS6detail17trampoline_kernelINS0_14default_configENS1_38merge_sort_block_merge_config_selectorIiNS0_10empty_typeEEEZZNS1_27merge_sort_block_merge_implIS3_N6thrust23THRUST_200600_302600_NS6detail15normal_iteratorINS9_10device_ptrIiEEEEPS5_jNS1_19radix_merge_compareILb0ELb1EiNS0_19identity_decomposerEEEEE10hipError_tT0_T1_T2_jT3_P12ihipStream_tbPNSt15iterator_traitsISK_E10value_typeEPNSQ_ISL_E10value_typeEPSM_NS1_7vsmem_tEENKUlT_SK_SL_SM_E_clIPiSE_SF_SF_EESJ_SZ_SK_SL_SM_EUlSZ_E_NS1_11comp_targetILNS1_3genE10ELNS1_11target_archE1201ELNS1_3gpuE5ELNS1_3repE0EEENS1_48merge_mergepath_partition_config_static_selectorELNS0_4arch9wavefront6targetE0EEEvSL_.uses_flat_scratch, 0
	.set _ZN7rocprim17ROCPRIM_400000_NS6detail17trampoline_kernelINS0_14default_configENS1_38merge_sort_block_merge_config_selectorIiNS0_10empty_typeEEEZZNS1_27merge_sort_block_merge_implIS3_N6thrust23THRUST_200600_302600_NS6detail15normal_iteratorINS9_10device_ptrIiEEEEPS5_jNS1_19radix_merge_compareILb0ELb1EiNS0_19identity_decomposerEEEEE10hipError_tT0_T1_T2_jT3_P12ihipStream_tbPNSt15iterator_traitsISK_E10value_typeEPNSQ_ISL_E10value_typeEPSM_NS1_7vsmem_tEENKUlT_SK_SL_SM_E_clIPiSE_SF_SF_EESJ_SZ_SK_SL_SM_EUlSZ_E_NS1_11comp_targetILNS1_3genE10ELNS1_11target_archE1201ELNS1_3gpuE5ELNS1_3repE0EEENS1_48merge_mergepath_partition_config_static_selectorELNS0_4arch9wavefront6targetE0EEEvSL_.has_dyn_sized_stack, 0
	.set _ZN7rocprim17ROCPRIM_400000_NS6detail17trampoline_kernelINS0_14default_configENS1_38merge_sort_block_merge_config_selectorIiNS0_10empty_typeEEEZZNS1_27merge_sort_block_merge_implIS3_N6thrust23THRUST_200600_302600_NS6detail15normal_iteratorINS9_10device_ptrIiEEEEPS5_jNS1_19radix_merge_compareILb0ELb1EiNS0_19identity_decomposerEEEEE10hipError_tT0_T1_T2_jT3_P12ihipStream_tbPNSt15iterator_traitsISK_E10value_typeEPNSQ_ISL_E10value_typeEPSM_NS1_7vsmem_tEENKUlT_SK_SL_SM_E_clIPiSE_SF_SF_EESJ_SZ_SK_SL_SM_EUlSZ_E_NS1_11comp_targetILNS1_3genE10ELNS1_11target_archE1201ELNS1_3gpuE5ELNS1_3repE0EEENS1_48merge_mergepath_partition_config_static_selectorELNS0_4arch9wavefront6targetE0EEEvSL_.has_recursion, 0
	.set _ZN7rocprim17ROCPRIM_400000_NS6detail17trampoline_kernelINS0_14default_configENS1_38merge_sort_block_merge_config_selectorIiNS0_10empty_typeEEEZZNS1_27merge_sort_block_merge_implIS3_N6thrust23THRUST_200600_302600_NS6detail15normal_iteratorINS9_10device_ptrIiEEEEPS5_jNS1_19radix_merge_compareILb0ELb1EiNS0_19identity_decomposerEEEEE10hipError_tT0_T1_T2_jT3_P12ihipStream_tbPNSt15iterator_traitsISK_E10value_typeEPNSQ_ISL_E10value_typeEPSM_NS1_7vsmem_tEENKUlT_SK_SL_SM_E_clIPiSE_SF_SF_EESJ_SZ_SK_SL_SM_EUlSZ_E_NS1_11comp_targetILNS1_3genE10ELNS1_11target_archE1201ELNS1_3gpuE5ELNS1_3repE0EEENS1_48merge_mergepath_partition_config_static_selectorELNS0_4arch9wavefront6targetE0EEEvSL_.has_indirect_call, 0
	.section	.AMDGPU.csdata,"",@progbits
; Kernel info:
; codeLenInByte = 0
; TotalNumSgprs: 0
; NumVgprs: 0
; ScratchSize: 0
; MemoryBound: 0
; FloatMode: 240
; IeeeMode: 1
; LDSByteSize: 0 bytes/workgroup (compile time only)
; SGPRBlocks: 0
; VGPRBlocks: 0
; NumSGPRsForWavesPerEU: 1
; NumVGPRsForWavesPerEU: 1
; Occupancy: 16
; WaveLimiterHint : 0
; COMPUTE_PGM_RSRC2:SCRATCH_EN: 0
; COMPUTE_PGM_RSRC2:USER_SGPR: 6
; COMPUTE_PGM_RSRC2:TRAP_HANDLER: 0
; COMPUTE_PGM_RSRC2:TGID_X_EN: 1
; COMPUTE_PGM_RSRC2:TGID_Y_EN: 0
; COMPUTE_PGM_RSRC2:TGID_Z_EN: 0
; COMPUTE_PGM_RSRC2:TIDIG_COMP_CNT: 0
	.section	.text._ZN7rocprim17ROCPRIM_400000_NS6detail17trampoline_kernelINS0_14default_configENS1_38merge_sort_block_merge_config_selectorIiNS0_10empty_typeEEEZZNS1_27merge_sort_block_merge_implIS3_N6thrust23THRUST_200600_302600_NS6detail15normal_iteratorINS9_10device_ptrIiEEEEPS5_jNS1_19radix_merge_compareILb0ELb1EiNS0_19identity_decomposerEEEEE10hipError_tT0_T1_T2_jT3_P12ihipStream_tbPNSt15iterator_traitsISK_E10value_typeEPNSQ_ISL_E10value_typeEPSM_NS1_7vsmem_tEENKUlT_SK_SL_SM_E_clIPiSE_SF_SF_EESJ_SZ_SK_SL_SM_EUlSZ_E_NS1_11comp_targetILNS1_3genE5ELNS1_11target_archE942ELNS1_3gpuE9ELNS1_3repE0EEENS1_48merge_mergepath_partition_config_static_selectorELNS0_4arch9wavefront6targetE0EEEvSL_,"axG",@progbits,_ZN7rocprim17ROCPRIM_400000_NS6detail17trampoline_kernelINS0_14default_configENS1_38merge_sort_block_merge_config_selectorIiNS0_10empty_typeEEEZZNS1_27merge_sort_block_merge_implIS3_N6thrust23THRUST_200600_302600_NS6detail15normal_iteratorINS9_10device_ptrIiEEEEPS5_jNS1_19radix_merge_compareILb0ELb1EiNS0_19identity_decomposerEEEEE10hipError_tT0_T1_T2_jT3_P12ihipStream_tbPNSt15iterator_traitsISK_E10value_typeEPNSQ_ISL_E10value_typeEPSM_NS1_7vsmem_tEENKUlT_SK_SL_SM_E_clIPiSE_SF_SF_EESJ_SZ_SK_SL_SM_EUlSZ_E_NS1_11comp_targetILNS1_3genE5ELNS1_11target_archE942ELNS1_3gpuE9ELNS1_3repE0EEENS1_48merge_mergepath_partition_config_static_selectorELNS0_4arch9wavefront6targetE0EEEvSL_,comdat
	.protected	_ZN7rocprim17ROCPRIM_400000_NS6detail17trampoline_kernelINS0_14default_configENS1_38merge_sort_block_merge_config_selectorIiNS0_10empty_typeEEEZZNS1_27merge_sort_block_merge_implIS3_N6thrust23THRUST_200600_302600_NS6detail15normal_iteratorINS9_10device_ptrIiEEEEPS5_jNS1_19radix_merge_compareILb0ELb1EiNS0_19identity_decomposerEEEEE10hipError_tT0_T1_T2_jT3_P12ihipStream_tbPNSt15iterator_traitsISK_E10value_typeEPNSQ_ISL_E10value_typeEPSM_NS1_7vsmem_tEENKUlT_SK_SL_SM_E_clIPiSE_SF_SF_EESJ_SZ_SK_SL_SM_EUlSZ_E_NS1_11comp_targetILNS1_3genE5ELNS1_11target_archE942ELNS1_3gpuE9ELNS1_3repE0EEENS1_48merge_mergepath_partition_config_static_selectorELNS0_4arch9wavefront6targetE0EEEvSL_ ; -- Begin function _ZN7rocprim17ROCPRIM_400000_NS6detail17trampoline_kernelINS0_14default_configENS1_38merge_sort_block_merge_config_selectorIiNS0_10empty_typeEEEZZNS1_27merge_sort_block_merge_implIS3_N6thrust23THRUST_200600_302600_NS6detail15normal_iteratorINS9_10device_ptrIiEEEEPS5_jNS1_19radix_merge_compareILb0ELb1EiNS0_19identity_decomposerEEEEE10hipError_tT0_T1_T2_jT3_P12ihipStream_tbPNSt15iterator_traitsISK_E10value_typeEPNSQ_ISL_E10value_typeEPSM_NS1_7vsmem_tEENKUlT_SK_SL_SM_E_clIPiSE_SF_SF_EESJ_SZ_SK_SL_SM_EUlSZ_E_NS1_11comp_targetILNS1_3genE5ELNS1_11target_archE942ELNS1_3gpuE9ELNS1_3repE0EEENS1_48merge_mergepath_partition_config_static_selectorELNS0_4arch9wavefront6targetE0EEEvSL_
	.globl	_ZN7rocprim17ROCPRIM_400000_NS6detail17trampoline_kernelINS0_14default_configENS1_38merge_sort_block_merge_config_selectorIiNS0_10empty_typeEEEZZNS1_27merge_sort_block_merge_implIS3_N6thrust23THRUST_200600_302600_NS6detail15normal_iteratorINS9_10device_ptrIiEEEEPS5_jNS1_19radix_merge_compareILb0ELb1EiNS0_19identity_decomposerEEEEE10hipError_tT0_T1_T2_jT3_P12ihipStream_tbPNSt15iterator_traitsISK_E10value_typeEPNSQ_ISL_E10value_typeEPSM_NS1_7vsmem_tEENKUlT_SK_SL_SM_E_clIPiSE_SF_SF_EESJ_SZ_SK_SL_SM_EUlSZ_E_NS1_11comp_targetILNS1_3genE5ELNS1_11target_archE942ELNS1_3gpuE9ELNS1_3repE0EEENS1_48merge_mergepath_partition_config_static_selectorELNS0_4arch9wavefront6targetE0EEEvSL_
	.p2align	8
	.type	_ZN7rocprim17ROCPRIM_400000_NS6detail17trampoline_kernelINS0_14default_configENS1_38merge_sort_block_merge_config_selectorIiNS0_10empty_typeEEEZZNS1_27merge_sort_block_merge_implIS3_N6thrust23THRUST_200600_302600_NS6detail15normal_iteratorINS9_10device_ptrIiEEEEPS5_jNS1_19radix_merge_compareILb0ELb1EiNS0_19identity_decomposerEEEEE10hipError_tT0_T1_T2_jT3_P12ihipStream_tbPNSt15iterator_traitsISK_E10value_typeEPNSQ_ISL_E10value_typeEPSM_NS1_7vsmem_tEENKUlT_SK_SL_SM_E_clIPiSE_SF_SF_EESJ_SZ_SK_SL_SM_EUlSZ_E_NS1_11comp_targetILNS1_3genE5ELNS1_11target_archE942ELNS1_3gpuE9ELNS1_3repE0EEENS1_48merge_mergepath_partition_config_static_selectorELNS0_4arch9wavefront6targetE0EEEvSL_,@function
_ZN7rocprim17ROCPRIM_400000_NS6detail17trampoline_kernelINS0_14default_configENS1_38merge_sort_block_merge_config_selectorIiNS0_10empty_typeEEEZZNS1_27merge_sort_block_merge_implIS3_N6thrust23THRUST_200600_302600_NS6detail15normal_iteratorINS9_10device_ptrIiEEEEPS5_jNS1_19radix_merge_compareILb0ELb1EiNS0_19identity_decomposerEEEEE10hipError_tT0_T1_T2_jT3_P12ihipStream_tbPNSt15iterator_traitsISK_E10value_typeEPNSQ_ISL_E10value_typeEPSM_NS1_7vsmem_tEENKUlT_SK_SL_SM_E_clIPiSE_SF_SF_EESJ_SZ_SK_SL_SM_EUlSZ_E_NS1_11comp_targetILNS1_3genE5ELNS1_11target_archE942ELNS1_3gpuE9ELNS1_3repE0EEENS1_48merge_mergepath_partition_config_static_selectorELNS0_4arch9wavefront6targetE0EEEvSL_: ; @_ZN7rocprim17ROCPRIM_400000_NS6detail17trampoline_kernelINS0_14default_configENS1_38merge_sort_block_merge_config_selectorIiNS0_10empty_typeEEEZZNS1_27merge_sort_block_merge_implIS3_N6thrust23THRUST_200600_302600_NS6detail15normal_iteratorINS9_10device_ptrIiEEEEPS5_jNS1_19radix_merge_compareILb0ELb1EiNS0_19identity_decomposerEEEEE10hipError_tT0_T1_T2_jT3_P12ihipStream_tbPNSt15iterator_traitsISK_E10value_typeEPNSQ_ISL_E10value_typeEPSM_NS1_7vsmem_tEENKUlT_SK_SL_SM_E_clIPiSE_SF_SF_EESJ_SZ_SK_SL_SM_EUlSZ_E_NS1_11comp_targetILNS1_3genE5ELNS1_11target_archE942ELNS1_3gpuE9ELNS1_3repE0EEENS1_48merge_mergepath_partition_config_static_selectorELNS0_4arch9wavefront6targetE0EEEvSL_
; %bb.0:
	.section	.rodata,"a",@progbits
	.p2align	6, 0x0
	.amdhsa_kernel _ZN7rocprim17ROCPRIM_400000_NS6detail17trampoline_kernelINS0_14default_configENS1_38merge_sort_block_merge_config_selectorIiNS0_10empty_typeEEEZZNS1_27merge_sort_block_merge_implIS3_N6thrust23THRUST_200600_302600_NS6detail15normal_iteratorINS9_10device_ptrIiEEEEPS5_jNS1_19radix_merge_compareILb0ELb1EiNS0_19identity_decomposerEEEEE10hipError_tT0_T1_T2_jT3_P12ihipStream_tbPNSt15iterator_traitsISK_E10value_typeEPNSQ_ISL_E10value_typeEPSM_NS1_7vsmem_tEENKUlT_SK_SL_SM_E_clIPiSE_SF_SF_EESJ_SZ_SK_SL_SM_EUlSZ_E_NS1_11comp_targetILNS1_3genE5ELNS1_11target_archE942ELNS1_3gpuE9ELNS1_3repE0EEENS1_48merge_mergepath_partition_config_static_selectorELNS0_4arch9wavefront6targetE0EEEvSL_
		.amdhsa_group_segment_fixed_size 0
		.amdhsa_private_segment_fixed_size 0
		.amdhsa_kernarg_size 40
		.amdhsa_user_sgpr_count 6
		.amdhsa_user_sgpr_private_segment_buffer 1
		.amdhsa_user_sgpr_dispatch_ptr 0
		.amdhsa_user_sgpr_queue_ptr 0
		.amdhsa_user_sgpr_kernarg_segment_ptr 1
		.amdhsa_user_sgpr_dispatch_id 0
		.amdhsa_user_sgpr_flat_scratch_init 0
		.amdhsa_user_sgpr_private_segment_size 0
		.amdhsa_wavefront_size32 1
		.amdhsa_uses_dynamic_stack 0
		.amdhsa_system_sgpr_private_segment_wavefront_offset 0
		.amdhsa_system_sgpr_workgroup_id_x 1
		.amdhsa_system_sgpr_workgroup_id_y 0
		.amdhsa_system_sgpr_workgroup_id_z 0
		.amdhsa_system_sgpr_workgroup_info 0
		.amdhsa_system_vgpr_workitem_id 0
		.amdhsa_next_free_vgpr 1
		.amdhsa_next_free_sgpr 1
		.amdhsa_reserve_vcc 0
		.amdhsa_reserve_flat_scratch 0
		.amdhsa_float_round_mode_32 0
		.amdhsa_float_round_mode_16_64 0
		.amdhsa_float_denorm_mode_32 3
		.amdhsa_float_denorm_mode_16_64 3
		.amdhsa_dx10_clamp 1
		.amdhsa_ieee_mode 1
		.amdhsa_fp16_overflow 0
		.amdhsa_workgroup_processor_mode 1
		.amdhsa_memory_ordered 1
		.amdhsa_forward_progress 1
		.amdhsa_shared_vgpr_count 0
		.amdhsa_exception_fp_ieee_invalid_op 0
		.amdhsa_exception_fp_denorm_src 0
		.amdhsa_exception_fp_ieee_div_zero 0
		.amdhsa_exception_fp_ieee_overflow 0
		.amdhsa_exception_fp_ieee_underflow 0
		.amdhsa_exception_fp_ieee_inexact 0
		.amdhsa_exception_int_div_zero 0
	.end_amdhsa_kernel
	.section	.text._ZN7rocprim17ROCPRIM_400000_NS6detail17trampoline_kernelINS0_14default_configENS1_38merge_sort_block_merge_config_selectorIiNS0_10empty_typeEEEZZNS1_27merge_sort_block_merge_implIS3_N6thrust23THRUST_200600_302600_NS6detail15normal_iteratorINS9_10device_ptrIiEEEEPS5_jNS1_19radix_merge_compareILb0ELb1EiNS0_19identity_decomposerEEEEE10hipError_tT0_T1_T2_jT3_P12ihipStream_tbPNSt15iterator_traitsISK_E10value_typeEPNSQ_ISL_E10value_typeEPSM_NS1_7vsmem_tEENKUlT_SK_SL_SM_E_clIPiSE_SF_SF_EESJ_SZ_SK_SL_SM_EUlSZ_E_NS1_11comp_targetILNS1_3genE5ELNS1_11target_archE942ELNS1_3gpuE9ELNS1_3repE0EEENS1_48merge_mergepath_partition_config_static_selectorELNS0_4arch9wavefront6targetE0EEEvSL_,"axG",@progbits,_ZN7rocprim17ROCPRIM_400000_NS6detail17trampoline_kernelINS0_14default_configENS1_38merge_sort_block_merge_config_selectorIiNS0_10empty_typeEEEZZNS1_27merge_sort_block_merge_implIS3_N6thrust23THRUST_200600_302600_NS6detail15normal_iteratorINS9_10device_ptrIiEEEEPS5_jNS1_19radix_merge_compareILb0ELb1EiNS0_19identity_decomposerEEEEE10hipError_tT0_T1_T2_jT3_P12ihipStream_tbPNSt15iterator_traitsISK_E10value_typeEPNSQ_ISL_E10value_typeEPSM_NS1_7vsmem_tEENKUlT_SK_SL_SM_E_clIPiSE_SF_SF_EESJ_SZ_SK_SL_SM_EUlSZ_E_NS1_11comp_targetILNS1_3genE5ELNS1_11target_archE942ELNS1_3gpuE9ELNS1_3repE0EEENS1_48merge_mergepath_partition_config_static_selectorELNS0_4arch9wavefront6targetE0EEEvSL_,comdat
.Lfunc_end86:
	.size	_ZN7rocprim17ROCPRIM_400000_NS6detail17trampoline_kernelINS0_14default_configENS1_38merge_sort_block_merge_config_selectorIiNS0_10empty_typeEEEZZNS1_27merge_sort_block_merge_implIS3_N6thrust23THRUST_200600_302600_NS6detail15normal_iteratorINS9_10device_ptrIiEEEEPS5_jNS1_19radix_merge_compareILb0ELb1EiNS0_19identity_decomposerEEEEE10hipError_tT0_T1_T2_jT3_P12ihipStream_tbPNSt15iterator_traitsISK_E10value_typeEPNSQ_ISL_E10value_typeEPSM_NS1_7vsmem_tEENKUlT_SK_SL_SM_E_clIPiSE_SF_SF_EESJ_SZ_SK_SL_SM_EUlSZ_E_NS1_11comp_targetILNS1_3genE5ELNS1_11target_archE942ELNS1_3gpuE9ELNS1_3repE0EEENS1_48merge_mergepath_partition_config_static_selectorELNS0_4arch9wavefront6targetE0EEEvSL_, .Lfunc_end86-_ZN7rocprim17ROCPRIM_400000_NS6detail17trampoline_kernelINS0_14default_configENS1_38merge_sort_block_merge_config_selectorIiNS0_10empty_typeEEEZZNS1_27merge_sort_block_merge_implIS3_N6thrust23THRUST_200600_302600_NS6detail15normal_iteratorINS9_10device_ptrIiEEEEPS5_jNS1_19radix_merge_compareILb0ELb1EiNS0_19identity_decomposerEEEEE10hipError_tT0_T1_T2_jT3_P12ihipStream_tbPNSt15iterator_traitsISK_E10value_typeEPNSQ_ISL_E10value_typeEPSM_NS1_7vsmem_tEENKUlT_SK_SL_SM_E_clIPiSE_SF_SF_EESJ_SZ_SK_SL_SM_EUlSZ_E_NS1_11comp_targetILNS1_3genE5ELNS1_11target_archE942ELNS1_3gpuE9ELNS1_3repE0EEENS1_48merge_mergepath_partition_config_static_selectorELNS0_4arch9wavefront6targetE0EEEvSL_
                                        ; -- End function
	.set _ZN7rocprim17ROCPRIM_400000_NS6detail17trampoline_kernelINS0_14default_configENS1_38merge_sort_block_merge_config_selectorIiNS0_10empty_typeEEEZZNS1_27merge_sort_block_merge_implIS3_N6thrust23THRUST_200600_302600_NS6detail15normal_iteratorINS9_10device_ptrIiEEEEPS5_jNS1_19radix_merge_compareILb0ELb1EiNS0_19identity_decomposerEEEEE10hipError_tT0_T1_T2_jT3_P12ihipStream_tbPNSt15iterator_traitsISK_E10value_typeEPNSQ_ISL_E10value_typeEPSM_NS1_7vsmem_tEENKUlT_SK_SL_SM_E_clIPiSE_SF_SF_EESJ_SZ_SK_SL_SM_EUlSZ_E_NS1_11comp_targetILNS1_3genE5ELNS1_11target_archE942ELNS1_3gpuE9ELNS1_3repE0EEENS1_48merge_mergepath_partition_config_static_selectorELNS0_4arch9wavefront6targetE0EEEvSL_.num_vgpr, 0
	.set _ZN7rocprim17ROCPRIM_400000_NS6detail17trampoline_kernelINS0_14default_configENS1_38merge_sort_block_merge_config_selectorIiNS0_10empty_typeEEEZZNS1_27merge_sort_block_merge_implIS3_N6thrust23THRUST_200600_302600_NS6detail15normal_iteratorINS9_10device_ptrIiEEEEPS5_jNS1_19radix_merge_compareILb0ELb1EiNS0_19identity_decomposerEEEEE10hipError_tT0_T1_T2_jT3_P12ihipStream_tbPNSt15iterator_traitsISK_E10value_typeEPNSQ_ISL_E10value_typeEPSM_NS1_7vsmem_tEENKUlT_SK_SL_SM_E_clIPiSE_SF_SF_EESJ_SZ_SK_SL_SM_EUlSZ_E_NS1_11comp_targetILNS1_3genE5ELNS1_11target_archE942ELNS1_3gpuE9ELNS1_3repE0EEENS1_48merge_mergepath_partition_config_static_selectorELNS0_4arch9wavefront6targetE0EEEvSL_.num_agpr, 0
	.set _ZN7rocprim17ROCPRIM_400000_NS6detail17trampoline_kernelINS0_14default_configENS1_38merge_sort_block_merge_config_selectorIiNS0_10empty_typeEEEZZNS1_27merge_sort_block_merge_implIS3_N6thrust23THRUST_200600_302600_NS6detail15normal_iteratorINS9_10device_ptrIiEEEEPS5_jNS1_19radix_merge_compareILb0ELb1EiNS0_19identity_decomposerEEEEE10hipError_tT0_T1_T2_jT3_P12ihipStream_tbPNSt15iterator_traitsISK_E10value_typeEPNSQ_ISL_E10value_typeEPSM_NS1_7vsmem_tEENKUlT_SK_SL_SM_E_clIPiSE_SF_SF_EESJ_SZ_SK_SL_SM_EUlSZ_E_NS1_11comp_targetILNS1_3genE5ELNS1_11target_archE942ELNS1_3gpuE9ELNS1_3repE0EEENS1_48merge_mergepath_partition_config_static_selectorELNS0_4arch9wavefront6targetE0EEEvSL_.numbered_sgpr, 0
	.set _ZN7rocprim17ROCPRIM_400000_NS6detail17trampoline_kernelINS0_14default_configENS1_38merge_sort_block_merge_config_selectorIiNS0_10empty_typeEEEZZNS1_27merge_sort_block_merge_implIS3_N6thrust23THRUST_200600_302600_NS6detail15normal_iteratorINS9_10device_ptrIiEEEEPS5_jNS1_19radix_merge_compareILb0ELb1EiNS0_19identity_decomposerEEEEE10hipError_tT0_T1_T2_jT3_P12ihipStream_tbPNSt15iterator_traitsISK_E10value_typeEPNSQ_ISL_E10value_typeEPSM_NS1_7vsmem_tEENKUlT_SK_SL_SM_E_clIPiSE_SF_SF_EESJ_SZ_SK_SL_SM_EUlSZ_E_NS1_11comp_targetILNS1_3genE5ELNS1_11target_archE942ELNS1_3gpuE9ELNS1_3repE0EEENS1_48merge_mergepath_partition_config_static_selectorELNS0_4arch9wavefront6targetE0EEEvSL_.num_named_barrier, 0
	.set _ZN7rocprim17ROCPRIM_400000_NS6detail17trampoline_kernelINS0_14default_configENS1_38merge_sort_block_merge_config_selectorIiNS0_10empty_typeEEEZZNS1_27merge_sort_block_merge_implIS3_N6thrust23THRUST_200600_302600_NS6detail15normal_iteratorINS9_10device_ptrIiEEEEPS5_jNS1_19radix_merge_compareILb0ELb1EiNS0_19identity_decomposerEEEEE10hipError_tT0_T1_T2_jT3_P12ihipStream_tbPNSt15iterator_traitsISK_E10value_typeEPNSQ_ISL_E10value_typeEPSM_NS1_7vsmem_tEENKUlT_SK_SL_SM_E_clIPiSE_SF_SF_EESJ_SZ_SK_SL_SM_EUlSZ_E_NS1_11comp_targetILNS1_3genE5ELNS1_11target_archE942ELNS1_3gpuE9ELNS1_3repE0EEENS1_48merge_mergepath_partition_config_static_selectorELNS0_4arch9wavefront6targetE0EEEvSL_.private_seg_size, 0
	.set _ZN7rocprim17ROCPRIM_400000_NS6detail17trampoline_kernelINS0_14default_configENS1_38merge_sort_block_merge_config_selectorIiNS0_10empty_typeEEEZZNS1_27merge_sort_block_merge_implIS3_N6thrust23THRUST_200600_302600_NS6detail15normal_iteratorINS9_10device_ptrIiEEEEPS5_jNS1_19radix_merge_compareILb0ELb1EiNS0_19identity_decomposerEEEEE10hipError_tT0_T1_T2_jT3_P12ihipStream_tbPNSt15iterator_traitsISK_E10value_typeEPNSQ_ISL_E10value_typeEPSM_NS1_7vsmem_tEENKUlT_SK_SL_SM_E_clIPiSE_SF_SF_EESJ_SZ_SK_SL_SM_EUlSZ_E_NS1_11comp_targetILNS1_3genE5ELNS1_11target_archE942ELNS1_3gpuE9ELNS1_3repE0EEENS1_48merge_mergepath_partition_config_static_selectorELNS0_4arch9wavefront6targetE0EEEvSL_.uses_vcc, 0
	.set _ZN7rocprim17ROCPRIM_400000_NS6detail17trampoline_kernelINS0_14default_configENS1_38merge_sort_block_merge_config_selectorIiNS0_10empty_typeEEEZZNS1_27merge_sort_block_merge_implIS3_N6thrust23THRUST_200600_302600_NS6detail15normal_iteratorINS9_10device_ptrIiEEEEPS5_jNS1_19radix_merge_compareILb0ELb1EiNS0_19identity_decomposerEEEEE10hipError_tT0_T1_T2_jT3_P12ihipStream_tbPNSt15iterator_traitsISK_E10value_typeEPNSQ_ISL_E10value_typeEPSM_NS1_7vsmem_tEENKUlT_SK_SL_SM_E_clIPiSE_SF_SF_EESJ_SZ_SK_SL_SM_EUlSZ_E_NS1_11comp_targetILNS1_3genE5ELNS1_11target_archE942ELNS1_3gpuE9ELNS1_3repE0EEENS1_48merge_mergepath_partition_config_static_selectorELNS0_4arch9wavefront6targetE0EEEvSL_.uses_flat_scratch, 0
	.set _ZN7rocprim17ROCPRIM_400000_NS6detail17trampoline_kernelINS0_14default_configENS1_38merge_sort_block_merge_config_selectorIiNS0_10empty_typeEEEZZNS1_27merge_sort_block_merge_implIS3_N6thrust23THRUST_200600_302600_NS6detail15normal_iteratorINS9_10device_ptrIiEEEEPS5_jNS1_19radix_merge_compareILb0ELb1EiNS0_19identity_decomposerEEEEE10hipError_tT0_T1_T2_jT3_P12ihipStream_tbPNSt15iterator_traitsISK_E10value_typeEPNSQ_ISL_E10value_typeEPSM_NS1_7vsmem_tEENKUlT_SK_SL_SM_E_clIPiSE_SF_SF_EESJ_SZ_SK_SL_SM_EUlSZ_E_NS1_11comp_targetILNS1_3genE5ELNS1_11target_archE942ELNS1_3gpuE9ELNS1_3repE0EEENS1_48merge_mergepath_partition_config_static_selectorELNS0_4arch9wavefront6targetE0EEEvSL_.has_dyn_sized_stack, 0
	.set _ZN7rocprim17ROCPRIM_400000_NS6detail17trampoline_kernelINS0_14default_configENS1_38merge_sort_block_merge_config_selectorIiNS0_10empty_typeEEEZZNS1_27merge_sort_block_merge_implIS3_N6thrust23THRUST_200600_302600_NS6detail15normal_iteratorINS9_10device_ptrIiEEEEPS5_jNS1_19radix_merge_compareILb0ELb1EiNS0_19identity_decomposerEEEEE10hipError_tT0_T1_T2_jT3_P12ihipStream_tbPNSt15iterator_traitsISK_E10value_typeEPNSQ_ISL_E10value_typeEPSM_NS1_7vsmem_tEENKUlT_SK_SL_SM_E_clIPiSE_SF_SF_EESJ_SZ_SK_SL_SM_EUlSZ_E_NS1_11comp_targetILNS1_3genE5ELNS1_11target_archE942ELNS1_3gpuE9ELNS1_3repE0EEENS1_48merge_mergepath_partition_config_static_selectorELNS0_4arch9wavefront6targetE0EEEvSL_.has_recursion, 0
	.set _ZN7rocprim17ROCPRIM_400000_NS6detail17trampoline_kernelINS0_14default_configENS1_38merge_sort_block_merge_config_selectorIiNS0_10empty_typeEEEZZNS1_27merge_sort_block_merge_implIS3_N6thrust23THRUST_200600_302600_NS6detail15normal_iteratorINS9_10device_ptrIiEEEEPS5_jNS1_19radix_merge_compareILb0ELb1EiNS0_19identity_decomposerEEEEE10hipError_tT0_T1_T2_jT3_P12ihipStream_tbPNSt15iterator_traitsISK_E10value_typeEPNSQ_ISL_E10value_typeEPSM_NS1_7vsmem_tEENKUlT_SK_SL_SM_E_clIPiSE_SF_SF_EESJ_SZ_SK_SL_SM_EUlSZ_E_NS1_11comp_targetILNS1_3genE5ELNS1_11target_archE942ELNS1_3gpuE9ELNS1_3repE0EEENS1_48merge_mergepath_partition_config_static_selectorELNS0_4arch9wavefront6targetE0EEEvSL_.has_indirect_call, 0
	.section	.AMDGPU.csdata,"",@progbits
; Kernel info:
; codeLenInByte = 0
; TotalNumSgprs: 0
; NumVgprs: 0
; ScratchSize: 0
; MemoryBound: 0
; FloatMode: 240
; IeeeMode: 1
; LDSByteSize: 0 bytes/workgroup (compile time only)
; SGPRBlocks: 0
; VGPRBlocks: 0
; NumSGPRsForWavesPerEU: 1
; NumVGPRsForWavesPerEU: 1
; Occupancy: 16
; WaveLimiterHint : 0
; COMPUTE_PGM_RSRC2:SCRATCH_EN: 0
; COMPUTE_PGM_RSRC2:USER_SGPR: 6
; COMPUTE_PGM_RSRC2:TRAP_HANDLER: 0
; COMPUTE_PGM_RSRC2:TGID_X_EN: 1
; COMPUTE_PGM_RSRC2:TGID_Y_EN: 0
; COMPUTE_PGM_RSRC2:TGID_Z_EN: 0
; COMPUTE_PGM_RSRC2:TIDIG_COMP_CNT: 0
	.section	.text._ZN7rocprim17ROCPRIM_400000_NS6detail17trampoline_kernelINS0_14default_configENS1_38merge_sort_block_merge_config_selectorIiNS0_10empty_typeEEEZZNS1_27merge_sort_block_merge_implIS3_N6thrust23THRUST_200600_302600_NS6detail15normal_iteratorINS9_10device_ptrIiEEEEPS5_jNS1_19radix_merge_compareILb0ELb1EiNS0_19identity_decomposerEEEEE10hipError_tT0_T1_T2_jT3_P12ihipStream_tbPNSt15iterator_traitsISK_E10value_typeEPNSQ_ISL_E10value_typeEPSM_NS1_7vsmem_tEENKUlT_SK_SL_SM_E_clIPiSE_SF_SF_EESJ_SZ_SK_SL_SM_EUlSZ_E_NS1_11comp_targetILNS1_3genE4ELNS1_11target_archE910ELNS1_3gpuE8ELNS1_3repE0EEENS1_48merge_mergepath_partition_config_static_selectorELNS0_4arch9wavefront6targetE0EEEvSL_,"axG",@progbits,_ZN7rocprim17ROCPRIM_400000_NS6detail17trampoline_kernelINS0_14default_configENS1_38merge_sort_block_merge_config_selectorIiNS0_10empty_typeEEEZZNS1_27merge_sort_block_merge_implIS3_N6thrust23THRUST_200600_302600_NS6detail15normal_iteratorINS9_10device_ptrIiEEEEPS5_jNS1_19radix_merge_compareILb0ELb1EiNS0_19identity_decomposerEEEEE10hipError_tT0_T1_T2_jT3_P12ihipStream_tbPNSt15iterator_traitsISK_E10value_typeEPNSQ_ISL_E10value_typeEPSM_NS1_7vsmem_tEENKUlT_SK_SL_SM_E_clIPiSE_SF_SF_EESJ_SZ_SK_SL_SM_EUlSZ_E_NS1_11comp_targetILNS1_3genE4ELNS1_11target_archE910ELNS1_3gpuE8ELNS1_3repE0EEENS1_48merge_mergepath_partition_config_static_selectorELNS0_4arch9wavefront6targetE0EEEvSL_,comdat
	.protected	_ZN7rocprim17ROCPRIM_400000_NS6detail17trampoline_kernelINS0_14default_configENS1_38merge_sort_block_merge_config_selectorIiNS0_10empty_typeEEEZZNS1_27merge_sort_block_merge_implIS3_N6thrust23THRUST_200600_302600_NS6detail15normal_iteratorINS9_10device_ptrIiEEEEPS5_jNS1_19radix_merge_compareILb0ELb1EiNS0_19identity_decomposerEEEEE10hipError_tT0_T1_T2_jT3_P12ihipStream_tbPNSt15iterator_traitsISK_E10value_typeEPNSQ_ISL_E10value_typeEPSM_NS1_7vsmem_tEENKUlT_SK_SL_SM_E_clIPiSE_SF_SF_EESJ_SZ_SK_SL_SM_EUlSZ_E_NS1_11comp_targetILNS1_3genE4ELNS1_11target_archE910ELNS1_3gpuE8ELNS1_3repE0EEENS1_48merge_mergepath_partition_config_static_selectorELNS0_4arch9wavefront6targetE0EEEvSL_ ; -- Begin function _ZN7rocprim17ROCPRIM_400000_NS6detail17trampoline_kernelINS0_14default_configENS1_38merge_sort_block_merge_config_selectorIiNS0_10empty_typeEEEZZNS1_27merge_sort_block_merge_implIS3_N6thrust23THRUST_200600_302600_NS6detail15normal_iteratorINS9_10device_ptrIiEEEEPS5_jNS1_19radix_merge_compareILb0ELb1EiNS0_19identity_decomposerEEEEE10hipError_tT0_T1_T2_jT3_P12ihipStream_tbPNSt15iterator_traitsISK_E10value_typeEPNSQ_ISL_E10value_typeEPSM_NS1_7vsmem_tEENKUlT_SK_SL_SM_E_clIPiSE_SF_SF_EESJ_SZ_SK_SL_SM_EUlSZ_E_NS1_11comp_targetILNS1_3genE4ELNS1_11target_archE910ELNS1_3gpuE8ELNS1_3repE0EEENS1_48merge_mergepath_partition_config_static_selectorELNS0_4arch9wavefront6targetE0EEEvSL_
	.globl	_ZN7rocprim17ROCPRIM_400000_NS6detail17trampoline_kernelINS0_14default_configENS1_38merge_sort_block_merge_config_selectorIiNS0_10empty_typeEEEZZNS1_27merge_sort_block_merge_implIS3_N6thrust23THRUST_200600_302600_NS6detail15normal_iteratorINS9_10device_ptrIiEEEEPS5_jNS1_19radix_merge_compareILb0ELb1EiNS0_19identity_decomposerEEEEE10hipError_tT0_T1_T2_jT3_P12ihipStream_tbPNSt15iterator_traitsISK_E10value_typeEPNSQ_ISL_E10value_typeEPSM_NS1_7vsmem_tEENKUlT_SK_SL_SM_E_clIPiSE_SF_SF_EESJ_SZ_SK_SL_SM_EUlSZ_E_NS1_11comp_targetILNS1_3genE4ELNS1_11target_archE910ELNS1_3gpuE8ELNS1_3repE0EEENS1_48merge_mergepath_partition_config_static_selectorELNS0_4arch9wavefront6targetE0EEEvSL_
	.p2align	8
	.type	_ZN7rocprim17ROCPRIM_400000_NS6detail17trampoline_kernelINS0_14default_configENS1_38merge_sort_block_merge_config_selectorIiNS0_10empty_typeEEEZZNS1_27merge_sort_block_merge_implIS3_N6thrust23THRUST_200600_302600_NS6detail15normal_iteratorINS9_10device_ptrIiEEEEPS5_jNS1_19radix_merge_compareILb0ELb1EiNS0_19identity_decomposerEEEEE10hipError_tT0_T1_T2_jT3_P12ihipStream_tbPNSt15iterator_traitsISK_E10value_typeEPNSQ_ISL_E10value_typeEPSM_NS1_7vsmem_tEENKUlT_SK_SL_SM_E_clIPiSE_SF_SF_EESJ_SZ_SK_SL_SM_EUlSZ_E_NS1_11comp_targetILNS1_3genE4ELNS1_11target_archE910ELNS1_3gpuE8ELNS1_3repE0EEENS1_48merge_mergepath_partition_config_static_selectorELNS0_4arch9wavefront6targetE0EEEvSL_,@function
_ZN7rocprim17ROCPRIM_400000_NS6detail17trampoline_kernelINS0_14default_configENS1_38merge_sort_block_merge_config_selectorIiNS0_10empty_typeEEEZZNS1_27merge_sort_block_merge_implIS3_N6thrust23THRUST_200600_302600_NS6detail15normal_iteratorINS9_10device_ptrIiEEEEPS5_jNS1_19radix_merge_compareILb0ELb1EiNS0_19identity_decomposerEEEEE10hipError_tT0_T1_T2_jT3_P12ihipStream_tbPNSt15iterator_traitsISK_E10value_typeEPNSQ_ISL_E10value_typeEPSM_NS1_7vsmem_tEENKUlT_SK_SL_SM_E_clIPiSE_SF_SF_EESJ_SZ_SK_SL_SM_EUlSZ_E_NS1_11comp_targetILNS1_3genE4ELNS1_11target_archE910ELNS1_3gpuE8ELNS1_3repE0EEENS1_48merge_mergepath_partition_config_static_selectorELNS0_4arch9wavefront6targetE0EEEvSL_: ; @_ZN7rocprim17ROCPRIM_400000_NS6detail17trampoline_kernelINS0_14default_configENS1_38merge_sort_block_merge_config_selectorIiNS0_10empty_typeEEEZZNS1_27merge_sort_block_merge_implIS3_N6thrust23THRUST_200600_302600_NS6detail15normal_iteratorINS9_10device_ptrIiEEEEPS5_jNS1_19radix_merge_compareILb0ELb1EiNS0_19identity_decomposerEEEEE10hipError_tT0_T1_T2_jT3_P12ihipStream_tbPNSt15iterator_traitsISK_E10value_typeEPNSQ_ISL_E10value_typeEPSM_NS1_7vsmem_tEENKUlT_SK_SL_SM_E_clIPiSE_SF_SF_EESJ_SZ_SK_SL_SM_EUlSZ_E_NS1_11comp_targetILNS1_3genE4ELNS1_11target_archE910ELNS1_3gpuE8ELNS1_3repE0EEENS1_48merge_mergepath_partition_config_static_selectorELNS0_4arch9wavefront6targetE0EEEvSL_
; %bb.0:
	.section	.rodata,"a",@progbits
	.p2align	6, 0x0
	.amdhsa_kernel _ZN7rocprim17ROCPRIM_400000_NS6detail17trampoline_kernelINS0_14default_configENS1_38merge_sort_block_merge_config_selectorIiNS0_10empty_typeEEEZZNS1_27merge_sort_block_merge_implIS3_N6thrust23THRUST_200600_302600_NS6detail15normal_iteratorINS9_10device_ptrIiEEEEPS5_jNS1_19radix_merge_compareILb0ELb1EiNS0_19identity_decomposerEEEEE10hipError_tT0_T1_T2_jT3_P12ihipStream_tbPNSt15iterator_traitsISK_E10value_typeEPNSQ_ISL_E10value_typeEPSM_NS1_7vsmem_tEENKUlT_SK_SL_SM_E_clIPiSE_SF_SF_EESJ_SZ_SK_SL_SM_EUlSZ_E_NS1_11comp_targetILNS1_3genE4ELNS1_11target_archE910ELNS1_3gpuE8ELNS1_3repE0EEENS1_48merge_mergepath_partition_config_static_selectorELNS0_4arch9wavefront6targetE0EEEvSL_
		.amdhsa_group_segment_fixed_size 0
		.amdhsa_private_segment_fixed_size 0
		.amdhsa_kernarg_size 40
		.amdhsa_user_sgpr_count 6
		.amdhsa_user_sgpr_private_segment_buffer 1
		.amdhsa_user_sgpr_dispatch_ptr 0
		.amdhsa_user_sgpr_queue_ptr 0
		.amdhsa_user_sgpr_kernarg_segment_ptr 1
		.amdhsa_user_sgpr_dispatch_id 0
		.amdhsa_user_sgpr_flat_scratch_init 0
		.amdhsa_user_sgpr_private_segment_size 0
		.amdhsa_wavefront_size32 1
		.amdhsa_uses_dynamic_stack 0
		.amdhsa_system_sgpr_private_segment_wavefront_offset 0
		.amdhsa_system_sgpr_workgroup_id_x 1
		.amdhsa_system_sgpr_workgroup_id_y 0
		.amdhsa_system_sgpr_workgroup_id_z 0
		.amdhsa_system_sgpr_workgroup_info 0
		.amdhsa_system_vgpr_workitem_id 0
		.amdhsa_next_free_vgpr 1
		.amdhsa_next_free_sgpr 1
		.amdhsa_reserve_vcc 0
		.amdhsa_reserve_flat_scratch 0
		.amdhsa_float_round_mode_32 0
		.amdhsa_float_round_mode_16_64 0
		.amdhsa_float_denorm_mode_32 3
		.amdhsa_float_denorm_mode_16_64 3
		.amdhsa_dx10_clamp 1
		.amdhsa_ieee_mode 1
		.amdhsa_fp16_overflow 0
		.amdhsa_workgroup_processor_mode 1
		.amdhsa_memory_ordered 1
		.amdhsa_forward_progress 1
		.amdhsa_shared_vgpr_count 0
		.amdhsa_exception_fp_ieee_invalid_op 0
		.amdhsa_exception_fp_denorm_src 0
		.amdhsa_exception_fp_ieee_div_zero 0
		.amdhsa_exception_fp_ieee_overflow 0
		.amdhsa_exception_fp_ieee_underflow 0
		.amdhsa_exception_fp_ieee_inexact 0
		.amdhsa_exception_int_div_zero 0
	.end_amdhsa_kernel
	.section	.text._ZN7rocprim17ROCPRIM_400000_NS6detail17trampoline_kernelINS0_14default_configENS1_38merge_sort_block_merge_config_selectorIiNS0_10empty_typeEEEZZNS1_27merge_sort_block_merge_implIS3_N6thrust23THRUST_200600_302600_NS6detail15normal_iteratorINS9_10device_ptrIiEEEEPS5_jNS1_19radix_merge_compareILb0ELb1EiNS0_19identity_decomposerEEEEE10hipError_tT0_T1_T2_jT3_P12ihipStream_tbPNSt15iterator_traitsISK_E10value_typeEPNSQ_ISL_E10value_typeEPSM_NS1_7vsmem_tEENKUlT_SK_SL_SM_E_clIPiSE_SF_SF_EESJ_SZ_SK_SL_SM_EUlSZ_E_NS1_11comp_targetILNS1_3genE4ELNS1_11target_archE910ELNS1_3gpuE8ELNS1_3repE0EEENS1_48merge_mergepath_partition_config_static_selectorELNS0_4arch9wavefront6targetE0EEEvSL_,"axG",@progbits,_ZN7rocprim17ROCPRIM_400000_NS6detail17trampoline_kernelINS0_14default_configENS1_38merge_sort_block_merge_config_selectorIiNS0_10empty_typeEEEZZNS1_27merge_sort_block_merge_implIS3_N6thrust23THRUST_200600_302600_NS6detail15normal_iteratorINS9_10device_ptrIiEEEEPS5_jNS1_19radix_merge_compareILb0ELb1EiNS0_19identity_decomposerEEEEE10hipError_tT0_T1_T2_jT3_P12ihipStream_tbPNSt15iterator_traitsISK_E10value_typeEPNSQ_ISL_E10value_typeEPSM_NS1_7vsmem_tEENKUlT_SK_SL_SM_E_clIPiSE_SF_SF_EESJ_SZ_SK_SL_SM_EUlSZ_E_NS1_11comp_targetILNS1_3genE4ELNS1_11target_archE910ELNS1_3gpuE8ELNS1_3repE0EEENS1_48merge_mergepath_partition_config_static_selectorELNS0_4arch9wavefront6targetE0EEEvSL_,comdat
.Lfunc_end87:
	.size	_ZN7rocprim17ROCPRIM_400000_NS6detail17trampoline_kernelINS0_14default_configENS1_38merge_sort_block_merge_config_selectorIiNS0_10empty_typeEEEZZNS1_27merge_sort_block_merge_implIS3_N6thrust23THRUST_200600_302600_NS6detail15normal_iteratorINS9_10device_ptrIiEEEEPS5_jNS1_19radix_merge_compareILb0ELb1EiNS0_19identity_decomposerEEEEE10hipError_tT0_T1_T2_jT3_P12ihipStream_tbPNSt15iterator_traitsISK_E10value_typeEPNSQ_ISL_E10value_typeEPSM_NS1_7vsmem_tEENKUlT_SK_SL_SM_E_clIPiSE_SF_SF_EESJ_SZ_SK_SL_SM_EUlSZ_E_NS1_11comp_targetILNS1_3genE4ELNS1_11target_archE910ELNS1_3gpuE8ELNS1_3repE0EEENS1_48merge_mergepath_partition_config_static_selectorELNS0_4arch9wavefront6targetE0EEEvSL_, .Lfunc_end87-_ZN7rocprim17ROCPRIM_400000_NS6detail17trampoline_kernelINS0_14default_configENS1_38merge_sort_block_merge_config_selectorIiNS0_10empty_typeEEEZZNS1_27merge_sort_block_merge_implIS3_N6thrust23THRUST_200600_302600_NS6detail15normal_iteratorINS9_10device_ptrIiEEEEPS5_jNS1_19radix_merge_compareILb0ELb1EiNS0_19identity_decomposerEEEEE10hipError_tT0_T1_T2_jT3_P12ihipStream_tbPNSt15iterator_traitsISK_E10value_typeEPNSQ_ISL_E10value_typeEPSM_NS1_7vsmem_tEENKUlT_SK_SL_SM_E_clIPiSE_SF_SF_EESJ_SZ_SK_SL_SM_EUlSZ_E_NS1_11comp_targetILNS1_3genE4ELNS1_11target_archE910ELNS1_3gpuE8ELNS1_3repE0EEENS1_48merge_mergepath_partition_config_static_selectorELNS0_4arch9wavefront6targetE0EEEvSL_
                                        ; -- End function
	.set _ZN7rocprim17ROCPRIM_400000_NS6detail17trampoline_kernelINS0_14default_configENS1_38merge_sort_block_merge_config_selectorIiNS0_10empty_typeEEEZZNS1_27merge_sort_block_merge_implIS3_N6thrust23THRUST_200600_302600_NS6detail15normal_iteratorINS9_10device_ptrIiEEEEPS5_jNS1_19radix_merge_compareILb0ELb1EiNS0_19identity_decomposerEEEEE10hipError_tT0_T1_T2_jT3_P12ihipStream_tbPNSt15iterator_traitsISK_E10value_typeEPNSQ_ISL_E10value_typeEPSM_NS1_7vsmem_tEENKUlT_SK_SL_SM_E_clIPiSE_SF_SF_EESJ_SZ_SK_SL_SM_EUlSZ_E_NS1_11comp_targetILNS1_3genE4ELNS1_11target_archE910ELNS1_3gpuE8ELNS1_3repE0EEENS1_48merge_mergepath_partition_config_static_selectorELNS0_4arch9wavefront6targetE0EEEvSL_.num_vgpr, 0
	.set _ZN7rocprim17ROCPRIM_400000_NS6detail17trampoline_kernelINS0_14default_configENS1_38merge_sort_block_merge_config_selectorIiNS0_10empty_typeEEEZZNS1_27merge_sort_block_merge_implIS3_N6thrust23THRUST_200600_302600_NS6detail15normal_iteratorINS9_10device_ptrIiEEEEPS5_jNS1_19radix_merge_compareILb0ELb1EiNS0_19identity_decomposerEEEEE10hipError_tT0_T1_T2_jT3_P12ihipStream_tbPNSt15iterator_traitsISK_E10value_typeEPNSQ_ISL_E10value_typeEPSM_NS1_7vsmem_tEENKUlT_SK_SL_SM_E_clIPiSE_SF_SF_EESJ_SZ_SK_SL_SM_EUlSZ_E_NS1_11comp_targetILNS1_3genE4ELNS1_11target_archE910ELNS1_3gpuE8ELNS1_3repE0EEENS1_48merge_mergepath_partition_config_static_selectorELNS0_4arch9wavefront6targetE0EEEvSL_.num_agpr, 0
	.set _ZN7rocprim17ROCPRIM_400000_NS6detail17trampoline_kernelINS0_14default_configENS1_38merge_sort_block_merge_config_selectorIiNS0_10empty_typeEEEZZNS1_27merge_sort_block_merge_implIS3_N6thrust23THRUST_200600_302600_NS6detail15normal_iteratorINS9_10device_ptrIiEEEEPS5_jNS1_19radix_merge_compareILb0ELb1EiNS0_19identity_decomposerEEEEE10hipError_tT0_T1_T2_jT3_P12ihipStream_tbPNSt15iterator_traitsISK_E10value_typeEPNSQ_ISL_E10value_typeEPSM_NS1_7vsmem_tEENKUlT_SK_SL_SM_E_clIPiSE_SF_SF_EESJ_SZ_SK_SL_SM_EUlSZ_E_NS1_11comp_targetILNS1_3genE4ELNS1_11target_archE910ELNS1_3gpuE8ELNS1_3repE0EEENS1_48merge_mergepath_partition_config_static_selectorELNS0_4arch9wavefront6targetE0EEEvSL_.numbered_sgpr, 0
	.set _ZN7rocprim17ROCPRIM_400000_NS6detail17trampoline_kernelINS0_14default_configENS1_38merge_sort_block_merge_config_selectorIiNS0_10empty_typeEEEZZNS1_27merge_sort_block_merge_implIS3_N6thrust23THRUST_200600_302600_NS6detail15normal_iteratorINS9_10device_ptrIiEEEEPS5_jNS1_19radix_merge_compareILb0ELb1EiNS0_19identity_decomposerEEEEE10hipError_tT0_T1_T2_jT3_P12ihipStream_tbPNSt15iterator_traitsISK_E10value_typeEPNSQ_ISL_E10value_typeEPSM_NS1_7vsmem_tEENKUlT_SK_SL_SM_E_clIPiSE_SF_SF_EESJ_SZ_SK_SL_SM_EUlSZ_E_NS1_11comp_targetILNS1_3genE4ELNS1_11target_archE910ELNS1_3gpuE8ELNS1_3repE0EEENS1_48merge_mergepath_partition_config_static_selectorELNS0_4arch9wavefront6targetE0EEEvSL_.num_named_barrier, 0
	.set _ZN7rocprim17ROCPRIM_400000_NS6detail17trampoline_kernelINS0_14default_configENS1_38merge_sort_block_merge_config_selectorIiNS0_10empty_typeEEEZZNS1_27merge_sort_block_merge_implIS3_N6thrust23THRUST_200600_302600_NS6detail15normal_iteratorINS9_10device_ptrIiEEEEPS5_jNS1_19radix_merge_compareILb0ELb1EiNS0_19identity_decomposerEEEEE10hipError_tT0_T1_T2_jT3_P12ihipStream_tbPNSt15iterator_traitsISK_E10value_typeEPNSQ_ISL_E10value_typeEPSM_NS1_7vsmem_tEENKUlT_SK_SL_SM_E_clIPiSE_SF_SF_EESJ_SZ_SK_SL_SM_EUlSZ_E_NS1_11comp_targetILNS1_3genE4ELNS1_11target_archE910ELNS1_3gpuE8ELNS1_3repE0EEENS1_48merge_mergepath_partition_config_static_selectorELNS0_4arch9wavefront6targetE0EEEvSL_.private_seg_size, 0
	.set _ZN7rocprim17ROCPRIM_400000_NS6detail17trampoline_kernelINS0_14default_configENS1_38merge_sort_block_merge_config_selectorIiNS0_10empty_typeEEEZZNS1_27merge_sort_block_merge_implIS3_N6thrust23THRUST_200600_302600_NS6detail15normal_iteratorINS9_10device_ptrIiEEEEPS5_jNS1_19radix_merge_compareILb0ELb1EiNS0_19identity_decomposerEEEEE10hipError_tT0_T1_T2_jT3_P12ihipStream_tbPNSt15iterator_traitsISK_E10value_typeEPNSQ_ISL_E10value_typeEPSM_NS1_7vsmem_tEENKUlT_SK_SL_SM_E_clIPiSE_SF_SF_EESJ_SZ_SK_SL_SM_EUlSZ_E_NS1_11comp_targetILNS1_3genE4ELNS1_11target_archE910ELNS1_3gpuE8ELNS1_3repE0EEENS1_48merge_mergepath_partition_config_static_selectorELNS0_4arch9wavefront6targetE0EEEvSL_.uses_vcc, 0
	.set _ZN7rocprim17ROCPRIM_400000_NS6detail17trampoline_kernelINS0_14default_configENS1_38merge_sort_block_merge_config_selectorIiNS0_10empty_typeEEEZZNS1_27merge_sort_block_merge_implIS3_N6thrust23THRUST_200600_302600_NS6detail15normal_iteratorINS9_10device_ptrIiEEEEPS5_jNS1_19radix_merge_compareILb0ELb1EiNS0_19identity_decomposerEEEEE10hipError_tT0_T1_T2_jT3_P12ihipStream_tbPNSt15iterator_traitsISK_E10value_typeEPNSQ_ISL_E10value_typeEPSM_NS1_7vsmem_tEENKUlT_SK_SL_SM_E_clIPiSE_SF_SF_EESJ_SZ_SK_SL_SM_EUlSZ_E_NS1_11comp_targetILNS1_3genE4ELNS1_11target_archE910ELNS1_3gpuE8ELNS1_3repE0EEENS1_48merge_mergepath_partition_config_static_selectorELNS0_4arch9wavefront6targetE0EEEvSL_.uses_flat_scratch, 0
	.set _ZN7rocprim17ROCPRIM_400000_NS6detail17trampoline_kernelINS0_14default_configENS1_38merge_sort_block_merge_config_selectorIiNS0_10empty_typeEEEZZNS1_27merge_sort_block_merge_implIS3_N6thrust23THRUST_200600_302600_NS6detail15normal_iteratorINS9_10device_ptrIiEEEEPS5_jNS1_19radix_merge_compareILb0ELb1EiNS0_19identity_decomposerEEEEE10hipError_tT0_T1_T2_jT3_P12ihipStream_tbPNSt15iterator_traitsISK_E10value_typeEPNSQ_ISL_E10value_typeEPSM_NS1_7vsmem_tEENKUlT_SK_SL_SM_E_clIPiSE_SF_SF_EESJ_SZ_SK_SL_SM_EUlSZ_E_NS1_11comp_targetILNS1_3genE4ELNS1_11target_archE910ELNS1_3gpuE8ELNS1_3repE0EEENS1_48merge_mergepath_partition_config_static_selectorELNS0_4arch9wavefront6targetE0EEEvSL_.has_dyn_sized_stack, 0
	.set _ZN7rocprim17ROCPRIM_400000_NS6detail17trampoline_kernelINS0_14default_configENS1_38merge_sort_block_merge_config_selectorIiNS0_10empty_typeEEEZZNS1_27merge_sort_block_merge_implIS3_N6thrust23THRUST_200600_302600_NS6detail15normal_iteratorINS9_10device_ptrIiEEEEPS5_jNS1_19radix_merge_compareILb0ELb1EiNS0_19identity_decomposerEEEEE10hipError_tT0_T1_T2_jT3_P12ihipStream_tbPNSt15iterator_traitsISK_E10value_typeEPNSQ_ISL_E10value_typeEPSM_NS1_7vsmem_tEENKUlT_SK_SL_SM_E_clIPiSE_SF_SF_EESJ_SZ_SK_SL_SM_EUlSZ_E_NS1_11comp_targetILNS1_3genE4ELNS1_11target_archE910ELNS1_3gpuE8ELNS1_3repE0EEENS1_48merge_mergepath_partition_config_static_selectorELNS0_4arch9wavefront6targetE0EEEvSL_.has_recursion, 0
	.set _ZN7rocprim17ROCPRIM_400000_NS6detail17trampoline_kernelINS0_14default_configENS1_38merge_sort_block_merge_config_selectorIiNS0_10empty_typeEEEZZNS1_27merge_sort_block_merge_implIS3_N6thrust23THRUST_200600_302600_NS6detail15normal_iteratorINS9_10device_ptrIiEEEEPS5_jNS1_19radix_merge_compareILb0ELb1EiNS0_19identity_decomposerEEEEE10hipError_tT0_T1_T2_jT3_P12ihipStream_tbPNSt15iterator_traitsISK_E10value_typeEPNSQ_ISL_E10value_typeEPSM_NS1_7vsmem_tEENKUlT_SK_SL_SM_E_clIPiSE_SF_SF_EESJ_SZ_SK_SL_SM_EUlSZ_E_NS1_11comp_targetILNS1_3genE4ELNS1_11target_archE910ELNS1_3gpuE8ELNS1_3repE0EEENS1_48merge_mergepath_partition_config_static_selectorELNS0_4arch9wavefront6targetE0EEEvSL_.has_indirect_call, 0
	.section	.AMDGPU.csdata,"",@progbits
; Kernel info:
; codeLenInByte = 0
; TotalNumSgprs: 0
; NumVgprs: 0
; ScratchSize: 0
; MemoryBound: 0
; FloatMode: 240
; IeeeMode: 1
; LDSByteSize: 0 bytes/workgroup (compile time only)
; SGPRBlocks: 0
; VGPRBlocks: 0
; NumSGPRsForWavesPerEU: 1
; NumVGPRsForWavesPerEU: 1
; Occupancy: 16
; WaveLimiterHint : 0
; COMPUTE_PGM_RSRC2:SCRATCH_EN: 0
; COMPUTE_PGM_RSRC2:USER_SGPR: 6
; COMPUTE_PGM_RSRC2:TRAP_HANDLER: 0
; COMPUTE_PGM_RSRC2:TGID_X_EN: 1
; COMPUTE_PGM_RSRC2:TGID_Y_EN: 0
; COMPUTE_PGM_RSRC2:TGID_Z_EN: 0
; COMPUTE_PGM_RSRC2:TIDIG_COMP_CNT: 0
	.section	.text._ZN7rocprim17ROCPRIM_400000_NS6detail17trampoline_kernelINS0_14default_configENS1_38merge_sort_block_merge_config_selectorIiNS0_10empty_typeEEEZZNS1_27merge_sort_block_merge_implIS3_N6thrust23THRUST_200600_302600_NS6detail15normal_iteratorINS9_10device_ptrIiEEEEPS5_jNS1_19radix_merge_compareILb0ELb1EiNS0_19identity_decomposerEEEEE10hipError_tT0_T1_T2_jT3_P12ihipStream_tbPNSt15iterator_traitsISK_E10value_typeEPNSQ_ISL_E10value_typeEPSM_NS1_7vsmem_tEENKUlT_SK_SL_SM_E_clIPiSE_SF_SF_EESJ_SZ_SK_SL_SM_EUlSZ_E_NS1_11comp_targetILNS1_3genE3ELNS1_11target_archE908ELNS1_3gpuE7ELNS1_3repE0EEENS1_48merge_mergepath_partition_config_static_selectorELNS0_4arch9wavefront6targetE0EEEvSL_,"axG",@progbits,_ZN7rocprim17ROCPRIM_400000_NS6detail17trampoline_kernelINS0_14default_configENS1_38merge_sort_block_merge_config_selectorIiNS0_10empty_typeEEEZZNS1_27merge_sort_block_merge_implIS3_N6thrust23THRUST_200600_302600_NS6detail15normal_iteratorINS9_10device_ptrIiEEEEPS5_jNS1_19radix_merge_compareILb0ELb1EiNS0_19identity_decomposerEEEEE10hipError_tT0_T1_T2_jT3_P12ihipStream_tbPNSt15iterator_traitsISK_E10value_typeEPNSQ_ISL_E10value_typeEPSM_NS1_7vsmem_tEENKUlT_SK_SL_SM_E_clIPiSE_SF_SF_EESJ_SZ_SK_SL_SM_EUlSZ_E_NS1_11comp_targetILNS1_3genE3ELNS1_11target_archE908ELNS1_3gpuE7ELNS1_3repE0EEENS1_48merge_mergepath_partition_config_static_selectorELNS0_4arch9wavefront6targetE0EEEvSL_,comdat
	.protected	_ZN7rocprim17ROCPRIM_400000_NS6detail17trampoline_kernelINS0_14default_configENS1_38merge_sort_block_merge_config_selectorIiNS0_10empty_typeEEEZZNS1_27merge_sort_block_merge_implIS3_N6thrust23THRUST_200600_302600_NS6detail15normal_iteratorINS9_10device_ptrIiEEEEPS5_jNS1_19radix_merge_compareILb0ELb1EiNS0_19identity_decomposerEEEEE10hipError_tT0_T1_T2_jT3_P12ihipStream_tbPNSt15iterator_traitsISK_E10value_typeEPNSQ_ISL_E10value_typeEPSM_NS1_7vsmem_tEENKUlT_SK_SL_SM_E_clIPiSE_SF_SF_EESJ_SZ_SK_SL_SM_EUlSZ_E_NS1_11comp_targetILNS1_3genE3ELNS1_11target_archE908ELNS1_3gpuE7ELNS1_3repE0EEENS1_48merge_mergepath_partition_config_static_selectorELNS0_4arch9wavefront6targetE0EEEvSL_ ; -- Begin function _ZN7rocprim17ROCPRIM_400000_NS6detail17trampoline_kernelINS0_14default_configENS1_38merge_sort_block_merge_config_selectorIiNS0_10empty_typeEEEZZNS1_27merge_sort_block_merge_implIS3_N6thrust23THRUST_200600_302600_NS6detail15normal_iteratorINS9_10device_ptrIiEEEEPS5_jNS1_19radix_merge_compareILb0ELb1EiNS0_19identity_decomposerEEEEE10hipError_tT0_T1_T2_jT3_P12ihipStream_tbPNSt15iterator_traitsISK_E10value_typeEPNSQ_ISL_E10value_typeEPSM_NS1_7vsmem_tEENKUlT_SK_SL_SM_E_clIPiSE_SF_SF_EESJ_SZ_SK_SL_SM_EUlSZ_E_NS1_11comp_targetILNS1_3genE3ELNS1_11target_archE908ELNS1_3gpuE7ELNS1_3repE0EEENS1_48merge_mergepath_partition_config_static_selectorELNS0_4arch9wavefront6targetE0EEEvSL_
	.globl	_ZN7rocprim17ROCPRIM_400000_NS6detail17trampoline_kernelINS0_14default_configENS1_38merge_sort_block_merge_config_selectorIiNS0_10empty_typeEEEZZNS1_27merge_sort_block_merge_implIS3_N6thrust23THRUST_200600_302600_NS6detail15normal_iteratorINS9_10device_ptrIiEEEEPS5_jNS1_19radix_merge_compareILb0ELb1EiNS0_19identity_decomposerEEEEE10hipError_tT0_T1_T2_jT3_P12ihipStream_tbPNSt15iterator_traitsISK_E10value_typeEPNSQ_ISL_E10value_typeEPSM_NS1_7vsmem_tEENKUlT_SK_SL_SM_E_clIPiSE_SF_SF_EESJ_SZ_SK_SL_SM_EUlSZ_E_NS1_11comp_targetILNS1_3genE3ELNS1_11target_archE908ELNS1_3gpuE7ELNS1_3repE0EEENS1_48merge_mergepath_partition_config_static_selectorELNS0_4arch9wavefront6targetE0EEEvSL_
	.p2align	8
	.type	_ZN7rocprim17ROCPRIM_400000_NS6detail17trampoline_kernelINS0_14default_configENS1_38merge_sort_block_merge_config_selectorIiNS0_10empty_typeEEEZZNS1_27merge_sort_block_merge_implIS3_N6thrust23THRUST_200600_302600_NS6detail15normal_iteratorINS9_10device_ptrIiEEEEPS5_jNS1_19radix_merge_compareILb0ELb1EiNS0_19identity_decomposerEEEEE10hipError_tT0_T1_T2_jT3_P12ihipStream_tbPNSt15iterator_traitsISK_E10value_typeEPNSQ_ISL_E10value_typeEPSM_NS1_7vsmem_tEENKUlT_SK_SL_SM_E_clIPiSE_SF_SF_EESJ_SZ_SK_SL_SM_EUlSZ_E_NS1_11comp_targetILNS1_3genE3ELNS1_11target_archE908ELNS1_3gpuE7ELNS1_3repE0EEENS1_48merge_mergepath_partition_config_static_selectorELNS0_4arch9wavefront6targetE0EEEvSL_,@function
_ZN7rocprim17ROCPRIM_400000_NS6detail17trampoline_kernelINS0_14default_configENS1_38merge_sort_block_merge_config_selectorIiNS0_10empty_typeEEEZZNS1_27merge_sort_block_merge_implIS3_N6thrust23THRUST_200600_302600_NS6detail15normal_iteratorINS9_10device_ptrIiEEEEPS5_jNS1_19radix_merge_compareILb0ELb1EiNS0_19identity_decomposerEEEEE10hipError_tT0_T1_T2_jT3_P12ihipStream_tbPNSt15iterator_traitsISK_E10value_typeEPNSQ_ISL_E10value_typeEPSM_NS1_7vsmem_tEENKUlT_SK_SL_SM_E_clIPiSE_SF_SF_EESJ_SZ_SK_SL_SM_EUlSZ_E_NS1_11comp_targetILNS1_3genE3ELNS1_11target_archE908ELNS1_3gpuE7ELNS1_3repE0EEENS1_48merge_mergepath_partition_config_static_selectorELNS0_4arch9wavefront6targetE0EEEvSL_: ; @_ZN7rocprim17ROCPRIM_400000_NS6detail17trampoline_kernelINS0_14default_configENS1_38merge_sort_block_merge_config_selectorIiNS0_10empty_typeEEEZZNS1_27merge_sort_block_merge_implIS3_N6thrust23THRUST_200600_302600_NS6detail15normal_iteratorINS9_10device_ptrIiEEEEPS5_jNS1_19radix_merge_compareILb0ELb1EiNS0_19identity_decomposerEEEEE10hipError_tT0_T1_T2_jT3_P12ihipStream_tbPNSt15iterator_traitsISK_E10value_typeEPNSQ_ISL_E10value_typeEPSM_NS1_7vsmem_tEENKUlT_SK_SL_SM_E_clIPiSE_SF_SF_EESJ_SZ_SK_SL_SM_EUlSZ_E_NS1_11comp_targetILNS1_3genE3ELNS1_11target_archE908ELNS1_3gpuE7ELNS1_3repE0EEENS1_48merge_mergepath_partition_config_static_selectorELNS0_4arch9wavefront6targetE0EEEvSL_
; %bb.0:
	.section	.rodata,"a",@progbits
	.p2align	6, 0x0
	.amdhsa_kernel _ZN7rocprim17ROCPRIM_400000_NS6detail17trampoline_kernelINS0_14default_configENS1_38merge_sort_block_merge_config_selectorIiNS0_10empty_typeEEEZZNS1_27merge_sort_block_merge_implIS3_N6thrust23THRUST_200600_302600_NS6detail15normal_iteratorINS9_10device_ptrIiEEEEPS5_jNS1_19radix_merge_compareILb0ELb1EiNS0_19identity_decomposerEEEEE10hipError_tT0_T1_T2_jT3_P12ihipStream_tbPNSt15iterator_traitsISK_E10value_typeEPNSQ_ISL_E10value_typeEPSM_NS1_7vsmem_tEENKUlT_SK_SL_SM_E_clIPiSE_SF_SF_EESJ_SZ_SK_SL_SM_EUlSZ_E_NS1_11comp_targetILNS1_3genE3ELNS1_11target_archE908ELNS1_3gpuE7ELNS1_3repE0EEENS1_48merge_mergepath_partition_config_static_selectorELNS0_4arch9wavefront6targetE0EEEvSL_
		.amdhsa_group_segment_fixed_size 0
		.amdhsa_private_segment_fixed_size 0
		.amdhsa_kernarg_size 40
		.amdhsa_user_sgpr_count 6
		.amdhsa_user_sgpr_private_segment_buffer 1
		.amdhsa_user_sgpr_dispatch_ptr 0
		.amdhsa_user_sgpr_queue_ptr 0
		.amdhsa_user_sgpr_kernarg_segment_ptr 1
		.amdhsa_user_sgpr_dispatch_id 0
		.amdhsa_user_sgpr_flat_scratch_init 0
		.amdhsa_user_sgpr_private_segment_size 0
		.amdhsa_wavefront_size32 1
		.amdhsa_uses_dynamic_stack 0
		.amdhsa_system_sgpr_private_segment_wavefront_offset 0
		.amdhsa_system_sgpr_workgroup_id_x 1
		.amdhsa_system_sgpr_workgroup_id_y 0
		.amdhsa_system_sgpr_workgroup_id_z 0
		.amdhsa_system_sgpr_workgroup_info 0
		.amdhsa_system_vgpr_workitem_id 0
		.amdhsa_next_free_vgpr 1
		.amdhsa_next_free_sgpr 1
		.amdhsa_reserve_vcc 0
		.amdhsa_reserve_flat_scratch 0
		.amdhsa_float_round_mode_32 0
		.amdhsa_float_round_mode_16_64 0
		.amdhsa_float_denorm_mode_32 3
		.amdhsa_float_denorm_mode_16_64 3
		.amdhsa_dx10_clamp 1
		.amdhsa_ieee_mode 1
		.amdhsa_fp16_overflow 0
		.amdhsa_workgroup_processor_mode 1
		.amdhsa_memory_ordered 1
		.amdhsa_forward_progress 1
		.amdhsa_shared_vgpr_count 0
		.amdhsa_exception_fp_ieee_invalid_op 0
		.amdhsa_exception_fp_denorm_src 0
		.amdhsa_exception_fp_ieee_div_zero 0
		.amdhsa_exception_fp_ieee_overflow 0
		.amdhsa_exception_fp_ieee_underflow 0
		.amdhsa_exception_fp_ieee_inexact 0
		.amdhsa_exception_int_div_zero 0
	.end_amdhsa_kernel
	.section	.text._ZN7rocprim17ROCPRIM_400000_NS6detail17trampoline_kernelINS0_14default_configENS1_38merge_sort_block_merge_config_selectorIiNS0_10empty_typeEEEZZNS1_27merge_sort_block_merge_implIS3_N6thrust23THRUST_200600_302600_NS6detail15normal_iteratorINS9_10device_ptrIiEEEEPS5_jNS1_19radix_merge_compareILb0ELb1EiNS0_19identity_decomposerEEEEE10hipError_tT0_T1_T2_jT3_P12ihipStream_tbPNSt15iterator_traitsISK_E10value_typeEPNSQ_ISL_E10value_typeEPSM_NS1_7vsmem_tEENKUlT_SK_SL_SM_E_clIPiSE_SF_SF_EESJ_SZ_SK_SL_SM_EUlSZ_E_NS1_11comp_targetILNS1_3genE3ELNS1_11target_archE908ELNS1_3gpuE7ELNS1_3repE0EEENS1_48merge_mergepath_partition_config_static_selectorELNS0_4arch9wavefront6targetE0EEEvSL_,"axG",@progbits,_ZN7rocprim17ROCPRIM_400000_NS6detail17trampoline_kernelINS0_14default_configENS1_38merge_sort_block_merge_config_selectorIiNS0_10empty_typeEEEZZNS1_27merge_sort_block_merge_implIS3_N6thrust23THRUST_200600_302600_NS6detail15normal_iteratorINS9_10device_ptrIiEEEEPS5_jNS1_19radix_merge_compareILb0ELb1EiNS0_19identity_decomposerEEEEE10hipError_tT0_T1_T2_jT3_P12ihipStream_tbPNSt15iterator_traitsISK_E10value_typeEPNSQ_ISL_E10value_typeEPSM_NS1_7vsmem_tEENKUlT_SK_SL_SM_E_clIPiSE_SF_SF_EESJ_SZ_SK_SL_SM_EUlSZ_E_NS1_11comp_targetILNS1_3genE3ELNS1_11target_archE908ELNS1_3gpuE7ELNS1_3repE0EEENS1_48merge_mergepath_partition_config_static_selectorELNS0_4arch9wavefront6targetE0EEEvSL_,comdat
.Lfunc_end88:
	.size	_ZN7rocprim17ROCPRIM_400000_NS6detail17trampoline_kernelINS0_14default_configENS1_38merge_sort_block_merge_config_selectorIiNS0_10empty_typeEEEZZNS1_27merge_sort_block_merge_implIS3_N6thrust23THRUST_200600_302600_NS6detail15normal_iteratorINS9_10device_ptrIiEEEEPS5_jNS1_19radix_merge_compareILb0ELb1EiNS0_19identity_decomposerEEEEE10hipError_tT0_T1_T2_jT3_P12ihipStream_tbPNSt15iterator_traitsISK_E10value_typeEPNSQ_ISL_E10value_typeEPSM_NS1_7vsmem_tEENKUlT_SK_SL_SM_E_clIPiSE_SF_SF_EESJ_SZ_SK_SL_SM_EUlSZ_E_NS1_11comp_targetILNS1_3genE3ELNS1_11target_archE908ELNS1_3gpuE7ELNS1_3repE0EEENS1_48merge_mergepath_partition_config_static_selectorELNS0_4arch9wavefront6targetE0EEEvSL_, .Lfunc_end88-_ZN7rocprim17ROCPRIM_400000_NS6detail17trampoline_kernelINS0_14default_configENS1_38merge_sort_block_merge_config_selectorIiNS0_10empty_typeEEEZZNS1_27merge_sort_block_merge_implIS3_N6thrust23THRUST_200600_302600_NS6detail15normal_iteratorINS9_10device_ptrIiEEEEPS5_jNS1_19radix_merge_compareILb0ELb1EiNS0_19identity_decomposerEEEEE10hipError_tT0_T1_T2_jT3_P12ihipStream_tbPNSt15iterator_traitsISK_E10value_typeEPNSQ_ISL_E10value_typeEPSM_NS1_7vsmem_tEENKUlT_SK_SL_SM_E_clIPiSE_SF_SF_EESJ_SZ_SK_SL_SM_EUlSZ_E_NS1_11comp_targetILNS1_3genE3ELNS1_11target_archE908ELNS1_3gpuE7ELNS1_3repE0EEENS1_48merge_mergepath_partition_config_static_selectorELNS0_4arch9wavefront6targetE0EEEvSL_
                                        ; -- End function
	.set _ZN7rocprim17ROCPRIM_400000_NS6detail17trampoline_kernelINS0_14default_configENS1_38merge_sort_block_merge_config_selectorIiNS0_10empty_typeEEEZZNS1_27merge_sort_block_merge_implIS3_N6thrust23THRUST_200600_302600_NS6detail15normal_iteratorINS9_10device_ptrIiEEEEPS5_jNS1_19radix_merge_compareILb0ELb1EiNS0_19identity_decomposerEEEEE10hipError_tT0_T1_T2_jT3_P12ihipStream_tbPNSt15iterator_traitsISK_E10value_typeEPNSQ_ISL_E10value_typeEPSM_NS1_7vsmem_tEENKUlT_SK_SL_SM_E_clIPiSE_SF_SF_EESJ_SZ_SK_SL_SM_EUlSZ_E_NS1_11comp_targetILNS1_3genE3ELNS1_11target_archE908ELNS1_3gpuE7ELNS1_3repE0EEENS1_48merge_mergepath_partition_config_static_selectorELNS0_4arch9wavefront6targetE0EEEvSL_.num_vgpr, 0
	.set _ZN7rocprim17ROCPRIM_400000_NS6detail17trampoline_kernelINS0_14default_configENS1_38merge_sort_block_merge_config_selectorIiNS0_10empty_typeEEEZZNS1_27merge_sort_block_merge_implIS3_N6thrust23THRUST_200600_302600_NS6detail15normal_iteratorINS9_10device_ptrIiEEEEPS5_jNS1_19radix_merge_compareILb0ELb1EiNS0_19identity_decomposerEEEEE10hipError_tT0_T1_T2_jT3_P12ihipStream_tbPNSt15iterator_traitsISK_E10value_typeEPNSQ_ISL_E10value_typeEPSM_NS1_7vsmem_tEENKUlT_SK_SL_SM_E_clIPiSE_SF_SF_EESJ_SZ_SK_SL_SM_EUlSZ_E_NS1_11comp_targetILNS1_3genE3ELNS1_11target_archE908ELNS1_3gpuE7ELNS1_3repE0EEENS1_48merge_mergepath_partition_config_static_selectorELNS0_4arch9wavefront6targetE0EEEvSL_.num_agpr, 0
	.set _ZN7rocprim17ROCPRIM_400000_NS6detail17trampoline_kernelINS0_14default_configENS1_38merge_sort_block_merge_config_selectorIiNS0_10empty_typeEEEZZNS1_27merge_sort_block_merge_implIS3_N6thrust23THRUST_200600_302600_NS6detail15normal_iteratorINS9_10device_ptrIiEEEEPS5_jNS1_19radix_merge_compareILb0ELb1EiNS0_19identity_decomposerEEEEE10hipError_tT0_T1_T2_jT3_P12ihipStream_tbPNSt15iterator_traitsISK_E10value_typeEPNSQ_ISL_E10value_typeEPSM_NS1_7vsmem_tEENKUlT_SK_SL_SM_E_clIPiSE_SF_SF_EESJ_SZ_SK_SL_SM_EUlSZ_E_NS1_11comp_targetILNS1_3genE3ELNS1_11target_archE908ELNS1_3gpuE7ELNS1_3repE0EEENS1_48merge_mergepath_partition_config_static_selectorELNS0_4arch9wavefront6targetE0EEEvSL_.numbered_sgpr, 0
	.set _ZN7rocprim17ROCPRIM_400000_NS6detail17trampoline_kernelINS0_14default_configENS1_38merge_sort_block_merge_config_selectorIiNS0_10empty_typeEEEZZNS1_27merge_sort_block_merge_implIS3_N6thrust23THRUST_200600_302600_NS6detail15normal_iteratorINS9_10device_ptrIiEEEEPS5_jNS1_19radix_merge_compareILb0ELb1EiNS0_19identity_decomposerEEEEE10hipError_tT0_T1_T2_jT3_P12ihipStream_tbPNSt15iterator_traitsISK_E10value_typeEPNSQ_ISL_E10value_typeEPSM_NS1_7vsmem_tEENKUlT_SK_SL_SM_E_clIPiSE_SF_SF_EESJ_SZ_SK_SL_SM_EUlSZ_E_NS1_11comp_targetILNS1_3genE3ELNS1_11target_archE908ELNS1_3gpuE7ELNS1_3repE0EEENS1_48merge_mergepath_partition_config_static_selectorELNS0_4arch9wavefront6targetE0EEEvSL_.num_named_barrier, 0
	.set _ZN7rocprim17ROCPRIM_400000_NS6detail17trampoline_kernelINS0_14default_configENS1_38merge_sort_block_merge_config_selectorIiNS0_10empty_typeEEEZZNS1_27merge_sort_block_merge_implIS3_N6thrust23THRUST_200600_302600_NS6detail15normal_iteratorINS9_10device_ptrIiEEEEPS5_jNS1_19radix_merge_compareILb0ELb1EiNS0_19identity_decomposerEEEEE10hipError_tT0_T1_T2_jT3_P12ihipStream_tbPNSt15iterator_traitsISK_E10value_typeEPNSQ_ISL_E10value_typeEPSM_NS1_7vsmem_tEENKUlT_SK_SL_SM_E_clIPiSE_SF_SF_EESJ_SZ_SK_SL_SM_EUlSZ_E_NS1_11comp_targetILNS1_3genE3ELNS1_11target_archE908ELNS1_3gpuE7ELNS1_3repE0EEENS1_48merge_mergepath_partition_config_static_selectorELNS0_4arch9wavefront6targetE0EEEvSL_.private_seg_size, 0
	.set _ZN7rocprim17ROCPRIM_400000_NS6detail17trampoline_kernelINS0_14default_configENS1_38merge_sort_block_merge_config_selectorIiNS0_10empty_typeEEEZZNS1_27merge_sort_block_merge_implIS3_N6thrust23THRUST_200600_302600_NS6detail15normal_iteratorINS9_10device_ptrIiEEEEPS5_jNS1_19radix_merge_compareILb0ELb1EiNS0_19identity_decomposerEEEEE10hipError_tT0_T1_T2_jT3_P12ihipStream_tbPNSt15iterator_traitsISK_E10value_typeEPNSQ_ISL_E10value_typeEPSM_NS1_7vsmem_tEENKUlT_SK_SL_SM_E_clIPiSE_SF_SF_EESJ_SZ_SK_SL_SM_EUlSZ_E_NS1_11comp_targetILNS1_3genE3ELNS1_11target_archE908ELNS1_3gpuE7ELNS1_3repE0EEENS1_48merge_mergepath_partition_config_static_selectorELNS0_4arch9wavefront6targetE0EEEvSL_.uses_vcc, 0
	.set _ZN7rocprim17ROCPRIM_400000_NS6detail17trampoline_kernelINS0_14default_configENS1_38merge_sort_block_merge_config_selectorIiNS0_10empty_typeEEEZZNS1_27merge_sort_block_merge_implIS3_N6thrust23THRUST_200600_302600_NS6detail15normal_iteratorINS9_10device_ptrIiEEEEPS5_jNS1_19radix_merge_compareILb0ELb1EiNS0_19identity_decomposerEEEEE10hipError_tT0_T1_T2_jT3_P12ihipStream_tbPNSt15iterator_traitsISK_E10value_typeEPNSQ_ISL_E10value_typeEPSM_NS1_7vsmem_tEENKUlT_SK_SL_SM_E_clIPiSE_SF_SF_EESJ_SZ_SK_SL_SM_EUlSZ_E_NS1_11comp_targetILNS1_3genE3ELNS1_11target_archE908ELNS1_3gpuE7ELNS1_3repE0EEENS1_48merge_mergepath_partition_config_static_selectorELNS0_4arch9wavefront6targetE0EEEvSL_.uses_flat_scratch, 0
	.set _ZN7rocprim17ROCPRIM_400000_NS6detail17trampoline_kernelINS0_14default_configENS1_38merge_sort_block_merge_config_selectorIiNS0_10empty_typeEEEZZNS1_27merge_sort_block_merge_implIS3_N6thrust23THRUST_200600_302600_NS6detail15normal_iteratorINS9_10device_ptrIiEEEEPS5_jNS1_19radix_merge_compareILb0ELb1EiNS0_19identity_decomposerEEEEE10hipError_tT0_T1_T2_jT3_P12ihipStream_tbPNSt15iterator_traitsISK_E10value_typeEPNSQ_ISL_E10value_typeEPSM_NS1_7vsmem_tEENKUlT_SK_SL_SM_E_clIPiSE_SF_SF_EESJ_SZ_SK_SL_SM_EUlSZ_E_NS1_11comp_targetILNS1_3genE3ELNS1_11target_archE908ELNS1_3gpuE7ELNS1_3repE0EEENS1_48merge_mergepath_partition_config_static_selectorELNS0_4arch9wavefront6targetE0EEEvSL_.has_dyn_sized_stack, 0
	.set _ZN7rocprim17ROCPRIM_400000_NS6detail17trampoline_kernelINS0_14default_configENS1_38merge_sort_block_merge_config_selectorIiNS0_10empty_typeEEEZZNS1_27merge_sort_block_merge_implIS3_N6thrust23THRUST_200600_302600_NS6detail15normal_iteratorINS9_10device_ptrIiEEEEPS5_jNS1_19radix_merge_compareILb0ELb1EiNS0_19identity_decomposerEEEEE10hipError_tT0_T1_T2_jT3_P12ihipStream_tbPNSt15iterator_traitsISK_E10value_typeEPNSQ_ISL_E10value_typeEPSM_NS1_7vsmem_tEENKUlT_SK_SL_SM_E_clIPiSE_SF_SF_EESJ_SZ_SK_SL_SM_EUlSZ_E_NS1_11comp_targetILNS1_3genE3ELNS1_11target_archE908ELNS1_3gpuE7ELNS1_3repE0EEENS1_48merge_mergepath_partition_config_static_selectorELNS0_4arch9wavefront6targetE0EEEvSL_.has_recursion, 0
	.set _ZN7rocprim17ROCPRIM_400000_NS6detail17trampoline_kernelINS0_14default_configENS1_38merge_sort_block_merge_config_selectorIiNS0_10empty_typeEEEZZNS1_27merge_sort_block_merge_implIS3_N6thrust23THRUST_200600_302600_NS6detail15normal_iteratorINS9_10device_ptrIiEEEEPS5_jNS1_19radix_merge_compareILb0ELb1EiNS0_19identity_decomposerEEEEE10hipError_tT0_T1_T2_jT3_P12ihipStream_tbPNSt15iterator_traitsISK_E10value_typeEPNSQ_ISL_E10value_typeEPSM_NS1_7vsmem_tEENKUlT_SK_SL_SM_E_clIPiSE_SF_SF_EESJ_SZ_SK_SL_SM_EUlSZ_E_NS1_11comp_targetILNS1_3genE3ELNS1_11target_archE908ELNS1_3gpuE7ELNS1_3repE0EEENS1_48merge_mergepath_partition_config_static_selectorELNS0_4arch9wavefront6targetE0EEEvSL_.has_indirect_call, 0
	.section	.AMDGPU.csdata,"",@progbits
; Kernel info:
; codeLenInByte = 0
; TotalNumSgprs: 0
; NumVgprs: 0
; ScratchSize: 0
; MemoryBound: 0
; FloatMode: 240
; IeeeMode: 1
; LDSByteSize: 0 bytes/workgroup (compile time only)
; SGPRBlocks: 0
; VGPRBlocks: 0
; NumSGPRsForWavesPerEU: 1
; NumVGPRsForWavesPerEU: 1
; Occupancy: 16
; WaveLimiterHint : 0
; COMPUTE_PGM_RSRC2:SCRATCH_EN: 0
; COMPUTE_PGM_RSRC2:USER_SGPR: 6
; COMPUTE_PGM_RSRC2:TRAP_HANDLER: 0
; COMPUTE_PGM_RSRC2:TGID_X_EN: 1
; COMPUTE_PGM_RSRC2:TGID_Y_EN: 0
; COMPUTE_PGM_RSRC2:TGID_Z_EN: 0
; COMPUTE_PGM_RSRC2:TIDIG_COMP_CNT: 0
	.section	.text._ZN7rocprim17ROCPRIM_400000_NS6detail17trampoline_kernelINS0_14default_configENS1_38merge_sort_block_merge_config_selectorIiNS0_10empty_typeEEEZZNS1_27merge_sort_block_merge_implIS3_N6thrust23THRUST_200600_302600_NS6detail15normal_iteratorINS9_10device_ptrIiEEEEPS5_jNS1_19radix_merge_compareILb0ELb1EiNS0_19identity_decomposerEEEEE10hipError_tT0_T1_T2_jT3_P12ihipStream_tbPNSt15iterator_traitsISK_E10value_typeEPNSQ_ISL_E10value_typeEPSM_NS1_7vsmem_tEENKUlT_SK_SL_SM_E_clIPiSE_SF_SF_EESJ_SZ_SK_SL_SM_EUlSZ_E_NS1_11comp_targetILNS1_3genE2ELNS1_11target_archE906ELNS1_3gpuE6ELNS1_3repE0EEENS1_48merge_mergepath_partition_config_static_selectorELNS0_4arch9wavefront6targetE0EEEvSL_,"axG",@progbits,_ZN7rocprim17ROCPRIM_400000_NS6detail17trampoline_kernelINS0_14default_configENS1_38merge_sort_block_merge_config_selectorIiNS0_10empty_typeEEEZZNS1_27merge_sort_block_merge_implIS3_N6thrust23THRUST_200600_302600_NS6detail15normal_iteratorINS9_10device_ptrIiEEEEPS5_jNS1_19radix_merge_compareILb0ELb1EiNS0_19identity_decomposerEEEEE10hipError_tT0_T1_T2_jT3_P12ihipStream_tbPNSt15iterator_traitsISK_E10value_typeEPNSQ_ISL_E10value_typeEPSM_NS1_7vsmem_tEENKUlT_SK_SL_SM_E_clIPiSE_SF_SF_EESJ_SZ_SK_SL_SM_EUlSZ_E_NS1_11comp_targetILNS1_3genE2ELNS1_11target_archE906ELNS1_3gpuE6ELNS1_3repE0EEENS1_48merge_mergepath_partition_config_static_selectorELNS0_4arch9wavefront6targetE0EEEvSL_,comdat
	.protected	_ZN7rocprim17ROCPRIM_400000_NS6detail17trampoline_kernelINS0_14default_configENS1_38merge_sort_block_merge_config_selectorIiNS0_10empty_typeEEEZZNS1_27merge_sort_block_merge_implIS3_N6thrust23THRUST_200600_302600_NS6detail15normal_iteratorINS9_10device_ptrIiEEEEPS5_jNS1_19radix_merge_compareILb0ELb1EiNS0_19identity_decomposerEEEEE10hipError_tT0_T1_T2_jT3_P12ihipStream_tbPNSt15iterator_traitsISK_E10value_typeEPNSQ_ISL_E10value_typeEPSM_NS1_7vsmem_tEENKUlT_SK_SL_SM_E_clIPiSE_SF_SF_EESJ_SZ_SK_SL_SM_EUlSZ_E_NS1_11comp_targetILNS1_3genE2ELNS1_11target_archE906ELNS1_3gpuE6ELNS1_3repE0EEENS1_48merge_mergepath_partition_config_static_selectorELNS0_4arch9wavefront6targetE0EEEvSL_ ; -- Begin function _ZN7rocprim17ROCPRIM_400000_NS6detail17trampoline_kernelINS0_14default_configENS1_38merge_sort_block_merge_config_selectorIiNS0_10empty_typeEEEZZNS1_27merge_sort_block_merge_implIS3_N6thrust23THRUST_200600_302600_NS6detail15normal_iteratorINS9_10device_ptrIiEEEEPS5_jNS1_19radix_merge_compareILb0ELb1EiNS0_19identity_decomposerEEEEE10hipError_tT0_T1_T2_jT3_P12ihipStream_tbPNSt15iterator_traitsISK_E10value_typeEPNSQ_ISL_E10value_typeEPSM_NS1_7vsmem_tEENKUlT_SK_SL_SM_E_clIPiSE_SF_SF_EESJ_SZ_SK_SL_SM_EUlSZ_E_NS1_11comp_targetILNS1_3genE2ELNS1_11target_archE906ELNS1_3gpuE6ELNS1_3repE0EEENS1_48merge_mergepath_partition_config_static_selectorELNS0_4arch9wavefront6targetE0EEEvSL_
	.globl	_ZN7rocprim17ROCPRIM_400000_NS6detail17trampoline_kernelINS0_14default_configENS1_38merge_sort_block_merge_config_selectorIiNS0_10empty_typeEEEZZNS1_27merge_sort_block_merge_implIS3_N6thrust23THRUST_200600_302600_NS6detail15normal_iteratorINS9_10device_ptrIiEEEEPS5_jNS1_19radix_merge_compareILb0ELb1EiNS0_19identity_decomposerEEEEE10hipError_tT0_T1_T2_jT3_P12ihipStream_tbPNSt15iterator_traitsISK_E10value_typeEPNSQ_ISL_E10value_typeEPSM_NS1_7vsmem_tEENKUlT_SK_SL_SM_E_clIPiSE_SF_SF_EESJ_SZ_SK_SL_SM_EUlSZ_E_NS1_11comp_targetILNS1_3genE2ELNS1_11target_archE906ELNS1_3gpuE6ELNS1_3repE0EEENS1_48merge_mergepath_partition_config_static_selectorELNS0_4arch9wavefront6targetE0EEEvSL_
	.p2align	8
	.type	_ZN7rocprim17ROCPRIM_400000_NS6detail17trampoline_kernelINS0_14default_configENS1_38merge_sort_block_merge_config_selectorIiNS0_10empty_typeEEEZZNS1_27merge_sort_block_merge_implIS3_N6thrust23THRUST_200600_302600_NS6detail15normal_iteratorINS9_10device_ptrIiEEEEPS5_jNS1_19radix_merge_compareILb0ELb1EiNS0_19identity_decomposerEEEEE10hipError_tT0_T1_T2_jT3_P12ihipStream_tbPNSt15iterator_traitsISK_E10value_typeEPNSQ_ISL_E10value_typeEPSM_NS1_7vsmem_tEENKUlT_SK_SL_SM_E_clIPiSE_SF_SF_EESJ_SZ_SK_SL_SM_EUlSZ_E_NS1_11comp_targetILNS1_3genE2ELNS1_11target_archE906ELNS1_3gpuE6ELNS1_3repE0EEENS1_48merge_mergepath_partition_config_static_selectorELNS0_4arch9wavefront6targetE0EEEvSL_,@function
_ZN7rocprim17ROCPRIM_400000_NS6detail17trampoline_kernelINS0_14default_configENS1_38merge_sort_block_merge_config_selectorIiNS0_10empty_typeEEEZZNS1_27merge_sort_block_merge_implIS3_N6thrust23THRUST_200600_302600_NS6detail15normal_iteratorINS9_10device_ptrIiEEEEPS5_jNS1_19radix_merge_compareILb0ELb1EiNS0_19identity_decomposerEEEEE10hipError_tT0_T1_T2_jT3_P12ihipStream_tbPNSt15iterator_traitsISK_E10value_typeEPNSQ_ISL_E10value_typeEPSM_NS1_7vsmem_tEENKUlT_SK_SL_SM_E_clIPiSE_SF_SF_EESJ_SZ_SK_SL_SM_EUlSZ_E_NS1_11comp_targetILNS1_3genE2ELNS1_11target_archE906ELNS1_3gpuE6ELNS1_3repE0EEENS1_48merge_mergepath_partition_config_static_selectorELNS0_4arch9wavefront6targetE0EEEvSL_: ; @_ZN7rocprim17ROCPRIM_400000_NS6detail17trampoline_kernelINS0_14default_configENS1_38merge_sort_block_merge_config_selectorIiNS0_10empty_typeEEEZZNS1_27merge_sort_block_merge_implIS3_N6thrust23THRUST_200600_302600_NS6detail15normal_iteratorINS9_10device_ptrIiEEEEPS5_jNS1_19radix_merge_compareILb0ELb1EiNS0_19identity_decomposerEEEEE10hipError_tT0_T1_T2_jT3_P12ihipStream_tbPNSt15iterator_traitsISK_E10value_typeEPNSQ_ISL_E10value_typeEPSM_NS1_7vsmem_tEENKUlT_SK_SL_SM_E_clIPiSE_SF_SF_EESJ_SZ_SK_SL_SM_EUlSZ_E_NS1_11comp_targetILNS1_3genE2ELNS1_11target_archE906ELNS1_3gpuE6ELNS1_3repE0EEENS1_48merge_mergepath_partition_config_static_selectorELNS0_4arch9wavefront6targetE0EEEvSL_
; %bb.0:
	.section	.rodata,"a",@progbits
	.p2align	6, 0x0
	.amdhsa_kernel _ZN7rocprim17ROCPRIM_400000_NS6detail17trampoline_kernelINS0_14default_configENS1_38merge_sort_block_merge_config_selectorIiNS0_10empty_typeEEEZZNS1_27merge_sort_block_merge_implIS3_N6thrust23THRUST_200600_302600_NS6detail15normal_iteratorINS9_10device_ptrIiEEEEPS5_jNS1_19radix_merge_compareILb0ELb1EiNS0_19identity_decomposerEEEEE10hipError_tT0_T1_T2_jT3_P12ihipStream_tbPNSt15iterator_traitsISK_E10value_typeEPNSQ_ISL_E10value_typeEPSM_NS1_7vsmem_tEENKUlT_SK_SL_SM_E_clIPiSE_SF_SF_EESJ_SZ_SK_SL_SM_EUlSZ_E_NS1_11comp_targetILNS1_3genE2ELNS1_11target_archE906ELNS1_3gpuE6ELNS1_3repE0EEENS1_48merge_mergepath_partition_config_static_selectorELNS0_4arch9wavefront6targetE0EEEvSL_
		.amdhsa_group_segment_fixed_size 0
		.amdhsa_private_segment_fixed_size 0
		.amdhsa_kernarg_size 40
		.amdhsa_user_sgpr_count 6
		.amdhsa_user_sgpr_private_segment_buffer 1
		.amdhsa_user_sgpr_dispatch_ptr 0
		.amdhsa_user_sgpr_queue_ptr 0
		.amdhsa_user_sgpr_kernarg_segment_ptr 1
		.amdhsa_user_sgpr_dispatch_id 0
		.amdhsa_user_sgpr_flat_scratch_init 0
		.amdhsa_user_sgpr_private_segment_size 0
		.amdhsa_wavefront_size32 1
		.amdhsa_uses_dynamic_stack 0
		.amdhsa_system_sgpr_private_segment_wavefront_offset 0
		.amdhsa_system_sgpr_workgroup_id_x 1
		.amdhsa_system_sgpr_workgroup_id_y 0
		.amdhsa_system_sgpr_workgroup_id_z 0
		.amdhsa_system_sgpr_workgroup_info 0
		.amdhsa_system_vgpr_workitem_id 0
		.amdhsa_next_free_vgpr 1
		.amdhsa_next_free_sgpr 1
		.amdhsa_reserve_vcc 0
		.amdhsa_reserve_flat_scratch 0
		.amdhsa_float_round_mode_32 0
		.amdhsa_float_round_mode_16_64 0
		.amdhsa_float_denorm_mode_32 3
		.amdhsa_float_denorm_mode_16_64 3
		.amdhsa_dx10_clamp 1
		.amdhsa_ieee_mode 1
		.amdhsa_fp16_overflow 0
		.amdhsa_workgroup_processor_mode 1
		.amdhsa_memory_ordered 1
		.amdhsa_forward_progress 1
		.amdhsa_shared_vgpr_count 0
		.amdhsa_exception_fp_ieee_invalid_op 0
		.amdhsa_exception_fp_denorm_src 0
		.amdhsa_exception_fp_ieee_div_zero 0
		.amdhsa_exception_fp_ieee_overflow 0
		.amdhsa_exception_fp_ieee_underflow 0
		.amdhsa_exception_fp_ieee_inexact 0
		.amdhsa_exception_int_div_zero 0
	.end_amdhsa_kernel
	.section	.text._ZN7rocprim17ROCPRIM_400000_NS6detail17trampoline_kernelINS0_14default_configENS1_38merge_sort_block_merge_config_selectorIiNS0_10empty_typeEEEZZNS1_27merge_sort_block_merge_implIS3_N6thrust23THRUST_200600_302600_NS6detail15normal_iteratorINS9_10device_ptrIiEEEEPS5_jNS1_19radix_merge_compareILb0ELb1EiNS0_19identity_decomposerEEEEE10hipError_tT0_T1_T2_jT3_P12ihipStream_tbPNSt15iterator_traitsISK_E10value_typeEPNSQ_ISL_E10value_typeEPSM_NS1_7vsmem_tEENKUlT_SK_SL_SM_E_clIPiSE_SF_SF_EESJ_SZ_SK_SL_SM_EUlSZ_E_NS1_11comp_targetILNS1_3genE2ELNS1_11target_archE906ELNS1_3gpuE6ELNS1_3repE0EEENS1_48merge_mergepath_partition_config_static_selectorELNS0_4arch9wavefront6targetE0EEEvSL_,"axG",@progbits,_ZN7rocprim17ROCPRIM_400000_NS6detail17trampoline_kernelINS0_14default_configENS1_38merge_sort_block_merge_config_selectorIiNS0_10empty_typeEEEZZNS1_27merge_sort_block_merge_implIS3_N6thrust23THRUST_200600_302600_NS6detail15normal_iteratorINS9_10device_ptrIiEEEEPS5_jNS1_19radix_merge_compareILb0ELb1EiNS0_19identity_decomposerEEEEE10hipError_tT0_T1_T2_jT3_P12ihipStream_tbPNSt15iterator_traitsISK_E10value_typeEPNSQ_ISL_E10value_typeEPSM_NS1_7vsmem_tEENKUlT_SK_SL_SM_E_clIPiSE_SF_SF_EESJ_SZ_SK_SL_SM_EUlSZ_E_NS1_11comp_targetILNS1_3genE2ELNS1_11target_archE906ELNS1_3gpuE6ELNS1_3repE0EEENS1_48merge_mergepath_partition_config_static_selectorELNS0_4arch9wavefront6targetE0EEEvSL_,comdat
.Lfunc_end89:
	.size	_ZN7rocprim17ROCPRIM_400000_NS6detail17trampoline_kernelINS0_14default_configENS1_38merge_sort_block_merge_config_selectorIiNS0_10empty_typeEEEZZNS1_27merge_sort_block_merge_implIS3_N6thrust23THRUST_200600_302600_NS6detail15normal_iteratorINS9_10device_ptrIiEEEEPS5_jNS1_19radix_merge_compareILb0ELb1EiNS0_19identity_decomposerEEEEE10hipError_tT0_T1_T2_jT3_P12ihipStream_tbPNSt15iterator_traitsISK_E10value_typeEPNSQ_ISL_E10value_typeEPSM_NS1_7vsmem_tEENKUlT_SK_SL_SM_E_clIPiSE_SF_SF_EESJ_SZ_SK_SL_SM_EUlSZ_E_NS1_11comp_targetILNS1_3genE2ELNS1_11target_archE906ELNS1_3gpuE6ELNS1_3repE0EEENS1_48merge_mergepath_partition_config_static_selectorELNS0_4arch9wavefront6targetE0EEEvSL_, .Lfunc_end89-_ZN7rocprim17ROCPRIM_400000_NS6detail17trampoline_kernelINS0_14default_configENS1_38merge_sort_block_merge_config_selectorIiNS0_10empty_typeEEEZZNS1_27merge_sort_block_merge_implIS3_N6thrust23THRUST_200600_302600_NS6detail15normal_iteratorINS9_10device_ptrIiEEEEPS5_jNS1_19radix_merge_compareILb0ELb1EiNS0_19identity_decomposerEEEEE10hipError_tT0_T1_T2_jT3_P12ihipStream_tbPNSt15iterator_traitsISK_E10value_typeEPNSQ_ISL_E10value_typeEPSM_NS1_7vsmem_tEENKUlT_SK_SL_SM_E_clIPiSE_SF_SF_EESJ_SZ_SK_SL_SM_EUlSZ_E_NS1_11comp_targetILNS1_3genE2ELNS1_11target_archE906ELNS1_3gpuE6ELNS1_3repE0EEENS1_48merge_mergepath_partition_config_static_selectorELNS0_4arch9wavefront6targetE0EEEvSL_
                                        ; -- End function
	.set _ZN7rocprim17ROCPRIM_400000_NS6detail17trampoline_kernelINS0_14default_configENS1_38merge_sort_block_merge_config_selectorIiNS0_10empty_typeEEEZZNS1_27merge_sort_block_merge_implIS3_N6thrust23THRUST_200600_302600_NS6detail15normal_iteratorINS9_10device_ptrIiEEEEPS5_jNS1_19radix_merge_compareILb0ELb1EiNS0_19identity_decomposerEEEEE10hipError_tT0_T1_T2_jT3_P12ihipStream_tbPNSt15iterator_traitsISK_E10value_typeEPNSQ_ISL_E10value_typeEPSM_NS1_7vsmem_tEENKUlT_SK_SL_SM_E_clIPiSE_SF_SF_EESJ_SZ_SK_SL_SM_EUlSZ_E_NS1_11comp_targetILNS1_3genE2ELNS1_11target_archE906ELNS1_3gpuE6ELNS1_3repE0EEENS1_48merge_mergepath_partition_config_static_selectorELNS0_4arch9wavefront6targetE0EEEvSL_.num_vgpr, 0
	.set _ZN7rocprim17ROCPRIM_400000_NS6detail17trampoline_kernelINS0_14default_configENS1_38merge_sort_block_merge_config_selectorIiNS0_10empty_typeEEEZZNS1_27merge_sort_block_merge_implIS3_N6thrust23THRUST_200600_302600_NS6detail15normal_iteratorINS9_10device_ptrIiEEEEPS5_jNS1_19radix_merge_compareILb0ELb1EiNS0_19identity_decomposerEEEEE10hipError_tT0_T1_T2_jT3_P12ihipStream_tbPNSt15iterator_traitsISK_E10value_typeEPNSQ_ISL_E10value_typeEPSM_NS1_7vsmem_tEENKUlT_SK_SL_SM_E_clIPiSE_SF_SF_EESJ_SZ_SK_SL_SM_EUlSZ_E_NS1_11comp_targetILNS1_3genE2ELNS1_11target_archE906ELNS1_3gpuE6ELNS1_3repE0EEENS1_48merge_mergepath_partition_config_static_selectorELNS0_4arch9wavefront6targetE0EEEvSL_.num_agpr, 0
	.set _ZN7rocprim17ROCPRIM_400000_NS6detail17trampoline_kernelINS0_14default_configENS1_38merge_sort_block_merge_config_selectorIiNS0_10empty_typeEEEZZNS1_27merge_sort_block_merge_implIS3_N6thrust23THRUST_200600_302600_NS6detail15normal_iteratorINS9_10device_ptrIiEEEEPS5_jNS1_19radix_merge_compareILb0ELb1EiNS0_19identity_decomposerEEEEE10hipError_tT0_T1_T2_jT3_P12ihipStream_tbPNSt15iterator_traitsISK_E10value_typeEPNSQ_ISL_E10value_typeEPSM_NS1_7vsmem_tEENKUlT_SK_SL_SM_E_clIPiSE_SF_SF_EESJ_SZ_SK_SL_SM_EUlSZ_E_NS1_11comp_targetILNS1_3genE2ELNS1_11target_archE906ELNS1_3gpuE6ELNS1_3repE0EEENS1_48merge_mergepath_partition_config_static_selectorELNS0_4arch9wavefront6targetE0EEEvSL_.numbered_sgpr, 0
	.set _ZN7rocprim17ROCPRIM_400000_NS6detail17trampoline_kernelINS0_14default_configENS1_38merge_sort_block_merge_config_selectorIiNS0_10empty_typeEEEZZNS1_27merge_sort_block_merge_implIS3_N6thrust23THRUST_200600_302600_NS6detail15normal_iteratorINS9_10device_ptrIiEEEEPS5_jNS1_19radix_merge_compareILb0ELb1EiNS0_19identity_decomposerEEEEE10hipError_tT0_T1_T2_jT3_P12ihipStream_tbPNSt15iterator_traitsISK_E10value_typeEPNSQ_ISL_E10value_typeEPSM_NS1_7vsmem_tEENKUlT_SK_SL_SM_E_clIPiSE_SF_SF_EESJ_SZ_SK_SL_SM_EUlSZ_E_NS1_11comp_targetILNS1_3genE2ELNS1_11target_archE906ELNS1_3gpuE6ELNS1_3repE0EEENS1_48merge_mergepath_partition_config_static_selectorELNS0_4arch9wavefront6targetE0EEEvSL_.num_named_barrier, 0
	.set _ZN7rocprim17ROCPRIM_400000_NS6detail17trampoline_kernelINS0_14default_configENS1_38merge_sort_block_merge_config_selectorIiNS0_10empty_typeEEEZZNS1_27merge_sort_block_merge_implIS3_N6thrust23THRUST_200600_302600_NS6detail15normal_iteratorINS9_10device_ptrIiEEEEPS5_jNS1_19radix_merge_compareILb0ELb1EiNS0_19identity_decomposerEEEEE10hipError_tT0_T1_T2_jT3_P12ihipStream_tbPNSt15iterator_traitsISK_E10value_typeEPNSQ_ISL_E10value_typeEPSM_NS1_7vsmem_tEENKUlT_SK_SL_SM_E_clIPiSE_SF_SF_EESJ_SZ_SK_SL_SM_EUlSZ_E_NS1_11comp_targetILNS1_3genE2ELNS1_11target_archE906ELNS1_3gpuE6ELNS1_3repE0EEENS1_48merge_mergepath_partition_config_static_selectorELNS0_4arch9wavefront6targetE0EEEvSL_.private_seg_size, 0
	.set _ZN7rocprim17ROCPRIM_400000_NS6detail17trampoline_kernelINS0_14default_configENS1_38merge_sort_block_merge_config_selectorIiNS0_10empty_typeEEEZZNS1_27merge_sort_block_merge_implIS3_N6thrust23THRUST_200600_302600_NS6detail15normal_iteratorINS9_10device_ptrIiEEEEPS5_jNS1_19radix_merge_compareILb0ELb1EiNS0_19identity_decomposerEEEEE10hipError_tT0_T1_T2_jT3_P12ihipStream_tbPNSt15iterator_traitsISK_E10value_typeEPNSQ_ISL_E10value_typeEPSM_NS1_7vsmem_tEENKUlT_SK_SL_SM_E_clIPiSE_SF_SF_EESJ_SZ_SK_SL_SM_EUlSZ_E_NS1_11comp_targetILNS1_3genE2ELNS1_11target_archE906ELNS1_3gpuE6ELNS1_3repE0EEENS1_48merge_mergepath_partition_config_static_selectorELNS0_4arch9wavefront6targetE0EEEvSL_.uses_vcc, 0
	.set _ZN7rocprim17ROCPRIM_400000_NS6detail17trampoline_kernelINS0_14default_configENS1_38merge_sort_block_merge_config_selectorIiNS0_10empty_typeEEEZZNS1_27merge_sort_block_merge_implIS3_N6thrust23THRUST_200600_302600_NS6detail15normal_iteratorINS9_10device_ptrIiEEEEPS5_jNS1_19radix_merge_compareILb0ELb1EiNS0_19identity_decomposerEEEEE10hipError_tT0_T1_T2_jT3_P12ihipStream_tbPNSt15iterator_traitsISK_E10value_typeEPNSQ_ISL_E10value_typeEPSM_NS1_7vsmem_tEENKUlT_SK_SL_SM_E_clIPiSE_SF_SF_EESJ_SZ_SK_SL_SM_EUlSZ_E_NS1_11comp_targetILNS1_3genE2ELNS1_11target_archE906ELNS1_3gpuE6ELNS1_3repE0EEENS1_48merge_mergepath_partition_config_static_selectorELNS0_4arch9wavefront6targetE0EEEvSL_.uses_flat_scratch, 0
	.set _ZN7rocprim17ROCPRIM_400000_NS6detail17trampoline_kernelINS0_14default_configENS1_38merge_sort_block_merge_config_selectorIiNS0_10empty_typeEEEZZNS1_27merge_sort_block_merge_implIS3_N6thrust23THRUST_200600_302600_NS6detail15normal_iteratorINS9_10device_ptrIiEEEEPS5_jNS1_19radix_merge_compareILb0ELb1EiNS0_19identity_decomposerEEEEE10hipError_tT0_T1_T2_jT3_P12ihipStream_tbPNSt15iterator_traitsISK_E10value_typeEPNSQ_ISL_E10value_typeEPSM_NS1_7vsmem_tEENKUlT_SK_SL_SM_E_clIPiSE_SF_SF_EESJ_SZ_SK_SL_SM_EUlSZ_E_NS1_11comp_targetILNS1_3genE2ELNS1_11target_archE906ELNS1_3gpuE6ELNS1_3repE0EEENS1_48merge_mergepath_partition_config_static_selectorELNS0_4arch9wavefront6targetE0EEEvSL_.has_dyn_sized_stack, 0
	.set _ZN7rocprim17ROCPRIM_400000_NS6detail17trampoline_kernelINS0_14default_configENS1_38merge_sort_block_merge_config_selectorIiNS0_10empty_typeEEEZZNS1_27merge_sort_block_merge_implIS3_N6thrust23THRUST_200600_302600_NS6detail15normal_iteratorINS9_10device_ptrIiEEEEPS5_jNS1_19radix_merge_compareILb0ELb1EiNS0_19identity_decomposerEEEEE10hipError_tT0_T1_T2_jT3_P12ihipStream_tbPNSt15iterator_traitsISK_E10value_typeEPNSQ_ISL_E10value_typeEPSM_NS1_7vsmem_tEENKUlT_SK_SL_SM_E_clIPiSE_SF_SF_EESJ_SZ_SK_SL_SM_EUlSZ_E_NS1_11comp_targetILNS1_3genE2ELNS1_11target_archE906ELNS1_3gpuE6ELNS1_3repE0EEENS1_48merge_mergepath_partition_config_static_selectorELNS0_4arch9wavefront6targetE0EEEvSL_.has_recursion, 0
	.set _ZN7rocprim17ROCPRIM_400000_NS6detail17trampoline_kernelINS0_14default_configENS1_38merge_sort_block_merge_config_selectorIiNS0_10empty_typeEEEZZNS1_27merge_sort_block_merge_implIS3_N6thrust23THRUST_200600_302600_NS6detail15normal_iteratorINS9_10device_ptrIiEEEEPS5_jNS1_19radix_merge_compareILb0ELb1EiNS0_19identity_decomposerEEEEE10hipError_tT0_T1_T2_jT3_P12ihipStream_tbPNSt15iterator_traitsISK_E10value_typeEPNSQ_ISL_E10value_typeEPSM_NS1_7vsmem_tEENKUlT_SK_SL_SM_E_clIPiSE_SF_SF_EESJ_SZ_SK_SL_SM_EUlSZ_E_NS1_11comp_targetILNS1_3genE2ELNS1_11target_archE906ELNS1_3gpuE6ELNS1_3repE0EEENS1_48merge_mergepath_partition_config_static_selectorELNS0_4arch9wavefront6targetE0EEEvSL_.has_indirect_call, 0
	.section	.AMDGPU.csdata,"",@progbits
; Kernel info:
; codeLenInByte = 0
; TotalNumSgprs: 0
; NumVgprs: 0
; ScratchSize: 0
; MemoryBound: 0
; FloatMode: 240
; IeeeMode: 1
; LDSByteSize: 0 bytes/workgroup (compile time only)
; SGPRBlocks: 0
; VGPRBlocks: 0
; NumSGPRsForWavesPerEU: 1
; NumVGPRsForWavesPerEU: 1
; Occupancy: 16
; WaveLimiterHint : 0
; COMPUTE_PGM_RSRC2:SCRATCH_EN: 0
; COMPUTE_PGM_RSRC2:USER_SGPR: 6
; COMPUTE_PGM_RSRC2:TRAP_HANDLER: 0
; COMPUTE_PGM_RSRC2:TGID_X_EN: 1
; COMPUTE_PGM_RSRC2:TGID_Y_EN: 0
; COMPUTE_PGM_RSRC2:TGID_Z_EN: 0
; COMPUTE_PGM_RSRC2:TIDIG_COMP_CNT: 0
	.section	.text._ZN7rocprim17ROCPRIM_400000_NS6detail17trampoline_kernelINS0_14default_configENS1_38merge_sort_block_merge_config_selectorIiNS0_10empty_typeEEEZZNS1_27merge_sort_block_merge_implIS3_N6thrust23THRUST_200600_302600_NS6detail15normal_iteratorINS9_10device_ptrIiEEEEPS5_jNS1_19radix_merge_compareILb0ELb1EiNS0_19identity_decomposerEEEEE10hipError_tT0_T1_T2_jT3_P12ihipStream_tbPNSt15iterator_traitsISK_E10value_typeEPNSQ_ISL_E10value_typeEPSM_NS1_7vsmem_tEENKUlT_SK_SL_SM_E_clIPiSE_SF_SF_EESJ_SZ_SK_SL_SM_EUlSZ_E_NS1_11comp_targetILNS1_3genE9ELNS1_11target_archE1100ELNS1_3gpuE3ELNS1_3repE0EEENS1_48merge_mergepath_partition_config_static_selectorELNS0_4arch9wavefront6targetE0EEEvSL_,"axG",@progbits,_ZN7rocprim17ROCPRIM_400000_NS6detail17trampoline_kernelINS0_14default_configENS1_38merge_sort_block_merge_config_selectorIiNS0_10empty_typeEEEZZNS1_27merge_sort_block_merge_implIS3_N6thrust23THRUST_200600_302600_NS6detail15normal_iteratorINS9_10device_ptrIiEEEEPS5_jNS1_19radix_merge_compareILb0ELb1EiNS0_19identity_decomposerEEEEE10hipError_tT0_T1_T2_jT3_P12ihipStream_tbPNSt15iterator_traitsISK_E10value_typeEPNSQ_ISL_E10value_typeEPSM_NS1_7vsmem_tEENKUlT_SK_SL_SM_E_clIPiSE_SF_SF_EESJ_SZ_SK_SL_SM_EUlSZ_E_NS1_11comp_targetILNS1_3genE9ELNS1_11target_archE1100ELNS1_3gpuE3ELNS1_3repE0EEENS1_48merge_mergepath_partition_config_static_selectorELNS0_4arch9wavefront6targetE0EEEvSL_,comdat
	.protected	_ZN7rocprim17ROCPRIM_400000_NS6detail17trampoline_kernelINS0_14default_configENS1_38merge_sort_block_merge_config_selectorIiNS0_10empty_typeEEEZZNS1_27merge_sort_block_merge_implIS3_N6thrust23THRUST_200600_302600_NS6detail15normal_iteratorINS9_10device_ptrIiEEEEPS5_jNS1_19radix_merge_compareILb0ELb1EiNS0_19identity_decomposerEEEEE10hipError_tT0_T1_T2_jT3_P12ihipStream_tbPNSt15iterator_traitsISK_E10value_typeEPNSQ_ISL_E10value_typeEPSM_NS1_7vsmem_tEENKUlT_SK_SL_SM_E_clIPiSE_SF_SF_EESJ_SZ_SK_SL_SM_EUlSZ_E_NS1_11comp_targetILNS1_3genE9ELNS1_11target_archE1100ELNS1_3gpuE3ELNS1_3repE0EEENS1_48merge_mergepath_partition_config_static_selectorELNS0_4arch9wavefront6targetE0EEEvSL_ ; -- Begin function _ZN7rocprim17ROCPRIM_400000_NS6detail17trampoline_kernelINS0_14default_configENS1_38merge_sort_block_merge_config_selectorIiNS0_10empty_typeEEEZZNS1_27merge_sort_block_merge_implIS3_N6thrust23THRUST_200600_302600_NS6detail15normal_iteratorINS9_10device_ptrIiEEEEPS5_jNS1_19radix_merge_compareILb0ELb1EiNS0_19identity_decomposerEEEEE10hipError_tT0_T1_T2_jT3_P12ihipStream_tbPNSt15iterator_traitsISK_E10value_typeEPNSQ_ISL_E10value_typeEPSM_NS1_7vsmem_tEENKUlT_SK_SL_SM_E_clIPiSE_SF_SF_EESJ_SZ_SK_SL_SM_EUlSZ_E_NS1_11comp_targetILNS1_3genE9ELNS1_11target_archE1100ELNS1_3gpuE3ELNS1_3repE0EEENS1_48merge_mergepath_partition_config_static_selectorELNS0_4arch9wavefront6targetE0EEEvSL_
	.globl	_ZN7rocprim17ROCPRIM_400000_NS6detail17trampoline_kernelINS0_14default_configENS1_38merge_sort_block_merge_config_selectorIiNS0_10empty_typeEEEZZNS1_27merge_sort_block_merge_implIS3_N6thrust23THRUST_200600_302600_NS6detail15normal_iteratorINS9_10device_ptrIiEEEEPS5_jNS1_19radix_merge_compareILb0ELb1EiNS0_19identity_decomposerEEEEE10hipError_tT0_T1_T2_jT3_P12ihipStream_tbPNSt15iterator_traitsISK_E10value_typeEPNSQ_ISL_E10value_typeEPSM_NS1_7vsmem_tEENKUlT_SK_SL_SM_E_clIPiSE_SF_SF_EESJ_SZ_SK_SL_SM_EUlSZ_E_NS1_11comp_targetILNS1_3genE9ELNS1_11target_archE1100ELNS1_3gpuE3ELNS1_3repE0EEENS1_48merge_mergepath_partition_config_static_selectorELNS0_4arch9wavefront6targetE0EEEvSL_
	.p2align	8
	.type	_ZN7rocprim17ROCPRIM_400000_NS6detail17trampoline_kernelINS0_14default_configENS1_38merge_sort_block_merge_config_selectorIiNS0_10empty_typeEEEZZNS1_27merge_sort_block_merge_implIS3_N6thrust23THRUST_200600_302600_NS6detail15normal_iteratorINS9_10device_ptrIiEEEEPS5_jNS1_19radix_merge_compareILb0ELb1EiNS0_19identity_decomposerEEEEE10hipError_tT0_T1_T2_jT3_P12ihipStream_tbPNSt15iterator_traitsISK_E10value_typeEPNSQ_ISL_E10value_typeEPSM_NS1_7vsmem_tEENKUlT_SK_SL_SM_E_clIPiSE_SF_SF_EESJ_SZ_SK_SL_SM_EUlSZ_E_NS1_11comp_targetILNS1_3genE9ELNS1_11target_archE1100ELNS1_3gpuE3ELNS1_3repE0EEENS1_48merge_mergepath_partition_config_static_selectorELNS0_4arch9wavefront6targetE0EEEvSL_,@function
_ZN7rocprim17ROCPRIM_400000_NS6detail17trampoline_kernelINS0_14default_configENS1_38merge_sort_block_merge_config_selectorIiNS0_10empty_typeEEEZZNS1_27merge_sort_block_merge_implIS3_N6thrust23THRUST_200600_302600_NS6detail15normal_iteratorINS9_10device_ptrIiEEEEPS5_jNS1_19radix_merge_compareILb0ELb1EiNS0_19identity_decomposerEEEEE10hipError_tT0_T1_T2_jT3_P12ihipStream_tbPNSt15iterator_traitsISK_E10value_typeEPNSQ_ISL_E10value_typeEPSM_NS1_7vsmem_tEENKUlT_SK_SL_SM_E_clIPiSE_SF_SF_EESJ_SZ_SK_SL_SM_EUlSZ_E_NS1_11comp_targetILNS1_3genE9ELNS1_11target_archE1100ELNS1_3gpuE3ELNS1_3repE0EEENS1_48merge_mergepath_partition_config_static_selectorELNS0_4arch9wavefront6targetE0EEEvSL_: ; @_ZN7rocprim17ROCPRIM_400000_NS6detail17trampoline_kernelINS0_14default_configENS1_38merge_sort_block_merge_config_selectorIiNS0_10empty_typeEEEZZNS1_27merge_sort_block_merge_implIS3_N6thrust23THRUST_200600_302600_NS6detail15normal_iteratorINS9_10device_ptrIiEEEEPS5_jNS1_19radix_merge_compareILb0ELb1EiNS0_19identity_decomposerEEEEE10hipError_tT0_T1_T2_jT3_P12ihipStream_tbPNSt15iterator_traitsISK_E10value_typeEPNSQ_ISL_E10value_typeEPSM_NS1_7vsmem_tEENKUlT_SK_SL_SM_E_clIPiSE_SF_SF_EESJ_SZ_SK_SL_SM_EUlSZ_E_NS1_11comp_targetILNS1_3genE9ELNS1_11target_archE1100ELNS1_3gpuE3ELNS1_3repE0EEENS1_48merge_mergepath_partition_config_static_selectorELNS0_4arch9wavefront6targetE0EEEvSL_
; %bb.0:
	.section	.rodata,"a",@progbits
	.p2align	6, 0x0
	.amdhsa_kernel _ZN7rocprim17ROCPRIM_400000_NS6detail17trampoline_kernelINS0_14default_configENS1_38merge_sort_block_merge_config_selectorIiNS0_10empty_typeEEEZZNS1_27merge_sort_block_merge_implIS3_N6thrust23THRUST_200600_302600_NS6detail15normal_iteratorINS9_10device_ptrIiEEEEPS5_jNS1_19radix_merge_compareILb0ELb1EiNS0_19identity_decomposerEEEEE10hipError_tT0_T1_T2_jT3_P12ihipStream_tbPNSt15iterator_traitsISK_E10value_typeEPNSQ_ISL_E10value_typeEPSM_NS1_7vsmem_tEENKUlT_SK_SL_SM_E_clIPiSE_SF_SF_EESJ_SZ_SK_SL_SM_EUlSZ_E_NS1_11comp_targetILNS1_3genE9ELNS1_11target_archE1100ELNS1_3gpuE3ELNS1_3repE0EEENS1_48merge_mergepath_partition_config_static_selectorELNS0_4arch9wavefront6targetE0EEEvSL_
		.amdhsa_group_segment_fixed_size 0
		.amdhsa_private_segment_fixed_size 0
		.amdhsa_kernarg_size 40
		.amdhsa_user_sgpr_count 6
		.amdhsa_user_sgpr_private_segment_buffer 1
		.amdhsa_user_sgpr_dispatch_ptr 0
		.amdhsa_user_sgpr_queue_ptr 0
		.amdhsa_user_sgpr_kernarg_segment_ptr 1
		.amdhsa_user_sgpr_dispatch_id 0
		.amdhsa_user_sgpr_flat_scratch_init 0
		.amdhsa_user_sgpr_private_segment_size 0
		.amdhsa_wavefront_size32 1
		.amdhsa_uses_dynamic_stack 0
		.amdhsa_system_sgpr_private_segment_wavefront_offset 0
		.amdhsa_system_sgpr_workgroup_id_x 1
		.amdhsa_system_sgpr_workgroup_id_y 0
		.amdhsa_system_sgpr_workgroup_id_z 0
		.amdhsa_system_sgpr_workgroup_info 0
		.amdhsa_system_vgpr_workitem_id 0
		.amdhsa_next_free_vgpr 1
		.amdhsa_next_free_sgpr 1
		.amdhsa_reserve_vcc 0
		.amdhsa_reserve_flat_scratch 0
		.amdhsa_float_round_mode_32 0
		.amdhsa_float_round_mode_16_64 0
		.amdhsa_float_denorm_mode_32 3
		.amdhsa_float_denorm_mode_16_64 3
		.amdhsa_dx10_clamp 1
		.amdhsa_ieee_mode 1
		.amdhsa_fp16_overflow 0
		.amdhsa_workgroup_processor_mode 1
		.amdhsa_memory_ordered 1
		.amdhsa_forward_progress 1
		.amdhsa_shared_vgpr_count 0
		.amdhsa_exception_fp_ieee_invalid_op 0
		.amdhsa_exception_fp_denorm_src 0
		.amdhsa_exception_fp_ieee_div_zero 0
		.amdhsa_exception_fp_ieee_overflow 0
		.amdhsa_exception_fp_ieee_underflow 0
		.amdhsa_exception_fp_ieee_inexact 0
		.amdhsa_exception_int_div_zero 0
	.end_amdhsa_kernel
	.section	.text._ZN7rocprim17ROCPRIM_400000_NS6detail17trampoline_kernelINS0_14default_configENS1_38merge_sort_block_merge_config_selectorIiNS0_10empty_typeEEEZZNS1_27merge_sort_block_merge_implIS3_N6thrust23THRUST_200600_302600_NS6detail15normal_iteratorINS9_10device_ptrIiEEEEPS5_jNS1_19radix_merge_compareILb0ELb1EiNS0_19identity_decomposerEEEEE10hipError_tT0_T1_T2_jT3_P12ihipStream_tbPNSt15iterator_traitsISK_E10value_typeEPNSQ_ISL_E10value_typeEPSM_NS1_7vsmem_tEENKUlT_SK_SL_SM_E_clIPiSE_SF_SF_EESJ_SZ_SK_SL_SM_EUlSZ_E_NS1_11comp_targetILNS1_3genE9ELNS1_11target_archE1100ELNS1_3gpuE3ELNS1_3repE0EEENS1_48merge_mergepath_partition_config_static_selectorELNS0_4arch9wavefront6targetE0EEEvSL_,"axG",@progbits,_ZN7rocprim17ROCPRIM_400000_NS6detail17trampoline_kernelINS0_14default_configENS1_38merge_sort_block_merge_config_selectorIiNS0_10empty_typeEEEZZNS1_27merge_sort_block_merge_implIS3_N6thrust23THRUST_200600_302600_NS6detail15normal_iteratorINS9_10device_ptrIiEEEEPS5_jNS1_19radix_merge_compareILb0ELb1EiNS0_19identity_decomposerEEEEE10hipError_tT0_T1_T2_jT3_P12ihipStream_tbPNSt15iterator_traitsISK_E10value_typeEPNSQ_ISL_E10value_typeEPSM_NS1_7vsmem_tEENKUlT_SK_SL_SM_E_clIPiSE_SF_SF_EESJ_SZ_SK_SL_SM_EUlSZ_E_NS1_11comp_targetILNS1_3genE9ELNS1_11target_archE1100ELNS1_3gpuE3ELNS1_3repE0EEENS1_48merge_mergepath_partition_config_static_selectorELNS0_4arch9wavefront6targetE0EEEvSL_,comdat
.Lfunc_end90:
	.size	_ZN7rocprim17ROCPRIM_400000_NS6detail17trampoline_kernelINS0_14default_configENS1_38merge_sort_block_merge_config_selectorIiNS0_10empty_typeEEEZZNS1_27merge_sort_block_merge_implIS3_N6thrust23THRUST_200600_302600_NS6detail15normal_iteratorINS9_10device_ptrIiEEEEPS5_jNS1_19radix_merge_compareILb0ELb1EiNS0_19identity_decomposerEEEEE10hipError_tT0_T1_T2_jT3_P12ihipStream_tbPNSt15iterator_traitsISK_E10value_typeEPNSQ_ISL_E10value_typeEPSM_NS1_7vsmem_tEENKUlT_SK_SL_SM_E_clIPiSE_SF_SF_EESJ_SZ_SK_SL_SM_EUlSZ_E_NS1_11comp_targetILNS1_3genE9ELNS1_11target_archE1100ELNS1_3gpuE3ELNS1_3repE0EEENS1_48merge_mergepath_partition_config_static_selectorELNS0_4arch9wavefront6targetE0EEEvSL_, .Lfunc_end90-_ZN7rocprim17ROCPRIM_400000_NS6detail17trampoline_kernelINS0_14default_configENS1_38merge_sort_block_merge_config_selectorIiNS0_10empty_typeEEEZZNS1_27merge_sort_block_merge_implIS3_N6thrust23THRUST_200600_302600_NS6detail15normal_iteratorINS9_10device_ptrIiEEEEPS5_jNS1_19radix_merge_compareILb0ELb1EiNS0_19identity_decomposerEEEEE10hipError_tT0_T1_T2_jT3_P12ihipStream_tbPNSt15iterator_traitsISK_E10value_typeEPNSQ_ISL_E10value_typeEPSM_NS1_7vsmem_tEENKUlT_SK_SL_SM_E_clIPiSE_SF_SF_EESJ_SZ_SK_SL_SM_EUlSZ_E_NS1_11comp_targetILNS1_3genE9ELNS1_11target_archE1100ELNS1_3gpuE3ELNS1_3repE0EEENS1_48merge_mergepath_partition_config_static_selectorELNS0_4arch9wavefront6targetE0EEEvSL_
                                        ; -- End function
	.set _ZN7rocprim17ROCPRIM_400000_NS6detail17trampoline_kernelINS0_14default_configENS1_38merge_sort_block_merge_config_selectorIiNS0_10empty_typeEEEZZNS1_27merge_sort_block_merge_implIS3_N6thrust23THRUST_200600_302600_NS6detail15normal_iteratorINS9_10device_ptrIiEEEEPS5_jNS1_19radix_merge_compareILb0ELb1EiNS0_19identity_decomposerEEEEE10hipError_tT0_T1_T2_jT3_P12ihipStream_tbPNSt15iterator_traitsISK_E10value_typeEPNSQ_ISL_E10value_typeEPSM_NS1_7vsmem_tEENKUlT_SK_SL_SM_E_clIPiSE_SF_SF_EESJ_SZ_SK_SL_SM_EUlSZ_E_NS1_11comp_targetILNS1_3genE9ELNS1_11target_archE1100ELNS1_3gpuE3ELNS1_3repE0EEENS1_48merge_mergepath_partition_config_static_selectorELNS0_4arch9wavefront6targetE0EEEvSL_.num_vgpr, 0
	.set _ZN7rocprim17ROCPRIM_400000_NS6detail17trampoline_kernelINS0_14default_configENS1_38merge_sort_block_merge_config_selectorIiNS0_10empty_typeEEEZZNS1_27merge_sort_block_merge_implIS3_N6thrust23THRUST_200600_302600_NS6detail15normal_iteratorINS9_10device_ptrIiEEEEPS5_jNS1_19radix_merge_compareILb0ELb1EiNS0_19identity_decomposerEEEEE10hipError_tT0_T1_T2_jT3_P12ihipStream_tbPNSt15iterator_traitsISK_E10value_typeEPNSQ_ISL_E10value_typeEPSM_NS1_7vsmem_tEENKUlT_SK_SL_SM_E_clIPiSE_SF_SF_EESJ_SZ_SK_SL_SM_EUlSZ_E_NS1_11comp_targetILNS1_3genE9ELNS1_11target_archE1100ELNS1_3gpuE3ELNS1_3repE0EEENS1_48merge_mergepath_partition_config_static_selectorELNS0_4arch9wavefront6targetE0EEEvSL_.num_agpr, 0
	.set _ZN7rocprim17ROCPRIM_400000_NS6detail17trampoline_kernelINS0_14default_configENS1_38merge_sort_block_merge_config_selectorIiNS0_10empty_typeEEEZZNS1_27merge_sort_block_merge_implIS3_N6thrust23THRUST_200600_302600_NS6detail15normal_iteratorINS9_10device_ptrIiEEEEPS5_jNS1_19radix_merge_compareILb0ELb1EiNS0_19identity_decomposerEEEEE10hipError_tT0_T1_T2_jT3_P12ihipStream_tbPNSt15iterator_traitsISK_E10value_typeEPNSQ_ISL_E10value_typeEPSM_NS1_7vsmem_tEENKUlT_SK_SL_SM_E_clIPiSE_SF_SF_EESJ_SZ_SK_SL_SM_EUlSZ_E_NS1_11comp_targetILNS1_3genE9ELNS1_11target_archE1100ELNS1_3gpuE3ELNS1_3repE0EEENS1_48merge_mergepath_partition_config_static_selectorELNS0_4arch9wavefront6targetE0EEEvSL_.numbered_sgpr, 0
	.set _ZN7rocprim17ROCPRIM_400000_NS6detail17trampoline_kernelINS0_14default_configENS1_38merge_sort_block_merge_config_selectorIiNS0_10empty_typeEEEZZNS1_27merge_sort_block_merge_implIS3_N6thrust23THRUST_200600_302600_NS6detail15normal_iteratorINS9_10device_ptrIiEEEEPS5_jNS1_19radix_merge_compareILb0ELb1EiNS0_19identity_decomposerEEEEE10hipError_tT0_T1_T2_jT3_P12ihipStream_tbPNSt15iterator_traitsISK_E10value_typeEPNSQ_ISL_E10value_typeEPSM_NS1_7vsmem_tEENKUlT_SK_SL_SM_E_clIPiSE_SF_SF_EESJ_SZ_SK_SL_SM_EUlSZ_E_NS1_11comp_targetILNS1_3genE9ELNS1_11target_archE1100ELNS1_3gpuE3ELNS1_3repE0EEENS1_48merge_mergepath_partition_config_static_selectorELNS0_4arch9wavefront6targetE0EEEvSL_.num_named_barrier, 0
	.set _ZN7rocprim17ROCPRIM_400000_NS6detail17trampoline_kernelINS0_14default_configENS1_38merge_sort_block_merge_config_selectorIiNS0_10empty_typeEEEZZNS1_27merge_sort_block_merge_implIS3_N6thrust23THRUST_200600_302600_NS6detail15normal_iteratorINS9_10device_ptrIiEEEEPS5_jNS1_19radix_merge_compareILb0ELb1EiNS0_19identity_decomposerEEEEE10hipError_tT0_T1_T2_jT3_P12ihipStream_tbPNSt15iterator_traitsISK_E10value_typeEPNSQ_ISL_E10value_typeEPSM_NS1_7vsmem_tEENKUlT_SK_SL_SM_E_clIPiSE_SF_SF_EESJ_SZ_SK_SL_SM_EUlSZ_E_NS1_11comp_targetILNS1_3genE9ELNS1_11target_archE1100ELNS1_3gpuE3ELNS1_3repE0EEENS1_48merge_mergepath_partition_config_static_selectorELNS0_4arch9wavefront6targetE0EEEvSL_.private_seg_size, 0
	.set _ZN7rocprim17ROCPRIM_400000_NS6detail17trampoline_kernelINS0_14default_configENS1_38merge_sort_block_merge_config_selectorIiNS0_10empty_typeEEEZZNS1_27merge_sort_block_merge_implIS3_N6thrust23THRUST_200600_302600_NS6detail15normal_iteratorINS9_10device_ptrIiEEEEPS5_jNS1_19radix_merge_compareILb0ELb1EiNS0_19identity_decomposerEEEEE10hipError_tT0_T1_T2_jT3_P12ihipStream_tbPNSt15iterator_traitsISK_E10value_typeEPNSQ_ISL_E10value_typeEPSM_NS1_7vsmem_tEENKUlT_SK_SL_SM_E_clIPiSE_SF_SF_EESJ_SZ_SK_SL_SM_EUlSZ_E_NS1_11comp_targetILNS1_3genE9ELNS1_11target_archE1100ELNS1_3gpuE3ELNS1_3repE0EEENS1_48merge_mergepath_partition_config_static_selectorELNS0_4arch9wavefront6targetE0EEEvSL_.uses_vcc, 0
	.set _ZN7rocprim17ROCPRIM_400000_NS6detail17trampoline_kernelINS0_14default_configENS1_38merge_sort_block_merge_config_selectorIiNS0_10empty_typeEEEZZNS1_27merge_sort_block_merge_implIS3_N6thrust23THRUST_200600_302600_NS6detail15normal_iteratorINS9_10device_ptrIiEEEEPS5_jNS1_19radix_merge_compareILb0ELb1EiNS0_19identity_decomposerEEEEE10hipError_tT0_T1_T2_jT3_P12ihipStream_tbPNSt15iterator_traitsISK_E10value_typeEPNSQ_ISL_E10value_typeEPSM_NS1_7vsmem_tEENKUlT_SK_SL_SM_E_clIPiSE_SF_SF_EESJ_SZ_SK_SL_SM_EUlSZ_E_NS1_11comp_targetILNS1_3genE9ELNS1_11target_archE1100ELNS1_3gpuE3ELNS1_3repE0EEENS1_48merge_mergepath_partition_config_static_selectorELNS0_4arch9wavefront6targetE0EEEvSL_.uses_flat_scratch, 0
	.set _ZN7rocprim17ROCPRIM_400000_NS6detail17trampoline_kernelINS0_14default_configENS1_38merge_sort_block_merge_config_selectorIiNS0_10empty_typeEEEZZNS1_27merge_sort_block_merge_implIS3_N6thrust23THRUST_200600_302600_NS6detail15normal_iteratorINS9_10device_ptrIiEEEEPS5_jNS1_19radix_merge_compareILb0ELb1EiNS0_19identity_decomposerEEEEE10hipError_tT0_T1_T2_jT3_P12ihipStream_tbPNSt15iterator_traitsISK_E10value_typeEPNSQ_ISL_E10value_typeEPSM_NS1_7vsmem_tEENKUlT_SK_SL_SM_E_clIPiSE_SF_SF_EESJ_SZ_SK_SL_SM_EUlSZ_E_NS1_11comp_targetILNS1_3genE9ELNS1_11target_archE1100ELNS1_3gpuE3ELNS1_3repE0EEENS1_48merge_mergepath_partition_config_static_selectorELNS0_4arch9wavefront6targetE0EEEvSL_.has_dyn_sized_stack, 0
	.set _ZN7rocprim17ROCPRIM_400000_NS6detail17trampoline_kernelINS0_14default_configENS1_38merge_sort_block_merge_config_selectorIiNS0_10empty_typeEEEZZNS1_27merge_sort_block_merge_implIS3_N6thrust23THRUST_200600_302600_NS6detail15normal_iteratorINS9_10device_ptrIiEEEEPS5_jNS1_19radix_merge_compareILb0ELb1EiNS0_19identity_decomposerEEEEE10hipError_tT0_T1_T2_jT3_P12ihipStream_tbPNSt15iterator_traitsISK_E10value_typeEPNSQ_ISL_E10value_typeEPSM_NS1_7vsmem_tEENKUlT_SK_SL_SM_E_clIPiSE_SF_SF_EESJ_SZ_SK_SL_SM_EUlSZ_E_NS1_11comp_targetILNS1_3genE9ELNS1_11target_archE1100ELNS1_3gpuE3ELNS1_3repE0EEENS1_48merge_mergepath_partition_config_static_selectorELNS0_4arch9wavefront6targetE0EEEvSL_.has_recursion, 0
	.set _ZN7rocprim17ROCPRIM_400000_NS6detail17trampoline_kernelINS0_14default_configENS1_38merge_sort_block_merge_config_selectorIiNS0_10empty_typeEEEZZNS1_27merge_sort_block_merge_implIS3_N6thrust23THRUST_200600_302600_NS6detail15normal_iteratorINS9_10device_ptrIiEEEEPS5_jNS1_19radix_merge_compareILb0ELb1EiNS0_19identity_decomposerEEEEE10hipError_tT0_T1_T2_jT3_P12ihipStream_tbPNSt15iterator_traitsISK_E10value_typeEPNSQ_ISL_E10value_typeEPSM_NS1_7vsmem_tEENKUlT_SK_SL_SM_E_clIPiSE_SF_SF_EESJ_SZ_SK_SL_SM_EUlSZ_E_NS1_11comp_targetILNS1_3genE9ELNS1_11target_archE1100ELNS1_3gpuE3ELNS1_3repE0EEENS1_48merge_mergepath_partition_config_static_selectorELNS0_4arch9wavefront6targetE0EEEvSL_.has_indirect_call, 0
	.section	.AMDGPU.csdata,"",@progbits
; Kernel info:
; codeLenInByte = 0
; TotalNumSgprs: 0
; NumVgprs: 0
; ScratchSize: 0
; MemoryBound: 0
; FloatMode: 240
; IeeeMode: 1
; LDSByteSize: 0 bytes/workgroup (compile time only)
; SGPRBlocks: 0
; VGPRBlocks: 0
; NumSGPRsForWavesPerEU: 1
; NumVGPRsForWavesPerEU: 1
; Occupancy: 16
; WaveLimiterHint : 0
; COMPUTE_PGM_RSRC2:SCRATCH_EN: 0
; COMPUTE_PGM_RSRC2:USER_SGPR: 6
; COMPUTE_PGM_RSRC2:TRAP_HANDLER: 0
; COMPUTE_PGM_RSRC2:TGID_X_EN: 1
; COMPUTE_PGM_RSRC2:TGID_Y_EN: 0
; COMPUTE_PGM_RSRC2:TGID_Z_EN: 0
; COMPUTE_PGM_RSRC2:TIDIG_COMP_CNT: 0
	.section	.text._ZN7rocprim17ROCPRIM_400000_NS6detail17trampoline_kernelINS0_14default_configENS1_38merge_sort_block_merge_config_selectorIiNS0_10empty_typeEEEZZNS1_27merge_sort_block_merge_implIS3_N6thrust23THRUST_200600_302600_NS6detail15normal_iteratorINS9_10device_ptrIiEEEEPS5_jNS1_19radix_merge_compareILb0ELb1EiNS0_19identity_decomposerEEEEE10hipError_tT0_T1_T2_jT3_P12ihipStream_tbPNSt15iterator_traitsISK_E10value_typeEPNSQ_ISL_E10value_typeEPSM_NS1_7vsmem_tEENKUlT_SK_SL_SM_E_clIPiSE_SF_SF_EESJ_SZ_SK_SL_SM_EUlSZ_E_NS1_11comp_targetILNS1_3genE8ELNS1_11target_archE1030ELNS1_3gpuE2ELNS1_3repE0EEENS1_48merge_mergepath_partition_config_static_selectorELNS0_4arch9wavefront6targetE0EEEvSL_,"axG",@progbits,_ZN7rocprim17ROCPRIM_400000_NS6detail17trampoline_kernelINS0_14default_configENS1_38merge_sort_block_merge_config_selectorIiNS0_10empty_typeEEEZZNS1_27merge_sort_block_merge_implIS3_N6thrust23THRUST_200600_302600_NS6detail15normal_iteratorINS9_10device_ptrIiEEEEPS5_jNS1_19radix_merge_compareILb0ELb1EiNS0_19identity_decomposerEEEEE10hipError_tT0_T1_T2_jT3_P12ihipStream_tbPNSt15iterator_traitsISK_E10value_typeEPNSQ_ISL_E10value_typeEPSM_NS1_7vsmem_tEENKUlT_SK_SL_SM_E_clIPiSE_SF_SF_EESJ_SZ_SK_SL_SM_EUlSZ_E_NS1_11comp_targetILNS1_3genE8ELNS1_11target_archE1030ELNS1_3gpuE2ELNS1_3repE0EEENS1_48merge_mergepath_partition_config_static_selectorELNS0_4arch9wavefront6targetE0EEEvSL_,comdat
	.protected	_ZN7rocprim17ROCPRIM_400000_NS6detail17trampoline_kernelINS0_14default_configENS1_38merge_sort_block_merge_config_selectorIiNS0_10empty_typeEEEZZNS1_27merge_sort_block_merge_implIS3_N6thrust23THRUST_200600_302600_NS6detail15normal_iteratorINS9_10device_ptrIiEEEEPS5_jNS1_19radix_merge_compareILb0ELb1EiNS0_19identity_decomposerEEEEE10hipError_tT0_T1_T2_jT3_P12ihipStream_tbPNSt15iterator_traitsISK_E10value_typeEPNSQ_ISL_E10value_typeEPSM_NS1_7vsmem_tEENKUlT_SK_SL_SM_E_clIPiSE_SF_SF_EESJ_SZ_SK_SL_SM_EUlSZ_E_NS1_11comp_targetILNS1_3genE8ELNS1_11target_archE1030ELNS1_3gpuE2ELNS1_3repE0EEENS1_48merge_mergepath_partition_config_static_selectorELNS0_4arch9wavefront6targetE0EEEvSL_ ; -- Begin function _ZN7rocprim17ROCPRIM_400000_NS6detail17trampoline_kernelINS0_14default_configENS1_38merge_sort_block_merge_config_selectorIiNS0_10empty_typeEEEZZNS1_27merge_sort_block_merge_implIS3_N6thrust23THRUST_200600_302600_NS6detail15normal_iteratorINS9_10device_ptrIiEEEEPS5_jNS1_19radix_merge_compareILb0ELb1EiNS0_19identity_decomposerEEEEE10hipError_tT0_T1_T2_jT3_P12ihipStream_tbPNSt15iterator_traitsISK_E10value_typeEPNSQ_ISL_E10value_typeEPSM_NS1_7vsmem_tEENKUlT_SK_SL_SM_E_clIPiSE_SF_SF_EESJ_SZ_SK_SL_SM_EUlSZ_E_NS1_11comp_targetILNS1_3genE8ELNS1_11target_archE1030ELNS1_3gpuE2ELNS1_3repE0EEENS1_48merge_mergepath_partition_config_static_selectorELNS0_4arch9wavefront6targetE0EEEvSL_
	.globl	_ZN7rocprim17ROCPRIM_400000_NS6detail17trampoline_kernelINS0_14default_configENS1_38merge_sort_block_merge_config_selectorIiNS0_10empty_typeEEEZZNS1_27merge_sort_block_merge_implIS3_N6thrust23THRUST_200600_302600_NS6detail15normal_iteratorINS9_10device_ptrIiEEEEPS5_jNS1_19radix_merge_compareILb0ELb1EiNS0_19identity_decomposerEEEEE10hipError_tT0_T1_T2_jT3_P12ihipStream_tbPNSt15iterator_traitsISK_E10value_typeEPNSQ_ISL_E10value_typeEPSM_NS1_7vsmem_tEENKUlT_SK_SL_SM_E_clIPiSE_SF_SF_EESJ_SZ_SK_SL_SM_EUlSZ_E_NS1_11comp_targetILNS1_3genE8ELNS1_11target_archE1030ELNS1_3gpuE2ELNS1_3repE0EEENS1_48merge_mergepath_partition_config_static_selectorELNS0_4arch9wavefront6targetE0EEEvSL_
	.p2align	8
	.type	_ZN7rocprim17ROCPRIM_400000_NS6detail17trampoline_kernelINS0_14default_configENS1_38merge_sort_block_merge_config_selectorIiNS0_10empty_typeEEEZZNS1_27merge_sort_block_merge_implIS3_N6thrust23THRUST_200600_302600_NS6detail15normal_iteratorINS9_10device_ptrIiEEEEPS5_jNS1_19radix_merge_compareILb0ELb1EiNS0_19identity_decomposerEEEEE10hipError_tT0_T1_T2_jT3_P12ihipStream_tbPNSt15iterator_traitsISK_E10value_typeEPNSQ_ISL_E10value_typeEPSM_NS1_7vsmem_tEENKUlT_SK_SL_SM_E_clIPiSE_SF_SF_EESJ_SZ_SK_SL_SM_EUlSZ_E_NS1_11comp_targetILNS1_3genE8ELNS1_11target_archE1030ELNS1_3gpuE2ELNS1_3repE0EEENS1_48merge_mergepath_partition_config_static_selectorELNS0_4arch9wavefront6targetE0EEEvSL_,@function
_ZN7rocprim17ROCPRIM_400000_NS6detail17trampoline_kernelINS0_14default_configENS1_38merge_sort_block_merge_config_selectorIiNS0_10empty_typeEEEZZNS1_27merge_sort_block_merge_implIS3_N6thrust23THRUST_200600_302600_NS6detail15normal_iteratorINS9_10device_ptrIiEEEEPS5_jNS1_19radix_merge_compareILb0ELb1EiNS0_19identity_decomposerEEEEE10hipError_tT0_T1_T2_jT3_P12ihipStream_tbPNSt15iterator_traitsISK_E10value_typeEPNSQ_ISL_E10value_typeEPSM_NS1_7vsmem_tEENKUlT_SK_SL_SM_E_clIPiSE_SF_SF_EESJ_SZ_SK_SL_SM_EUlSZ_E_NS1_11comp_targetILNS1_3genE8ELNS1_11target_archE1030ELNS1_3gpuE2ELNS1_3repE0EEENS1_48merge_mergepath_partition_config_static_selectorELNS0_4arch9wavefront6targetE0EEEvSL_: ; @_ZN7rocprim17ROCPRIM_400000_NS6detail17trampoline_kernelINS0_14default_configENS1_38merge_sort_block_merge_config_selectorIiNS0_10empty_typeEEEZZNS1_27merge_sort_block_merge_implIS3_N6thrust23THRUST_200600_302600_NS6detail15normal_iteratorINS9_10device_ptrIiEEEEPS5_jNS1_19radix_merge_compareILb0ELb1EiNS0_19identity_decomposerEEEEE10hipError_tT0_T1_T2_jT3_P12ihipStream_tbPNSt15iterator_traitsISK_E10value_typeEPNSQ_ISL_E10value_typeEPSM_NS1_7vsmem_tEENKUlT_SK_SL_SM_E_clIPiSE_SF_SF_EESJ_SZ_SK_SL_SM_EUlSZ_E_NS1_11comp_targetILNS1_3genE8ELNS1_11target_archE1030ELNS1_3gpuE2ELNS1_3repE0EEENS1_48merge_mergepath_partition_config_static_selectorELNS0_4arch9wavefront6targetE0EEEvSL_
; %bb.0:
	s_load_dword s0, s[4:5], 0x0
	v_lshl_or_b32 v0, s6, 7, v0
	s_waitcnt lgkmcnt(0)
	v_cmp_gt_u32_e32 vcc_lo, s0, v0
	s_and_saveexec_b32 s0, vcc_lo
	s_cbranch_execz .LBB91_6
; %bb.1:
	s_load_dwordx2 s[0:1], s[4:5], 0x4
	s_waitcnt lgkmcnt(0)
	s_lshr_b32 s2, s0, 9
	s_and_b32 s2, s2, 0x7ffffe
	s_sub_i32 s3, 0, s2
	s_add_i32 s2, s2, -1
	v_and_b32_e32 v1, s3, v0
	v_and_b32_e32 v5, s2, v0
	s_mov_b32 s3, 0
	s_mov_b32 s2, exec_lo
	v_lshlrev_b32_e32 v1, 10, v1
	v_add_nc_u32_e32 v2, s0, v1
	v_min_u32_e32 v4, s1, v2
	v_min_u32_e32 v2, s1, v1
	v_add_nc_u32_e32 v3, s0, v4
	v_min_u32_e32 v1, s1, v3
	s_load_dwordx2 s[0:1], s[4:5], 0x20
	v_lshlrev_b32_e32 v3, 10, v5
	v_sub_nc_u32_e32 v5, v1, v2
	v_sub_nc_u32_e32 v6, v1, v4
	v_min_u32_e32 v1, v5, v3
	v_sub_nc_u32_e32 v3, v4, v2
	v_sub_nc_u32_e64 v6, v1, v6 clamp
	v_min_u32_e32 v7, v1, v3
	v_cmpx_lt_u32_e64 v6, v7
	s_cbranch_execz .LBB91_5
; %bb.2:
	s_load_dwordx2 s[6:7], s[4:5], 0x10
	v_mov_b32_e32 v5, 0
	s_load_dword s4, s[4:5], 0x18
	v_mov_b32_e32 v3, v5
	v_lshlrev_b64 v[10:11], 2, v[4:5]
	v_lshlrev_b64 v[8:9], 2, v[2:3]
	s_waitcnt lgkmcnt(0)
	v_add_co_u32 v3, vcc_lo, s6, v8
	v_add_co_ci_u32_e64 v8, null, s7, v9, vcc_lo
	v_add_co_u32 v9, vcc_lo, s6, v10
	v_add_co_ci_u32_e64 v10, null, s7, v11, vcc_lo
	.p2align	6
.LBB91_3:                               ; =>This Inner Loop Header: Depth=1
	v_add_nc_u32_e32 v4, v7, v6
	v_mov_b32_e32 v12, v5
	v_lshrrev_b32_e32 v4, 1, v4
	v_xad_u32 v11, v4, -1, v1
	v_lshlrev_b64 v[13:14], 2, v[4:5]
	v_lshlrev_b64 v[11:12], 2, v[11:12]
	v_add_co_u32 v13, vcc_lo, v3, v13
	v_add_co_ci_u32_e64 v14, null, v8, v14, vcc_lo
	v_add_co_u32 v11, vcc_lo, v9, v11
	v_add_co_ci_u32_e64 v12, null, v10, v12, vcc_lo
	s_clause 0x1
	global_load_dword v13, v[13:14], off
	global_load_dword v11, v[11:12], off
	s_waitcnt vmcnt(1)
	v_and_b32_e32 v12, s4, v13
	s_waitcnt vmcnt(0)
	v_and_b32_e32 v11, s4, v11
	v_add_nc_u32_e32 v13, 1, v4
	v_cmp_gt_i32_e32 vcc_lo, v12, v11
	v_cndmask_b32_e32 v7, v7, v4, vcc_lo
	v_cndmask_b32_e32 v6, v13, v6, vcc_lo
	v_cmp_ge_u32_e32 vcc_lo, v6, v7
	s_or_b32 s3, vcc_lo, s3
	s_andn2_b32 exec_lo, exec_lo, s3
	s_cbranch_execnz .LBB91_3
; %bb.4:
	s_or_b32 exec_lo, exec_lo, s3
.LBB91_5:
	s_or_b32 exec_lo, exec_lo, s2
	v_mov_b32_e32 v1, 0
	v_add_nc_u32_e32 v2, v6, v2
	v_lshlrev_b64 v[0:1], 2, v[0:1]
	s_waitcnt lgkmcnt(0)
	v_add_co_u32 v0, vcc_lo, s0, v0
	v_add_co_ci_u32_e64 v1, null, s1, v1, vcc_lo
	global_store_dword v[0:1], v2, off
.LBB91_6:
	s_endpgm
	.section	.rodata,"a",@progbits
	.p2align	6, 0x0
	.amdhsa_kernel _ZN7rocprim17ROCPRIM_400000_NS6detail17trampoline_kernelINS0_14default_configENS1_38merge_sort_block_merge_config_selectorIiNS0_10empty_typeEEEZZNS1_27merge_sort_block_merge_implIS3_N6thrust23THRUST_200600_302600_NS6detail15normal_iteratorINS9_10device_ptrIiEEEEPS5_jNS1_19radix_merge_compareILb0ELb1EiNS0_19identity_decomposerEEEEE10hipError_tT0_T1_T2_jT3_P12ihipStream_tbPNSt15iterator_traitsISK_E10value_typeEPNSQ_ISL_E10value_typeEPSM_NS1_7vsmem_tEENKUlT_SK_SL_SM_E_clIPiSE_SF_SF_EESJ_SZ_SK_SL_SM_EUlSZ_E_NS1_11comp_targetILNS1_3genE8ELNS1_11target_archE1030ELNS1_3gpuE2ELNS1_3repE0EEENS1_48merge_mergepath_partition_config_static_selectorELNS0_4arch9wavefront6targetE0EEEvSL_
		.amdhsa_group_segment_fixed_size 0
		.amdhsa_private_segment_fixed_size 0
		.amdhsa_kernarg_size 40
		.amdhsa_user_sgpr_count 6
		.amdhsa_user_sgpr_private_segment_buffer 1
		.amdhsa_user_sgpr_dispatch_ptr 0
		.amdhsa_user_sgpr_queue_ptr 0
		.amdhsa_user_sgpr_kernarg_segment_ptr 1
		.amdhsa_user_sgpr_dispatch_id 0
		.amdhsa_user_sgpr_flat_scratch_init 0
		.amdhsa_user_sgpr_private_segment_size 0
		.amdhsa_wavefront_size32 1
		.amdhsa_uses_dynamic_stack 0
		.amdhsa_system_sgpr_private_segment_wavefront_offset 0
		.amdhsa_system_sgpr_workgroup_id_x 1
		.amdhsa_system_sgpr_workgroup_id_y 0
		.amdhsa_system_sgpr_workgroup_id_z 0
		.amdhsa_system_sgpr_workgroup_info 0
		.amdhsa_system_vgpr_workitem_id 0
		.amdhsa_next_free_vgpr 15
		.amdhsa_next_free_sgpr 8
		.amdhsa_reserve_vcc 1
		.amdhsa_reserve_flat_scratch 0
		.amdhsa_float_round_mode_32 0
		.amdhsa_float_round_mode_16_64 0
		.amdhsa_float_denorm_mode_32 3
		.amdhsa_float_denorm_mode_16_64 3
		.amdhsa_dx10_clamp 1
		.amdhsa_ieee_mode 1
		.amdhsa_fp16_overflow 0
		.amdhsa_workgroup_processor_mode 1
		.amdhsa_memory_ordered 1
		.amdhsa_forward_progress 1
		.amdhsa_shared_vgpr_count 0
		.amdhsa_exception_fp_ieee_invalid_op 0
		.amdhsa_exception_fp_denorm_src 0
		.amdhsa_exception_fp_ieee_div_zero 0
		.amdhsa_exception_fp_ieee_overflow 0
		.amdhsa_exception_fp_ieee_underflow 0
		.amdhsa_exception_fp_ieee_inexact 0
		.amdhsa_exception_int_div_zero 0
	.end_amdhsa_kernel
	.section	.text._ZN7rocprim17ROCPRIM_400000_NS6detail17trampoline_kernelINS0_14default_configENS1_38merge_sort_block_merge_config_selectorIiNS0_10empty_typeEEEZZNS1_27merge_sort_block_merge_implIS3_N6thrust23THRUST_200600_302600_NS6detail15normal_iteratorINS9_10device_ptrIiEEEEPS5_jNS1_19radix_merge_compareILb0ELb1EiNS0_19identity_decomposerEEEEE10hipError_tT0_T1_T2_jT3_P12ihipStream_tbPNSt15iterator_traitsISK_E10value_typeEPNSQ_ISL_E10value_typeEPSM_NS1_7vsmem_tEENKUlT_SK_SL_SM_E_clIPiSE_SF_SF_EESJ_SZ_SK_SL_SM_EUlSZ_E_NS1_11comp_targetILNS1_3genE8ELNS1_11target_archE1030ELNS1_3gpuE2ELNS1_3repE0EEENS1_48merge_mergepath_partition_config_static_selectorELNS0_4arch9wavefront6targetE0EEEvSL_,"axG",@progbits,_ZN7rocprim17ROCPRIM_400000_NS6detail17trampoline_kernelINS0_14default_configENS1_38merge_sort_block_merge_config_selectorIiNS0_10empty_typeEEEZZNS1_27merge_sort_block_merge_implIS3_N6thrust23THRUST_200600_302600_NS6detail15normal_iteratorINS9_10device_ptrIiEEEEPS5_jNS1_19radix_merge_compareILb0ELb1EiNS0_19identity_decomposerEEEEE10hipError_tT0_T1_T2_jT3_P12ihipStream_tbPNSt15iterator_traitsISK_E10value_typeEPNSQ_ISL_E10value_typeEPSM_NS1_7vsmem_tEENKUlT_SK_SL_SM_E_clIPiSE_SF_SF_EESJ_SZ_SK_SL_SM_EUlSZ_E_NS1_11comp_targetILNS1_3genE8ELNS1_11target_archE1030ELNS1_3gpuE2ELNS1_3repE0EEENS1_48merge_mergepath_partition_config_static_selectorELNS0_4arch9wavefront6targetE0EEEvSL_,comdat
.Lfunc_end91:
	.size	_ZN7rocprim17ROCPRIM_400000_NS6detail17trampoline_kernelINS0_14default_configENS1_38merge_sort_block_merge_config_selectorIiNS0_10empty_typeEEEZZNS1_27merge_sort_block_merge_implIS3_N6thrust23THRUST_200600_302600_NS6detail15normal_iteratorINS9_10device_ptrIiEEEEPS5_jNS1_19radix_merge_compareILb0ELb1EiNS0_19identity_decomposerEEEEE10hipError_tT0_T1_T2_jT3_P12ihipStream_tbPNSt15iterator_traitsISK_E10value_typeEPNSQ_ISL_E10value_typeEPSM_NS1_7vsmem_tEENKUlT_SK_SL_SM_E_clIPiSE_SF_SF_EESJ_SZ_SK_SL_SM_EUlSZ_E_NS1_11comp_targetILNS1_3genE8ELNS1_11target_archE1030ELNS1_3gpuE2ELNS1_3repE0EEENS1_48merge_mergepath_partition_config_static_selectorELNS0_4arch9wavefront6targetE0EEEvSL_, .Lfunc_end91-_ZN7rocprim17ROCPRIM_400000_NS6detail17trampoline_kernelINS0_14default_configENS1_38merge_sort_block_merge_config_selectorIiNS0_10empty_typeEEEZZNS1_27merge_sort_block_merge_implIS3_N6thrust23THRUST_200600_302600_NS6detail15normal_iteratorINS9_10device_ptrIiEEEEPS5_jNS1_19radix_merge_compareILb0ELb1EiNS0_19identity_decomposerEEEEE10hipError_tT0_T1_T2_jT3_P12ihipStream_tbPNSt15iterator_traitsISK_E10value_typeEPNSQ_ISL_E10value_typeEPSM_NS1_7vsmem_tEENKUlT_SK_SL_SM_E_clIPiSE_SF_SF_EESJ_SZ_SK_SL_SM_EUlSZ_E_NS1_11comp_targetILNS1_3genE8ELNS1_11target_archE1030ELNS1_3gpuE2ELNS1_3repE0EEENS1_48merge_mergepath_partition_config_static_selectorELNS0_4arch9wavefront6targetE0EEEvSL_
                                        ; -- End function
	.set _ZN7rocprim17ROCPRIM_400000_NS6detail17trampoline_kernelINS0_14default_configENS1_38merge_sort_block_merge_config_selectorIiNS0_10empty_typeEEEZZNS1_27merge_sort_block_merge_implIS3_N6thrust23THRUST_200600_302600_NS6detail15normal_iteratorINS9_10device_ptrIiEEEEPS5_jNS1_19radix_merge_compareILb0ELb1EiNS0_19identity_decomposerEEEEE10hipError_tT0_T1_T2_jT3_P12ihipStream_tbPNSt15iterator_traitsISK_E10value_typeEPNSQ_ISL_E10value_typeEPSM_NS1_7vsmem_tEENKUlT_SK_SL_SM_E_clIPiSE_SF_SF_EESJ_SZ_SK_SL_SM_EUlSZ_E_NS1_11comp_targetILNS1_3genE8ELNS1_11target_archE1030ELNS1_3gpuE2ELNS1_3repE0EEENS1_48merge_mergepath_partition_config_static_selectorELNS0_4arch9wavefront6targetE0EEEvSL_.num_vgpr, 15
	.set _ZN7rocprim17ROCPRIM_400000_NS6detail17trampoline_kernelINS0_14default_configENS1_38merge_sort_block_merge_config_selectorIiNS0_10empty_typeEEEZZNS1_27merge_sort_block_merge_implIS3_N6thrust23THRUST_200600_302600_NS6detail15normal_iteratorINS9_10device_ptrIiEEEEPS5_jNS1_19radix_merge_compareILb0ELb1EiNS0_19identity_decomposerEEEEE10hipError_tT0_T1_T2_jT3_P12ihipStream_tbPNSt15iterator_traitsISK_E10value_typeEPNSQ_ISL_E10value_typeEPSM_NS1_7vsmem_tEENKUlT_SK_SL_SM_E_clIPiSE_SF_SF_EESJ_SZ_SK_SL_SM_EUlSZ_E_NS1_11comp_targetILNS1_3genE8ELNS1_11target_archE1030ELNS1_3gpuE2ELNS1_3repE0EEENS1_48merge_mergepath_partition_config_static_selectorELNS0_4arch9wavefront6targetE0EEEvSL_.num_agpr, 0
	.set _ZN7rocprim17ROCPRIM_400000_NS6detail17trampoline_kernelINS0_14default_configENS1_38merge_sort_block_merge_config_selectorIiNS0_10empty_typeEEEZZNS1_27merge_sort_block_merge_implIS3_N6thrust23THRUST_200600_302600_NS6detail15normal_iteratorINS9_10device_ptrIiEEEEPS5_jNS1_19radix_merge_compareILb0ELb1EiNS0_19identity_decomposerEEEEE10hipError_tT0_T1_T2_jT3_P12ihipStream_tbPNSt15iterator_traitsISK_E10value_typeEPNSQ_ISL_E10value_typeEPSM_NS1_7vsmem_tEENKUlT_SK_SL_SM_E_clIPiSE_SF_SF_EESJ_SZ_SK_SL_SM_EUlSZ_E_NS1_11comp_targetILNS1_3genE8ELNS1_11target_archE1030ELNS1_3gpuE2ELNS1_3repE0EEENS1_48merge_mergepath_partition_config_static_selectorELNS0_4arch9wavefront6targetE0EEEvSL_.numbered_sgpr, 8
	.set _ZN7rocprim17ROCPRIM_400000_NS6detail17trampoline_kernelINS0_14default_configENS1_38merge_sort_block_merge_config_selectorIiNS0_10empty_typeEEEZZNS1_27merge_sort_block_merge_implIS3_N6thrust23THRUST_200600_302600_NS6detail15normal_iteratorINS9_10device_ptrIiEEEEPS5_jNS1_19radix_merge_compareILb0ELb1EiNS0_19identity_decomposerEEEEE10hipError_tT0_T1_T2_jT3_P12ihipStream_tbPNSt15iterator_traitsISK_E10value_typeEPNSQ_ISL_E10value_typeEPSM_NS1_7vsmem_tEENKUlT_SK_SL_SM_E_clIPiSE_SF_SF_EESJ_SZ_SK_SL_SM_EUlSZ_E_NS1_11comp_targetILNS1_3genE8ELNS1_11target_archE1030ELNS1_3gpuE2ELNS1_3repE0EEENS1_48merge_mergepath_partition_config_static_selectorELNS0_4arch9wavefront6targetE0EEEvSL_.num_named_barrier, 0
	.set _ZN7rocprim17ROCPRIM_400000_NS6detail17trampoline_kernelINS0_14default_configENS1_38merge_sort_block_merge_config_selectorIiNS0_10empty_typeEEEZZNS1_27merge_sort_block_merge_implIS3_N6thrust23THRUST_200600_302600_NS6detail15normal_iteratorINS9_10device_ptrIiEEEEPS5_jNS1_19radix_merge_compareILb0ELb1EiNS0_19identity_decomposerEEEEE10hipError_tT0_T1_T2_jT3_P12ihipStream_tbPNSt15iterator_traitsISK_E10value_typeEPNSQ_ISL_E10value_typeEPSM_NS1_7vsmem_tEENKUlT_SK_SL_SM_E_clIPiSE_SF_SF_EESJ_SZ_SK_SL_SM_EUlSZ_E_NS1_11comp_targetILNS1_3genE8ELNS1_11target_archE1030ELNS1_3gpuE2ELNS1_3repE0EEENS1_48merge_mergepath_partition_config_static_selectorELNS0_4arch9wavefront6targetE0EEEvSL_.private_seg_size, 0
	.set _ZN7rocprim17ROCPRIM_400000_NS6detail17trampoline_kernelINS0_14default_configENS1_38merge_sort_block_merge_config_selectorIiNS0_10empty_typeEEEZZNS1_27merge_sort_block_merge_implIS3_N6thrust23THRUST_200600_302600_NS6detail15normal_iteratorINS9_10device_ptrIiEEEEPS5_jNS1_19radix_merge_compareILb0ELb1EiNS0_19identity_decomposerEEEEE10hipError_tT0_T1_T2_jT3_P12ihipStream_tbPNSt15iterator_traitsISK_E10value_typeEPNSQ_ISL_E10value_typeEPSM_NS1_7vsmem_tEENKUlT_SK_SL_SM_E_clIPiSE_SF_SF_EESJ_SZ_SK_SL_SM_EUlSZ_E_NS1_11comp_targetILNS1_3genE8ELNS1_11target_archE1030ELNS1_3gpuE2ELNS1_3repE0EEENS1_48merge_mergepath_partition_config_static_selectorELNS0_4arch9wavefront6targetE0EEEvSL_.uses_vcc, 1
	.set _ZN7rocprim17ROCPRIM_400000_NS6detail17trampoline_kernelINS0_14default_configENS1_38merge_sort_block_merge_config_selectorIiNS0_10empty_typeEEEZZNS1_27merge_sort_block_merge_implIS3_N6thrust23THRUST_200600_302600_NS6detail15normal_iteratorINS9_10device_ptrIiEEEEPS5_jNS1_19radix_merge_compareILb0ELb1EiNS0_19identity_decomposerEEEEE10hipError_tT0_T1_T2_jT3_P12ihipStream_tbPNSt15iterator_traitsISK_E10value_typeEPNSQ_ISL_E10value_typeEPSM_NS1_7vsmem_tEENKUlT_SK_SL_SM_E_clIPiSE_SF_SF_EESJ_SZ_SK_SL_SM_EUlSZ_E_NS1_11comp_targetILNS1_3genE8ELNS1_11target_archE1030ELNS1_3gpuE2ELNS1_3repE0EEENS1_48merge_mergepath_partition_config_static_selectorELNS0_4arch9wavefront6targetE0EEEvSL_.uses_flat_scratch, 0
	.set _ZN7rocprim17ROCPRIM_400000_NS6detail17trampoline_kernelINS0_14default_configENS1_38merge_sort_block_merge_config_selectorIiNS0_10empty_typeEEEZZNS1_27merge_sort_block_merge_implIS3_N6thrust23THRUST_200600_302600_NS6detail15normal_iteratorINS9_10device_ptrIiEEEEPS5_jNS1_19radix_merge_compareILb0ELb1EiNS0_19identity_decomposerEEEEE10hipError_tT0_T1_T2_jT3_P12ihipStream_tbPNSt15iterator_traitsISK_E10value_typeEPNSQ_ISL_E10value_typeEPSM_NS1_7vsmem_tEENKUlT_SK_SL_SM_E_clIPiSE_SF_SF_EESJ_SZ_SK_SL_SM_EUlSZ_E_NS1_11comp_targetILNS1_3genE8ELNS1_11target_archE1030ELNS1_3gpuE2ELNS1_3repE0EEENS1_48merge_mergepath_partition_config_static_selectorELNS0_4arch9wavefront6targetE0EEEvSL_.has_dyn_sized_stack, 0
	.set _ZN7rocprim17ROCPRIM_400000_NS6detail17trampoline_kernelINS0_14default_configENS1_38merge_sort_block_merge_config_selectorIiNS0_10empty_typeEEEZZNS1_27merge_sort_block_merge_implIS3_N6thrust23THRUST_200600_302600_NS6detail15normal_iteratorINS9_10device_ptrIiEEEEPS5_jNS1_19radix_merge_compareILb0ELb1EiNS0_19identity_decomposerEEEEE10hipError_tT0_T1_T2_jT3_P12ihipStream_tbPNSt15iterator_traitsISK_E10value_typeEPNSQ_ISL_E10value_typeEPSM_NS1_7vsmem_tEENKUlT_SK_SL_SM_E_clIPiSE_SF_SF_EESJ_SZ_SK_SL_SM_EUlSZ_E_NS1_11comp_targetILNS1_3genE8ELNS1_11target_archE1030ELNS1_3gpuE2ELNS1_3repE0EEENS1_48merge_mergepath_partition_config_static_selectorELNS0_4arch9wavefront6targetE0EEEvSL_.has_recursion, 0
	.set _ZN7rocprim17ROCPRIM_400000_NS6detail17trampoline_kernelINS0_14default_configENS1_38merge_sort_block_merge_config_selectorIiNS0_10empty_typeEEEZZNS1_27merge_sort_block_merge_implIS3_N6thrust23THRUST_200600_302600_NS6detail15normal_iteratorINS9_10device_ptrIiEEEEPS5_jNS1_19radix_merge_compareILb0ELb1EiNS0_19identity_decomposerEEEEE10hipError_tT0_T1_T2_jT3_P12ihipStream_tbPNSt15iterator_traitsISK_E10value_typeEPNSQ_ISL_E10value_typeEPSM_NS1_7vsmem_tEENKUlT_SK_SL_SM_E_clIPiSE_SF_SF_EESJ_SZ_SK_SL_SM_EUlSZ_E_NS1_11comp_targetILNS1_3genE8ELNS1_11target_archE1030ELNS1_3gpuE2ELNS1_3repE0EEENS1_48merge_mergepath_partition_config_static_selectorELNS0_4arch9wavefront6targetE0EEEvSL_.has_indirect_call, 0
	.section	.AMDGPU.csdata,"",@progbits
; Kernel info:
; codeLenInByte = 448
; TotalNumSgprs: 10
; NumVgprs: 15
; ScratchSize: 0
; MemoryBound: 0
; FloatMode: 240
; IeeeMode: 1
; LDSByteSize: 0 bytes/workgroup (compile time only)
; SGPRBlocks: 0
; VGPRBlocks: 1
; NumSGPRsForWavesPerEU: 10
; NumVGPRsForWavesPerEU: 15
; Occupancy: 16
; WaveLimiterHint : 0
; COMPUTE_PGM_RSRC2:SCRATCH_EN: 0
; COMPUTE_PGM_RSRC2:USER_SGPR: 6
; COMPUTE_PGM_RSRC2:TRAP_HANDLER: 0
; COMPUTE_PGM_RSRC2:TGID_X_EN: 1
; COMPUTE_PGM_RSRC2:TGID_Y_EN: 0
; COMPUTE_PGM_RSRC2:TGID_Z_EN: 0
; COMPUTE_PGM_RSRC2:TIDIG_COMP_CNT: 0
	.section	.text._ZN7rocprim17ROCPRIM_400000_NS6detail17trampoline_kernelINS0_14default_configENS1_38merge_sort_block_merge_config_selectorIiNS0_10empty_typeEEEZZNS1_27merge_sort_block_merge_implIS3_N6thrust23THRUST_200600_302600_NS6detail15normal_iteratorINS9_10device_ptrIiEEEEPS5_jNS1_19radix_merge_compareILb0ELb1EiNS0_19identity_decomposerEEEEE10hipError_tT0_T1_T2_jT3_P12ihipStream_tbPNSt15iterator_traitsISK_E10value_typeEPNSQ_ISL_E10value_typeEPSM_NS1_7vsmem_tEENKUlT_SK_SL_SM_E_clIPiSE_SF_SF_EESJ_SZ_SK_SL_SM_EUlSZ_E0_NS1_11comp_targetILNS1_3genE0ELNS1_11target_archE4294967295ELNS1_3gpuE0ELNS1_3repE0EEENS1_38merge_mergepath_config_static_selectorELNS0_4arch9wavefront6targetE0EEEvSL_,"axG",@progbits,_ZN7rocprim17ROCPRIM_400000_NS6detail17trampoline_kernelINS0_14default_configENS1_38merge_sort_block_merge_config_selectorIiNS0_10empty_typeEEEZZNS1_27merge_sort_block_merge_implIS3_N6thrust23THRUST_200600_302600_NS6detail15normal_iteratorINS9_10device_ptrIiEEEEPS5_jNS1_19radix_merge_compareILb0ELb1EiNS0_19identity_decomposerEEEEE10hipError_tT0_T1_T2_jT3_P12ihipStream_tbPNSt15iterator_traitsISK_E10value_typeEPNSQ_ISL_E10value_typeEPSM_NS1_7vsmem_tEENKUlT_SK_SL_SM_E_clIPiSE_SF_SF_EESJ_SZ_SK_SL_SM_EUlSZ_E0_NS1_11comp_targetILNS1_3genE0ELNS1_11target_archE4294967295ELNS1_3gpuE0ELNS1_3repE0EEENS1_38merge_mergepath_config_static_selectorELNS0_4arch9wavefront6targetE0EEEvSL_,comdat
	.protected	_ZN7rocprim17ROCPRIM_400000_NS6detail17trampoline_kernelINS0_14default_configENS1_38merge_sort_block_merge_config_selectorIiNS0_10empty_typeEEEZZNS1_27merge_sort_block_merge_implIS3_N6thrust23THRUST_200600_302600_NS6detail15normal_iteratorINS9_10device_ptrIiEEEEPS5_jNS1_19radix_merge_compareILb0ELb1EiNS0_19identity_decomposerEEEEE10hipError_tT0_T1_T2_jT3_P12ihipStream_tbPNSt15iterator_traitsISK_E10value_typeEPNSQ_ISL_E10value_typeEPSM_NS1_7vsmem_tEENKUlT_SK_SL_SM_E_clIPiSE_SF_SF_EESJ_SZ_SK_SL_SM_EUlSZ_E0_NS1_11comp_targetILNS1_3genE0ELNS1_11target_archE4294967295ELNS1_3gpuE0ELNS1_3repE0EEENS1_38merge_mergepath_config_static_selectorELNS0_4arch9wavefront6targetE0EEEvSL_ ; -- Begin function _ZN7rocprim17ROCPRIM_400000_NS6detail17trampoline_kernelINS0_14default_configENS1_38merge_sort_block_merge_config_selectorIiNS0_10empty_typeEEEZZNS1_27merge_sort_block_merge_implIS3_N6thrust23THRUST_200600_302600_NS6detail15normal_iteratorINS9_10device_ptrIiEEEEPS5_jNS1_19radix_merge_compareILb0ELb1EiNS0_19identity_decomposerEEEEE10hipError_tT0_T1_T2_jT3_P12ihipStream_tbPNSt15iterator_traitsISK_E10value_typeEPNSQ_ISL_E10value_typeEPSM_NS1_7vsmem_tEENKUlT_SK_SL_SM_E_clIPiSE_SF_SF_EESJ_SZ_SK_SL_SM_EUlSZ_E0_NS1_11comp_targetILNS1_3genE0ELNS1_11target_archE4294967295ELNS1_3gpuE0ELNS1_3repE0EEENS1_38merge_mergepath_config_static_selectorELNS0_4arch9wavefront6targetE0EEEvSL_
	.globl	_ZN7rocprim17ROCPRIM_400000_NS6detail17trampoline_kernelINS0_14default_configENS1_38merge_sort_block_merge_config_selectorIiNS0_10empty_typeEEEZZNS1_27merge_sort_block_merge_implIS3_N6thrust23THRUST_200600_302600_NS6detail15normal_iteratorINS9_10device_ptrIiEEEEPS5_jNS1_19radix_merge_compareILb0ELb1EiNS0_19identity_decomposerEEEEE10hipError_tT0_T1_T2_jT3_P12ihipStream_tbPNSt15iterator_traitsISK_E10value_typeEPNSQ_ISL_E10value_typeEPSM_NS1_7vsmem_tEENKUlT_SK_SL_SM_E_clIPiSE_SF_SF_EESJ_SZ_SK_SL_SM_EUlSZ_E0_NS1_11comp_targetILNS1_3genE0ELNS1_11target_archE4294967295ELNS1_3gpuE0ELNS1_3repE0EEENS1_38merge_mergepath_config_static_selectorELNS0_4arch9wavefront6targetE0EEEvSL_
	.p2align	8
	.type	_ZN7rocprim17ROCPRIM_400000_NS6detail17trampoline_kernelINS0_14default_configENS1_38merge_sort_block_merge_config_selectorIiNS0_10empty_typeEEEZZNS1_27merge_sort_block_merge_implIS3_N6thrust23THRUST_200600_302600_NS6detail15normal_iteratorINS9_10device_ptrIiEEEEPS5_jNS1_19radix_merge_compareILb0ELb1EiNS0_19identity_decomposerEEEEE10hipError_tT0_T1_T2_jT3_P12ihipStream_tbPNSt15iterator_traitsISK_E10value_typeEPNSQ_ISL_E10value_typeEPSM_NS1_7vsmem_tEENKUlT_SK_SL_SM_E_clIPiSE_SF_SF_EESJ_SZ_SK_SL_SM_EUlSZ_E0_NS1_11comp_targetILNS1_3genE0ELNS1_11target_archE4294967295ELNS1_3gpuE0ELNS1_3repE0EEENS1_38merge_mergepath_config_static_selectorELNS0_4arch9wavefront6targetE0EEEvSL_,@function
_ZN7rocprim17ROCPRIM_400000_NS6detail17trampoline_kernelINS0_14default_configENS1_38merge_sort_block_merge_config_selectorIiNS0_10empty_typeEEEZZNS1_27merge_sort_block_merge_implIS3_N6thrust23THRUST_200600_302600_NS6detail15normal_iteratorINS9_10device_ptrIiEEEEPS5_jNS1_19radix_merge_compareILb0ELb1EiNS0_19identity_decomposerEEEEE10hipError_tT0_T1_T2_jT3_P12ihipStream_tbPNSt15iterator_traitsISK_E10value_typeEPNSQ_ISL_E10value_typeEPSM_NS1_7vsmem_tEENKUlT_SK_SL_SM_E_clIPiSE_SF_SF_EESJ_SZ_SK_SL_SM_EUlSZ_E0_NS1_11comp_targetILNS1_3genE0ELNS1_11target_archE4294967295ELNS1_3gpuE0ELNS1_3repE0EEENS1_38merge_mergepath_config_static_selectorELNS0_4arch9wavefront6targetE0EEEvSL_: ; @_ZN7rocprim17ROCPRIM_400000_NS6detail17trampoline_kernelINS0_14default_configENS1_38merge_sort_block_merge_config_selectorIiNS0_10empty_typeEEEZZNS1_27merge_sort_block_merge_implIS3_N6thrust23THRUST_200600_302600_NS6detail15normal_iteratorINS9_10device_ptrIiEEEEPS5_jNS1_19radix_merge_compareILb0ELb1EiNS0_19identity_decomposerEEEEE10hipError_tT0_T1_T2_jT3_P12ihipStream_tbPNSt15iterator_traitsISK_E10value_typeEPNSQ_ISL_E10value_typeEPSM_NS1_7vsmem_tEENKUlT_SK_SL_SM_E_clIPiSE_SF_SF_EESJ_SZ_SK_SL_SM_EUlSZ_E0_NS1_11comp_targetILNS1_3genE0ELNS1_11target_archE4294967295ELNS1_3gpuE0ELNS1_3repE0EEENS1_38merge_mergepath_config_static_selectorELNS0_4arch9wavefront6targetE0EEEvSL_
; %bb.0:
	.section	.rodata,"a",@progbits
	.p2align	6, 0x0
	.amdhsa_kernel _ZN7rocprim17ROCPRIM_400000_NS6detail17trampoline_kernelINS0_14default_configENS1_38merge_sort_block_merge_config_selectorIiNS0_10empty_typeEEEZZNS1_27merge_sort_block_merge_implIS3_N6thrust23THRUST_200600_302600_NS6detail15normal_iteratorINS9_10device_ptrIiEEEEPS5_jNS1_19radix_merge_compareILb0ELb1EiNS0_19identity_decomposerEEEEE10hipError_tT0_T1_T2_jT3_P12ihipStream_tbPNSt15iterator_traitsISK_E10value_typeEPNSQ_ISL_E10value_typeEPSM_NS1_7vsmem_tEENKUlT_SK_SL_SM_E_clIPiSE_SF_SF_EESJ_SZ_SK_SL_SM_EUlSZ_E0_NS1_11comp_targetILNS1_3genE0ELNS1_11target_archE4294967295ELNS1_3gpuE0ELNS1_3repE0EEENS1_38merge_mergepath_config_static_selectorELNS0_4arch9wavefront6targetE0EEEvSL_
		.amdhsa_group_segment_fixed_size 0
		.amdhsa_private_segment_fixed_size 0
		.amdhsa_kernarg_size 64
		.amdhsa_user_sgpr_count 6
		.amdhsa_user_sgpr_private_segment_buffer 1
		.amdhsa_user_sgpr_dispatch_ptr 0
		.amdhsa_user_sgpr_queue_ptr 0
		.amdhsa_user_sgpr_kernarg_segment_ptr 1
		.amdhsa_user_sgpr_dispatch_id 0
		.amdhsa_user_sgpr_flat_scratch_init 0
		.amdhsa_user_sgpr_private_segment_size 0
		.amdhsa_wavefront_size32 1
		.amdhsa_uses_dynamic_stack 0
		.amdhsa_system_sgpr_private_segment_wavefront_offset 0
		.amdhsa_system_sgpr_workgroup_id_x 1
		.amdhsa_system_sgpr_workgroup_id_y 0
		.amdhsa_system_sgpr_workgroup_id_z 0
		.amdhsa_system_sgpr_workgroup_info 0
		.amdhsa_system_vgpr_workitem_id 0
		.amdhsa_next_free_vgpr 1
		.amdhsa_next_free_sgpr 1
		.amdhsa_reserve_vcc 0
		.amdhsa_reserve_flat_scratch 0
		.amdhsa_float_round_mode_32 0
		.amdhsa_float_round_mode_16_64 0
		.amdhsa_float_denorm_mode_32 3
		.amdhsa_float_denorm_mode_16_64 3
		.amdhsa_dx10_clamp 1
		.amdhsa_ieee_mode 1
		.amdhsa_fp16_overflow 0
		.amdhsa_workgroup_processor_mode 1
		.amdhsa_memory_ordered 1
		.amdhsa_forward_progress 1
		.amdhsa_shared_vgpr_count 0
		.amdhsa_exception_fp_ieee_invalid_op 0
		.amdhsa_exception_fp_denorm_src 0
		.amdhsa_exception_fp_ieee_div_zero 0
		.amdhsa_exception_fp_ieee_overflow 0
		.amdhsa_exception_fp_ieee_underflow 0
		.amdhsa_exception_fp_ieee_inexact 0
		.amdhsa_exception_int_div_zero 0
	.end_amdhsa_kernel
	.section	.text._ZN7rocprim17ROCPRIM_400000_NS6detail17trampoline_kernelINS0_14default_configENS1_38merge_sort_block_merge_config_selectorIiNS0_10empty_typeEEEZZNS1_27merge_sort_block_merge_implIS3_N6thrust23THRUST_200600_302600_NS6detail15normal_iteratorINS9_10device_ptrIiEEEEPS5_jNS1_19radix_merge_compareILb0ELb1EiNS0_19identity_decomposerEEEEE10hipError_tT0_T1_T2_jT3_P12ihipStream_tbPNSt15iterator_traitsISK_E10value_typeEPNSQ_ISL_E10value_typeEPSM_NS1_7vsmem_tEENKUlT_SK_SL_SM_E_clIPiSE_SF_SF_EESJ_SZ_SK_SL_SM_EUlSZ_E0_NS1_11comp_targetILNS1_3genE0ELNS1_11target_archE4294967295ELNS1_3gpuE0ELNS1_3repE0EEENS1_38merge_mergepath_config_static_selectorELNS0_4arch9wavefront6targetE0EEEvSL_,"axG",@progbits,_ZN7rocprim17ROCPRIM_400000_NS6detail17trampoline_kernelINS0_14default_configENS1_38merge_sort_block_merge_config_selectorIiNS0_10empty_typeEEEZZNS1_27merge_sort_block_merge_implIS3_N6thrust23THRUST_200600_302600_NS6detail15normal_iteratorINS9_10device_ptrIiEEEEPS5_jNS1_19radix_merge_compareILb0ELb1EiNS0_19identity_decomposerEEEEE10hipError_tT0_T1_T2_jT3_P12ihipStream_tbPNSt15iterator_traitsISK_E10value_typeEPNSQ_ISL_E10value_typeEPSM_NS1_7vsmem_tEENKUlT_SK_SL_SM_E_clIPiSE_SF_SF_EESJ_SZ_SK_SL_SM_EUlSZ_E0_NS1_11comp_targetILNS1_3genE0ELNS1_11target_archE4294967295ELNS1_3gpuE0ELNS1_3repE0EEENS1_38merge_mergepath_config_static_selectorELNS0_4arch9wavefront6targetE0EEEvSL_,comdat
.Lfunc_end92:
	.size	_ZN7rocprim17ROCPRIM_400000_NS6detail17trampoline_kernelINS0_14default_configENS1_38merge_sort_block_merge_config_selectorIiNS0_10empty_typeEEEZZNS1_27merge_sort_block_merge_implIS3_N6thrust23THRUST_200600_302600_NS6detail15normal_iteratorINS9_10device_ptrIiEEEEPS5_jNS1_19radix_merge_compareILb0ELb1EiNS0_19identity_decomposerEEEEE10hipError_tT0_T1_T2_jT3_P12ihipStream_tbPNSt15iterator_traitsISK_E10value_typeEPNSQ_ISL_E10value_typeEPSM_NS1_7vsmem_tEENKUlT_SK_SL_SM_E_clIPiSE_SF_SF_EESJ_SZ_SK_SL_SM_EUlSZ_E0_NS1_11comp_targetILNS1_3genE0ELNS1_11target_archE4294967295ELNS1_3gpuE0ELNS1_3repE0EEENS1_38merge_mergepath_config_static_selectorELNS0_4arch9wavefront6targetE0EEEvSL_, .Lfunc_end92-_ZN7rocprim17ROCPRIM_400000_NS6detail17trampoline_kernelINS0_14default_configENS1_38merge_sort_block_merge_config_selectorIiNS0_10empty_typeEEEZZNS1_27merge_sort_block_merge_implIS3_N6thrust23THRUST_200600_302600_NS6detail15normal_iteratorINS9_10device_ptrIiEEEEPS5_jNS1_19radix_merge_compareILb0ELb1EiNS0_19identity_decomposerEEEEE10hipError_tT0_T1_T2_jT3_P12ihipStream_tbPNSt15iterator_traitsISK_E10value_typeEPNSQ_ISL_E10value_typeEPSM_NS1_7vsmem_tEENKUlT_SK_SL_SM_E_clIPiSE_SF_SF_EESJ_SZ_SK_SL_SM_EUlSZ_E0_NS1_11comp_targetILNS1_3genE0ELNS1_11target_archE4294967295ELNS1_3gpuE0ELNS1_3repE0EEENS1_38merge_mergepath_config_static_selectorELNS0_4arch9wavefront6targetE0EEEvSL_
                                        ; -- End function
	.set _ZN7rocprim17ROCPRIM_400000_NS6detail17trampoline_kernelINS0_14default_configENS1_38merge_sort_block_merge_config_selectorIiNS0_10empty_typeEEEZZNS1_27merge_sort_block_merge_implIS3_N6thrust23THRUST_200600_302600_NS6detail15normal_iteratorINS9_10device_ptrIiEEEEPS5_jNS1_19radix_merge_compareILb0ELb1EiNS0_19identity_decomposerEEEEE10hipError_tT0_T1_T2_jT3_P12ihipStream_tbPNSt15iterator_traitsISK_E10value_typeEPNSQ_ISL_E10value_typeEPSM_NS1_7vsmem_tEENKUlT_SK_SL_SM_E_clIPiSE_SF_SF_EESJ_SZ_SK_SL_SM_EUlSZ_E0_NS1_11comp_targetILNS1_3genE0ELNS1_11target_archE4294967295ELNS1_3gpuE0ELNS1_3repE0EEENS1_38merge_mergepath_config_static_selectorELNS0_4arch9wavefront6targetE0EEEvSL_.num_vgpr, 0
	.set _ZN7rocprim17ROCPRIM_400000_NS6detail17trampoline_kernelINS0_14default_configENS1_38merge_sort_block_merge_config_selectorIiNS0_10empty_typeEEEZZNS1_27merge_sort_block_merge_implIS3_N6thrust23THRUST_200600_302600_NS6detail15normal_iteratorINS9_10device_ptrIiEEEEPS5_jNS1_19radix_merge_compareILb0ELb1EiNS0_19identity_decomposerEEEEE10hipError_tT0_T1_T2_jT3_P12ihipStream_tbPNSt15iterator_traitsISK_E10value_typeEPNSQ_ISL_E10value_typeEPSM_NS1_7vsmem_tEENKUlT_SK_SL_SM_E_clIPiSE_SF_SF_EESJ_SZ_SK_SL_SM_EUlSZ_E0_NS1_11comp_targetILNS1_3genE0ELNS1_11target_archE4294967295ELNS1_3gpuE0ELNS1_3repE0EEENS1_38merge_mergepath_config_static_selectorELNS0_4arch9wavefront6targetE0EEEvSL_.num_agpr, 0
	.set _ZN7rocprim17ROCPRIM_400000_NS6detail17trampoline_kernelINS0_14default_configENS1_38merge_sort_block_merge_config_selectorIiNS0_10empty_typeEEEZZNS1_27merge_sort_block_merge_implIS3_N6thrust23THRUST_200600_302600_NS6detail15normal_iteratorINS9_10device_ptrIiEEEEPS5_jNS1_19radix_merge_compareILb0ELb1EiNS0_19identity_decomposerEEEEE10hipError_tT0_T1_T2_jT3_P12ihipStream_tbPNSt15iterator_traitsISK_E10value_typeEPNSQ_ISL_E10value_typeEPSM_NS1_7vsmem_tEENKUlT_SK_SL_SM_E_clIPiSE_SF_SF_EESJ_SZ_SK_SL_SM_EUlSZ_E0_NS1_11comp_targetILNS1_3genE0ELNS1_11target_archE4294967295ELNS1_3gpuE0ELNS1_3repE0EEENS1_38merge_mergepath_config_static_selectorELNS0_4arch9wavefront6targetE0EEEvSL_.numbered_sgpr, 0
	.set _ZN7rocprim17ROCPRIM_400000_NS6detail17trampoline_kernelINS0_14default_configENS1_38merge_sort_block_merge_config_selectorIiNS0_10empty_typeEEEZZNS1_27merge_sort_block_merge_implIS3_N6thrust23THRUST_200600_302600_NS6detail15normal_iteratorINS9_10device_ptrIiEEEEPS5_jNS1_19radix_merge_compareILb0ELb1EiNS0_19identity_decomposerEEEEE10hipError_tT0_T1_T2_jT3_P12ihipStream_tbPNSt15iterator_traitsISK_E10value_typeEPNSQ_ISL_E10value_typeEPSM_NS1_7vsmem_tEENKUlT_SK_SL_SM_E_clIPiSE_SF_SF_EESJ_SZ_SK_SL_SM_EUlSZ_E0_NS1_11comp_targetILNS1_3genE0ELNS1_11target_archE4294967295ELNS1_3gpuE0ELNS1_3repE0EEENS1_38merge_mergepath_config_static_selectorELNS0_4arch9wavefront6targetE0EEEvSL_.num_named_barrier, 0
	.set _ZN7rocprim17ROCPRIM_400000_NS6detail17trampoline_kernelINS0_14default_configENS1_38merge_sort_block_merge_config_selectorIiNS0_10empty_typeEEEZZNS1_27merge_sort_block_merge_implIS3_N6thrust23THRUST_200600_302600_NS6detail15normal_iteratorINS9_10device_ptrIiEEEEPS5_jNS1_19radix_merge_compareILb0ELb1EiNS0_19identity_decomposerEEEEE10hipError_tT0_T1_T2_jT3_P12ihipStream_tbPNSt15iterator_traitsISK_E10value_typeEPNSQ_ISL_E10value_typeEPSM_NS1_7vsmem_tEENKUlT_SK_SL_SM_E_clIPiSE_SF_SF_EESJ_SZ_SK_SL_SM_EUlSZ_E0_NS1_11comp_targetILNS1_3genE0ELNS1_11target_archE4294967295ELNS1_3gpuE0ELNS1_3repE0EEENS1_38merge_mergepath_config_static_selectorELNS0_4arch9wavefront6targetE0EEEvSL_.private_seg_size, 0
	.set _ZN7rocprim17ROCPRIM_400000_NS6detail17trampoline_kernelINS0_14default_configENS1_38merge_sort_block_merge_config_selectorIiNS0_10empty_typeEEEZZNS1_27merge_sort_block_merge_implIS3_N6thrust23THRUST_200600_302600_NS6detail15normal_iteratorINS9_10device_ptrIiEEEEPS5_jNS1_19radix_merge_compareILb0ELb1EiNS0_19identity_decomposerEEEEE10hipError_tT0_T1_T2_jT3_P12ihipStream_tbPNSt15iterator_traitsISK_E10value_typeEPNSQ_ISL_E10value_typeEPSM_NS1_7vsmem_tEENKUlT_SK_SL_SM_E_clIPiSE_SF_SF_EESJ_SZ_SK_SL_SM_EUlSZ_E0_NS1_11comp_targetILNS1_3genE0ELNS1_11target_archE4294967295ELNS1_3gpuE0ELNS1_3repE0EEENS1_38merge_mergepath_config_static_selectorELNS0_4arch9wavefront6targetE0EEEvSL_.uses_vcc, 0
	.set _ZN7rocprim17ROCPRIM_400000_NS6detail17trampoline_kernelINS0_14default_configENS1_38merge_sort_block_merge_config_selectorIiNS0_10empty_typeEEEZZNS1_27merge_sort_block_merge_implIS3_N6thrust23THRUST_200600_302600_NS6detail15normal_iteratorINS9_10device_ptrIiEEEEPS5_jNS1_19radix_merge_compareILb0ELb1EiNS0_19identity_decomposerEEEEE10hipError_tT0_T1_T2_jT3_P12ihipStream_tbPNSt15iterator_traitsISK_E10value_typeEPNSQ_ISL_E10value_typeEPSM_NS1_7vsmem_tEENKUlT_SK_SL_SM_E_clIPiSE_SF_SF_EESJ_SZ_SK_SL_SM_EUlSZ_E0_NS1_11comp_targetILNS1_3genE0ELNS1_11target_archE4294967295ELNS1_3gpuE0ELNS1_3repE0EEENS1_38merge_mergepath_config_static_selectorELNS0_4arch9wavefront6targetE0EEEvSL_.uses_flat_scratch, 0
	.set _ZN7rocprim17ROCPRIM_400000_NS6detail17trampoline_kernelINS0_14default_configENS1_38merge_sort_block_merge_config_selectorIiNS0_10empty_typeEEEZZNS1_27merge_sort_block_merge_implIS3_N6thrust23THRUST_200600_302600_NS6detail15normal_iteratorINS9_10device_ptrIiEEEEPS5_jNS1_19radix_merge_compareILb0ELb1EiNS0_19identity_decomposerEEEEE10hipError_tT0_T1_T2_jT3_P12ihipStream_tbPNSt15iterator_traitsISK_E10value_typeEPNSQ_ISL_E10value_typeEPSM_NS1_7vsmem_tEENKUlT_SK_SL_SM_E_clIPiSE_SF_SF_EESJ_SZ_SK_SL_SM_EUlSZ_E0_NS1_11comp_targetILNS1_3genE0ELNS1_11target_archE4294967295ELNS1_3gpuE0ELNS1_3repE0EEENS1_38merge_mergepath_config_static_selectorELNS0_4arch9wavefront6targetE0EEEvSL_.has_dyn_sized_stack, 0
	.set _ZN7rocprim17ROCPRIM_400000_NS6detail17trampoline_kernelINS0_14default_configENS1_38merge_sort_block_merge_config_selectorIiNS0_10empty_typeEEEZZNS1_27merge_sort_block_merge_implIS3_N6thrust23THRUST_200600_302600_NS6detail15normal_iteratorINS9_10device_ptrIiEEEEPS5_jNS1_19radix_merge_compareILb0ELb1EiNS0_19identity_decomposerEEEEE10hipError_tT0_T1_T2_jT3_P12ihipStream_tbPNSt15iterator_traitsISK_E10value_typeEPNSQ_ISL_E10value_typeEPSM_NS1_7vsmem_tEENKUlT_SK_SL_SM_E_clIPiSE_SF_SF_EESJ_SZ_SK_SL_SM_EUlSZ_E0_NS1_11comp_targetILNS1_3genE0ELNS1_11target_archE4294967295ELNS1_3gpuE0ELNS1_3repE0EEENS1_38merge_mergepath_config_static_selectorELNS0_4arch9wavefront6targetE0EEEvSL_.has_recursion, 0
	.set _ZN7rocprim17ROCPRIM_400000_NS6detail17trampoline_kernelINS0_14default_configENS1_38merge_sort_block_merge_config_selectorIiNS0_10empty_typeEEEZZNS1_27merge_sort_block_merge_implIS3_N6thrust23THRUST_200600_302600_NS6detail15normal_iteratorINS9_10device_ptrIiEEEEPS5_jNS1_19radix_merge_compareILb0ELb1EiNS0_19identity_decomposerEEEEE10hipError_tT0_T1_T2_jT3_P12ihipStream_tbPNSt15iterator_traitsISK_E10value_typeEPNSQ_ISL_E10value_typeEPSM_NS1_7vsmem_tEENKUlT_SK_SL_SM_E_clIPiSE_SF_SF_EESJ_SZ_SK_SL_SM_EUlSZ_E0_NS1_11comp_targetILNS1_3genE0ELNS1_11target_archE4294967295ELNS1_3gpuE0ELNS1_3repE0EEENS1_38merge_mergepath_config_static_selectorELNS0_4arch9wavefront6targetE0EEEvSL_.has_indirect_call, 0
	.section	.AMDGPU.csdata,"",@progbits
; Kernel info:
; codeLenInByte = 0
; TotalNumSgprs: 0
; NumVgprs: 0
; ScratchSize: 0
; MemoryBound: 0
; FloatMode: 240
; IeeeMode: 1
; LDSByteSize: 0 bytes/workgroup (compile time only)
; SGPRBlocks: 0
; VGPRBlocks: 0
; NumSGPRsForWavesPerEU: 1
; NumVGPRsForWavesPerEU: 1
; Occupancy: 16
; WaveLimiterHint : 0
; COMPUTE_PGM_RSRC2:SCRATCH_EN: 0
; COMPUTE_PGM_RSRC2:USER_SGPR: 6
; COMPUTE_PGM_RSRC2:TRAP_HANDLER: 0
; COMPUTE_PGM_RSRC2:TGID_X_EN: 1
; COMPUTE_PGM_RSRC2:TGID_Y_EN: 0
; COMPUTE_PGM_RSRC2:TGID_Z_EN: 0
; COMPUTE_PGM_RSRC2:TIDIG_COMP_CNT: 0
	.section	.text._ZN7rocprim17ROCPRIM_400000_NS6detail17trampoline_kernelINS0_14default_configENS1_38merge_sort_block_merge_config_selectorIiNS0_10empty_typeEEEZZNS1_27merge_sort_block_merge_implIS3_N6thrust23THRUST_200600_302600_NS6detail15normal_iteratorINS9_10device_ptrIiEEEEPS5_jNS1_19radix_merge_compareILb0ELb1EiNS0_19identity_decomposerEEEEE10hipError_tT0_T1_T2_jT3_P12ihipStream_tbPNSt15iterator_traitsISK_E10value_typeEPNSQ_ISL_E10value_typeEPSM_NS1_7vsmem_tEENKUlT_SK_SL_SM_E_clIPiSE_SF_SF_EESJ_SZ_SK_SL_SM_EUlSZ_E0_NS1_11comp_targetILNS1_3genE10ELNS1_11target_archE1201ELNS1_3gpuE5ELNS1_3repE0EEENS1_38merge_mergepath_config_static_selectorELNS0_4arch9wavefront6targetE0EEEvSL_,"axG",@progbits,_ZN7rocprim17ROCPRIM_400000_NS6detail17trampoline_kernelINS0_14default_configENS1_38merge_sort_block_merge_config_selectorIiNS0_10empty_typeEEEZZNS1_27merge_sort_block_merge_implIS3_N6thrust23THRUST_200600_302600_NS6detail15normal_iteratorINS9_10device_ptrIiEEEEPS5_jNS1_19radix_merge_compareILb0ELb1EiNS0_19identity_decomposerEEEEE10hipError_tT0_T1_T2_jT3_P12ihipStream_tbPNSt15iterator_traitsISK_E10value_typeEPNSQ_ISL_E10value_typeEPSM_NS1_7vsmem_tEENKUlT_SK_SL_SM_E_clIPiSE_SF_SF_EESJ_SZ_SK_SL_SM_EUlSZ_E0_NS1_11comp_targetILNS1_3genE10ELNS1_11target_archE1201ELNS1_3gpuE5ELNS1_3repE0EEENS1_38merge_mergepath_config_static_selectorELNS0_4arch9wavefront6targetE0EEEvSL_,comdat
	.protected	_ZN7rocprim17ROCPRIM_400000_NS6detail17trampoline_kernelINS0_14default_configENS1_38merge_sort_block_merge_config_selectorIiNS0_10empty_typeEEEZZNS1_27merge_sort_block_merge_implIS3_N6thrust23THRUST_200600_302600_NS6detail15normal_iteratorINS9_10device_ptrIiEEEEPS5_jNS1_19radix_merge_compareILb0ELb1EiNS0_19identity_decomposerEEEEE10hipError_tT0_T1_T2_jT3_P12ihipStream_tbPNSt15iterator_traitsISK_E10value_typeEPNSQ_ISL_E10value_typeEPSM_NS1_7vsmem_tEENKUlT_SK_SL_SM_E_clIPiSE_SF_SF_EESJ_SZ_SK_SL_SM_EUlSZ_E0_NS1_11comp_targetILNS1_3genE10ELNS1_11target_archE1201ELNS1_3gpuE5ELNS1_3repE0EEENS1_38merge_mergepath_config_static_selectorELNS0_4arch9wavefront6targetE0EEEvSL_ ; -- Begin function _ZN7rocprim17ROCPRIM_400000_NS6detail17trampoline_kernelINS0_14default_configENS1_38merge_sort_block_merge_config_selectorIiNS0_10empty_typeEEEZZNS1_27merge_sort_block_merge_implIS3_N6thrust23THRUST_200600_302600_NS6detail15normal_iteratorINS9_10device_ptrIiEEEEPS5_jNS1_19radix_merge_compareILb0ELb1EiNS0_19identity_decomposerEEEEE10hipError_tT0_T1_T2_jT3_P12ihipStream_tbPNSt15iterator_traitsISK_E10value_typeEPNSQ_ISL_E10value_typeEPSM_NS1_7vsmem_tEENKUlT_SK_SL_SM_E_clIPiSE_SF_SF_EESJ_SZ_SK_SL_SM_EUlSZ_E0_NS1_11comp_targetILNS1_3genE10ELNS1_11target_archE1201ELNS1_3gpuE5ELNS1_3repE0EEENS1_38merge_mergepath_config_static_selectorELNS0_4arch9wavefront6targetE0EEEvSL_
	.globl	_ZN7rocprim17ROCPRIM_400000_NS6detail17trampoline_kernelINS0_14default_configENS1_38merge_sort_block_merge_config_selectorIiNS0_10empty_typeEEEZZNS1_27merge_sort_block_merge_implIS3_N6thrust23THRUST_200600_302600_NS6detail15normal_iteratorINS9_10device_ptrIiEEEEPS5_jNS1_19radix_merge_compareILb0ELb1EiNS0_19identity_decomposerEEEEE10hipError_tT0_T1_T2_jT3_P12ihipStream_tbPNSt15iterator_traitsISK_E10value_typeEPNSQ_ISL_E10value_typeEPSM_NS1_7vsmem_tEENKUlT_SK_SL_SM_E_clIPiSE_SF_SF_EESJ_SZ_SK_SL_SM_EUlSZ_E0_NS1_11comp_targetILNS1_3genE10ELNS1_11target_archE1201ELNS1_3gpuE5ELNS1_3repE0EEENS1_38merge_mergepath_config_static_selectorELNS0_4arch9wavefront6targetE0EEEvSL_
	.p2align	8
	.type	_ZN7rocprim17ROCPRIM_400000_NS6detail17trampoline_kernelINS0_14default_configENS1_38merge_sort_block_merge_config_selectorIiNS0_10empty_typeEEEZZNS1_27merge_sort_block_merge_implIS3_N6thrust23THRUST_200600_302600_NS6detail15normal_iteratorINS9_10device_ptrIiEEEEPS5_jNS1_19radix_merge_compareILb0ELb1EiNS0_19identity_decomposerEEEEE10hipError_tT0_T1_T2_jT3_P12ihipStream_tbPNSt15iterator_traitsISK_E10value_typeEPNSQ_ISL_E10value_typeEPSM_NS1_7vsmem_tEENKUlT_SK_SL_SM_E_clIPiSE_SF_SF_EESJ_SZ_SK_SL_SM_EUlSZ_E0_NS1_11comp_targetILNS1_3genE10ELNS1_11target_archE1201ELNS1_3gpuE5ELNS1_3repE0EEENS1_38merge_mergepath_config_static_selectorELNS0_4arch9wavefront6targetE0EEEvSL_,@function
_ZN7rocprim17ROCPRIM_400000_NS6detail17trampoline_kernelINS0_14default_configENS1_38merge_sort_block_merge_config_selectorIiNS0_10empty_typeEEEZZNS1_27merge_sort_block_merge_implIS3_N6thrust23THRUST_200600_302600_NS6detail15normal_iteratorINS9_10device_ptrIiEEEEPS5_jNS1_19radix_merge_compareILb0ELb1EiNS0_19identity_decomposerEEEEE10hipError_tT0_T1_T2_jT3_P12ihipStream_tbPNSt15iterator_traitsISK_E10value_typeEPNSQ_ISL_E10value_typeEPSM_NS1_7vsmem_tEENKUlT_SK_SL_SM_E_clIPiSE_SF_SF_EESJ_SZ_SK_SL_SM_EUlSZ_E0_NS1_11comp_targetILNS1_3genE10ELNS1_11target_archE1201ELNS1_3gpuE5ELNS1_3repE0EEENS1_38merge_mergepath_config_static_selectorELNS0_4arch9wavefront6targetE0EEEvSL_: ; @_ZN7rocprim17ROCPRIM_400000_NS6detail17trampoline_kernelINS0_14default_configENS1_38merge_sort_block_merge_config_selectorIiNS0_10empty_typeEEEZZNS1_27merge_sort_block_merge_implIS3_N6thrust23THRUST_200600_302600_NS6detail15normal_iteratorINS9_10device_ptrIiEEEEPS5_jNS1_19radix_merge_compareILb0ELb1EiNS0_19identity_decomposerEEEEE10hipError_tT0_T1_T2_jT3_P12ihipStream_tbPNSt15iterator_traitsISK_E10value_typeEPNSQ_ISL_E10value_typeEPSM_NS1_7vsmem_tEENKUlT_SK_SL_SM_E_clIPiSE_SF_SF_EESJ_SZ_SK_SL_SM_EUlSZ_E0_NS1_11comp_targetILNS1_3genE10ELNS1_11target_archE1201ELNS1_3gpuE5ELNS1_3repE0EEENS1_38merge_mergepath_config_static_selectorELNS0_4arch9wavefront6targetE0EEEvSL_
; %bb.0:
	.section	.rodata,"a",@progbits
	.p2align	6, 0x0
	.amdhsa_kernel _ZN7rocprim17ROCPRIM_400000_NS6detail17trampoline_kernelINS0_14default_configENS1_38merge_sort_block_merge_config_selectorIiNS0_10empty_typeEEEZZNS1_27merge_sort_block_merge_implIS3_N6thrust23THRUST_200600_302600_NS6detail15normal_iteratorINS9_10device_ptrIiEEEEPS5_jNS1_19radix_merge_compareILb0ELb1EiNS0_19identity_decomposerEEEEE10hipError_tT0_T1_T2_jT3_P12ihipStream_tbPNSt15iterator_traitsISK_E10value_typeEPNSQ_ISL_E10value_typeEPSM_NS1_7vsmem_tEENKUlT_SK_SL_SM_E_clIPiSE_SF_SF_EESJ_SZ_SK_SL_SM_EUlSZ_E0_NS1_11comp_targetILNS1_3genE10ELNS1_11target_archE1201ELNS1_3gpuE5ELNS1_3repE0EEENS1_38merge_mergepath_config_static_selectorELNS0_4arch9wavefront6targetE0EEEvSL_
		.amdhsa_group_segment_fixed_size 0
		.amdhsa_private_segment_fixed_size 0
		.amdhsa_kernarg_size 64
		.amdhsa_user_sgpr_count 6
		.amdhsa_user_sgpr_private_segment_buffer 1
		.amdhsa_user_sgpr_dispatch_ptr 0
		.amdhsa_user_sgpr_queue_ptr 0
		.amdhsa_user_sgpr_kernarg_segment_ptr 1
		.amdhsa_user_sgpr_dispatch_id 0
		.amdhsa_user_sgpr_flat_scratch_init 0
		.amdhsa_user_sgpr_private_segment_size 0
		.amdhsa_wavefront_size32 1
		.amdhsa_uses_dynamic_stack 0
		.amdhsa_system_sgpr_private_segment_wavefront_offset 0
		.amdhsa_system_sgpr_workgroup_id_x 1
		.amdhsa_system_sgpr_workgroup_id_y 0
		.amdhsa_system_sgpr_workgroup_id_z 0
		.amdhsa_system_sgpr_workgroup_info 0
		.amdhsa_system_vgpr_workitem_id 0
		.amdhsa_next_free_vgpr 1
		.amdhsa_next_free_sgpr 1
		.amdhsa_reserve_vcc 0
		.amdhsa_reserve_flat_scratch 0
		.amdhsa_float_round_mode_32 0
		.amdhsa_float_round_mode_16_64 0
		.amdhsa_float_denorm_mode_32 3
		.amdhsa_float_denorm_mode_16_64 3
		.amdhsa_dx10_clamp 1
		.amdhsa_ieee_mode 1
		.amdhsa_fp16_overflow 0
		.amdhsa_workgroup_processor_mode 1
		.amdhsa_memory_ordered 1
		.amdhsa_forward_progress 1
		.amdhsa_shared_vgpr_count 0
		.amdhsa_exception_fp_ieee_invalid_op 0
		.amdhsa_exception_fp_denorm_src 0
		.amdhsa_exception_fp_ieee_div_zero 0
		.amdhsa_exception_fp_ieee_overflow 0
		.amdhsa_exception_fp_ieee_underflow 0
		.amdhsa_exception_fp_ieee_inexact 0
		.amdhsa_exception_int_div_zero 0
	.end_amdhsa_kernel
	.section	.text._ZN7rocprim17ROCPRIM_400000_NS6detail17trampoline_kernelINS0_14default_configENS1_38merge_sort_block_merge_config_selectorIiNS0_10empty_typeEEEZZNS1_27merge_sort_block_merge_implIS3_N6thrust23THRUST_200600_302600_NS6detail15normal_iteratorINS9_10device_ptrIiEEEEPS5_jNS1_19radix_merge_compareILb0ELb1EiNS0_19identity_decomposerEEEEE10hipError_tT0_T1_T2_jT3_P12ihipStream_tbPNSt15iterator_traitsISK_E10value_typeEPNSQ_ISL_E10value_typeEPSM_NS1_7vsmem_tEENKUlT_SK_SL_SM_E_clIPiSE_SF_SF_EESJ_SZ_SK_SL_SM_EUlSZ_E0_NS1_11comp_targetILNS1_3genE10ELNS1_11target_archE1201ELNS1_3gpuE5ELNS1_3repE0EEENS1_38merge_mergepath_config_static_selectorELNS0_4arch9wavefront6targetE0EEEvSL_,"axG",@progbits,_ZN7rocprim17ROCPRIM_400000_NS6detail17trampoline_kernelINS0_14default_configENS1_38merge_sort_block_merge_config_selectorIiNS0_10empty_typeEEEZZNS1_27merge_sort_block_merge_implIS3_N6thrust23THRUST_200600_302600_NS6detail15normal_iteratorINS9_10device_ptrIiEEEEPS5_jNS1_19radix_merge_compareILb0ELb1EiNS0_19identity_decomposerEEEEE10hipError_tT0_T1_T2_jT3_P12ihipStream_tbPNSt15iterator_traitsISK_E10value_typeEPNSQ_ISL_E10value_typeEPSM_NS1_7vsmem_tEENKUlT_SK_SL_SM_E_clIPiSE_SF_SF_EESJ_SZ_SK_SL_SM_EUlSZ_E0_NS1_11comp_targetILNS1_3genE10ELNS1_11target_archE1201ELNS1_3gpuE5ELNS1_3repE0EEENS1_38merge_mergepath_config_static_selectorELNS0_4arch9wavefront6targetE0EEEvSL_,comdat
.Lfunc_end93:
	.size	_ZN7rocprim17ROCPRIM_400000_NS6detail17trampoline_kernelINS0_14default_configENS1_38merge_sort_block_merge_config_selectorIiNS0_10empty_typeEEEZZNS1_27merge_sort_block_merge_implIS3_N6thrust23THRUST_200600_302600_NS6detail15normal_iteratorINS9_10device_ptrIiEEEEPS5_jNS1_19radix_merge_compareILb0ELb1EiNS0_19identity_decomposerEEEEE10hipError_tT0_T1_T2_jT3_P12ihipStream_tbPNSt15iterator_traitsISK_E10value_typeEPNSQ_ISL_E10value_typeEPSM_NS1_7vsmem_tEENKUlT_SK_SL_SM_E_clIPiSE_SF_SF_EESJ_SZ_SK_SL_SM_EUlSZ_E0_NS1_11comp_targetILNS1_3genE10ELNS1_11target_archE1201ELNS1_3gpuE5ELNS1_3repE0EEENS1_38merge_mergepath_config_static_selectorELNS0_4arch9wavefront6targetE0EEEvSL_, .Lfunc_end93-_ZN7rocprim17ROCPRIM_400000_NS6detail17trampoline_kernelINS0_14default_configENS1_38merge_sort_block_merge_config_selectorIiNS0_10empty_typeEEEZZNS1_27merge_sort_block_merge_implIS3_N6thrust23THRUST_200600_302600_NS6detail15normal_iteratorINS9_10device_ptrIiEEEEPS5_jNS1_19radix_merge_compareILb0ELb1EiNS0_19identity_decomposerEEEEE10hipError_tT0_T1_T2_jT3_P12ihipStream_tbPNSt15iterator_traitsISK_E10value_typeEPNSQ_ISL_E10value_typeEPSM_NS1_7vsmem_tEENKUlT_SK_SL_SM_E_clIPiSE_SF_SF_EESJ_SZ_SK_SL_SM_EUlSZ_E0_NS1_11comp_targetILNS1_3genE10ELNS1_11target_archE1201ELNS1_3gpuE5ELNS1_3repE0EEENS1_38merge_mergepath_config_static_selectorELNS0_4arch9wavefront6targetE0EEEvSL_
                                        ; -- End function
	.set _ZN7rocprim17ROCPRIM_400000_NS6detail17trampoline_kernelINS0_14default_configENS1_38merge_sort_block_merge_config_selectorIiNS0_10empty_typeEEEZZNS1_27merge_sort_block_merge_implIS3_N6thrust23THRUST_200600_302600_NS6detail15normal_iteratorINS9_10device_ptrIiEEEEPS5_jNS1_19radix_merge_compareILb0ELb1EiNS0_19identity_decomposerEEEEE10hipError_tT0_T1_T2_jT3_P12ihipStream_tbPNSt15iterator_traitsISK_E10value_typeEPNSQ_ISL_E10value_typeEPSM_NS1_7vsmem_tEENKUlT_SK_SL_SM_E_clIPiSE_SF_SF_EESJ_SZ_SK_SL_SM_EUlSZ_E0_NS1_11comp_targetILNS1_3genE10ELNS1_11target_archE1201ELNS1_3gpuE5ELNS1_3repE0EEENS1_38merge_mergepath_config_static_selectorELNS0_4arch9wavefront6targetE0EEEvSL_.num_vgpr, 0
	.set _ZN7rocprim17ROCPRIM_400000_NS6detail17trampoline_kernelINS0_14default_configENS1_38merge_sort_block_merge_config_selectorIiNS0_10empty_typeEEEZZNS1_27merge_sort_block_merge_implIS3_N6thrust23THRUST_200600_302600_NS6detail15normal_iteratorINS9_10device_ptrIiEEEEPS5_jNS1_19radix_merge_compareILb0ELb1EiNS0_19identity_decomposerEEEEE10hipError_tT0_T1_T2_jT3_P12ihipStream_tbPNSt15iterator_traitsISK_E10value_typeEPNSQ_ISL_E10value_typeEPSM_NS1_7vsmem_tEENKUlT_SK_SL_SM_E_clIPiSE_SF_SF_EESJ_SZ_SK_SL_SM_EUlSZ_E0_NS1_11comp_targetILNS1_3genE10ELNS1_11target_archE1201ELNS1_3gpuE5ELNS1_3repE0EEENS1_38merge_mergepath_config_static_selectorELNS0_4arch9wavefront6targetE0EEEvSL_.num_agpr, 0
	.set _ZN7rocprim17ROCPRIM_400000_NS6detail17trampoline_kernelINS0_14default_configENS1_38merge_sort_block_merge_config_selectorIiNS0_10empty_typeEEEZZNS1_27merge_sort_block_merge_implIS3_N6thrust23THRUST_200600_302600_NS6detail15normal_iteratorINS9_10device_ptrIiEEEEPS5_jNS1_19radix_merge_compareILb0ELb1EiNS0_19identity_decomposerEEEEE10hipError_tT0_T1_T2_jT3_P12ihipStream_tbPNSt15iterator_traitsISK_E10value_typeEPNSQ_ISL_E10value_typeEPSM_NS1_7vsmem_tEENKUlT_SK_SL_SM_E_clIPiSE_SF_SF_EESJ_SZ_SK_SL_SM_EUlSZ_E0_NS1_11comp_targetILNS1_3genE10ELNS1_11target_archE1201ELNS1_3gpuE5ELNS1_3repE0EEENS1_38merge_mergepath_config_static_selectorELNS0_4arch9wavefront6targetE0EEEvSL_.numbered_sgpr, 0
	.set _ZN7rocprim17ROCPRIM_400000_NS6detail17trampoline_kernelINS0_14default_configENS1_38merge_sort_block_merge_config_selectorIiNS0_10empty_typeEEEZZNS1_27merge_sort_block_merge_implIS3_N6thrust23THRUST_200600_302600_NS6detail15normal_iteratorINS9_10device_ptrIiEEEEPS5_jNS1_19radix_merge_compareILb0ELb1EiNS0_19identity_decomposerEEEEE10hipError_tT0_T1_T2_jT3_P12ihipStream_tbPNSt15iterator_traitsISK_E10value_typeEPNSQ_ISL_E10value_typeEPSM_NS1_7vsmem_tEENKUlT_SK_SL_SM_E_clIPiSE_SF_SF_EESJ_SZ_SK_SL_SM_EUlSZ_E0_NS1_11comp_targetILNS1_3genE10ELNS1_11target_archE1201ELNS1_3gpuE5ELNS1_3repE0EEENS1_38merge_mergepath_config_static_selectorELNS0_4arch9wavefront6targetE0EEEvSL_.num_named_barrier, 0
	.set _ZN7rocprim17ROCPRIM_400000_NS6detail17trampoline_kernelINS0_14default_configENS1_38merge_sort_block_merge_config_selectorIiNS0_10empty_typeEEEZZNS1_27merge_sort_block_merge_implIS3_N6thrust23THRUST_200600_302600_NS6detail15normal_iteratorINS9_10device_ptrIiEEEEPS5_jNS1_19radix_merge_compareILb0ELb1EiNS0_19identity_decomposerEEEEE10hipError_tT0_T1_T2_jT3_P12ihipStream_tbPNSt15iterator_traitsISK_E10value_typeEPNSQ_ISL_E10value_typeEPSM_NS1_7vsmem_tEENKUlT_SK_SL_SM_E_clIPiSE_SF_SF_EESJ_SZ_SK_SL_SM_EUlSZ_E0_NS1_11comp_targetILNS1_3genE10ELNS1_11target_archE1201ELNS1_3gpuE5ELNS1_3repE0EEENS1_38merge_mergepath_config_static_selectorELNS0_4arch9wavefront6targetE0EEEvSL_.private_seg_size, 0
	.set _ZN7rocprim17ROCPRIM_400000_NS6detail17trampoline_kernelINS0_14default_configENS1_38merge_sort_block_merge_config_selectorIiNS0_10empty_typeEEEZZNS1_27merge_sort_block_merge_implIS3_N6thrust23THRUST_200600_302600_NS6detail15normal_iteratorINS9_10device_ptrIiEEEEPS5_jNS1_19radix_merge_compareILb0ELb1EiNS0_19identity_decomposerEEEEE10hipError_tT0_T1_T2_jT3_P12ihipStream_tbPNSt15iterator_traitsISK_E10value_typeEPNSQ_ISL_E10value_typeEPSM_NS1_7vsmem_tEENKUlT_SK_SL_SM_E_clIPiSE_SF_SF_EESJ_SZ_SK_SL_SM_EUlSZ_E0_NS1_11comp_targetILNS1_3genE10ELNS1_11target_archE1201ELNS1_3gpuE5ELNS1_3repE0EEENS1_38merge_mergepath_config_static_selectorELNS0_4arch9wavefront6targetE0EEEvSL_.uses_vcc, 0
	.set _ZN7rocprim17ROCPRIM_400000_NS6detail17trampoline_kernelINS0_14default_configENS1_38merge_sort_block_merge_config_selectorIiNS0_10empty_typeEEEZZNS1_27merge_sort_block_merge_implIS3_N6thrust23THRUST_200600_302600_NS6detail15normal_iteratorINS9_10device_ptrIiEEEEPS5_jNS1_19radix_merge_compareILb0ELb1EiNS0_19identity_decomposerEEEEE10hipError_tT0_T1_T2_jT3_P12ihipStream_tbPNSt15iterator_traitsISK_E10value_typeEPNSQ_ISL_E10value_typeEPSM_NS1_7vsmem_tEENKUlT_SK_SL_SM_E_clIPiSE_SF_SF_EESJ_SZ_SK_SL_SM_EUlSZ_E0_NS1_11comp_targetILNS1_3genE10ELNS1_11target_archE1201ELNS1_3gpuE5ELNS1_3repE0EEENS1_38merge_mergepath_config_static_selectorELNS0_4arch9wavefront6targetE0EEEvSL_.uses_flat_scratch, 0
	.set _ZN7rocprim17ROCPRIM_400000_NS6detail17trampoline_kernelINS0_14default_configENS1_38merge_sort_block_merge_config_selectorIiNS0_10empty_typeEEEZZNS1_27merge_sort_block_merge_implIS3_N6thrust23THRUST_200600_302600_NS6detail15normal_iteratorINS9_10device_ptrIiEEEEPS5_jNS1_19radix_merge_compareILb0ELb1EiNS0_19identity_decomposerEEEEE10hipError_tT0_T1_T2_jT3_P12ihipStream_tbPNSt15iterator_traitsISK_E10value_typeEPNSQ_ISL_E10value_typeEPSM_NS1_7vsmem_tEENKUlT_SK_SL_SM_E_clIPiSE_SF_SF_EESJ_SZ_SK_SL_SM_EUlSZ_E0_NS1_11comp_targetILNS1_3genE10ELNS1_11target_archE1201ELNS1_3gpuE5ELNS1_3repE0EEENS1_38merge_mergepath_config_static_selectorELNS0_4arch9wavefront6targetE0EEEvSL_.has_dyn_sized_stack, 0
	.set _ZN7rocprim17ROCPRIM_400000_NS6detail17trampoline_kernelINS0_14default_configENS1_38merge_sort_block_merge_config_selectorIiNS0_10empty_typeEEEZZNS1_27merge_sort_block_merge_implIS3_N6thrust23THRUST_200600_302600_NS6detail15normal_iteratorINS9_10device_ptrIiEEEEPS5_jNS1_19radix_merge_compareILb0ELb1EiNS0_19identity_decomposerEEEEE10hipError_tT0_T1_T2_jT3_P12ihipStream_tbPNSt15iterator_traitsISK_E10value_typeEPNSQ_ISL_E10value_typeEPSM_NS1_7vsmem_tEENKUlT_SK_SL_SM_E_clIPiSE_SF_SF_EESJ_SZ_SK_SL_SM_EUlSZ_E0_NS1_11comp_targetILNS1_3genE10ELNS1_11target_archE1201ELNS1_3gpuE5ELNS1_3repE0EEENS1_38merge_mergepath_config_static_selectorELNS0_4arch9wavefront6targetE0EEEvSL_.has_recursion, 0
	.set _ZN7rocprim17ROCPRIM_400000_NS6detail17trampoline_kernelINS0_14default_configENS1_38merge_sort_block_merge_config_selectorIiNS0_10empty_typeEEEZZNS1_27merge_sort_block_merge_implIS3_N6thrust23THRUST_200600_302600_NS6detail15normal_iteratorINS9_10device_ptrIiEEEEPS5_jNS1_19radix_merge_compareILb0ELb1EiNS0_19identity_decomposerEEEEE10hipError_tT0_T1_T2_jT3_P12ihipStream_tbPNSt15iterator_traitsISK_E10value_typeEPNSQ_ISL_E10value_typeEPSM_NS1_7vsmem_tEENKUlT_SK_SL_SM_E_clIPiSE_SF_SF_EESJ_SZ_SK_SL_SM_EUlSZ_E0_NS1_11comp_targetILNS1_3genE10ELNS1_11target_archE1201ELNS1_3gpuE5ELNS1_3repE0EEENS1_38merge_mergepath_config_static_selectorELNS0_4arch9wavefront6targetE0EEEvSL_.has_indirect_call, 0
	.section	.AMDGPU.csdata,"",@progbits
; Kernel info:
; codeLenInByte = 0
; TotalNumSgprs: 0
; NumVgprs: 0
; ScratchSize: 0
; MemoryBound: 0
; FloatMode: 240
; IeeeMode: 1
; LDSByteSize: 0 bytes/workgroup (compile time only)
; SGPRBlocks: 0
; VGPRBlocks: 0
; NumSGPRsForWavesPerEU: 1
; NumVGPRsForWavesPerEU: 1
; Occupancy: 16
; WaveLimiterHint : 0
; COMPUTE_PGM_RSRC2:SCRATCH_EN: 0
; COMPUTE_PGM_RSRC2:USER_SGPR: 6
; COMPUTE_PGM_RSRC2:TRAP_HANDLER: 0
; COMPUTE_PGM_RSRC2:TGID_X_EN: 1
; COMPUTE_PGM_RSRC2:TGID_Y_EN: 0
; COMPUTE_PGM_RSRC2:TGID_Z_EN: 0
; COMPUTE_PGM_RSRC2:TIDIG_COMP_CNT: 0
	.section	.text._ZN7rocprim17ROCPRIM_400000_NS6detail17trampoline_kernelINS0_14default_configENS1_38merge_sort_block_merge_config_selectorIiNS0_10empty_typeEEEZZNS1_27merge_sort_block_merge_implIS3_N6thrust23THRUST_200600_302600_NS6detail15normal_iteratorINS9_10device_ptrIiEEEEPS5_jNS1_19radix_merge_compareILb0ELb1EiNS0_19identity_decomposerEEEEE10hipError_tT0_T1_T2_jT3_P12ihipStream_tbPNSt15iterator_traitsISK_E10value_typeEPNSQ_ISL_E10value_typeEPSM_NS1_7vsmem_tEENKUlT_SK_SL_SM_E_clIPiSE_SF_SF_EESJ_SZ_SK_SL_SM_EUlSZ_E0_NS1_11comp_targetILNS1_3genE5ELNS1_11target_archE942ELNS1_3gpuE9ELNS1_3repE0EEENS1_38merge_mergepath_config_static_selectorELNS0_4arch9wavefront6targetE0EEEvSL_,"axG",@progbits,_ZN7rocprim17ROCPRIM_400000_NS6detail17trampoline_kernelINS0_14default_configENS1_38merge_sort_block_merge_config_selectorIiNS0_10empty_typeEEEZZNS1_27merge_sort_block_merge_implIS3_N6thrust23THRUST_200600_302600_NS6detail15normal_iteratorINS9_10device_ptrIiEEEEPS5_jNS1_19radix_merge_compareILb0ELb1EiNS0_19identity_decomposerEEEEE10hipError_tT0_T1_T2_jT3_P12ihipStream_tbPNSt15iterator_traitsISK_E10value_typeEPNSQ_ISL_E10value_typeEPSM_NS1_7vsmem_tEENKUlT_SK_SL_SM_E_clIPiSE_SF_SF_EESJ_SZ_SK_SL_SM_EUlSZ_E0_NS1_11comp_targetILNS1_3genE5ELNS1_11target_archE942ELNS1_3gpuE9ELNS1_3repE0EEENS1_38merge_mergepath_config_static_selectorELNS0_4arch9wavefront6targetE0EEEvSL_,comdat
	.protected	_ZN7rocprim17ROCPRIM_400000_NS6detail17trampoline_kernelINS0_14default_configENS1_38merge_sort_block_merge_config_selectorIiNS0_10empty_typeEEEZZNS1_27merge_sort_block_merge_implIS3_N6thrust23THRUST_200600_302600_NS6detail15normal_iteratorINS9_10device_ptrIiEEEEPS5_jNS1_19radix_merge_compareILb0ELb1EiNS0_19identity_decomposerEEEEE10hipError_tT0_T1_T2_jT3_P12ihipStream_tbPNSt15iterator_traitsISK_E10value_typeEPNSQ_ISL_E10value_typeEPSM_NS1_7vsmem_tEENKUlT_SK_SL_SM_E_clIPiSE_SF_SF_EESJ_SZ_SK_SL_SM_EUlSZ_E0_NS1_11comp_targetILNS1_3genE5ELNS1_11target_archE942ELNS1_3gpuE9ELNS1_3repE0EEENS1_38merge_mergepath_config_static_selectorELNS0_4arch9wavefront6targetE0EEEvSL_ ; -- Begin function _ZN7rocprim17ROCPRIM_400000_NS6detail17trampoline_kernelINS0_14default_configENS1_38merge_sort_block_merge_config_selectorIiNS0_10empty_typeEEEZZNS1_27merge_sort_block_merge_implIS3_N6thrust23THRUST_200600_302600_NS6detail15normal_iteratorINS9_10device_ptrIiEEEEPS5_jNS1_19radix_merge_compareILb0ELb1EiNS0_19identity_decomposerEEEEE10hipError_tT0_T1_T2_jT3_P12ihipStream_tbPNSt15iterator_traitsISK_E10value_typeEPNSQ_ISL_E10value_typeEPSM_NS1_7vsmem_tEENKUlT_SK_SL_SM_E_clIPiSE_SF_SF_EESJ_SZ_SK_SL_SM_EUlSZ_E0_NS1_11comp_targetILNS1_3genE5ELNS1_11target_archE942ELNS1_3gpuE9ELNS1_3repE0EEENS1_38merge_mergepath_config_static_selectorELNS0_4arch9wavefront6targetE0EEEvSL_
	.globl	_ZN7rocprim17ROCPRIM_400000_NS6detail17trampoline_kernelINS0_14default_configENS1_38merge_sort_block_merge_config_selectorIiNS0_10empty_typeEEEZZNS1_27merge_sort_block_merge_implIS3_N6thrust23THRUST_200600_302600_NS6detail15normal_iteratorINS9_10device_ptrIiEEEEPS5_jNS1_19radix_merge_compareILb0ELb1EiNS0_19identity_decomposerEEEEE10hipError_tT0_T1_T2_jT3_P12ihipStream_tbPNSt15iterator_traitsISK_E10value_typeEPNSQ_ISL_E10value_typeEPSM_NS1_7vsmem_tEENKUlT_SK_SL_SM_E_clIPiSE_SF_SF_EESJ_SZ_SK_SL_SM_EUlSZ_E0_NS1_11comp_targetILNS1_3genE5ELNS1_11target_archE942ELNS1_3gpuE9ELNS1_3repE0EEENS1_38merge_mergepath_config_static_selectorELNS0_4arch9wavefront6targetE0EEEvSL_
	.p2align	8
	.type	_ZN7rocprim17ROCPRIM_400000_NS6detail17trampoline_kernelINS0_14default_configENS1_38merge_sort_block_merge_config_selectorIiNS0_10empty_typeEEEZZNS1_27merge_sort_block_merge_implIS3_N6thrust23THRUST_200600_302600_NS6detail15normal_iteratorINS9_10device_ptrIiEEEEPS5_jNS1_19radix_merge_compareILb0ELb1EiNS0_19identity_decomposerEEEEE10hipError_tT0_T1_T2_jT3_P12ihipStream_tbPNSt15iterator_traitsISK_E10value_typeEPNSQ_ISL_E10value_typeEPSM_NS1_7vsmem_tEENKUlT_SK_SL_SM_E_clIPiSE_SF_SF_EESJ_SZ_SK_SL_SM_EUlSZ_E0_NS1_11comp_targetILNS1_3genE5ELNS1_11target_archE942ELNS1_3gpuE9ELNS1_3repE0EEENS1_38merge_mergepath_config_static_selectorELNS0_4arch9wavefront6targetE0EEEvSL_,@function
_ZN7rocprim17ROCPRIM_400000_NS6detail17trampoline_kernelINS0_14default_configENS1_38merge_sort_block_merge_config_selectorIiNS0_10empty_typeEEEZZNS1_27merge_sort_block_merge_implIS3_N6thrust23THRUST_200600_302600_NS6detail15normal_iteratorINS9_10device_ptrIiEEEEPS5_jNS1_19radix_merge_compareILb0ELb1EiNS0_19identity_decomposerEEEEE10hipError_tT0_T1_T2_jT3_P12ihipStream_tbPNSt15iterator_traitsISK_E10value_typeEPNSQ_ISL_E10value_typeEPSM_NS1_7vsmem_tEENKUlT_SK_SL_SM_E_clIPiSE_SF_SF_EESJ_SZ_SK_SL_SM_EUlSZ_E0_NS1_11comp_targetILNS1_3genE5ELNS1_11target_archE942ELNS1_3gpuE9ELNS1_3repE0EEENS1_38merge_mergepath_config_static_selectorELNS0_4arch9wavefront6targetE0EEEvSL_: ; @_ZN7rocprim17ROCPRIM_400000_NS6detail17trampoline_kernelINS0_14default_configENS1_38merge_sort_block_merge_config_selectorIiNS0_10empty_typeEEEZZNS1_27merge_sort_block_merge_implIS3_N6thrust23THRUST_200600_302600_NS6detail15normal_iteratorINS9_10device_ptrIiEEEEPS5_jNS1_19radix_merge_compareILb0ELb1EiNS0_19identity_decomposerEEEEE10hipError_tT0_T1_T2_jT3_P12ihipStream_tbPNSt15iterator_traitsISK_E10value_typeEPNSQ_ISL_E10value_typeEPSM_NS1_7vsmem_tEENKUlT_SK_SL_SM_E_clIPiSE_SF_SF_EESJ_SZ_SK_SL_SM_EUlSZ_E0_NS1_11comp_targetILNS1_3genE5ELNS1_11target_archE942ELNS1_3gpuE9ELNS1_3repE0EEENS1_38merge_mergepath_config_static_selectorELNS0_4arch9wavefront6targetE0EEEvSL_
; %bb.0:
	.section	.rodata,"a",@progbits
	.p2align	6, 0x0
	.amdhsa_kernel _ZN7rocprim17ROCPRIM_400000_NS6detail17trampoline_kernelINS0_14default_configENS1_38merge_sort_block_merge_config_selectorIiNS0_10empty_typeEEEZZNS1_27merge_sort_block_merge_implIS3_N6thrust23THRUST_200600_302600_NS6detail15normal_iteratorINS9_10device_ptrIiEEEEPS5_jNS1_19radix_merge_compareILb0ELb1EiNS0_19identity_decomposerEEEEE10hipError_tT0_T1_T2_jT3_P12ihipStream_tbPNSt15iterator_traitsISK_E10value_typeEPNSQ_ISL_E10value_typeEPSM_NS1_7vsmem_tEENKUlT_SK_SL_SM_E_clIPiSE_SF_SF_EESJ_SZ_SK_SL_SM_EUlSZ_E0_NS1_11comp_targetILNS1_3genE5ELNS1_11target_archE942ELNS1_3gpuE9ELNS1_3repE0EEENS1_38merge_mergepath_config_static_selectorELNS0_4arch9wavefront6targetE0EEEvSL_
		.amdhsa_group_segment_fixed_size 0
		.amdhsa_private_segment_fixed_size 0
		.amdhsa_kernarg_size 64
		.amdhsa_user_sgpr_count 6
		.amdhsa_user_sgpr_private_segment_buffer 1
		.amdhsa_user_sgpr_dispatch_ptr 0
		.amdhsa_user_sgpr_queue_ptr 0
		.amdhsa_user_sgpr_kernarg_segment_ptr 1
		.amdhsa_user_sgpr_dispatch_id 0
		.amdhsa_user_sgpr_flat_scratch_init 0
		.amdhsa_user_sgpr_private_segment_size 0
		.amdhsa_wavefront_size32 1
		.amdhsa_uses_dynamic_stack 0
		.amdhsa_system_sgpr_private_segment_wavefront_offset 0
		.amdhsa_system_sgpr_workgroup_id_x 1
		.amdhsa_system_sgpr_workgroup_id_y 0
		.amdhsa_system_sgpr_workgroup_id_z 0
		.amdhsa_system_sgpr_workgroup_info 0
		.amdhsa_system_vgpr_workitem_id 0
		.amdhsa_next_free_vgpr 1
		.amdhsa_next_free_sgpr 1
		.amdhsa_reserve_vcc 0
		.amdhsa_reserve_flat_scratch 0
		.amdhsa_float_round_mode_32 0
		.amdhsa_float_round_mode_16_64 0
		.amdhsa_float_denorm_mode_32 3
		.amdhsa_float_denorm_mode_16_64 3
		.amdhsa_dx10_clamp 1
		.amdhsa_ieee_mode 1
		.amdhsa_fp16_overflow 0
		.amdhsa_workgroup_processor_mode 1
		.amdhsa_memory_ordered 1
		.amdhsa_forward_progress 1
		.amdhsa_shared_vgpr_count 0
		.amdhsa_exception_fp_ieee_invalid_op 0
		.amdhsa_exception_fp_denorm_src 0
		.amdhsa_exception_fp_ieee_div_zero 0
		.amdhsa_exception_fp_ieee_overflow 0
		.amdhsa_exception_fp_ieee_underflow 0
		.amdhsa_exception_fp_ieee_inexact 0
		.amdhsa_exception_int_div_zero 0
	.end_amdhsa_kernel
	.section	.text._ZN7rocprim17ROCPRIM_400000_NS6detail17trampoline_kernelINS0_14default_configENS1_38merge_sort_block_merge_config_selectorIiNS0_10empty_typeEEEZZNS1_27merge_sort_block_merge_implIS3_N6thrust23THRUST_200600_302600_NS6detail15normal_iteratorINS9_10device_ptrIiEEEEPS5_jNS1_19radix_merge_compareILb0ELb1EiNS0_19identity_decomposerEEEEE10hipError_tT0_T1_T2_jT3_P12ihipStream_tbPNSt15iterator_traitsISK_E10value_typeEPNSQ_ISL_E10value_typeEPSM_NS1_7vsmem_tEENKUlT_SK_SL_SM_E_clIPiSE_SF_SF_EESJ_SZ_SK_SL_SM_EUlSZ_E0_NS1_11comp_targetILNS1_3genE5ELNS1_11target_archE942ELNS1_3gpuE9ELNS1_3repE0EEENS1_38merge_mergepath_config_static_selectorELNS0_4arch9wavefront6targetE0EEEvSL_,"axG",@progbits,_ZN7rocprim17ROCPRIM_400000_NS6detail17trampoline_kernelINS0_14default_configENS1_38merge_sort_block_merge_config_selectorIiNS0_10empty_typeEEEZZNS1_27merge_sort_block_merge_implIS3_N6thrust23THRUST_200600_302600_NS6detail15normal_iteratorINS9_10device_ptrIiEEEEPS5_jNS1_19radix_merge_compareILb0ELb1EiNS0_19identity_decomposerEEEEE10hipError_tT0_T1_T2_jT3_P12ihipStream_tbPNSt15iterator_traitsISK_E10value_typeEPNSQ_ISL_E10value_typeEPSM_NS1_7vsmem_tEENKUlT_SK_SL_SM_E_clIPiSE_SF_SF_EESJ_SZ_SK_SL_SM_EUlSZ_E0_NS1_11comp_targetILNS1_3genE5ELNS1_11target_archE942ELNS1_3gpuE9ELNS1_3repE0EEENS1_38merge_mergepath_config_static_selectorELNS0_4arch9wavefront6targetE0EEEvSL_,comdat
.Lfunc_end94:
	.size	_ZN7rocprim17ROCPRIM_400000_NS6detail17trampoline_kernelINS0_14default_configENS1_38merge_sort_block_merge_config_selectorIiNS0_10empty_typeEEEZZNS1_27merge_sort_block_merge_implIS3_N6thrust23THRUST_200600_302600_NS6detail15normal_iteratorINS9_10device_ptrIiEEEEPS5_jNS1_19radix_merge_compareILb0ELb1EiNS0_19identity_decomposerEEEEE10hipError_tT0_T1_T2_jT3_P12ihipStream_tbPNSt15iterator_traitsISK_E10value_typeEPNSQ_ISL_E10value_typeEPSM_NS1_7vsmem_tEENKUlT_SK_SL_SM_E_clIPiSE_SF_SF_EESJ_SZ_SK_SL_SM_EUlSZ_E0_NS1_11comp_targetILNS1_3genE5ELNS1_11target_archE942ELNS1_3gpuE9ELNS1_3repE0EEENS1_38merge_mergepath_config_static_selectorELNS0_4arch9wavefront6targetE0EEEvSL_, .Lfunc_end94-_ZN7rocprim17ROCPRIM_400000_NS6detail17trampoline_kernelINS0_14default_configENS1_38merge_sort_block_merge_config_selectorIiNS0_10empty_typeEEEZZNS1_27merge_sort_block_merge_implIS3_N6thrust23THRUST_200600_302600_NS6detail15normal_iteratorINS9_10device_ptrIiEEEEPS5_jNS1_19radix_merge_compareILb0ELb1EiNS0_19identity_decomposerEEEEE10hipError_tT0_T1_T2_jT3_P12ihipStream_tbPNSt15iterator_traitsISK_E10value_typeEPNSQ_ISL_E10value_typeEPSM_NS1_7vsmem_tEENKUlT_SK_SL_SM_E_clIPiSE_SF_SF_EESJ_SZ_SK_SL_SM_EUlSZ_E0_NS1_11comp_targetILNS1_3genE5ELNS1_11target_archE942ELNS1_3gpuE9ELNS1_3repE0EEENS1_38merge_mergepath_config_static_selectorELNS0_4arch9wavefront6targetE0EEEvSL_
                                        ; -- End function
	.set _ZN7rocprim17ROCPRIM_400000_NS6detail17trampoline_kernelINS0_14default_configENS1_38merge_sort_block_merge_config_selectorIiNS0_10empty_typeEEEZZNS1_27merge_sort_block_merge_implIS3_N6thrust23THRUST_200600_302600_NS6detail15normal_iteratorINS9_10device_ptrIiEEEEPS5_jNS1_19radix_merge_compareILb0ELb1EiNS0_19identity_decomposerEEEEE10hipError_tT0_T1_T2_jT3_P12ihipStream_tbPNSt15iterator_traitsISK_E10value_typeEPNSQ_ISL_E10value_typeEPSM_NS1_7vsmem_tEENKUlT_SK_SL_SM_E_clIPiSE_SF_SF_EESJ_SZ_SK_SL_SM_EUlSZ_E0_NS1_11comp_targetILNS1_3genE5ELNS1_11target_archE942ELNS1_3gpuE9ELNS1_3repE0EEENS1_38merge_mergepath_config_static_selectorELNS0_4arch9wavefront6targetE0EEEvSL_.num_vgpr, 0
	.set _ZN7rocprim17ROCPRIM_400000_NS6detail17trampoline_kernelINS0_14default_configENS1_38merge_sort_block_merge_config_selectorIiNS0_10empty_typeEEEZZNS1_27merge_sort_block_merge_implIS3_N6thrust23THRUST_200600_302600_NS6detail15normal_iteratorINS9_10device_ptrIiEEEEPS5_jNS1_19radix_merge_compareILb0ELb1EiNS0_19identity_decomposerEEEEE10hipError_tT0_T1_T2_jT3_P12ihipStream_tbPNSt15iterator_traitsISK_E10value_typeEPNSQ_ISL_E10value_typeEPSM_NS1_7vsmem_tEENKUlT_SK_SL_SM_E_clIPiSE_SF_SF_EESJ_SZ_SK_SL_SM_EUlSZ_E0_NS1_11comp_targetILNS1_3genE5ELNS1_11target_archE942ELNS1_3gpuE9ELNS1_3repE0EEENS1_38merge_mergepath_config_static_selectorELNS0_4arch9wavefront6targetE0EEEvSL_.num_agpr, 0
	.set _ZN7rocprim17ROCPRIM_400000_NS6detail17trampoline_kernelINS0_14default_configENS1_38merge_sort_block_merge_config_selectorIiNS0_10empty_typeEEEZZNS1_27merge_sort_block_merge_implIS3_N6thrust23THRUST_200600_302600_NS6detail15normal_iteratorINS9_10device_ptrIiEEEEPS5_jNS1_19radix_merge_compareILb0ELb1EiNS0_19identity_decomposerEEEEE10hipError_tT0_T1_T2_jT3_P12ihipStream_tbPNSt15iterator_traitsISK_E10value_typeEPNSQ_ISL_E10value_typeEPSM_NS1_7vsmem_tEENKUlT_SK_SL_SM_E_clIPiSE_SF_SF_EESJ_SZ_SK_SL_SM_EUlSZ_E0_NS1_11comp_targetILNS1_3genE5ELNS1_11target_archE942ELNS1_3gpuE9ELNS1_3repE0EEENS1_38merge_mergepath_config_static_selectorELNS0_4arch9wavefront6targetE0EEEvSL_.numbered_sgpr, 0
	.set _ZN7rocprim17ROCPRIM_400000_NS6detail17trampoline_kernelINS0_14default_configENS1_38merge_sort_block_merge_config_selectorIiNS0_10empty_typeEEEZZNS1_27merge_sort_block_merge_implIS3_N6thrust23THRUST_200600_302600_NS6detail15normal_iteratorINS9_10device_ptrIiEEEEPS5_jNS1_19radix_merge_compareILb0ELb1EiNS0_19identity_decomposerEEEEE10hipError_tT0_T1_T2_jT3_P12ihipStream_tbPNSt15iterator_traitsISK_E10value_typeEPNSQ_ISL_E10value_typeEPSM_NS1_7vsmem_tEENKUlT_SK_SL_SM_E_clIPiSE_SF_SF_EESJ_SZ_SK_SL_SM_EUlSZ_E0_NS1_11comp_targetILNS1_3genE5ELNS1_11target_archE942ELNS1_3gpuE9ELNS1_3repE0EEENS1_38merge_mergepath_config_static_selectorELNS0_4arch9wavefront6targetE0EEEvSL_.num_named_barrier, 0
	.set _ZN7rocprim17ROCPRIM_400000_NS6detail17trampoline_kernelINS0_14default_configENS1_38merge_sort_block_merge_config_selectorIiNS0_10empty_typeEEEZZNS1_27merge_sort_block_merge_implIS3_N6thrust23THRUST_200600_302600_NS6detail15normal_iteratorINS9_10device_ptrIiEEEEPS5_jNS1_19radix_merge_compareILb0ELb1EiNS0_19identity_decomposerEEEEE10hipError_tT0_T1_T2_jT3_P12ihipStream_tbPNSt15iterator_traitsISK_E10value_typeEPNSQ_ISL_E10value_typeEPSM_NS1_7vsmem_tEENKUlT_SK_SL_SM_E_clIPiSE_SF_SF_EESJ_SZ_SK_SL_SM_EUlSZ_E0_NS1_11comp_targetILNS1_3genE5ELNS1_11target_archE942ELNS1_3gpuE9ELNS1_3repE0EEENS1_38merge_mergepath_config_static_selectorELNS0_4arch9wavefront6targetE0EEEvSL_.private_seg_size, 0
	.set _ZN7rocprim17ROCPRIM_400000_NS6detail17trampoline_kernelINS0_14default_configENS1_38merge_sort_block_merge_config_selectorIiNS0_10empty_typeEEEZZNS1_27merge_sort_block_merge_implIS3_N6thrust23THRUST_200600_302600_NS6detail15normal_iteratorINS9_10device_ptrIiEEEEPS5_jNS1_19radix_merge_compareILb0ELb1EiNS0_19identity_decomposerEEEEE10hipError_tT0_T1_T2_jT3_P12ihipStream_tbPNSt15iterator_traitsISK_E10value_typeEPNSQ_ISL_E10value_typeEPSM_NS1_7vsmem_tEENKUlT_SK_SL_SM_E_clIPiSE_SF_SF_EESJ_SZ_SK_SL_SM_EUlSZ_E0_NS1_11comp_targetILNS1_3genE5ELNS1_11target_archE942ELNS1_3gpuE9ELNS1_3repE0EEENS1_38merge_mergepath_config_static_selectorELNS0_4arch9wavefront6targetE0EEEvSL_.uses_vcc, 0
	.set _ZN7rocprim17ROCPRIM_400000_NS6detail17trampoline_kernelINS0_14default_configENS1_38merge_sort_block_merge_config_selectorIiNS0_10empty_typeEEEZZNS1_27merge_sort_block_merge_implIS3_N6thrust23THRUST_200600_302600_NS6detail15normal_iteratorINS9_10device_ptrIiEEEEPS5_jNS1_19radix_merge_compareILb0ELb1EiNS0_19identity_decomposerEEEEE10hipError_tT0_T1_T2_jT3_P12ihipStream_tbPNSt15iterator_traitsISK_E10value_typeEPNSQ_ISL_E10value_typeEPSM_NS1_7vsmem_tEENKUlT_SK_SL_SM_E_clIPiSE_SF_SF_EESJ_SZ_SK_SL_SM_EUlSZ_E0_NS1_11comp_targetILNS1_3genE5ELNS1_11target_archE942ELNS1_3gpuE9ELNS1_3repE0EEENS1_38merge_mergepath_config_static_selectorELNS0_4arch9wavefront6targetE0EEEvSL_.uses_flat_scratch, 0
	.set _ZN7rocprim17ROCPRIM_400000_NS6detail17trampoline_kernelINS0_14default_configENS1_38merge_sort_block_merge_config_selectorIiNS0_10empty_typeEEEZZNS1_27merge_sort_block_merge_implIS3_N6thrust23THRUST_200600_302600_NS6detail15normal_iteratorINS9_10device_ptrIiEEEEPS5_jNS1_19radix_merge_compareILb0ELb1EiNS0_19identity_decomposerEEEEE10hipError_tT0_T1_T2_jT3_P12ihipStream_tbPNSt15iterator_traitsISK_E10value_typeEPNSQ_ISL_E10value_typeEPSM_NS1_7vsmem_tEENKUlT_SK_SL_SM_E_clIPiSE_SF_SF_EESJ_SZ_SK_SL_SM_EUlSZ_E0_NS1_11comp_targetILNS1_3genE5ELNS1_11target_archE942ELNS1_3gpuE9ELNS1_3repE0EEENS1_38merge_mergepath_config_static_selectorELNS0_4arch9wavefront6targetE0EEEvSL_.has_dyn_sized_stack, 0
	.set _ZN7rocprim17ROCPRIM_400000_NS6detail17trampoline_kernelINS0_14default_configENS1_38merge_sort_block_merge_config_selectorIiNS0_10empty_typeEEEZZNS1_27merge_sort_block_merge_implIS3_N6thrust23THRUST_200600_302600_NS6detail15normal_iteratorINS9_10device_ptrIiEEEEPS5_jNS1_19radix_merge_compareILb0ELb1EiNS0_19identity_decomposerEEEEE10hipError_tT0_T1_T2_jT3_P12ihipStream_tbPNSt15iterator_traitsISK_E10value_typeEPNSQ_ISL_E10value_typeEPSM_NS1_7vsmem_tEENKUlT_SK_SL_SM_E_clIPiSE_SF_SF_EESJ_SZ_SK_SL_SM_EUlSZ_E0_NS1_11comp_targetILNS1_3genE5ELNS1_11target_archE942ELNS1_3gpuE9ELNS1_3repE0EEENS1_38merge_mergepath_config_static_selectorELNS0_4arch9wavefront6targetE0EEEvSL_.has_recursion, 0
	.set _ZN7rocprim17ROCPRIM_400000_NS6detail17trampoline_kernelINS0_14default_configENS1_38merge_sort_block_merge_config_selectorIiNS0_10empty_typeEEEZZNS1_27merge_sort_block_merge_implIS3_N6thrust23THRUST_200600_302600_NS6detail15normal_iteratorINS9_10device_ptrIiEEEEPS5_jNS1_19radix_merge_compareILb0ELb1EiNS0_19identity_decomposerEEEEE10hipError_tT0_T1_T2_jT3_P12ihipStream_tbPNSt15iterator_traitsISK_E10value_typeEPNSQ_ISL_E10value_typeEPSM_NS1_7vsmem_tEENKUlT_SK_SL_SM_E_clIPiSE_SF_SF_EESJ_SZ_SK_SL_SM_EUlSZ_E0_NS1_11comp_targetILNS1_3genE5ELNS1_11target_archE942ELNS1_3gpuE9ELNS1_3repE0EEENS1_38merge_mergepath_config_static_selectorELNS0_4arch9wavefront6targetE0EEEvSL_.has_indirect_call, 0
	.section	.AMDGPU.csdata,"",@progbits
; Kernel info:
; codeLenInByte = 0
; TotalNumSgprs: 0
; NumVgprs: 0
; ScratchSize: 0
; MemoryBound: 0
; FloatMode: 240
; IeeeMode: 1
; LDSByteSize: 0 bytes/workgroup (compile time only)
; SGPRBlocks: 0
; VGPRBlocks: 0
; NumSGPRsForWavesPerEU: 1
; NumVGPRsForWavesPerEU: 1
; Occupancy: 16
; WaveLimiterHint : 0
; COMPUTE_PGM_RSRC2:SCRATCH_EN: 0
; COMPUTE_PGM_RSRC2:USER_SGPR: 6
; COMPUTE_PGM_RSRC2:TRAP_HANDLER: 0
; COMPUTE_PGM_RSRC2:TGID_X_EN: 1
; COMPUTE_PGM_RSRC2:TGID_Y_EN: 0
; COMPUTE_PGM_RSRC2:TGID_Z_EN: 0
; COMPUTE_PGM_RSRC2:TIDIG_COMP_CNT: 0
	.section	.text._ZN7rocprim17ROCPRIM_400000_NS6detail17trampoline_kernelINS0_14default_configENS1_38merge_sort_block_merge_config_selectorIiNS0_10empty_typeEEEZZNS1_27merge_sort_block_merge_implIS3_N6thrust23THRUST_200600_302600_NS6detail15normal_iteratorINS9_10device_ptrIiEEEEPS5_jNS1_19radix_merge_compareILb0ELb1EiNS0_19identity_decomposerEEEEE10hipError_tT0_T1_T2_jT3_P12ihipStream_tbPNSt15iterator_traitsISK_E10value_typeEPNSQ_ISL_E10value_typeEPSM_NS1_7vsmem_tEENKUlT_SK_SL_SM_E_clIPiSE_SF_SF_EESJ_SZ_SK_SL_SM_EUlSZ_E0_NS1_11comp_targetILNS1_3genE4ELNS1_11target_archE910ELNS1_3gpuE8ELNS1_3repE0EEENS1_38merge_mergepath_config_static_selectorELNS0_4arch9wavefront6targetE0EEEvSL_,"axG",@progbits,_ZN7rocprim17ROCPRIM_400000_NS6detail17trampoline_kernelINS0_14default_configENS1_38merge_sort_block_merge_config_selectorIiNS0_10empty_typeEEEZZNS1_27merge_sort_block_merge_implIS3_N6thrust23THRUST_200600_302600_NS6detail15normal_iteratorINS9_10device_ptrIiEEEEPS5_jNS1_19radix_merge_compareILb0ELb1EiNS0_19identity_decomposerEEEEE10hipError_tT0_T1_T2_jT3_P12ihipStream_tbPNSt15iterator_traitsISK_E10value_typeEPNSQ_ISL_E10value_typeEPSM_NS1_7vsmem_tEENKUlT_SK_SL_SM_E_clIPiSE_SF_SF_EESJ_SZ_SK_SL_SM_EUlSZ_E0_NS1_11comp_targetILNS1_3genE4ELNS1_11target_archE910ELNS1_3gpuE8ELNS1_3repE0EEENS1_38merge_mergepath_config_static_selectorELNS0_4arch9wavefront6targetE0EEEvSL_,comdat
	.protected	_ZN7rocprim17ROCPRIM_400000_NS6detail17trampoline_kernelINS0_14default_configENS1_38merge_sort_block_merge_config_selectorIiNS0_10empty_typeEEEZZNS1_27merge_sort_block_merge_implIS3_N6thrust23THRUST_200600_302600_NS6detail15normal_iteratorINS9_10device_ptrIiEEEEPS5_jNS1_19radix_merge_compareILb0ELb1EiNS0_19identity_decomposerEEEEE10hipError_tT0_T1_T2_jT3_P12ihipStream_tbPNSt15iterator_traitsISK_E10value_typeEPNSQ_ISL_E10value_typeEPSM_NS1_7vsmem_tEENKUlT_SK_SL_SM_E_clIPiSE_SF_SF_EESJ_SZ_SK_SL_SM_EUlSZ_E0_NS1_11comp_targetILNS1_3genE4ELNS1_11target_archE910ELNS1_3gpuE8ELNS1_3repE0EEENS1_38merge_mergepath_config_static_selectorELNS0_4arch9wavefront6targetE0EEEvSL_ ; -- Begin function _ZN7rocprim17ROCPRIM_400000_NS6detail17trampoline_kernelINS0_14default_configENS1_38merge_sort_block_merge_config_selectorIiNS0_10empty_typeEEEZZNS1_27merge_sort_block_merge_implIS3_N6thrust23THRUST_200600_302600_NS6detail15normal_iteratorINS9_10device_ptrIiEEEEPS5_jNS1_19radix_merge_compareILb0ELb1EiNS0_19identity_decomposerEEEEE10hipError_tT0_T1_T2_jT3_P12ihipStream_tbPNSt15iterator_traitsISK_E10value_typeEPNSQ_ISL_E10value_typeEPSM_NS1_7vsmem_tEENKUlT_SK_SL_SM_E_clIPiSE_SF_SF_EESJ_SZ_SK_SL_SM_EUlSZ_E0_NS1_11comp_targetILNS1_3genE4ELNS1_11target_archE910ELNS1_3gpuE8ELNS1_3repE0EEENS1_38merge_mergepath_config_static_selectorELNS0_4arch9wavefront6targetE0EEEvSL_
	.globl	_ZN7rocprim17ROCPRIM_400000_NS6detail17trampoline_kernelINS0_14default_configENS1_38merge_sort_block_merge_config_selectorIiNS0_10empty_typeEEEZZNS1_27merge_sort_block_merge_implIS3_N6thrust23THRUST_200600_302600_NS6detail15normal_iteratorINS9_10device_ptrIiEEEEPS5_jNS1_19radix_merge_compareILb0ELb1EiNS0_19identity_decomposerEEEEE10hipError_tT0_T1_T2_jT3_P12ihipStream_tbPNSt15iterator_traitsISK_E10value_typeEPNSQ_ISL_E10value_typeEPSM_NS1_7vsmem_tEENKUlT_SK_SL_SM_E_clIPiSE_SF_SF_EESJ_SZ_SK_SL_SM_EUlSZ_E0_NS1_11comp_targetILNS1_3genE4ELNS1_11target_archE910ELNS1_3gpuE8ELNS1_3repE0EEENS1_38merge_mergepath_config_static_selectorELNS0_4arch9wavefront6targetE0EEEvSL_
	.p2align	8
	.type	_ZN7rocprim17ROCPRIM_400000_NS6detail17trampoline_kernelINS0_14default_configENS1_38merge_sort_block_merge_config_selectorIiNS0_10empty_typeEEEZZNS1_27merge_sort_block_merge_implIS3_N6thrust23THRUST_200600_302600_NS6detail15normal_iteratorINS9_10device_ptrIiEEEEPS5_jNS1_19radix_merge_compareILb0ELb1EiNS0_19identity_decomposerEEEEE10hipError_tT0_T1_T2_jT3_P12ihipStream_tbPNSt15iterator_traitsISK_E10value_typeEPNSQ_ISL_E10value_typeEPSM_NS1_7vsmem_tEENKUlT_SK_SL_SM_E_clIPiSE_SF_SF_EESJ_SZ_SK_SL_SM_EUlSZ_E0_NS1_11comp_targetILNS1_3genE4ELNS1_11target_archE910ELNS1_3gpuE8ELNS1_3repE0EEENS1_38merge_mergepath_config_static_selectorELNS0_4arch9wavefront6targetE0EEEvSL_,@function
_ZN7rocprim17ROCPRIM_400000_NS6detail17trampoline_kernelINS0_14default_configENS1_38merge_sort_block_merge_config_selectorIiNS0_10empty_typeEEEZZNS1_27merge_sort_block_merge_implIS3_N6thrust23THRUST_200600_302600_NS6detail15normal_iteratorINS9_10device_ptrIiEEEEPS5_jNS1_19radix_merge_compareILb0ELb1EiNS0_19identity_decomposerEEEEE10hipError_tT0_T1_T2_jT3_P12ihipStream_tbPNSt15iterator_traitsISK_E10value_typeEPNSQ_ISL_E10value_typeEPSM_NS1_7vsmem_tEENKUlT_SK_SL_SM_E_clIPiSE_SF_SF_EESJ_SZ_SK_SL_SM_EUlSZ_E0_NS1_11comp_targetILNS1_3genE4ELNS1_11target_archE910ELNS1_3gpuE8ELNS1_3repE0EEENS1_38merge_mergepath_config_static_selectorELNS0_4arch9wavefront6targetE0EEEvSL_: ; @_ZN7rocprim17ROCPRIM_400000_NS6detail17trampoline_kernelINS0_14default_configENS1_38merge_sort_block_merge_config_selectorIiNS0_10empty_typeEEEZZNS1_27merge_sort_block_merge_implIS3_N6thrust23THRUST_200600_302600_NS6detail15normal_iteratorINS9_10device_ptrIiEEEEPS5_jNS1_19radix_merge_compareILb0ELb1EiNS0_19identity_decomposerEEEEE10hipError_tT0_T1_T2_jT3_P12ihipStream_tbPNSt15iterator_traitsISK_E10value_typeEPNSQ_ISL_E10value_typeEPSM_NS1_7vsmem_tEENKUlT_SK_SL_SM_E_clIPiSE_SF_SF_EESJ_SZ_SK_SL_SM_EUlSZ_E0_NS1_11comp_targetILNS1_3genE4ELNS1_11target_archE910ELNS1_3gpuE8ELNS1_3repE0EEENS1_38merge_mergepath_config_static_selectorELNS0_4arch9wavefront6targetE0EEEvSL_
; %bb.0:
	.section	.rodata,"a",@progbits
	.p2align	6, 0x0
	.amdhsa_kernel _ZN7rocprim17ROCPRIM_400000_NS6detail17trampoline_kernelINS0_14default_configENS1_38merge_sort_block_merge_config_selectorIiNS0_10empty_typeEEEZZNS1_27merge_sort_block_merge_implIS3_N6thrust23THRUST_200600_302600_NS6detail15normal_iteratorINS9_10device_ptrIiEEEEPS5_jNS1_19radix_merge_compareILb0ELb1EiNS0_19identity_decomposerEEEEE10hipError_tT0_T1_T2_jT3_P12ihipStream_tbPNSt15iterator_traitsISK_E10value_typeEPNSQ_ISL_E10value_typeEPSM_NS1_7vsmem_tEENKUlT_SK_SL_SM_E_clIPiSE_SF_SF_EESJ_SZ_SK_SL_SM_EUlSZ_E0_NS1_11comp_targetILNS1_3genE4ELNS1_11target_archE910ELNS1_3gpuE8ELNS1_3repE0EEENS1_38merge_mergepath_config_static_selectorELNS0_4arch9wavefront6targetE0EEEvSL_
		.amdhsa_group_segment_fixed_size 0
		.amdhsa_private_segment_fixed_size 0
		.amdhsa_kernarg_size 64
		.amdhsa_user_sgpr_count 6
		.amdhsa_user_sgpr_private_segment_buffer 1
		.amdhsa_user_sgpr_dispatch_ptr 0
		.amdhsa_user_sgpr_queue_ptr 0
		.amdhsa_user_sgpr_kernarg_segment_ptr 1
		.amdhsa_user_sgpr_dispatch_id 0
		.amdhsa_user_sgpr_flat_scratch_init 0
		.amdhsa_user_sgpr_private_segment_size 0
		.amdhsa_wavefront_size32 1
		.amdhsa_uses_dynamic_stack 0
		.amdhsa_system_sgpr_private_segment_wavefront_offset 0
		.amdhsa_system_sgpr_workgroup_id_x 1
		.amdhsa_system_sgpr_workgroup_id_y 0
		.amdhsa_system_sgpr_workgroup_id_z 0
		.amdhsa_system_sgpr_workgroup_info 0
		.amdhsa_system_vgpr_workitem_id 0
		.amdhsa_next_free_vgpr 1
		.amdhsa_next_free_sgpr 1
		.amdhsa_reserve_vcc 0
		.amdhsa_reserve_flat_scratch 0
		.amdhsa_float_round_mode_32 0
		.amdhsa_float_round_mode_16_64 0
		.amdhsa_float_denorm_mode_32 3
		.amdhsa_float_denorm_mode_16_64 3
		.amdhsa_dx10_clamp 1
		.amdhsa_ieee_mode 1
		.amdhsa_fp16_overflow 0
		.amdhsa_workgroup_processor_mode 1
		.amdhsa_memory_ordered 1
		.amdhsa_forward_progress 1
		.amdhsa_shared_vgpr_count 0
		.amdhsa_exception_fp_ieee_invalid_op 0
		.amdhsa_exception_fp_denorm_src 0
		.amdhsa_exception_fp_ieee_div_zero 0
		.amdhsa_exception_fp_ieee_overflow 0
		.amdhsa_exception_fp_ieee_underflow 0
		.amdhsa_exception_fp_ieee_inexact 0
		.amdhsa_exception_int_div_zero 0
	.end_amdhsa_kernel
	.section	.text._ZN7rocprim17ROCPRIM_400000_NS6detail17trampoline_kernelINS0_14default_configENS1_38merge_sort_block_merge_config_selectorIiNS0_10empty_typeEEEZZNS1_27merge_sort_block_merge_implIS3_N6thrust23THRUST_200600_302600_NS6detail15normal_iteratorINS9_10device_ptrIiEEEEPS5_jNS1_19radix_merge_compareILb0ELb1EiNS0_19identity_decomposerEEEEE10hipError_tT0_T1_T2_jT3_P12ihipStream_tbPNSt15iterator_traitsISK_E10value_typeEPNSQ_ISL_E10value_typeEPSM_NS1_7vsmem_tEENKUlT_SK_SL_SM_E_clIPiSE_SF_SF_EESJ_SZ_SK_SL_SM_EUlSZ_E0_NS1_11comp_targetILNS1_3genE4ELNS1_11target_archE910ELNS1_3gpuE8ELNS1_3repE0EEENS1_38merge_mergepath_config_static_selectorELNS0_4arch9wavefront6targetE0EEEvSL_,"axG",@progbits,_ZN7rocprim17ROCPRIM_400000_NS6detail17trampoline_kernelINS0_14default_configENS1_38merge_sort_block_merge_config_selectorIiNS0_10empty_typeEEEZZNS1_27merge_sort_block_merge_implIS3_N6thrust23THRUST_200600_302600_NS6detail15normal_iteratorINS9_10device_ptrIiEEEEPS5_jNS1_19radix_merge_compareILb0ELb1EiNS0_19identity_decomposerEEEEE10hipError_tT0_T1_T2_jT3_P12ihipStream_tbPNSt15iterator_traitsISK_E10value_typeEPNSQ_ISL_E10value_typeEPSM_NS1_7vsmem_tEENKUlT_SK_SL_SM_E_clIPiSE_SF_SF_EESJ_SZ_SK_SL_SM_EUlSZ_E0_NS1_11comp_targetILNS1_3genE4ELNS1_11target_archE910ELNS1_3gpuE8ELNS1_3repE0EEENS1_38merge_mergepath_config_static_selectorELNS0_4arch9wavefront6targetE0EEEvSL_,comdat
.Lfunc_end95:
	.size	_ZN7rocprim17ROCPRIM_400000_NS6detail17trampoline_kernelINS0_14default_configENS1_38merge_sort_block_merge_config_selectorIiNS0_10empty_typeEEEZZNS1_27merge_sort_block_merge_implIS3_N6thrust23THRUST_200600_302600_NS6detail15normal_iteratorINS9_10device_ptrIiEEEEPS5_jNS1_19radix_merge_compareILb0ELb1EiNS0_19identity_decomposerEEEEE10hipError_tT0_T1_T2_jT3_P12ihipStream_tbPNSt15iterator_traitsISK_E10value_typeEPNSQ_ISL_E10value_typeEPSM_NS1_7vsmem_tEENKUlT_SK_SL_SM_E_clIPiSE_SF_SF_EESJ_SZ_SK_SL_SM_EUlSZ_E0_NS1_11comp_targetILNS1_3genE4ELNS1_11target_archE910ELNS1_3gpuE8ELNS1_3repE0EEENS1_38merge_mergepath_config_static_selectorELNS0_4arch9wavefront6targetE0EEEvSL_, .Lfunc_end95-_ZN7rocprim17ROCPRIM_400000_NS6detail17trampoline_kernelINS0_14default_configENS1_38merge_sort_block_merge_config_selectorIiNS0_10empty_typeEEEZZNS1_27merge_sort_block_merge_implIS3_N6thrust23THRUST_200600_302600_NS6detail15normal_iteratorINS9_10device_ptrIiEEEEPS5_jNS1_19radix_merge_compareILb0ELb1EiNS0_19identity_decomposerEEEEE10hipError_tT0_T1_T2_jT3_P12ihipStream_tbPNSt15iterator_traitsISK_E10value_typeEPNSQ_ISL_E10value_typeEPSM_NS1_7vsmem_tEENKUlT_SK_SL_SM_E_clIPiSE_SF_SF_EESJ_SZ_SK_SL_SM_EUlSZ_E0_NS1_11comp_targetILNS1_3genE4ELNS1_11target_archE910ELNS1_3gpuE8ELNS1_3repE0EEENS1_38merge_mergepath_config_static_selectorELNS0_4arch9wavefront6targetE0EEEvSL_
                                        ; -- End function
	.set _ZN7rocprim17ROCPRIM_400000_NS6detail17trampoline_kernelINS0_14default_configENS1_38merge_sort_block_merge_config_selectorIiNS0_10empty_typeEEEZZNS1_27merge_sort_block_merge_implIS3_N6thrust23THRUST_200600_302600_NS6detail15normal_iteratorINS9_10device_ptrIiEEEEPS5_jNS1_19radix_merge_compareILb0ELb1EiNS0_19identity_decomposerEEEEE10hipError_tT0_T1_T2_jT3_P12ihipStream_tbPNSt15iterator_traitsISK_E10value_typeEPNSQ_ISL_E10value_typeEPSM_NS1_7vsmem_tEENKUlT_SK_SL_SM_E_clIPiSE_SF_SF_EESJ_SZ_SK_SL_SM_EUlSZ_E0_NS1_11comp_targetILNS1_3genE4ELNS1_11target_archE910ELNS1_3gpuE8ELNS1_3repE0EEENS1_38merge_mergepath_config_static_selectorELNS0_4arch9wavefront6targetE0EEEvSL_.num_vgpr, 0
	.set _ZN7rocprim17ROCPRIM_400000_NS6detail17trampoline_kernelINS0_14default_configENS1_38merge_sort_block_merge_config_selectorIiNS0_10empty_typeEEEZZNS1_27merge_sort_block_merge_implIS3_N6thrust23THRUST_200600_302600_NS6detail15normal_iteratorINS9_10device_ptrIiEEEEPS5_jNS1_19radix_merge_compareILb0ELb1EiNS0_19identity_decomposerEEEEE10hipError_tT0_T1_T2_jT3_P12ihipStream_tbPNSt15iterator_traitsISK_E10value_typeEPNSQ_ISL_E10value_typeEPSM_NS1_7vsmem_tEENKUlT_SK_SL_SM_E_clIPiSE_SF_SF_EESJ_SZ_SK_SL_SM_EUlSZ_E0_NS1_11comp_targetILNS1_3genE4ELNS1_11target_archE910ELNS1_3gpuE8ELNS1_3repE0EEENS1_38merge_mergepath_config_static_selectorELNS0_4arch9wavefront6targetE0EEEvSL_.num_agpr, 0
	.set _ZN7rocprim17ROCPRIM_400000_NS6detail17trampoline_kernelINS0_14default_configENS1_38merge_sort_block_merge_config_selectorIiNS0_10empty_typeEEEZZNS1_27merge_sort_block_merge_implIS3_N6thrust23THRUST_200600_302600_NS6detail15normal_iteratorINS9_10device_ptrIiEEEEPS5_jNS1_19radix_merge_compareILb0ELb1EiNS0_19identity_decomposerEEEEE10hipError_tT0_T1_T2_jT3_P12ihipStream_tbPNSt15iterator_traitsISK_E10value_typeEPNSQ_ISL_E10value_typeEPSM_NS1_7vsmem_tEENKUlT_SK_SL_SM_E_clIPiSE_SF_SF_EESJ_SZ_SK_SL_SM_EUlSZ_E0_NS1_11comp_targetILNS1_3genE4ELNS1_11target_archE910ELNS1_3gpuE8ELNS1_3repE0EEENS1_38merge_mergepath_config_static_selectorELNS0_4arch9wavefront6targetE0EEEvSL_.numbered_sgpr, 0
	.set _ZN7rocprim17ROCPRIM_400000_NS6detail17trampoline_kernelINS0_14default_configENS1_38merge_sort_block_merge_config_selectorIiNS0_10empty_typeEEEZZNS1_27merge_sort_block_merge_implIS3_N6thrust23THRUST_200600_302600_NS6detail15normal_iteratorINS9_10device_ptrIiEEEEPS5_jNS1_19radix_merge_compareILb0ELb1EiNS0_19identity_decomposerEEEEE10hipError_tT0_T1_T2_jT3_P12ihipStream_tbPNSt15iterator_traitsISK_E10value_typeEPNSQ_ISL_E10value_typeEPSM_NS1_7vsmem_tEENKUlT_SK_SL_SM_E_clIPiSE_SF_SF_EESJ_SZ_SK_SL_SM_EUlSZ_E0_NS1_11comp_targetILNS1_3genE4ELNS1_11target_archE910ELNS1_3gpuE8ELNS1_3repE0EEENS1_38merge_mergepath_config_static_selectorELNS0_4arch9wavefront6targetE0EEEvSL_.num_named_barrier, 0
	.set _ZN7rocprim17ROCPRIM_400000_NS6detail17trampoline_kernelINS0_14default_configENS1_38merge_sort_block_merge_config_selectorIiNS0_10empty_typeEEEZZNS1_27merge_sort_block_merge_implIS3_N6thrust23THRUST_200600_302600_NS6detail15normal_iteratorINS9_10device_ptrIiEEEEPS5_jNS1_19radix_merge_compareILb0ELb1EiNS0_19identity_decomposerEEEEE10hipError_tT0_T1_T2_jT3_P12ihipStream_tbPNSt15iterator_traitsISK_E10value_typeEPNSQ_ISL_E10value_typeEPSM_NS1_7vsmem_tEENKUlT_SK_SL_SM_E_clIPiSE_SF_SF_EESJ_SZ_SK_SL_SM_EUlSZ_E0_NS1_11comp_targetILNS1_3genE4ELNS1_11target_archE910ELNS1_3gpuE8ELNS1_3repE0EEENS1_38merge_mergepath_config_static_selectorELNS0_4arch9wavefront6targetE0EEEvSL_.private_seg_size, 0
	.set _ZN7rocprim17ROCPRIM_400000_NS6detail17trampoline_kernelINS0_14default_configENS1_38merge_sort_block_merge_config_selectorIiNS0_10empty_typeEEEZZNS1_27merge_sort_block_merge_implIS3_N6thrust23THRUST_200600_302600_NS6detail15normal_iteratorINS9_10device_ptrIiEEEEPS5_jNS1_19radix_merge_compareILb0ELb1EiNS0_19identity_decomposerEEEEE10hipError_tT0_T1_T2_jT3_P12ihipStream_tbPNSt15iterator_traitsISK_E10value_typeEPNSQ_ISL_E10value_typeEPSM_NS1_7vsmem_tEENKUlT_SK_SL_SM_E_clIPiSE_SF_SF_EESJ_SZ_SK_SL_SM_EUlSZ_E0_NS1_11comp_targetILNS1_3genE4ELNS1_11target_archE910ELNS1_3gpuE8ELNS1_3repE0EEENS1_38merge_mergepath_config_static_selectorELNS0_4arch9wavefront6targetE0EEEvSL_.uses_vcc, 0
	.set _ZN7rocprim17ROCPRIM_400000_NS6detail17trampoline_kernelINS0_14default_configENS1_38merge_sort_block_merge_config_selectorIiNS0_10empty_typeEEEZZNS1_27merge_sort_block_merge_implIS3_N6thrust23THRUST_200600_302600_NS6detail15normal_iteratorINS9_10device_ptrIiEEEEPS5_jNS1_19radix_merge_compareILb0ELb1EiNS0_19identity_decomposerEEEEE10hipError_tT0_T1_T2_jT3_P12ihipStream_tbPNSt15iterator_traitsISK_E10value_typeEPNSQ_ISL_E10value_typeEPSM_NS1_7vsmem_tEENKUlT_SK_SL_SM_E_clIPiSE_SF_SF_EESJ_SZ_SK_SL_SM_EUlSZ_E0_NS1_11comp_targetILNS1_3genE4ELNS1_11target_archE910ELNS1_3gpuE8ELNS1_3repE0EEENS1_38merge_mergepath_config_static_selectorELNS0_4arch9wavefront6targetE0EEEvSL_.uses_flat_scratch, 0
	.set _ZN7rocprim17ROCPRIM_400000_NS6detail17trampoline_kernelINS0_14default_configENS1_38merge_sort_block_merge_config_selectorIiNS0_10empty_typeEEEZZNS1_27merge_sort_block_merge_implIS3_N6thrust23THRUST_200600_302600_NS6detail15normal_iteratorINS9_10device_ptrIiEEEEPS5_jNS1_19radix_merge_compareILb0ELb1EiNS0_19identity_decomposerEEEEE10hipError_tT0_T1_T2_jT3_P12ihipStream_tbPNSt15iterator_traitsISK_E10value_typeEPNSQ_ISL_E10value_typeEPSM_NS1_7vsmem_tEENKUlT_SK_SL_SM_E_clIPiSE_SF_SF_EESJ_SZ_SK_SL_SM_EUlSZ_E0_NS1_11comp_targetILNS1_3genE4ELNS1_11target_archE910ELNS1_3gpuE8ELNS1_3repE0EEENS1_38merge_mergepath_config_static_selectorELNS0_4arch9wavefront6targetE0EEEvSL_.has_dyn_sized_stack, 0
	.set _ZN7rocprim17ROCPRIM_400000_NS6detail17trampoline_kernelINS0_14default_configENS1_38merge_sort_block_merge_config_selectorIiNS0_10empty_typeEEEZZNS1_27merge_sort_block_merge_implIS3_N6thrust23THRUST_200600_302600_NS6detail15normal_iteratorINS9_10device_ptrIiEEEEPS5_jNS1_19radix_merge_compareILb0ELb1EiNS0_19identity_decomposerEEEEE10hipError_tT0_T1_T2_jT3_P12ihipStream_tbPNSt15iterator_traitsISK_E10value_typeEPNSQ_ISL_E10value_typeEPSM_NS1_7vsmem_tEENKUlT_SK_SL_SM_E_clIPiSE_SF_SF_EESJ_SZ_SK_SL_SM_EUlSZ_E0_NS1_11comp_targetILNS1_3genE4ELNS1_11target_archE910ELNS1_3gpuE8ELNS1_3repE0EEENS1_38merge_mergepath_config_static_selectorELNS0_4arch9wavefront6targetE0EEEvSL_.has_recursion, 0
	.set _ZN7rocprim17ROCPRIM_400000_NS6detail17trampoline_kernelINS0_14default_configENS1_38merge_sort_block_merge_config_selectorIiNS0_10empty_typeEEEZZNS1_27merge_sort_block_merge_implIS3_N6thrust23THRUST_200600_302600_NS6detail15normal_iteratorINS9_10device_ptrIiEEEEPS5_jNS1_19radix_merge_compareILb0ELb1EiNS0_19identity_decomposerEEEEE10hipError_tT0_T1_T2_jT3_P12ihipStream_tbPNSt15iterator_traitsISK_E10value_typeEPNSQ_ISL_E10value_typeEPSM_NS1_7vsmem_tEENKUlT_SK_SL_SM_E_clIPiSE_SF_SF_EESJ_SZ_SK_SL_SM_EUlSZ_E0_NS1_11comp_targetILNS1_3genE4ELNS1_11target_archE910ELNS1_3gpuE8ELNS1_3repE0EEENS1_38merge_mergepath_config_static_selectorELNS0_4arch9wavefront6targetE0EEEvSL_.has_indirect_call, 0
	.section	.AMDGPU.csdata,"",@progbits
; Kernel info:
; codeLenInByte = 0
; TotalNumSgprs: 0
; NumVgprs: 0
; ScratchSize: 0
; MemoryBound: 0
; FloatMode: 240
; IeeeMode: 1
; LDSByteSize: 0 bytes/workgroup (compile time only)
; SGPRBlocks: 0
; VGPRBlocks: 0
; NumSGPRsForWavesPerEU: 1
; NumVGPRsForWavesPerEU: 1
; Occupancy: 16
; WaveLimiterHint : 0
; COMPUTE_PGM_RSRC2:SCRATCH_EN: 0
; COMPUTE_PGM_RSRC2:USER_SGPR: 6
; COMPUTE_PGM_RSRC2:TRAP_HANDLER: 0
; COMPUTE_PGM_RSRC2:TGID_X_EN: 1
; COMPUTE_PGM_RSRC2:TGID_Y_EN: 0
; COMPUTE_PGM_RSRC2:TGID_Z_EN: 0
; COMPUTE_PGM_RSRC2:TIDIG_COMP_CNT: 0
	.section	.text._ZN7rocprim17ROCPRIM_400000_NS6detail17trampoline_kernelINS0_14default_configENS1_38merge_sort_block_merge_config_selectorIiNS0_10empty_typeEEEZZNS1_27merge_sort_block_merge_implIS3_N6thrust23THRUST_200600_302600_NS6detail15normal_iteratorINS9_10device_ptrIiEEEEPS5_jNS1_19radix_merge_compareILb0ELb1EiNS0_19identity_decomposerEEEEE10hipError_tT0_T1_T2_jT3_P12ihipStream_tbPNSt15iterator_traitsISK_E10value_typeEPNSQ_ISL_E10value_typeEPSM_NS1_7vsmem_tEENKUlT_SK_SL_SM_E_clIPiSE_SF_SF_EESJ_SZ_SK_SL_SM_EUlSZ_E0_NS1_11comp_targetILNS1_3genE3ELNS1_11target_archE908ELNS1_3gpuE7ELNS1_3repE0EEENS1_38merge_mergepath_config_static_selectorELNS0_4arch9wavefront6targetE0EEEvSL_,"axG",@progbits,_ZN7rocprim17ROCPRIM_400000_NS6detail17trampoline_kernelINS0_14default_configENS1_38merge_sort_block_merge_config_selectorIiNS0_10empty_typeEEEZZNS1_27merge_sort_block_merge_implIS3_N6thrust23THRUST_200600_302600_NS6detail15normal_iteratorINS9_10device_ptrIiEEEEPS5_jNS1_19radix_merge_compareILb0ELb1EiNS0_19identity_decomposerEEEEE10hipError_tT0_T1_T2_jT3_P12ihipStream_tbPNSt15iterator_traitsISK_E10value_typeEPNSQ_ISL_E10value_typeEPSM_NS1_7vsmem_tEENKUlT_SK_SL_SM_E_clIPiSE_SF_SF_EESJ_SZ_SK_SL_SM_EUlSZ_E0_NS1_11comp_targetILNS1_3genE3ELNS1_11target_archE908ELNS1_3gpuE7ELNS1_3repE0EEENS1_38merge_mergepath_config_static_selectorELNS0_4arch9wavefront6targetE0EEEvSL_,comdat
	.protected	_ZN7rocprim17ROCPRIM_400000_NS6detail17trampoline_kernelINS0_14default_configENS1_38merge_sort_block_merge_config_selectorIiNS0_10empty_typeEEEZZNS1_27merge_sort_block_merge_implIS3_N6thrust23THRUST_200600_302600_NS6detail15normal_iteratorINS9_10device_ptrIiEEEEPS5_jNS1_19radix_merge_compareILb0ELb1EiNS0_19identity_decomposerEEEEE10hipError_tT0_T1_T2_jT3_P12ihipStream_tbPNSt15iterator_traitsISK_E10value_typeEPNSQ_ISL_E10value_typeEPSM_NS1_7vsmem_tEENKUlT_SK_SL_SM_E_clIPiSE_SF_SF_EESJ_SZ_SK_SL_SM_EUlSZ_E0_NS1_11comp_targetILNS1_3genE3ELNS1_11target_archE908ELNS1_3gpuE7ELNS1_3repE0EEENS1_38merge_mergepath_config_static_selectorELNS0_4arch9wavefront6targetE0EEEvSL_ ; -- Begin function _ZN7rocprim17ROCPRIM_400000_NS6detail17trampoline_kernelINS0_14default_configENS1_38merge_sort_block_merge_config_selectorIiNS0_10empty_typeEEEZZNS1_27merge_sort_block_merge_implIS3_N6thrust23THRUST_200600_302600_NS6detail15normal_iteratorINS9_10device_ptrIiEEEEPS5_jNS1_19radix_merge_compareILb0ELb1EiNS0_19identity_decomposerEEEEE10hipError_tT0_T1_T2_jT3_P12ihipStream_tbPNSt15iterator_traitsISK_E10value_typeEPNSQ_ISL_E10value_typeEPSM_NS1_7vsmem_tEENKUlT_SK_SL_SM_E_clIPiSE_SF_SF_EESJ_SZ_SK_SL_SM_EUlSZ_E0_NS1_11comp_targetILNS1_3genE3ELNS1_11target_archE908ELNS1_3gpuE7ELNS1_3repE0EEENS1_38merge_mergepath_config_static_selectorELNS0_4arch9wavefront6targetE0EEEvSL_
	.globl	_ZN7rocprim17ROCPRIM_400000_NS6detail17trampoline_kernelINS0_14default_configENS1_38merge_sort_block_merge_config_selectorIiNS0_10empty_typeEEEZZNS1_27merge_sort_block_merge_implIS3_N6thrust23THRUST_200600_302600_NS6detail15normal_iteratorINS9_10device_ptrIiEEEEPS5_jNS1_19radix_merge_compareILb0ELb1EiNS0_19identity_decomposerEEEEE10hipError_tT0_T1_T2_jT3_P12ihipStream_tbPNSt15iterator_traitsISK_E10value_typeEPNSQ_ISL_E10value_typeEPSM_NS1_7vsmem_tEENKUlT_SK_SL_SM_E_clIPiSE_SF_SF_EESJ_SZ_SK_SL_SM_EUlSZ_E0_NS1_11comp_targetILNS1_3genE3ELNS1_11target_archE908ELNS1_3gpuE7ELNS1_3repE0EEENS1_38merge_mergepath_config_static_selectorELNS0_4arch9wavefront6targetE0EEEvSL_
	.p2align	8
	.type	_ZN7rocprim17ROCPRIM_400000_NS6detail17trampoline_kernelINS0_14default_configENS1_38merge_sort_block_merge_config_selectorIiNS0_10empty_typeEEEZZNS1_27merge_sort_block_merge_implIS3_N6thrust23THRUST_200600_302600_NS6detail15normal_iteratorINS9_10device_ptrIiEEEEPS5_jNS1_19radix_merge_compareILb0ELb1EiNS0_19identity_decomposerEEEEE10hipError_tT0_T1_T2_jT3_P12ihipStream_tbPNSt15iterator_traitsISK_E10value_typeEPNSQ_ISL_E10value_typeEPSM_NS1_7vsmem_tEENKUlT_SK_SL_SM_E_clIPiSE_SF_SF_EESJ_SZ_SK_SL_SM_EUlSZ_E0_NS1_11comp_targetILNS1_3genE3ELNS1_11target_archE908ELNS1_3gpuE7ELNS1_3repE0EEENS1_38merge_mergepath_config_static_selectorELNS0_4arch9wavefront6targetE0EEEvSL_,@function
_ZN7rocprim17ROCPRIM_400000_NS6detail17trampoline_kernelINS0_14default_configENS1_38merge_sort_block_merge_config_selectorIiNS0_10empty_typeEEEZZNS1_27merge_sort_block_merge_implIS3_N6thrust23THRUST_200600_302600_NS6detail15normal_iteratorINS9_10device_ptrIiEEEEPS5_jNS1_19radix_merge_compareILb0ELb1EiNS0_19identity_decomposerEEEEE10hipError_tT0_T1_T2_jT3_P12ihipStream_tbPNSt15iterator_traitsISK_E10value_typeEPNSQ_ISL_E10value_typeEPSM_NS1_7vsmem_tEENKUlT_SK_SL_SM_E_clIPiSE_SF_SF_EESJ_SZ_SK_SL_SM_EUlSZ_E0_NS1_11comp_targetILNS1_3genE3ELNS1_11target_archE908ELNS1_3gpuE7ELNS1_3repE0EEENS1_38merge_mergepath_config_static_selectorELNS0_4arch9wavefront6targetE0EEEvSL_: ; @_ZN7rocprim17ROCPRIM_400000_NS6detail17trampoline_kernelINS0_14default_configENS1_38merge_sort_block_merge_config_selectorIiNS0_10empty_typeEEEZZNS1_27merge_sort_block_merge_implIS3_N6thrust23THRUST_200600_302600_NS6detail15normal_iteratorINS9_10device_ptrIiEEEEPS5_jNS1_19radix_merge_compareILb0ELb1EiNS0_19identity_decomposerEEEEE10hipError_tT0_T1_T2_jT3_P12ihipStream_tbPNSt15iterator_traitsISK_E10value_typeEPNSQ_ISL_E10value_typeEPSM_NS1_7vsmem_tEENKUlT_SK_SL_SM_E_clIPiSE_SF_SF_EESJ_SZ_SK_SL_SM_EUlSZ_E0_NS1_11comp_targetILNS1_3genE3ELNS1_11target_archE908ELNS1_3gpuE7ELNS1_3repE0EEENS1_38merge_mergepath_config_static_selectorELNS0_4arch9wavefront6targetE0EEEvSL_
; %bb.0:
	.section	.rodata,"a",@progbits
	.p2align	6, 0x0
	.amdhsa_kernel _ZN7rocprim17ROCPRIM_400000_NS6detail17trampoline_kernelINS0_14default_configENS1_38merge_sort_block_merge_config_selectorIiNS0_10empty_typeEEEZZNS1_27merge_sort_block_merge_implIS3_N6thrust23THRUST_200600_302600_NS6detail15normal_iteratorINS9_10device_ptrIiEEEEPS5_jNS1_19radix_merge_compareILb0ELb1EiNS0_19identity_decomposerEEEEE10hipError_tT0_T1_T2_jT3_P12ihipStream_tbPNSt15iterator_traitsISK_E10value_typeEPNSQ_ISL_E10value_typeEPSM_NS1_7vsmem_tEENKUlT_SK_SL_SM_E_clIPiSE_SF_SF_EESJ_SZ_SK_SL_SM_EUlSZ_E0_NS1_11comp_targetILNS1_3genE3ELNS1_11target_archE908ELNS1_3gpuE7ELNS1_3repE0EEENS1_38merge_mergepath_config_static_selectorELNS0_4arch9wavefront6targetE0EEEvSL_
		.amdhsa_group_segment_fixed_size 0
		.amdhsa_private_segment_fixed_size 0
		.amdhsa_kernarg_size 64
		.amdhsa_user_sgpr_count 6
		.amdhsa_user_sgpr_private_segment_buffer 1
		.amdhsa_user_sgpr_dispatch_ptr 0
		.amdhsa_user_sgpr_queue_ptr 0
		.amdhsa_user_sgpr_kernarg_segment_ptr 1
		.amdhsa_user_sgpr_dispatch_id 0
		.amdhsa_user_sgpr_flat_scratch_init 0
		.amdhsa_user_sgpr_private_segment_size 0
		.amdhsa_wavefront_size32 1
		.amdhsa_uses_dynamic_stack 0
		.amdhsa_system_sgpr_private_segment_wavefront_offset 0
		.amdhsa_system_sgpr_workgroup_id_x 1
		.amdhsa_system_sgpr_workgroup_id_y 0
		.amdhsa_system_sgpr_workgroup_id_z 0
		.amdhsa_system_sgpr_workgroup_info 0
		.amdhsa_system_vgpr_workitem_id 0
		.amdhsa_next_free_vgpr 1
		.amdhsa_next_free_sgpr 1
		.amdhsa_reserve_vcc 0
		.amdhsa_reserve_flat_scratch 0
		.amdhsa_float_round_mode_32 0
		.amdhsa_float_round_mode_16_64 0
		.amdhsa_float_denorm_mode_32 3
		.amdhsa_float_denorm_mode_16_64 3
		.amdhsa_dx10_clamp 1
		.amdhsa_ieee_mode 1
		.amdhsa_fp16_overflow 0
		.amdhsa_workgroup_processor_mode 1
		.amdhsa_memory_ordered 1
		.amdhsa_forward_progress 1
		.amdhsa_shared_vgpr_count 0
		.amdhsa_exception_fp_ieee_invalid_op 0
		.amdhsa_exception_fp_denorm_src 0
		.amdhsa_exception_fp_ieee_div_zero 0
		.amdhsa_exception_fp_ieee_overflow 0
		.amdhsa_exception_fp_ieee_underflow 0
		.amdhsa_exception_fp_ieee_inexact 0
		.amdhsa_exception_int_div_zero 0
	.end_amdhsa_kernel
	.section	.text._ZN7rocprim17ROCPRIM_400000_NS6detail17trampoline_kernelINS0_14default_configENS1_38merge_sort_block_merge_config_selectorIiNS0_10empty_typeEEEZZNS1_27merge_sort_block_merge_implIS3_N6thrust23THRUST_200600_302600_NS6detail15normal_iteratorINS9_10device_ptrIiEEEEPS5_jNS1_19radix_merge_compareILb0ELb1EiNS0_19identity_decomposerEEEEE10hipError_tT0_T1_T2_jT3_P12ihipStream_tbPNSt15iterator_traitsISK_E10value_typeEPNSQ_ISL_E10value_typeEPSM_NS1_7vsmem_tEENKUlT_SK_SL_SM_E_clIPiSE_SF_SF_EESJ_SZ_SK_SL_SM_EUlSZ_E0_NS1_11comp_targetILNS1_3genE3ELNS1_11target_archE908ELNS1_3gpuE7ELNS1_3repE0EEENS1_38merge_mergepath_config_static_selectorELNS0_4arch9wavefront6targetE0EEEvSL_,"axG",@progbits,_ZN7rocprim17ROCPRIM_400000_NS6detail17trampoline_kernelINS0_14default_configENS1_38merge_sort_block_merge_config_selectorIiNS0_10empty_typeEEEZZNS1_27merge_sort_block_merge_implIS3_N6thrust23THRUST_200600_302600_NS6detail15normal_iteratorINS9_10device_ptrIiEEEEPS5_jNS1_19radix_merge_compareILb0ELb1EiNS0_19identity_decomposerEEEEE10hipError_tT0_T1_T2_jT3_P12ihipStream_tbPNSt15iterator_traitsISK_E10value_typeEPNSQ_ISL_E10value_typeEPSM_NS1_7vsmem_tEENKUlT_SK_SL_SM_E_clIPiSE_SF_SF_EESJ_SZ_SK_SL_SM_EUlSZ_E0_NS1_11comp_targetILNS1_3genE3ELNS1_11target_archE908ELNS1_3gpuE7ELNS1_3repE0EEENS1_38merge_mergepath_config_static_selectorELNS0_4arch9wavefront6targetE0EEEvSL_,comdat
.Lfunc_end96:
	.size	_ZN7rocprim17ROCPRIM_400000_NS6detail17trampoline_kernelINS0_14default_configENS1_38merge_sort_block_merge_config_selectorIiNS0_10empty_typeEEEZZNS1_27merge_sort_block_merge_implIS3_N6thrust23THRUST_200600_302600_NS6detail15normal_iteratorINS9_10device_ptrIiEEEEPS5_jNS1_19radix_merge_compareILb0ELb1EiNS0_19identity_decomposerEEEEE10hipError_tT0_T1_T2_jT3_P12ihipStream_tbPNSt15iterator_traitsISK_E10value_typeEPNSQ_ISL_E10value_typeEPSM_NS1_7vsmem_tEENKUlT_SK_SL_SM_E_clIPiSE_SF_SF_EESJ_SZ_SK_SL_SM_EUlSZ_E0_NS1_11comp_targetILNS1_3genE3ELNS1_11target_archE908ELNS1_3gpuE7ELNS1_3repE0EEENS1_38merge_mergepath_config_static_selectorELNS0_4arch9wavefront6targetE0EEEvSL_, .Lfunc_end96-_ZN7rocprim17ROCPRIM_400000_NS6detail17trampoline_kernelINS0_14default_configENS1_38merge_sort_block_merge_config_selectorIiNS0_10empty_typeEEEZZNS1_27merge_sort_block_merge_implIS3_N6thrust23THRUST_200600_302600_NS6detail15normal_iteratorINS9_10device_ptrIiEEEEPS5_jNS1_19radix_merge_compareILb0ELb1EiNS0_19identity_decomposerEEEEE10hipError_tT0_T1_T2_jT3_P12ihipStream_tbPNSt15iterator_traitsISK_E10value_typeEPNSQ_ISL_E10value_typeEPSM_NS1_7vsmem_tEENKUlT_SK_SL_SM_E_clIPiSE_SF_SF_EESJ_SZ_SK_SL_SM_EUlSZ_E0_NS1_11comp_targetILNS1_3genE3ELNS1_11target_archE908ELNS1_3gpuE7ELNS1_3repE0EEENS1_38merge_mergepath_config_static_selectorELNS0_4arch9wavefront6targetE0EEEvSL_
                                        ; -- End function
	.set _ZN7rocprim17ROCPRIM_400000_NS6detail17trampoline_kernelINS0_14default_configENS1_38merge_sort_block_merge_config_selectorIiNS0_10empty_typeEEEZZNS1_27merge_sort_block_merge_implIS3_N6thrust23THRUST_200600_302600_NS6detail15normal_iteratorINS9_10device_ptrIiEEEEPS5_jNS1_19radix_merge_compareILb0ELb1EiNS0_19identity_decomposerEEEEE10hipError_tT0_T1_T2_jT3_P12ihipStream_tbPNSt15iterator_traitsISK_E10value_typeEPNSQ_ISL_E10value_typeEPSM_NS1_7vsmem_tEENKUlT_SK_SL_SM_E_clIPiSE_SF_SF_EESJ_SZ_SK_SL_SM_EUlSZ_E0_NS1_11comp_targetILNS1_3genE3ELNS1_11target_archE908ELNS1_3gpuE7ELNS1_3repE0EEENS1_38merge_mergepath_config_static_selectorELNS0_4arch9wavefront6targetE0EEEvSL_.num_vgpr, 0
	.set _ZN7rocprim17ROCPRIM_400000_NS6detail17trampoline_kernelINS0_14default_configENS1_38merge_sort_block_merge_config_selectorIiNS0_10empty_typeEEEZZNS1_27merge_sort_block_merge_implIS3_N6thrust23THRUST_200600_302600_NS6detail15normal_iteratorINS9_10device_ptrIiEEEEPS5_jNS1_19radix_merge_compareILb0ELb1EiNS0_19identity_decomposerEEEEE10hipError_tT0_T1_T2_jT3_P12ihipStream_tbPNSt15iterator_traitsISK_E10value_typeEPNSQ_ISL_E10value_typeEPSM_NS1_7vsmem_tEENKUlT_SK_SL_SM_E_clIPiSE_SF_SF_EESJ_SZ_SK_SL_SM_EUlSZ_E0_NS1_11comp_targetILNS1_3genE3ELNS1_11target_archE908ELNS1_3gpuE7ELNS1_3repE0EEENS1_38merge_mergepath_config_static_selectorELNS0_4arch9wavefront6targetE0EEEvSL_.num_agpr, 0
	.set _ZN7rocprim17ROCPRIM_400000_NS6detail17trampoline_kernelINS0_14default_configENS1_38merge_sort_block_merge_config_selectorIiNS0_10empty_typeEEEZZNS1_27merge_sort_block_merge_implIS3_N6thrust23THRUST_200600_302600_NS6detail15normal_iteratorINS9_10device_ptrIiEEEEPS5_jNS1_19radix_merge_compareILb0ELb1EiNS0_19identity_decomposerEEEEE10hipError_tT0_T1_T2_jT3_P12ihipStream_tbPNSt15iterator_traitsISK_E10value_typeEPNSQ_ISL_E10value_typeEPSM_NS1_7vsmem_tEENKUlT_SK_SL_SM_E_clIPiSE_SF_SF_EESJ_SZ_SK_SL_SM_EUlSZ_E0_NS1_11comp_targetILNS1_3genE3ELNS1_11target_archE908ELNS1_3gpuE7ELNS1_3repE0EEENS1_38merge_mergepath_config_static_selectorELNS0_4arch9wavefront6targetE0EEEvSL_.numbered_sgpr, 0
	.set _ZN7rocprim17ROCPRIM_400000_NS6detail17trampoline_kernelINS0_14default_configENS1_38merge_sort_block_merge_config_selectorIiNS0_10empty_typeEEEZZNS1_27merge_sort_block_merge_implIS3_N6thrust23THRUST_200600_302600_NS6detail15normal_iteratorINS9_10device_ptrIiEEEEPS5_jNS1_19radix_merge_compareILb0ELb1EiNS0_19identity_decomposerEEEEE10hipError_tT0_T1_T2_jT3_P12ihipStream_tbPNSt15iterator_traitsISK_E10value_typeEPNSQ_ISL_E10value_typeEPSM_NS1_7vsmem_tEENKUlT_SK_SL_SM_E_clIPiSE_SF_SF_EESJ_SZ_SK_SL_SM_EUlSZ_E0_NS1_11comp_targetILNS1_3genE3ELNS1_11target_archE908ELNS1_3gpuE7ELNS1_3repE0EEENS1_38merge_mergepath_config_static_selectorELNS0_4arch9wavefront6targetE0EEEvSL_.num_named_barrier, 0
	.set _ZN7rocprim17ROCPRIM_400000_NS6detail17trampoline_kernelINS0_14default_configENS1_38merge_sort_block_merge_config_selectorIiNS0_10empty_typeEEEZZNS1_27merge_sort_block_merge_implIS3_N6thrust23THRUST_200600_302600_NS6detail15normal_iteratorINS9_10device_ptrIiEEEEPS5_jNS1_19radix_merge_compareILb0ELb1EiNS0_19identity_decomposerEEEEE10hipError_tT0_T1_T2_jT3_P12ihipStream_tbPNSt15iterator_traitsISK_E10value_typeEPNSQ_ISL_E10value_typeEPSM_NS1_7vsmem_tEENKUlT_SK_SL_SM_E_clIPiSE_SF_SF_EESJ_SZ_SK_SL_SM_EUlSZ_E0_NS1_11comp_targetILNS1_3genE3ELNS1_11target_archE908ELNS1_3gpuE7ELNS1_3repE0EEENS1_38merge_mergepath_config_static_selectorELNS0_4arch9wavefront6targetE0EEEvSL_.private_seg_size, 0
	.set _ZN7rocprim17ROCPRIM_400000_NS6detail17trampoline_kernelINS0_14default_configENS1_38merge_sort_block_merge_config_selectorIiNS0_10empty_typeEEEZZNS1_27merge_sort_block_merge_implIS3_N6thrust23THRUST_200600_302600_NS6detail15normal_iteratorINS9_10device_ptrIiEEEEPS5_jNS1_19radix_merge_compareILb0ELb1EiNS0_19identity_decomposerEEEEE10hipError_tT0_T1_T2_jT3_P12ihipStream_tbPNSt15iterator_traitsISK_E10value_typeEPNSQ_ISL_E10value_typeEPSM_NS1_7vsmem_tEENKUlT_SK_SL_SM_E_clIPiSE_SF_SF_EESJ_SZ_SK_SL_SM_EUlSZ_E0_NS1_11comp_targetILNS1_3genE3ELNS1_11target_archE908ELNS1_3gpuE7ELNS1_3repE0EEENS1_38merge_mergepath_config_static_selectorELNS0_4arch9wavefront6targetE0EEEvSL_.uses_vcc, 0
	.set _ZN7rocprim17ROCPRIM_400000_NS6detail17trampoline_kernelINS0_14default_configENS1_38merge_sort_block_merge_config_selectorIiNS0_10empty_typeEEEZZNS1_27merge_sort_block_merge_implIS3_N6thrust23THRUST_200600_302600_NS6detail15normal_iteratorINS9_10device_ptrIiEEEEPS5_jNS1_19radix_merge_compareILb0ELb1EiNS0_19identity_decomposerEEEEE10hipError_tT0_T1_T2_jT3_P12ihipStream_tbPNSt15iterator_traitsISK_E10value_typeEPNSQ_ISL_E10value_typeEPSM_NS1_7vsmem_tEENKUlT_SK_SL_SM_E_clIPiSE_SF_SF_EESJ_SZ_SK_SL_SM_EUlSZ_E0_NS1_11comp_targetILNS1_3genE3ELNS1_11target_archE908ELNS1_3gpuE7ELNS1_3repE0EEENS1_38merge_mergepath_config_static_selectorELNS0_4arch9wavefront6targetE0EEEvSL_.uses_flat_scratch, 0
	.set _ZN7rocprim17ROCPRIM_400000_NS6detail17trampoline_kernelINS0_14default_configENS1_38merge_sort_block_merge_config_selectorIiNS0_10empty_typeEEEZZNS1_27merge_sort_block_merge_implIS3_N6thrust23THRUST_200600_302600_NS6detail15normal_iteratorINS9_10device_ptrIiEEEEPS5_jNS1_19radix_merge_compareILb0ELb1EiNS0_19identity_decomposerEEEEE10hipError_tT0_T1_T2_jT3_P12ihipStream_tbPNSt15iterator_traitsISK_E10value_typeEPNSQ_ISL_E10value_typeEPSM_NS1_7vsmem_tEENKUlT_SK_SL_SM_E_clIPiSE_SF_SF_EESJ_SZ_SK_SL_SM_EUlSZ_E0_NS1_11comp_targetILNS1_3genE3ELNS1_11target_archE908ELNS1_3gpuE7ELNS1_3repE0EEENS1_38merge_mergepath_config_static_selectorELNS0_4arch9wavefront6targetE0EEEvSL_.has_dyn_sized_stack, 0
	.set _ZN7rocprim17ROCPRIM_400000_NS6detail17trampoline_kernelINS0_14default_configENS1_38merge_sort_block_merge_config_selectorIiNS0_10empty_typeEEEZZNS1_27merge_sort_block_merge_implIS3_N6thrust23THRUST_200600_302600_NS6detail15normal_iteratorINS9_10device_ptrIiEEEEPS5_jNS1_19radix_merge_compareILb0ELb1EiNS0_19identity_decomposerEEEEE10hipError_tT0_T1_T2_jT3_P12ihipStream_tbPNSt15iterator_traitsISK_E10value_typeEPNSQ_ISL_E10value_typeEPSM_NS1_7vsmem_tEENKUlT_SK_SL_SM_E_clIPiSE_SF_SF_EESJ_SZ_SK_SL_SM_EUlSZ_E0_NS1_11comp_targetILNS1_3genE3ELNS1_11target_archE908ELNS1_3gpuE7ELNS1_3repE0EEENS1_38merge_mergepath_config_static_selectorELNS0_4arch9wavefront6targetE0EEEvSL_.has_recursion, 0
	.set _ZN7rocprim17ROCPRIM_400000_NS6detail17trampoline_kernelINS0_14default_configENS1_38merge_sort_block_merge_config_selectorIiNS0_10empty_typeEEEZZNS1_27merge_sort_block_merge_implIS3_N6thrust23THRUST_200600_302600_NS6detail15normal_iteratorINS9_10device_ptrIiEEEEPS5_jNS1_19radix_merge_compareILb0ELb1EiNS0_19identity_decomposerEEEEE10hipError_tT0_T1_T2_jT3_P12ihipStream_tbPNSt15iterator_traitsISK_E10value_typeEPNSQ_ISL_E10value_typeEPSM_NS1_7vsmem_tEENKUlT_SK_SL_SM_E_clIPiSE_SF_SF_EESJ_SZ_SK_SL_SM_EUlSZ_E0_NS1_11comp_targetILNS1_3genE3ELNS1_11target_archE908ELNS1_3gpuE7ELNS1_3repE0EEENS1_38merge_mergepath_config_static_selectorELNS0_4arch9wavefront6targetE0EEEvSL_.has_indirect_call, 0
	.section	.AMDGPU.csdata,"",@progbits
; Kernel info:
; codeLenInByte = 0
; TotalNumSgprs: 0
; NumVgprs: 0
; ScratchSize: 0
; MemoryBound: 0
; FloatMode: 240
; IeeeMode: 1
; LDSByteSize: 0 bytes/workgroup (compile time only)
; SGPRBlocks: 0
; VGPRBlocks: 0
; NumSGPRsForWavesPerEU: 1
; NumVGPRsForWavesPerEU: 1
; Occupancy: 16
; WaveLimiterHint : 0
; COMPUTE_PGM_RSRC2:SCRATCH_EN: 0
; COMPUTE_PGM_RSRC2:USER_SGPR: 6
; COMPUTE_PGM_RSRC2:TRAP_HANDLER: 0
; COMPUTE_PGM_RSRC2:TGID_X_EN: 1
; COMPUTE_PGM_RSRC2:TGID_Y_EN: 0
; COMPUTE_PGM_RSRC2:TGID_Z_EN: 0
; COMPUTE_PGM_RSRC2:TIDIG_COMP_CNT: 0
	.section	.text._ZN7rocprim17ROCPRIM_400000_NS6detail17trampoline_kernelINS0_14default_configENS1_38merge_sort_block_merge_config_selectorIiNS0_10empty_typeEEEZZNS1_27merge_sort_block_merge_implIS3_N6thrust23THRUST_200600_302600_NS6detail15normal_iteratorINS9_10device_ptrIiEEEEPS5_jNS1_19radix_merge_compareILb0ELb1EiNS0_19identity_decomposerEEEEE10hipError_tT0_T1_T2_jT3_P12ihipStream_tbPNSt15iterator_traitsISK_E10value_typeEPNSQ_ISL_E10value_typeEPSM_NS1_7vsmem_tEENKUlT_SK_SL_SM_E_clIPiSE_SF_SF_EESJ_SZ_SK_SL_SM_EUlSZ_E0_NS1_11comp_targetILNS1_3genE2ELNS1_11target_archE906ELNS1_3gpuE6ELNS1_3repE0EEENS1_38merge_mergepath_config_static_selectorELNS0_4arch9wavefront6targetE0EEEvSL_,"axG",@progbits,_ZN7rocprim17ROCPRIM_400000_NS6detail17trampoline_kernelINS0_14default_configENS1_38merge_sort_block_merge_config_selectorIiNS0_10empty_typeEEEZZNS1_27merge_sort_block_merge_implIS3_N6thrust23THRUST_200600_302600_NS6detail15normal_iteratorINS9_10device_ptrIiEEEEPS5_jNS1_19radix_merge_compareILb0ELb1EiNS0_19identity_decomposerEEEEE10hipError_tT0_T1_T2_jT3_P12ihipStream_tbPNSt15iterator_traitsISK_E10value_typeEPNSQ_ISL_E10value_typeEPSM_NS1_7vsmem_tEENKUlT_SK_SL_SM_E_clIPiSE_SF_SF_EESJ_SZ_SK_SL_SM_EUlSZ_E0_NS1_11comp_targetILNS1_3genE2ELNS1_11target_archE906ELNS1_3gpuE6ELNS1_3repE0EEENS1_38merge_mergepath_config_static_selectorELNS0_4arch9wavefront6targetE0EEEvSL_,comdat
	.protected	_ZN7rocprim17ROCPRIM_400000_NS6detail17trampoline_kernelINS0_14default_configENS1_38merge_sort_block_merge_config_selectorIiNS0_10empty_typeEEEZZNS1_27merge_sort_block_merge_implIS3_N6thrust23THRUST_200600_302600_NS6detail15normal_iteratorINS9_10device_ptrIiEEEEPS5_jNS1_19radix_merge_compareILb0ELb1EiNS0_19identity_decomposerEEEEE10hipError_tT0_T1_T2_jT3_P12ihipStream_tbPNSt15iterator_traitsISK_E10value_typeEPNSQ_ISL_E10value_typeEPSM_NS1_7vsmem_tEENKUlT_SK_SL_SM_E_clIPiSE_SF_SF_EESJ_SZ_SK_SL_SM_EUlSZ_E0_NS1_11comp_targetILNS1_3genE2ELNS1_11target_archE906ELNS1_3gpuE6ELNS1_3repE0EEENS1_38merge_mergepath_config_static_selectorELNS0_4arch9wavefront6targetE0EEEvSL_ ; -- Begin function _ZN7rocprim17ROCPRIM_400000_NS6detail17trampoline_kernelINS0_14default_configENS1_38merge_sort_block_merge_config_selectorIiNS0_10empty_typeEEEZZNS1_27merge_sort_block_merge_implIS3_N6thrust23THRUST_200600_302600_NS6detail15normal_iteratorINS9_10device_ptrIiEEEEPS5_jNS1_19radix_merge_compareILb0ELb1EiNS0_19identity_decomposerEEEEE10hipError_tT0_T1_T2_jT3_P12ihipStream_tbPNSt15iterator_traitsISK_E10value_typeEPNSQ_ISL_E10value_typeEPSM_NS1_7vsmem_tEENKUlT_SK_SL_SM_E_clIPiSE_SF_SF_EESJ_SZ_SK_SL_SM_EUlSZ_E0_NS1_11comp_targetILNS1_3genE2ELNS1_11target_archE906ELNS1_3gpuE6ELNS1_3repE0EEENS1_38merge_mergepath_config_static_selectorELNS0_4arch9wavefront6targetE0EEEvSL_
	.globl	_ZN7rocprim17ROCPRIM_400000_NS6detail17trampoline_kernelINS0_14default_configENS1_38merge_sort_block_merge_config_selectorIiNS0_10empty_typeEEEZZNS1_27merge_sort_block_merge_implIS3_N6thrust23THRUST_200600_302600_NS6detail15normal_iteratorINS9_10device_ptrIiEEEEPS5_jNS1_19radix_merge_compareILb0ELb1EiNS0_19identity_decomposerEEEEE10hipError_tT0_T1_T2_jT3_P12ihipStream_tbPNSt15iterator_traitsISK_E10value_typeEPNSQ_ISL_E10value_typeEPSM_NS1_7vsmem_tEENKUlT_SK_SL_SM_E_clIPiSE_SF_SF_EESJ_SZ_SK_SL_SM_EUlSZ_E0_NS1_11comp_targetILNS1_3genE2ELNS1_11target_archE906ELNS1_3gpuE6ELNS1_3repE0EEENS1_38merge_mergepath_config_static_selectorELNS0_4arch9wavefront6targetE0EEEvSL_
	.p2align	8
	.type	_ZN7rocprim17ROCPRIM_400000_NS6detail17trampoline_kernelINS0_14default_configENS1_38merge_sort_block_merge_config_selectorIiNS0_10empty_typeEEEZZNS1_27merge_sort_block_merge_implIS3_N6thrust23THRUST_200600_302600_NS6detail15normal_iteratorINS9_10device_ptrIiEEEEPS5_jNS1_19radix_merge_compareILb0ELb1EiNS0_19identity_decomposerEEEEE10hipError_tT0_T1_T2_jT3_P12ihipStream_tbPNSt15iterator_traitsISK_E10value_typeEPNSQ_ISL_E10value_typeEPSM_NS1_7vsmem_tEENKUlT_SK_SL_SM_E_clIPiSE_SF_SF_EESJ_SZ_SK_SL_SM_EUlSZ_E0_NS1_11comp_targetILNS1_3genE2ELNS1_11target_archE906ELNS1_3gpuE6ELNS1_3repE0EEENS1_38merge_mergepath_config_static_selectorELNS0_4arch9wavefront6targetE0EEEvSL_,@function
_ZN7rocprim17ROCPRIM_400000_NS6detail17trampoline_kernelINS0_14default_configENS1_38merge_sort_block_merge_config_selectorIiNS0_10empty_typeEEEZZNS1_27merge_sort_block_merge_implIS3_N6thrust23THRUST_200600_302600_NS6detail15normal_iteratorINS9_10device_ptrIiEEEEPS5_jNS1_19radix_merge_compareILb0ELb1EiNS0_19identity_decomposerEEEEE10hipError_tT0_T1_T2_jT3_P12ihipStream_tbPNSt15iterator_traitsISK_E10value_typeEPNSQ_ISL_E10value_typeEPSM_NS1_7vsmem_tEENKUlT_SK_SL_SM_E_clIPiSE_SF_SF_EESJ_SZ_SK_SL_SM_EUlSZ_E0_NS1_11comp_targetILNS1_3genE2ELNS1_11target_archE906ELNS1_3gpuE6ELNS1_3repE0EEENS1_38merge_mergepath_config_static_selectorELNS0_4arch9wavefront6targetE0EEEvSL_: ; @_ZN7rocprim17ROCPRIM_400000_NS6detail17trampoline_kernelINS0_14default_configENS1_38merge_sort_block_merge_config_selectorIiNS0_10empty_typeEEEZZNS1_27merge_sort_block_merge_implIS3_N6thrust23THRUST_200600_302600_NS6detail15normal_iteratorINS9_10device_ptrIiEEEEPS5_jNS1_19radix_merge_compareILb0ELb1EiNS0_19identity_decomposerEEEEE10hipError_tT0_T1_T2_jT3_P12ihipStream_tbPNSt15iterator_traitsISK_E10value_typeEPNSQ_ISL_E10value_typeEPSM_NS1_7vsmem_tEENKUlT_SK_SL_SM_E_clIPiSE_SF_SF_EESJ_SZ_SK_SL_SM_EUlSZ_E0_NS1_11comp_targetILNS1_3genE2ELNS1_11target_archE906ELNS1_3gpuE6ELNS1_3repE0EEENS1_38merge_mergepath_config_static_selectorELNS0_4arch9wavefront6targetE0EEEvSL_
; %bb.0:
	.section	.rodata,"a",@progbits
	.p2align	6, 0x0
	.amdhsa_kernel _ZN7rocprim17ROCPRIM_400000_NS6detail17trampoline_kernelINS0_14default_configENS1_38merge_sort_block_merge_config_selectorIiNS0_10empty_typeEEEZZNS1_27merge_sort_block_merge_implIS3_N6thrust23THRUST_200600_302600_NS6detail15normal_iteratorINS9_10device_ptrIiEEEEPS5_jNS1_19radix_merge_compareILb0ELb1EiNS0_19identity_decomposerEEEEE10hipError_tT0_T1_T2_jT3_P12ihipStream_tbPNSt15iterator_traitsISK_E10value_typeEPNSQ_ISL_E10value_typeEPSM_NS1_7vsmem_tEENKUlT_SK_SL_SM_E_clIPiSE_SF_SF_EESJ_SZ_SK_SL_SM_EUlSZ_E0_NS1_11comp_targetILNS1_3genE2ELNS1_11target_archE906ELNS1_3gpuE6ELNS1_3repE0EEENS1_38merge_mergepath_config_static_selectorELNS0_4arch9wavefront6targetE0EEEvSL_
		.amdhsa_group_segment_fixed_size 0
		.amdhsa_private_segment_fixed_size 0
		.amdhsa_kernarg_size 64
		.amdhsa_user_sgpr_count 6
		.amdhsa_user_sgpr_private_segment_buffer 1
		.amdhsa_user_sgpr_dispatch_ptr 0
		.amdhsa_user_sgpr_queue_ptr 0
		.amdhsa_user_sgpr_kernarg_segment_ptr 1
		.amdhsa_user_sgpr_dispatch_id 0
		.amdhsa_user_sgpr_flat_scratch_init 0
		.amdhsa_user_sgpr_private_segment_size 0
		.amdhsa_wavefront_size32 1
		.amdhsa_uses_dynamic_stack 0
		.amdhsa_system_sgpr_private_segment_wavefront_offset 0
		.amdhsa_system_sgpr_workgroup_id_x 1
		.amdhsa_system_sgpr_workgroup_id_y 0
		.amdhsa_system_sgpr_workgroup_id_z 0
		.amdhsa_system_sgpr_workgroup_info 0
		.amdhsa_system_vgpr_workitem_id 0
		.amdhsa_next_free_vgpr 1
		.amdhsa_next_free_sgpr 1
		.amdhsa_reserve_vcc 0
		.amdhsa_reserve_flat_scratch 0
		.amdhsa_float_round_mode_32 0
		.amdhsa_float_round_mode_16_64 0
		.amdhsa_float_denorm_mode_32 3
		.amdhsa_float_denorm_mode_16_64 3
		.amdhsa_dx10_clamp 1
		.amdhsa_ieee_mode 1
		.amdhsa_fp16_overflow 0
		.amdhsa_workgroup_processor_mode 1
		.amdhsa_memory_ordered 1
		.amdhsa_forward_progress 1
		.amdhsa_shared_vgpr_count 0
		.amdhsa_exception_fp_ieee_invalid_op 0
		.amdhsa_exception_fp_denorm_src 0
		.amdhsa_exception_fp_ieee_div_zero 0
		.amdhsa_exception_fp_ieee_overflow 0
		.amdhsa_exception_fp_ieee_underflow 0
		.amdhsa_exception_fp_ieee_inexact 0
		.amdhsa_exception_int_div_zero 0
	.end_amdhsa_kernel
	.section	.text._ZN7rocprim17ROCPRIM_400000_NS6detail17trampoline_kernelINS0_14default_configENS1_38merge_sort_block_merge_config_selectorIiNS0_10empty_typeEEEZZNS1_27merge_sort_block_merge_implIS3_N6thrust23THRUST_200600_302600_NS6detail15normal_iteratorINS9_10device_ptrIiEEEEPS5_jNS1_19radix_merge_compareILb0ELb1EiNS0_19identity_decomposerEEEEE10hipError_tT0_T1_T2_jT3_P12ihipStream_tbPNSt15iterator_traitsISK_E10value_typeEPNSQ_ISL_E10value_typeEPSM_NS1_7vsmem_tEENKUlT_SK_SL_SM_E_clIPiSE_SF_SF_EESJ_SZ_SK_SL_SM_EUlSZ_E0_NS1_11comp_targetILNS1_3genE2ELNS1_11target_archE906ELNS1_3gpuE6ELNS1_3repE0EEENS1_38merge_mergepath_config_static_selectorELNS0_4arch9wavefront6targetE0EEEvSL_,"axG",@progbits,_ZN7rocprim17ROCPRIM_400000_NS6detail17trampoline_kernelINS0_14default_configENS1_38merge_sort_block_merge_config_selectorIiNS0_10empty_typeEEEZZNS1_27merge_sort_block_merge_implIS3_N6thrust23THRUST_200600_302600_NS6detail15normal_iteratorINS9_10device_ptrIiEEEEPS5_jNS1_19radix_merge_compareILb0ELb1EiNS0_19identity_decomposerEEEEE10hipError_tT0_T1_T2_jT3_P12ihipStream_tbPNSt15iterator_traitsISK_E10value_typeEPNSQ_ISL_E10value_typeEPSM_NS1_7vsmem_tEENKUlT_SK_SL_SM_E_clIPiSE_SF_SF_EESJ_SZ_SK_SL_SM_EUlSZ_E0_NS1_11comp_targetILNS1_3genE2ELNS1_11target_archE906ELNS1_3gpuE6ELNS1_3repE0EEENS1_38merge_mergepath_config_static_selectorELNS0_4arch9wavefront6targetE0EEEvSL_,comdat
.Lfunc_end97:
	.size	_ZN7rocprim17ROCPRIM_400000_NS6detail17trampoline_kernelINS0_14default_configENS1_38merge_sort_block_merge_config_selectorIiNS0_10empty_typeEEEZZNS1_27merge_sort_block_merge_implIS3_N6thrust23THRUST_200600_302600_NS6detail15normal_iteratorINS9_10device_ptrIiEEEEPS5_jNS1_19radix_merge_compareILb0ELb1EiNS0_19identity_decomposerEEEEE10hipError_tT0_T1_T2_jT3_P12ihipStream_tbPNSt15iterator_traitsISK_E10value_typeEPNSQ_ISL_E10value_typeEPSM_NS1_7vsmem_tEENKUlT_SK_SL_SM_E_clIPiSE_SF_SF_EESJ_SZ_SK_SL_SM_EUlSZ_E0_NS1_11comp_targetILNS1_3genE2ELNS1_11target_archE906ELNS1_3gpuE6ELNS1_3repE0EEENS1_38merge_mergepath_config_static_selectorELNS0_4arch9wavefront6targetE0EEEvSL_, .Lfunc_end97-_ZN7rocprim17ROCPRIM_400000_NS6detail17trampoline_kernelINS0_14default_configENS1_38merge_sort_block_merge_config_selectorIiNS0_10empty_typeEEEZZNS1_27merge_sort_block_merge_implIS3_N6thrust23THRUST_200600_302600_NS6detail15normal_iteratorINS9_10device_ptrIiEEEEPS5_jNS1_19radix_merge_compareILb0ELb1EiNS0_19identity_decomposerEEEEE10hipError_tT0_T1_T2_jT3_P12ihipStream_tbPNSt15iterator_traitsISK_E10value_typeEPNSQ_ISL_E10value_typeEPSM_NS1_7vsmem_tEENKUlT_SK_SL_SM_E_clIPiSE_SF_SF_EESJ_SZ_SK_SL_SM_EUlSZ_E0_NS1_11comp_targetILNS1_3genE2ELNS1_11target_archE906ELNS1_3gpuE6ELNS1_3repE0EEENS1_38merge_mergepath_config_static_selectorELNS0_4arch9wavefront6targetE0EEEvSL_
                                        ; -- End function
	.set _ZN7rocprim17ROCPRIM_400000_NS6detail17trampoline_kernelINS0_14default_configENS1_38merge_sort_block_merge_config_selectorIiNS0_10empty_typeEEEZZNS1_27merge_sort_block_merge_implIS3_N6thrust23THRUST_200600_302600_NS6detail15normal_iteratorINS9_10device_ptrIiEEEEPS5_jNS1_19radix_merge_compareILb0ELb1EiNS0_19identity_decomposerEEEEE10hipError_tT0_T1_T2_jT3_P12ihipStream_tbPNSt15iterator_traitsISK_E10value_typeEPNSQ_ISL_E10value_typeEPSM_NS1_7vsmem_tEENKUlT_SK_SL_SM_E_clIPiSE_SF_SF_EESJ_SZ_SK_SL_SM_EUlSZ_E0_NS1_11comp_targetILNS1_3genE2ELNS1_11target_archE906ELNS1_3gpuE6ELNS1_3repE0EEENS1_38merge_mergepath_config_static_selectorELNS0_4arch9wavefront6targetE0EEEvSL_.num_vgpr, 0
	.set _ZN7rocprim17ROCPRIM_400000_NS6detail17trampoline_kernelINS0_14default_configENS1_38merge_sort_block_merge_config_selectorIiNS0_10empty_typeEEEZZNS1_27merge_sort_block_merge_implIS3_N6thrust23THRUST_200600_302600_NS6detail15normal_iteratorINS9_10device_ptrIiEEEEPS5_jNS1_19radix_merge_compareILb0ELb1EiNS0_19identity_decomposerEEEEE10hipError_tT0_T1_T2_jT3_P12ihipStream_tbPNSt15iterator_traitsISK_E10value_typeEPNSQ_ISL_E10value_typeEPSM_NS1_7vsmem_tEENKUlT_SK_SL_SM_E_clIPiSE_SF_SF_EESJ_SZ_SK_SL_SM_EUlSZ_E0_NS1_11comp_targetILNS1_3genE2ELNS1_11target_archE906ELNS1_3gpuE6ELNS1_3repE0EEENS1_38merge_mergepath_config_static_selectorELNS0_4arch9wavefront6targetE0EEEvSL_.num_agpr, 0
	.set _ZN7rocprim17ROCPRIM_400000_NS6detail17trampoline_kernelINS0_14default_configENS1_38merge_sort_block_merge_config_selectorIiNS0_10empty_typeEEEZZNS1_27merge_sort_block_merge_implIS3_N6thrust23THRUST_200600_302600_NS6detail15normal_iteratorINS9_10device_ptrIiEEEEPS5_jNS1_19radix_merge_compareILb0ELb1EiNS0_19identity_decomposerEEEEE10hipError_tT0_T1_T2_jT3_P12ihipStream_tbPNSt15iterator_traitsISK_E10value_typeEPNSQ_ISL_E10value_typeEPSM_NS1_7vsmem_tEENKUlT_SK_SL_SM_E_clIPiSE_SF_SF_EESJ_SZ_SK_SL_SM_EUlSZ_E0_NS1_11comp_targetILNS1_3genE2ELNS1_11target_archE906ELNS1_3gpuE6ELNS1_3repE0EEENS1_38merge_mergepath_config_static_selectorELNS0_4arch9wavefront6targetE0EEEvSL_.numbered_sgpr, 0
	.set _ZN7rocprim17ROCPRIM_400000_NS6detail17trampoline_kernelINS0_14default_configENS1_38merge_sort_block_merge_config_selectorIiNS0_10empty_typeEEEZZNS1_27merge_sort_block_merge_implIS3_N6thrust23THRUST_200600_302600_NS6detail15normal_iteratorINS9_10device_ptrIiEEEEPS5_jNS1_19radix_merge_compareILb0ELb1EiNS0_19identity_decomposerEEEEE10hipError_tT0_T1_T2_jT3_P12ihipStream_tbPNSt15iterator_traitsISK_E10value_typeEPNSQ_ISL_E10value_typeEPSM_NS1_7vsmem_tEENKUlT_SK_SL_SM_E_clIPiSE_SF_SF_EESJ_SZ_SK_SL_SM_EUlSZ_E0_NS1_11comp_targetILNS1_3genE2ELNS1_11target_archE906ELNS1_3gpuE6ELNS1_3repE0EEENS1_38merge_mergepath_config_static_selectorELNS0_4arch9wavefront6targetE0EEEvSL_.num_named_barrier, 0
	.set _ZN7rocprim17ROCPRIM_400000_NS6detail17trampoline_kernelINS0_14default_configENS1_38merge_sort_block_merge_config_selectorIiNS0_10empty_typeEEEZZNS1_27merge_sort_block_merge_implIS3_N6thrust23THRUST_200600_302600_NS6detail15normal_iteratorINS9_10device_ptrIiEEEEPS5_jNS1_19radix_merge_compareILb0ELb1EiNS0_19identity_decomposerEEEEE10hipError_tT0_T1_T2_jT3_P12ihipStream_tbPNSt15iterator_traitsISK_E10value_typeEPNSQ_ISL_E10value_typeEPSM_NS1_7vsmem_tEENKUlT_SK_SL_SM_E_clIPiSE_SF_SF_EESJ_SZ_SK_SL_SM_EUlSZ_E0_NS1_11comp_targetILNS1_3genE2ELNS1_11target_archE906ELNS1_3gpuE6ELNS1_3repE0EEENS1_38merge_mergepath_config_static_selectorELNS0_4arch9wavefront6targetE0EEEvSL_.private_seg_size, 0
	.set _ZN7rocprim17ROCPRIM_400000_NS6detail17trampoline_kernelINS0_14default_configENS1_38merge_sort_block_merge_config_selectorIiNS0_10empty_typeEEEZZNS1_27merge_sort_block_merge_implIS3_N6thrust23THRUST_200600_302600_NS6detail15normal_iteratorINS9_10device_ptrIiEEEEPS5_jNS1_19radix_merge_compareILb0ELb1EiNS0_19identity_decomposerEEEEE10hipError_tT0_T1_T2_jT3_P12ihipStream_tbPNSt15iterator_traitsISK_E10value_typeEPNSQ_ISL_E10value_typeEPSM_NS1_7vsmem_tEENKUlT_SK_SL_SM_E_clIPiSE_SF_SF_EESJ_SZ_SK_SL_SM_EUlSZ_E0_NS1_11comp_targetILNS1_3genE2ELNS1_11target_archE906ELNS1_3gpuE6ELNS1_3repE0EEENS1_38merge_mergepath_config_static_selectorELNS0_4arch9wavefront6targetE0EEEvSL_.uses_vcc, 0
	.set _ZN7rocprim17ROCPRIM_400000_NS6detail17trampoline_kernelINS0_14default_configENS1_38merge_sort_block_merge_config_selectorIiNS0_10empty_typeEEEZZNS1_27merge_sort_block_merge_implIS3_N6thrust23THRUST_200600_302600_NS6detail15normal_iteratorINS9_10device_ptrIiEEEEPS5_jNS1_19radix_merge_compareILb0ELb1EiNS0_19identity_decomposerEEEEE10hipError_tT0_T1_T2_jT3_P12ihipStream_tbPNSt15iterator_traitsISK_E10value_typeEPNSQ_ISL_E10value_typeEPSM_NS1_7vsmem_tEENKUlT_SK_SL_SM_E_clIPiSE_SF_SF_EESJ_SZ_SK_SL_SM_EUlSZ_E0_NS1_11comp_targetILNS1_3genE2ELNS1_11target_archE906ELNS1_3gpuE6ELNS1_3repE0EEENS1_38merge_mergepath_config_static_selectorELNS0_4arch9wavefront6targetE0EEEvSL_.uses_flat_scratch, 0
	.set _ZN7rocprim17ROCPRIM_400000_NS6detail17trampoline_kernelINS0_14default_configENS1_38merge_sort_block_merge_config_selectorIiNS0_10empty_typeEEEZZNS1_27merge_sort_block_merge_implIS3_N6thrust23THRUST_200600_302600_NS6detail15normal_iteratorINS9_10device_ptrIiEEEEPS5_jNS1_19radix_merge_compareILb0ELb1EiNS0_19identity_decomposerEEEEE10hipError_tT0_T1_T2_jT3_P12ihipStream_tbPNSt15iterator_traitsISK_E10value_typeEPNSQ_ISL_E10value_typeEPSM_NS1_7vsmem_tEENKUlT_SK_SL_SM_E_clIPiSE_SF_SF_EESJ_SZ_SK_SL_SM_EUlSZ_E0_NS1_11comp_targetILNS1_3genE2ELNS1_11target_archE906ELNS1_3gpuE6ELNS1_3repE0EEENS1_38merge_mergepath_config_static_selectorELNS0_4arch9wavefront6targetE0EEEvSL_.has_dyn_sized_stack, 0
	.set _ZN7rocprim17ROCPRIM_400000_NS6detail17trampoline_kernelINS0_14default_configENS1_38merge_sort_block_merge_config_selectorIiNS0_10empty_typeEEEZZNS1_27merge_sort_block_merge_implIS3_N6thrust23THRUST_200600_302600_NS6detail15normal_iteratorINS9_10device_ptrIiEEEEPS5_jNS1_19radix_merge_compareILb0ELb1EiNS0_19identity_decomposerEEEEE10hipError_tT0_T1_T2_jT3_P12ihipStream_tbPNSt15iterator_traitsISK_E10value_typeEPNSQ_ISL_E10value_typeEPSM_NS1_7vsmem_tEENKUlT_SK_SL_SM_E_clIPiSE_SF_SF_EESJ_SZ_SK_SL_SM_EUlSZ_E0_NS1_11comp_targetILNS1_3genE2ELNS1_11target_archE906ELNS1_3gpuE6ELNS1_3repE0EEENS1_38merge_mergepath_config_static_selectorELNS0_4arch9wavefront6targetE0EEEvSL_.has_recursion, 0
	.set _ZN7rocprim17ROCPRIM_400000_NS6detail17trampoline_kernelINS0_14default_configENS1_38merge_sort_block_merge_config_selectorIiNS0_10empty_typeEEEZZNS1_27merge_sort_block_merge_implIS3_N6thrust23THRUST_200600_302600_NS6detail15normal_iteratorINS9_10device_ptrIiEEEEPS5_jNS1_19radix_merge_compareILb0ELb1EiNS0_19identity_decomposerEEEEE10hipError_tT0_T1_T2_jT3_P12ihipStream_tbPNSt15iterator_traitsISK_E10value_typeEPNSQ_ISL_E10value_typeEPSM_NS1_7vsmem_tEENKUlT_SK_SL_SM_E_clIPiSE_SF_SF_EESJ_SZ_SK_SL_SM_EUlSZ_E0_NS1_11comp_targetILNS1_3genE2ELNS1_11target_archE906ELNS1_3gpuE6ELNS1_3repE0EEENS1_38merge_mergepath_config_static_selectorELNS0_4arch9wavefront6targetE0EEEvSL_.has_indirect_call, 0
	.section	.AMDGPU.csdata,"",@progbits
; Kernel info:
; codeLenInByte = 0
; TotalNumSgprs: 0
; NumVgprs: 0
; ScratchSize: 0
; MemoryBound: 0
; FloatMode: 240
; IeeeMode: 1
; LDSByteSize: 0 bytes/workgroup (compile time only)
; SGPRBlocks: 0
; VGPRBlocks: 0
; NumSGPRsForWavesPerEU: 1
; NumVGPRsForWavesPerEU: 1
; Occupancy: 16
; WaveLimiterHint : 0
; COMPUTE_PGM_RSRC2:SCRATCH_EN: 0
; COMPUTE_PGM_RSRC2:USER_SGPR: 6
; COMPUTE_PGM_RSRC2:TRAP_HANDLER: 0
; COMPUTE_PGM_RSRC2:TGID_X_EN: 1
; COMPUTE_PGM_RSRC2:TGID_Y_EN: 0
; COMPUTE_PGM_RSRC2:TGID_Z_EN: 0
; COMPUTE_PGM_RSRC2:TIDIG_COMP_CNT: 0
	.section	.text._ZN7rocprim17ROCPRIM_400000_NS6detail17trampoline_kernelINS0_14default_configENS1_38merge_sort_block_merge_config_selectorIiNS0_10empty_typeEEEZZNS1_27merge_sort_block_merge_implIS3_N6thrust23THRUST_200600_302600_NS6detail15normal_iteratorINS9_10device_ptrIiEEEEPS5_jNS1_19radix_merge_compareILb0ELb1EiNS0_19identity_decomposerEEEEE10hipError_tT0_T1_T2_jT3_P12ihipStream_tbPNSt15iterator_traitsISK_E10value_typeEPNSQ_ISL_E10value_typeEPSM_NS1_7vsmem_tEENKUlT_SK_SL_SM_E_clIPiSE_SF_SF_EESJ_SZ_SK_SL_SM_EUlSZ_E0_NS1_11comp_targetILNS1_3genE9ELNS1_11target_archE1100ELNS1_3gpuE3ELNS1_3repE0EEENS1_38merge_mergepath_config_static_selectorELNS0_4arch9wavefront6targetE0EEEvSL_,"axG",@progbits,_ZN7rocprim17ROCPRIM_400000_NS6detail17trampoline_kernelINS0_14default_configENS1_38merge_sort_block_merge_config_selectorIiNS0_10empty_typeEEEZZNS1_27merge_sort_block_merge_implIS3_N6thrust23THRUST_200600_302600_NS6detail15normal_iteratorINS9_10device_ptrIiEEEEPS5_jNS1_19radix_merge_compareILb0ELb1EiNS0_19identity_decomposerEEEEE10hipError_tT0_T1_T2_jT3_P12ihipStream_tbPNSt15iterator_traitsISK_E10value_typeEPNSQ_ISL_E10value_typeEPSM_NS1_7vsmem_tEENKUlT_SK_SL_SM_E_clIPiSE_SF_SF_EESJ_SZ_SK_SL_SM_EUlSZ_E0_NS1_11comp_targetILNS1_3genE9ELNS1_11target_archE1100ELNS1_3gpuE3ELNS1_3repE0EEENS1_38merge_mergepath_config_static_selectorELNS0_4arch9wavefront6targetE0EEEvSL_,comdat
	.protected	_ZN7rocprim17ROCPRIM_400000_NS6detail17trampoline_kernelINS0_14default_configENS1_38merge_sort_block_merge_config_selectorIiNS0_10empty_typeEEEZZNS1_27merge_sort_block_merge_implIS3_N6thrust23THRUST_200600_302600_NS6detail15normal_iteratorINS9_10device_ptrIiEEEEPS5_jNS1_19radix_merge_compareILb0ELb1EiNS0_19identity_decomposerEEEEE10hipError_tT0_T1_T2_jT3_P12ihipStream_tbPNSt15iterator_traitsISK_E10value_typeEPNSQ_ISL_E10value_typeEPSM_NS1_7vsmem_tEENKUlT_SK_SL_SM_E_clIPiSE_SF_SF_EESJ_SZ_SK_SL_SM_EUlSZ_E0_NS1_11comp_targetILNS1_3genE9ELNS1_11target_archE1100ELNS1_3gpuE3ELNS1_3repE0EEENS1_38merge_mergepath_config_static_selectorELNS0_4arch9wavefront6targetE0EEEvSL_ ; -- Begin function _ZN7rocprim17ROCPRIM_400000_NS6detail17trampoline_kernelINS0_14default_configENS1_38merge_sort_block_merge_config_selectorIiNS0_10empty_typeEEEZZNS1_27merge_sort_block_merge_implIS3_N6thrust23THRUST_200600_302600_NS6detail15normal_iteratorINS9_10device_ptrIiEEEEPS5_jNS1_19radix_merge_compareILb0ELb1EiNS0_19identity_decomposerEEEEE10hipError_tT0_T1_T2_jT3_P12ihipStream_tbPNSt15iterator_traitsISK_E10value_typeEPNSQ_ISL_E10value_typeEPSM_NS1_7vsmem_tEENKUlT_SK_SL_SM_E_clIPiSE_SF_SF_EESJ_SZ_SK_SL_SM_EUlSZ_E0_NS1_11comp_targetILNS1_3genE9ELNS1_11target_archE1100ELNS1_3gpuE3ELNS1_3repE0EEENS1_38merge_mergepath_config_static_selectorELNS0_4arch9wavefront6targetE0EEEvSL_
	.globl	_ZN7rocprim17ROCPRIM_400000_NS6detail17trampoline_kernelINS0_14default_configENS1_38merge_sort_block_merge_config_selectorIiNS0_10empty_typeEEEZZNS1_27merge_sort_block_merge_implIS3_N6thrust23THRUST_200600_302600_NS6detail15normal_iteratorINS9_10device_ptrIiEEEEPS5_jNS1_19radix_merge_compareILb0ELb1EiNS0_19identity_decomposerEEEEE10hipError_tT0_T1_T2_jT3_P12ihipStream_tbPNSt15iterator_traitsISK_E10value_typeEPNSQ_ISL_E10value_typeEPSM_NS1_7vsmem_tEENKUlT_SK_SL_SM_E_clIPiSE_SF_SF_EESJ_SZ_SK_SL_SM_EUlSZ_E0_NS1_11comp_targetILNS1_3genE9ELNS1_11target_archE1100ELNS1_3gpuE3ELNS1_3repE0EEENS1_38merge_mergepath_config_static_selectorELNS0_4arch9wavefront6targetE0EEEvSL_
	.p2align	8
	.type	_ZN7rocprim17ROCPRIM_400000_NS6detail17trampoline_kernelINS0_14default_configENS1_38merge_sort_block_merge_config_selectorIiNS0_10empty_typeEEEZZNS1_27merge_sort_block_merge_implIS3_N6thrust23THRUST_200600_302600_NS6detail15normal_iteratorINS9_10device_ptrIiEEEEPS5_jNS1_19radix_merge_compareILb0ELb1EiNS0_19identity_decomposerEEEEE10hipError_tT0_T1_T2_jT3_P12ihipStream_tbPNSt15iterator_traitsISK_E10value_typeEPNSQ_ISL_E10value_typeEPSM_NS1_7vsmem_tEENKUlT_SK_SL_SM_E_clIPiSE_SF_SF_EESJ_SZ_SK_SL_SM_EUlSZ_E0_NS1_11comp_targetILNS1_3genE9ELNS1_11target_archE1100ELNS1_3gpuE3ELNS1_3repE0EEENS1_38merge_mergepath_config_static_selectorELNS0_4arch9wavefront6targetE0EEEvSL_,@function
_ZN7rocprim17ROCPRIM_400000_NS6detail17trampoline_kernelINS0_14default_configENS1_38merge_sort_block_merge_config_selectorIiNS0_10empty_typeEEEZZNS1_27merge_sort_block_merge_implIS3_N6thrust23THRUST_200600_302600_NS6detail15normal_iteratorINS9_10device_ptrIiEEEEPS5_jNS1_19radix_merge_compareILb0ELb1EiNS0_19identity_decomposerEEEEE10hipError_tT0_T1_T2_jT3_P12ihipStream_tbPNSt15iterator_traitsISK_E10value_typeEPNSQ_ISL_E10value_typeEPSM_NS1_7vsmem_tEENKUlT_SK_SL_SM_E_clIPiSE_SF_SF_EESJ_SZ_SK_SL_SM_EUlSZ_E0_NS1_11comp_targetILNS1_3genE9ELNS1_11target_archE1100ELNS1_3gpuE3ELNS1_3repE0EEENS1_38merge_mergepath_config_static_selectorELNS0_4arch9wavefront6targetE0EEEvSL_: ; @_ZN7rocprim17ROCPRIM_400000_NS6detail17trampoline_kernelINS0_14default_configENS1_38merge_sort_block_merge_config_selectorIiNS0_10empty_typeEEEZZNS1_27merge_sort_block_merge_implIS3_N6thrust23THRUST_200600_302600_NS6detail15normal_iteratorINS9_10device_ptrIiEEEEPS5_jNS1_19radix_merge_compareILb0ELb1EiNS0_19identity_decomposerEEEEE10hipError_tT0_T1_T2_jT3_P12ihipStream_tbPNSt15iterator_traitsISK_E10value_typeEPNSQ_ISL_E10value_typeEPSM_NS1_7vsmem_tEENKUlT_SK_SL_SM_E_clIPiSE_SF_SF_EESJ_SZ_SK_SL_SM_EUlSZ_E0_NS1_11comp_targetILNS1_3genE9ELNS1_11target_archE1100ELNS1_3gpuE3ELNS1_3repE0EEENS1_38merge_mergepath_config_static_selectorELNS0_4arch9wavefront6targetE0EEEvSL_
; %bb.0:
	.section	.rodata,"a",@progbits
	.p2align	6, 0x0
	.amdhsa_kernel _ZN7rocprim17ROCPRIM_400000_NS6detail17trampoline_kernelINS0_14default_configENS1_38merge_sort_block_merge_config_selectorIiNS0_10empty_typeEEEZZNS1_27merge_sort_block_merge_implIS3_N6thrust23THRUST_200600_302600_NS6detail15normal_iteratorINS9_10device_ptrIiEEEEPS5_jNS1_19radix_merge_compareILb0ELb1EiNS0_19identity_decomposerEEEEE10hipError_tT0_T1_T2_jT3_P12ihipStream_tbPNSt15iterator_traitsISK_E10value_typeEPNSQ_ISL_E10value_typeEPSM_NS1_7vsmem_tEENKUlT_SK_SL_SM_E_clIPiSE_SF_SF_EESJ_SZ_SK_SL_SM_EUlSZ_E0_NS1_11comp_targetILNS1_3genE9ELNS1_11target_archE1100ELNS1_3gpuE3ELNS1_3repE0EEENS1_38merge_mergepath_config_static_selectorELNS0_4arch9wavefront6targetE0EEEvSL_
		.amdhsa_group_segment_fixed_size 0
		.amdhsa_private_segment_fixed_size 0
		.amdhsa_kernarg_size 64
		.amdhsa_user_sgpr_count 6
		.amdhsa_user_sgpr_private_segment_buffer 1
		.amdhsa_user_sgpr_dispatch_ptr 0
		.amdhsa_user_sgpr_queue_ptr 0
		.amdhsa_user_sgpr_kernarg_segment_ptr 1
		.amdhsa_user_sgpr_dispatch_id 0
		.amdhsa_user_sgpr_flat_scratch_init 0
		.amdhsa_user_sgpr_private_segment_size 0
		.amdhsa_wavefront_size32 1
		.amdhsa_uses_dynamic_stack 0
		.amdhsa_system_sgpr_private_segment_wavefront_offset 0
		.amdhsa_system_sgpr_workgroup_id_x 1
		.amdhsa_system_sgpr_workgroup_id_y 0
		.amdhsa_system_sgpr_workgroup_id_z 0
		.amdhsa_system_sgpr_workgroup_info 0
		.amdhsa_system_vgpr_workitem_id 0
		.amdhsa_next_free_vgpr 1
		.amdhsa_next_free_sgpr 1
		.amdhsa_reserve_vcc 0
		.amdhsa_reserve_flat_scratch 0
		.amdhsa_float_round_mode_32 0
		.amdhsa_float_round_mode_16_64 0
		.amdhsa_float_denorm_mode_32 3
		.amdhsa_float_denorm_mode_16_64 3
		.amdhsa_dx10_clamp 1
		.amdhsa_ieee_mode 1
		.amdhsa_fp16_overflow 0
		.amdhsa_workgroup_processor_mode 1
		.amdhsa_memory_ordered 1
		.amdhsa_forward_progress 1
		.amdhsa_shared_vgpr_count 0
		.amdhsa_exception_fp_ieee_invalid_op 0
		.amdhsa_exception_fp_denorm_src 0
		.amdhsa_exception_fp_ieee_div_zero 0
		.amdhsa_exception_fp_ieee_overflow 0
		.amdhsa_exception_fp_ieee_underflow 0
		.amdhsa_exception_fp_ieee_inexact 0
		.amdhsa_exception_int_div_zero 0
	.end_amdhsa_kernel
	.section	.text._ZN7rocprim17ROCPRIM_400000_NS6detail17trampoline_kernelINS0_14default_configENS1_38merge_sort_block_merge_config_selectorIiNS0_10empty_typeEEEZZNS1_27merge_sort_block_merge_implIS3_N6thrust23THRUST_200600_302600_NS6detail15normal_iteratorINS9_10device_ptrIiEEEEPS5_jNS1_19radix_merge_compareILb0ELb1EiNS0_19identity_decomposerEEEEE10hipError_tT0_T1_T2_jT3_P12ihipStream_tbPNSt15iterator_traitsISK_E10value_typeEPNSQ_ISL_E10value_typeEPSM_NS1_7vsmem_tEENKUlT_SK_SL_SM_E_clIPiSE_SF_SF_EESJ_SZ_SK_SL_SM_EUlSZ_E0_NS1_11comp_targetILNS1_3genE9ELNS1_11target_archE1100ELNS1_3gpuE3ELNS1_3repE0EEENS1_38merge_mergepath_config_static_selectorELNS0_4arch9wavefront6targetE0EEEvSL_,"axG",@progbits,_ZN7rocprim17ROCPRIM_400000_NS6detail17trampoline_kernelINS0_14default_configENS1_38merge_sort_block_merge_config_selectorIiNS0_10empty_typeEEEZZNS1_27merge_sort_block_merge_implIS3_N6thrust23THRUST_200600_302600_NS6detail15normal_iteratorINS9_10device_ptrIiEEEEPS5_jNS1_19radix_merge_compareILb0ELb1EiNS0_19identity_decomposerEEEEE10hipError_tT0_T1_T2_jT3_P12ihipStream_tbPNSt15iterator_traitsISK_E10value_typeEPNSQ_ISL_E10value_typeEPSM_NS1_7vsmem_tEENKUlT_SK_SL_SM_E_clIPiSE_SF_SF_EESJ_SZ_SK_SL_SM_EUlSZ_E0_NS1_11comp_targetILNS1_3genE9ELNS1_11target_archE1100ELNS1_3gpuE3ELNS1_3repE0EEENS1_38merge_mergepath_config_static_selectorELNS0_4arch9wavefront6targetE0EEEvSL_,comdat
.Lfunc_end98:
	.size	_ZN7rocprim17ROCPRIM_400000_NS6detail17trampoline_kernelINS0_14default_configENS1_38merge_sort_block_merge_config_selectorIiNS0_10empty_typeEEEZZNS1_27merge_sort_block_merge_implIS3_N6thrust23THRUST_200600_302600_NS6detail15normal_iteratorINS9_10device_ptrIiEEEEPS5_jNS1_19radix_merge_compareILb0ELb1EiNS0_19identity_decomposerEEEEE10hipError_tT0_T1_T2_jT3_P12ihipStream_tbPNSt15iterator_traitsISK_E10value_typeEPNSQ_ISL_E10value_typeEPSM_NS1_7vsmem_tEENKUlT_SK_SL_SM_E_clIPiSE_SF_SF_EESJ_SZ_SK_SL_SM_EUlSZ_E0_NS1_11comp_targetILNS1_3genE9ELNS1_11target_archE1100ELNS1_3gpuE3ELNS1_3repE0EEENS1_38merge_mergepath_config_static_selectorELNS0_4arch9wavefront6targetE0EEEvSL_, .Lfunc_end98-_ZN7rocprim17ROCPRIM_400000_NS6detail17trampoline_kernelINS0_14default_configENS1_38merge_sort_block_merge_config_selectorIiNS0_10empty_typeEEEZZNS1_27merge_sort_block_merge_implIS3_N6thrust23THRUST_200600_302600_NS6detail15normal_iteratorINS9_10device_ptrIiEEEEPS5_jNS1_19radix_merge_compareILb0ELb1EiNS0_19identity_decomposerEEEEE10hipError_tT0_T1_T2_jT3_P12ihipStream_tbPNSt15iterator_traitsISK_E10value_typeEPNSQ_ISL_E10value_typeEPSM_NS1_7vsmem_tEENKUlT_SK_SL_SM_E_clIPiSE_SF_SF_EESJ_SZ_SK_SL_SM_EUlSZ_E0_NS1_11comp_targetILNS1_3genE9ELNS1_11target_archE1100ELNS1_3gpuE3ELNS1_3repE0EEENS1_38merge_mergepath_config_static_selectorELNS0_4arch9wavefront6targetE0EEEvSL_
                                        ; -- End function
	.set _ZN7rocprim17ROCPRIM_400000_NS6detail17trampoline_kernelINS0_14default_configENS1_38merge_sort_block_merge_config_selectorIiNS0_10empty_typeEEEZZNS1_27merge_sort_block_merge_implIS3_N6thrust23THRUST_200600_302600_NS6detail15normal_iteratorINS9_10device_ptrIiEEEEPS5_jNS1_19radix_merge_compareILb0ELb1EiNS0_19identity_decomposerEEEEE10hipError_tT0_T1_T2_jT3_P12ihipStream_tbPNSt15iterator_traitsISK_E10value_typeEPNSQ_ISL_E10value_typeEPSM_NS1_7vsmem_tEENKUlT_SK_SL_SM_E_clIPiSE_SF_SF_EESJ_SZ_SK_SL_SM_EUlSZ_E0_NS1_11comp_targetILNS1_3genE9ELNS1_11target_archE1100ELNS1_3gpuE3ELNS1_3repE0EEENS1_38merge_mergepath_config_static_selectorELNS0_4arch9wavefront6targetE0EEEvSL_.num_vgpr, 0
	.set _ZN7rocprim17ROCPRIM_400000_NS6detail17trampoline_kernelINS0_14default_configENS1_38merge_sort_block_merge_config_selectorIiNS0_10empty_typeEEEZZNS1_27merge_sort_block_merge_implIS3_N6thrust23THRUST_200600_302600_NS6detail15normal_iteratorINS9_10device_ptrIiEEEEPS5_jNS1_19radix_merge_compareILb0ELb1EiNS0_19identity_decomposerEEEEE10hipError_tT0_T1_T2_jT3_P12ihipStream_tbPNSt15iterator_traitsISK_E10value_typeEPNSQ_ISL_E10value_typeEPSM_NS1_7vsmem_tEENKUlT_SK_SL_SM_E_clIPiSE_SF_SF_EESJ_SZ_SK_SL_SM_EUlSZ_E0_NS1_11comp_targetILNS1_3genE9ELNS1_11target_archE1100ELNS1_3gpuE3ELNS1_3repE0EEENS1_38merge_mergepath_config_static_selectorELNS0_4arch9wavefront6targetE0EEEvSL_.num_agpr, 0
	.set _ZN7rocprim17ROCPRIM_400000_NS6detail17trampoline_kernelINS0_14default_configENS1_38merge_sort_block_merge_config_selectorIiNS0_10empty_typeEEEZZNS1_27merge_sort_block_merge_implIS3_N6thrust23THRUST_200600_302600_NS6detail15normal_iteratorINS9_10device_ptrIiEEEEPS5_jNS1_19radix_merge_compareILb0ELb1EiNS0_19identity_decomposerEEEEE10hipError_tT0_T1_T2_jT3_P12ihipStream_tbPNSt15iterator_traitsISK_E10value_typeEPNSQ_ISL_E10value_typeEPSM_NS1_7vsmem_tEENKUlT_SK_SL_SM_E_clIPiSE_SF_SF_EESJ_SZ_SK_SL_SM_EUlSZ_E0_NS1_11comp_targetILNS1_3genE9ELNS1_11target_archE1100ELNS1_3gpuE3ELNS1_3repE0EEENS1_38merge_mergepath_config_static_selectorELNS0_4arch9wavefront6targetE0EEEvSL_.numbered_sgpr, 0
	.set _ZN7rocprim17ROCPRIM_400000_NS6detail17trampoline_kernelINS0_14default_configENS1_38merge_sort_block_merge_config_selectorIiNS0_10empty_typeEEEZZNS1_27merge_sort_block_merge_implIS3_N6thrust23THRUST_200600_302600_NS6detail15normal_iteratorINS9_10device_ptrIiEEEEPS5_jNS1_19radix_merge_compareILb0ELb1EiNS0_19identity_decomposerEEEEE10hipError_tT0_T1_T2_jT3_P12ihipStream_tbPNSt15iterator_traitsISK_E10value_typeEPNSQ_ISL_E10value_typeEPSM_NS1_7vsmem_tEENKUlT_SK_SL_SM_E_clIPiSE_SF_SF_EESJ_SZ_SK_SL_SM_EUlSZ_E0_NS1_11comp_targetILNS1_3genE9ELNS1_11target_archE1100ELNS1_3gpuE3ELNS1_3repE0EEENS1_38merge_mergepath_config_static_selectorELNS0_4arch9wavefront6targetE0EEEvSL_.num_named_barrier, 0
	.set _ZN7rocprim17ROCPRIM_400000_NS6detail17trampoline_kernelINS0_14default_configENS1_38merge_sort_block_merge_config_selectorIiNS0_10empty_typeEEEZZNS1_27merge_sort_block_merge_implIS3_N6thrust23THRUST_200600_302600_NS6detail15normal_iteratorINS9_10device_ptrIiEEEEPS5_jNS1_19radix_merge_compareILb0ELb1EiNS0_19identity_decomposerEEEEE10hipError_tT0_T1_T2_jT3_P12ihipStream_tbPNSt15iterator_traitsISK_E10value_typeEPNSQ_ISL_E10value_typeEPSM_NS1_7vsmem_tEENKUlT_SK_SL_SM_E_clIPiSE_SF_SF_EESJ_SZ_SK_SL_SM_EUlSZ_E0_NS1_11comp_targetILNS1_3genE9ELNS1_11target_archE1100ELNS1_3gpuE3ELNS1_3repE0EEENS1_38merge_mergepath_config_static_selectorELNS0_4arch9wavefront6targetE0EEEvSL_.private_seg_size, 0
	.set _ZN7rocprim17ROCPRIM_400000_NS6detail17trampoline_kernelINS0_14default_configENS1_38merge_sort_block_merge_config_selectorIiNS0_10empty_typeEEEZZNS1_27merge_sort_block_merge_implIS3_N6thrust23THRUST_200600_302600_NS6detail15normal_iteratorINS9_10device_ptrIiEEEEPS5_jNS1_19radix_merge_compareILb0ELb1EiNS0_19identity_decomposerEEEEE10hipError_tT0_T1_T2_jT3_P12ihipStream_tbPNSt15iterator_traitsISK_E10value_typeEPNSQ_ISL_E10value_typeEPSM_NS1_7vsmem_tEENKUlT_SK_SL_SM_E_clIPiSE_SF_SF_EESJ_SZ_SK_SL_SM_EUlSZ_E0_NS1_11comp_targetILNS1_3genE9ELNS1_11target_archE1100ELNS1_3gpuE3ELNS1_3repE0EEENS1_38merge_mergepath_config_static_selectorELNS0_4arch9wavefront6targetE0EEEvSL_.uses_vcc, 0
	.set _ZN7rocprim17ROCPRIM_400000_NS6detail17trampoline_kernelINS0_14default_configENS1_38merge_sort_block_merge_config_selectorIiNS0_10empty_typeEEEZZNS1_27merge_sort_block_merge_implIS3_N6thrust23THRUST_200600_302600_NS6detail15normal_iteratorINS9_10device_ptrIiEEEEPS5_jNS1_19radix_merge_compareILb0ELb1EiNS0_19identity_decomposerEEEEE10hipError_tT0_T1_T2_jT3_P12ihipStream_tbPNSt15iterator_traitsISK_E10value_typeEPNSQ_ISL_E10value_typeEPSM_NS1_7vsmem_tEENKUlT_SK_SL_SM_E_clIPiSE_SF_SF_EESJ_SZ_SK_SL_SM_EUlSZ_E0_NS1_11comp_targetILNS1_3genE9ELNS1_11target_archE1100ELNS1_3gpuE3ELNS1_3repE0EEENS1_38merge_mergepath_config_static_selectorELNS0_4arch9wavefront6targetE0EEEvSL_.uses_flat_scratch, 0
	.set _ZN7rocprim17ROCPRIM_400000_NS6detail17trampoline_kernelINS0_14default_configENS1_38merge_sort_block_merge_config_selectorIiNS0_10empty_typeEEEZZNS1_27merge_sort_block_merge_implIS3_N6thrust23THRUST_200600_302600_NS6detail15normal_iteratorINS9_10device_ptrIiEEEEPS5_jNS1_19radix_merge_compareILb0ELb1EiNS0_19identity_decomposerEEEEE10hipError_tT0_T1_T2_jT3_P12ihipStream_tbPNSt15iterator_traitsISK_E10value_typeEPNSQ_ISL_E10value_typeEPSM_NS1_7vsmem_tEENKUlT_SK_SL_SM_E_clIPiSE_SF_SF_EESJ_SZ_SK_SL_SM_EUlSZ_E0_NS1_11comp_targetILNS1_3genE9ELNS1_11target_archE1100ELNS1_3gpuE3ELNS1_3repE0EEENS1_38merge_mergepath_config_static_selectorELNS0_4arch9wavefront6targetE0EEEvSL_.has_dyn_sized_stack, 0
	.set _ZN7rocprim17ROCPRIM_400000_NS6detail17trampoline_kernelINS0_14default_configENS1_38merge_sort_block_merge_config_selectorIiNS0_10empty_typeEEEZZNS1_27merge_sort_block_merge_implIS3_N6thrust23THRUST_200600_302600_NS6detail15normal_iteratorINS9_10device_ptrIiEEEEPS5_jNS1_19radix_merge_compareILb0ELb1EiNS0_19identity_decomposerEEEEE10hipError_tT0_T1_T2_jT3_P12ihipStream_tbPNSt15iterator_traitsISK_E10value_typeEPNSQ_ISL_E10value_typeEPSM_NS1_7vsmem_tEENKUlT_SK_SL_SM_E_clIPiSE_SF_SF_EESJ_SZ_SK_SL_SM_EUlSZ_E0_NS1_11comp_targetILNS1_3genE9ELNS1_11target_archE1100ELNS1_3gpuE3ELNS1_3repE0EEENS1_38merge_mergepath_config_static_selectorELNS0_4arch9wavefront6targetE0EEEvSL_.has_recursion, 0
	.set _ZN7rocprim17ROCPRIM_400000_NS6detail17trampoline_kernelINS0_14default_configENS1_38merge_sort_block_merge_config_selectorIiNS0_10empty_typeEEEZZNS1_27merge_sort_block_merge_implIS3_N6thrust23THRUST_200600_302600_NS6detail15normal_iteratorINS9_10device_ptrIiEEEEPS5_jNS1_19radix_merge_compareILb0ELb1EiNS0_19identity_decomposerEEEEE10hipError_tT0_T1_T2_jT3_P12ihipStream_tbPNSt15iterator_traitsISK_E10value_typeEPNSQ_ISL_E10value_typeEPSM_NS1_7vsmem_tEENKUlT_SK_SL_SM_E_clIPiSE_SF_SF_EESJ_SZ_SK_SL_SM_EUlSZ_E0_NS1_11comp_targetILNS1_3genE9ELNS1_11target_archE1100ELNS1_3gpuE3ELNS1_3repE0EEENS1_38merge_mergepath_config_static_selectorELNS0_4arch9wavefront6targetE0EEEvSL_.has_indirect_call, 0
	.section	.AMDGPU.csdata,"",@progbits
; Kernel info:
; codeLenInByte = 0
; TotalNumSgprs: 0
; NumVgprs: 0
; ScratchSize: 0
; MemoryBound: 0
; FloatMode: 240
; IeeeMode: 1
; LDSByteSize: 0 bytes/workgroup (compile time only)
; SGPRBlocks: 0
; VGPRBlocks: 0
; NumSGPRsForWavesPerEU: 1
; NumVGPRsForWavesPerEU: 1
; Occupancy: 16
; WaveLimiterHint : 0
; COMPUTE_PGM_RSRC2:SCRATCH_EN: 0
; COMPUTE_PGM_RSRC2:USER_SGPR: 6
; COMPUTE_PGM_RSRC2:TRAP_HANDLER: 0
; COMPUTE_PGM_RSRC2:TGID_X_EN: 1
; COMPUTE_PGM_RSRC2:TGID_Y_EN: 0
; COMPUTE_PGM_RSRC2:TGID_Z_EN: 0
; COMPUTE_PGM_RSRC2:TIDIG_COMP_CNT: 0
	.section	.text._ZN7rocprim17ROCPRIM_400000_NS6detail17trampoline_kernelINS0_14default_configENS1_38merge_sort_block_merge_config_selectorIiNS0_10empty_typeEEEZZNS1_27merge_sort_block_merge_implIS3_N6thrust23THRUST_200600_302600_NS6detail15normal_iteratorINS9_10device_ptrIiEEEEPS5_jNS1_19radix_merge_compareILb0ELb1EiNS0_19identity_decomposerEEEEE10hipError_tT0_T1_T2_jT3_P12ihipStream_tbPNSt15iterator_traitsISK_E10value_typeEPNSQ_ISL_E10value_typeEPSM_NS1_7vsmem_tEENKUlT_SK_SL_SM_E_clIPiSE_SF_SF_EESJ_SZ_SK_SL_SM_EUlSZ_E0_NS1_11comp_targetILNS1_3genE8ELNS1_11target_archE1030ELNS1_3gpuE2ELNS1_3repE0EEENS1_38merge_mergepath_config_static_selectorELNS0_4arch9wavefront6targetE0EEEvSL_,"axG",@progbits,_ZN7rocprim17ROCPRIM_400000_NS6detail17trampoline_kernelINS0_14default_configENS1_38merge_sort_block_merge_config_selectorIiNS0_10empty_typeEEEZZNS1_27merge_sort_block_merge_implIS3_N6thrust23THRUST_200600_302600_NS6detail15normal_iteratorINS9_10device_ptrIiEEEEPS5_jNS1_19radix_merge_compareILb0ELb1EiNS0_19identity_decomposerEEEEE10hipError_tT0_T1_T2_jT3_P12ihipStream_tbPNSt15iterator_traitsISK_E10value_typeEPNSQ_ISL_E10value_typeEPSM_NS1_7vsmem_tEENKUlT_SK_SL_SM_E_clIPiSE_SF_SF_EESJ_SZ_SK_SL_SM_EUlSZ_E0_NS1_11comp_targetILNS1_3genE8ELNS1_11target_archE1030ELNS1_3gpuE2ELNS1_3repE0EEENS1_38merge_mergepath_config_static_selectorELNS0_4arch9wavefront6targetE0EEEvSL_,comdat
	.protected	_ZN7rocprim17ROCPRIM_400000_NS6detail17trampoline_kernelINS0_14default_configENS1_38merge_sort_block_merge_config_selectorIiNS0_10empty_typeEEEZZNS1_27merge_sort_block_merge_implIS3_N6thrust23THRUST_200600_302600_NS6detail15normal_iteratorINS9_10device_ptrIiEEEEPS5_jNS1_19radix_merge_compareILb0ELb1EiNS0_19identity_decomposerEEEEE10hipError_tT0_T1_T2_jT3_P12ihipStream_tbPNSt15iterator_traitsISK_E10value_typeEPNSQ_ISL_E10value_typeEPSM_NS1_7vsmem_tEENKUlT_SK_SL_SM_E_clIPiSE_SF_SF_EESJ_SZ_SK_SL_SM_EUlSZ_E0_NS1_11comp_targetILNS1_3genE8ELNS1_11target_archE1030ELNS1_3gpuE2ELNS1_3repE0EEENS1_38merge_mergepath_config_static_selectorELNS0_4arch9wavefront6targetE0EEEvSL_ ; -- Begin function _ZN7rocprim17ROCPRIM_400000_NS6detail17trampoline_kernelINS0_14default_configENS1_38merge_sort_block_merge_config_selectorIiNS0_10empty_typeEEEZZNS1_27merge_sort_block_merge_implIS3_N6thrust23THRUST_200600_302600_NS6detail15normal_iteratorINS9_10device_ptrIiEEEEPS5_jNS1_19radix_merge_compareILb0ELb1EiNS0_19identity_decomposerEEEEE10hipError_tT0_T1_T2_jT3_P12ihipStream_tbPNSt15iterator_traitsISK_E10value_typeEPNSQ_ISL_E10value_typeEPSM_NS1_7vsmem_tEENKUlT_SK_SL_SM_E_clIPiSE_SF_SF_EESJ_SZ_SK_SL_SM_EUlSZ_E0_NS1_11comp_targetILNS1_3genE8ELNS1_11target_archE1030ELNS1_3gpuE2ELNS1_3repE0EEENS1_38merge_mergepath_config_static_selectorELNS0_4arch9wavefront6targetE0EEEvSL_
	.globl	_ZN7rocprim17ROCPRIM_400000_NS6detail17trampoline_kernelINS0_14default_configENS1_38merge_sort_block_merge_config_selectorIiNS0_10empty_typeEEEZZNS1_27merge_sort_block_merge_implIS3_N6thrust23THRUST_200600_302600_NS6detail15normal_iteratorINS9_10device_ptrIiEEEEPS5_jNS1_19radix_merge_compareILb0ELb1EiNS0_19identity_decomposerEEEEE10hipError_tT0_T1_T2_jT3_P12ihipStream_tbPNSt15iterator_traitsISK_E10value_typeEPNSQ_ISL_E10value_typeEPSM_NS1_7vsmem_tEENKUlT_SK_SL_SM_E_clIPiSE_SF_SF_EESJ_SZ_SK_SL_SM_EUlSZ_E0_NS1_11comp_targetILNS1_3genE8ELNS1_11target_archE1030ELNS1_3gpuE2ELNS1_3repE0EEENS1_38merge_mergepath_config_static_selectorELNS0_4arch9wavefront6targetE0EEEvSL_
	.p2align	8
	.type	_ZN7rocprim17ROCPRIM_400000_NS6detail17trampoline_kernelINS0_14default_configENS1_38merge_sort_block_merge_config_selectorIiNS0_10empty_typeEEEZZNS1_27merge_sort_block_merge_implIS3_N6thrust23THRUST_200600_302600_NS6detail15normal_iteratorINS9_10device_ptrIiEEEEPS5_jNS1_19radix_merge_compareILb0ELb1EiNS0_19identity_decomposerEEEEE10hipError_tT0_T1_T2_jT3_P12ihipStream_tbPNSt15iterator_traitsISK_E10value_typeEPNSQ_ISL_E10value_typeEPSM_NS1_7vsmem_tEENKUlT_SK_SL_SM_E_clIPiSE_SF_SF_EESJ_SZ_SK_SL_SM_EUlSZ_E0_NS1_11comp_targetILNS1_3genE8ELNS1_11target_archE1030ELNS1_3gpuE2ELNS1_3repE0EEENS1_38merge_mergepath_config_static_selectorELNS0_4arch9wavefront6targetE0EEEvSL_,@function
_ZN7rocprim17ROCPRIM_400000_NS6detail17trampoline_kernelINS0_14default_configENS1_38merge_sort_block_merge_config_selectorIiNS0_10empty_typeEEEZZNS1_27merge_sort_block_merge_implIS3_N6thrust23THRUST_200600_302600_NS6detail15normal_iteratorINS9_10device_ptrIiEEEEPS5_jNS1_19radix_merge_compareILb0ELb1EiNS0_19identity_decomposerEEEEE10hipError_tT0_T1_T2_jT3_P12ihipStream_tbPNSt15iterator_traitsISK_E10value_typeEPNSQ_ISL_E10value_typeEPSM_NS1_7vsmem_tEENKUlT_SK_SL_SM_E_clIPiSE_SF_SF_EESJ_SZ_SK_SL_SM_EUlSZ_E0_NS1_11comp_targetILNS1_3genE8ELNS1_11target_archE1030ELNS1_3gpuE2ELNS1_3repE0EEENS1_38merge_mergepath_config_static_selectorELNS0_4arch9wavefront6targetE0EEEvSL_: ; @_ZN7rocprim17ROCPRIM_400000_NS6detail17trampoline_kernelINS0_14default_configENS1_38merge_sort_block_merge_config_selectorIiNS0_10empty_typeEEEZZNS1_27merge_sort_block_merge_implIS3_N6thrust23THRUST_200600_302600_NS6detail15normal_iteratorINS9_10device_ptrIiEEEEPS5_jNS1_19radix_merge_compareILb0ELb1EiNS0_19identity_decomposerEEEEE10hipError_tT0_T1_T2_jT3_P12ihipStream_tbPNSt15iterator_traitsISK_E10value_typeEPNSQ_ISL_E10value_typeEPSM_NS1_7vsmem_tEENKUlT_SK_SL_SM_E_clIPiSE_SF_SF_EESJ_SZ_SK_SL_SM_EUlSZ_E0_NS1_11comp_targetILNS1_3genE8ELNS1_11target_archE1030ELNS1_3gpuE2ELNS1_3repE0EEENS1_38merge_mergepath_config_static_selectorELNS0_4arch9wavefront6targetE0EEEvSL_
; %bb.0:
	s_clause 0x1
	s_load_dwordx2 s[14:15], s[4:5], 0x40
	s_load_dwordx2 s[2:3], s[4:5], 0x30
	s_add_u32 s12, s4, 64
	s_addc_u32 s13, s5, 0
	s_waitcnt lgkmcnt(0)
	s_mul_i32 s0, s15, s8
	s_add_i32 s0, s0, s7
	s_mul_i32 s0, s0, s14
	s_add_i32 s0, s0, s6
	s_cmp_ge_u32 s0, s2
	s_cbranch_scc1 .LBB99_27
; %bb.1:
	s_clause 0x2
	s_load_dwordx2 s[8:9], s[4:5], 0x28
	s_load_dwordx2 s[10:11], s[4:5], 0x38
	;; [unrolled: 1-line block ×3, first 2 shown]
	s_mov_b32 s1, 0
	v_mov_b32_e32 v4, 0
	s_mov_b32 s21, s1
	v_lshlrev_b32_e32 v5, 2, v0
                                        ; implicit-def: $vgpr6
	global_load_dword v1, v4, s[12:13] offset:14
	s_waitcnt lgkmcnt(0)
	s_lshr_b32 s22, s8, 10
	s_cmp_lg_u32 s0, s22
	s_cselect_b32 s7, -1, 0
	s_lshl_b64 s[16:17], s[0:1], 2
	s_add_u32 s10, s10, s16
	s_addc_u32 s11, s11, s17
	s_lshr_b32 s2, s9, 9
	s_load_dwordx2 s[16:17], s[10:11], 0x0
	s_and_b32 s2, s2, 0x7ffffe
	s_lshl_b32 s10, s0, 10
	s_sub_i32 s2, 0, s2
	s_and_b32 s11, s0, s2
	s_or_b32 s2, s0, s2
	s_lshl_b32 s15, s11, 11
	s_lshl_b32 s11, s11, 10
	s_add_i32 s15, s15, s9
	s_sub_i32 s20, s10, s11
	s_sub_i32 s11, s15, s11
	s_add_i32 s15, s15, s20
	s_min_u32 s23, s8, s11
	s_add_i32 s11, s11, s9
	s_waitcnt lgkmcnt(0)
	s_sub_i32 s9, s15, s16
	s_sub_i32 s15, s15, s17
	s_min_u32 s20, s8, s9
	s_addk_i32 s15, 0x400
	s_cmp_eq_u32 s2, -1
	s_cselect_b32 s2, s11, s15
	s_cselect_b32 s9, s23, s17
	s_mov_b32 s17, s1
	s_min_u32 s1, s2, s8
	s_sub_i32 s2, s9, s16
	s_lshl_b64 s[16:17], s[16:17], 2
	s_sub_i32 s9, s1, s20
	s_add_u32 s16, s18, s16
	s_addc_u32 s17, s19, s17
	s_lshl_b64 s[20:21], s[20:21], 2
	s_add_u32 s11, s18, s20
	s_addc_u32 s15, s19, s21
	s_cmp_lt_u32 s6, s14
	s_cselect_b32 s1, 12, 18
	s_add_u32 s12, s12, s1
	s_addc_u32 s13, s13, 0
	s_cmp_eq_u32 s0, s22
	global_load_ushort v2, v4, s[12:13]
	s_mov_b32 s0, -1
	s_waitcnt vmcnt(1)
	v_lshrrev_b32_e32 v3, 16, v1
	v_and_b32_e32 v1, 0xffff, v1
	v_mul_lo_u32 v1, v1, v3
                                        ; implicit-def: $vgpr3
	s_waitcnt vmcnt(0)
	v_mul_lo_u32 v1, v1, v2
                                        ; implicit-def: $vgpr2
	v_add_nc_u32_e32 v1, v1, v0
	s_cbranch_scc1 .LBB99_3
; %bb.2:
	v_mov_b32_e32 v2, v4
	v_sub_co_u32 v3, vcc_lo, v0, s2
	v_add_co_u32 v10, s0, s16, v5
	v_lshlrev_b64 v[6:7], 2, v[1:2]
	v_add_co_ci_u32_e64 v11, null, s17, 0, s0
	v_lshlrev_b64 v[8:9], 2, v[3:4]
	v_add_co_u32 v6, s0, s16, v6
	v_add_co_ci_u32_e64 v7, null, s17, v7, s0
	v_sub_co_u32 v3, s0, v1, s2
	v_lshlrev_b64 v[2:3], 2, v[3:4]
	v_add_co_u32 v4, s1, s11, v8
	v_add_co_ci_u32_e64 v8, null, s15, v9, s1
	v_add_co_u32 v9, s1, s11, v2
	v_add_co_ci_u32_e64 v12, null, s15, v3, s1
	v_cndmask_b32_e32 v3, v8, v11, vcc_lo
	v_cndmask_b32_e32 v2, v4, v10, vcc_lo
	v_cndmask_b32_e64 v6, v9, v6, s0
	v_cndmask_b32_e64 v7, v12, v7, s0
	s_add_i32 s0, s9, s2
	global_load_dword v3, v[2:3], off
	global_load_dword v2, v[6:7], off
	v_mov_b32_e32 v6, s0
	s_mov_b32 s0, 0
.LBB99_3:
	s_load_dwordx2 s[4:5], s[4:5], 0x10
	s_andn2_b32 vcc_lo, exec_lo, s0
	s_cbranch_vccnz .LBB99_9
; %bb.4:
	s_waitcnt vmcnt(0)
	v_mov_b32_e32 v2, 0
	v_mov_b32_e32 v3, 0
	s_add_i32 s1, s9, s2
	s_mov_b32 s6, exec_lo
	v_cmpx_gt_u32_e64 s1, v0
	s_cbranch_execz .LBB99_6
; %bb.5:
	v_sub_co_u32 v3, vcc_lo, v0, s2
	v_mov_b32_e32 v4, 0
	v_add_co_u32 v6, s0, s16, v5
	v_add_co_ci_u32_e64 v7, null, s17, 0, s0
	v_lshlrev_b64 v[3:4], 2, v[3:4]
	v_add_co_u32 v3, s0, s11, v3
	v_add_co_ci_u32_e64 v4, null, s15, v4, s0
	v_cndmask_b32_e32 v3, v3, v6, vcc_lo
	v_cndmask_b32_e32 v4, v4, v7, vcc_lo
	global_load_dword v3, v[3:4], off
.LBB99_6:
	s_or_b32 exec_lo, exec_lo, s6
	s_mov_b32 s6, exec_lo
	v_cmpx_gt_u32_e64 s1, v1
	s_cbranch_execz .LBB99_8
; %bb.7:
	v_mov_b32_e32 v2, 0
	v_lshlrev_b64 v[6:7], 2, v[1:2]
	v_add_co_u32 v4, vcc_lo, s16, v6
	v_add_co_ci_u32_e64 v6, null, s17, v7, vcc_lo
	v_sub_co_u32 v1, vcc_lo, v1, s2
	v_lshlrev_b64 v[1:2], 2, v[1:2]
	v_add_co_u32 v1, s0, s11, v1
	v_add_co_ci_u32_e64 v2, null, s15, v2, s0
	v_cndmask_b32_e32 v1, v1, v4, vcc_lo
	v_cndmask_b32_e32 v2, v2, v6, vcc_lo
	global_load_dword v2, v[1:2], off
.LBB99_8:
	s_or_b32 exec_lo, exec_lo, s6
	v_mov_b32_e32 v6, s1
.LBB99_9:
	v_lshlrev_b32_e32 v1, 1, v0
	s_mov_b32 s0, exec_lo
	s_waitcnt vmcnt(0)
	ds_write2st64_b32 v5, v3, v2 offset1:8
	s_waitcnt lgkmcnt(0)
	s_barrier
	v_min_u32_e32 v7, v6, v1
	buffer_gl0_inv
	v_sub_nc_u32_e64 v4, v7, s9 clamp
	v_min_u32_e32 v8, s2, v7
	v_cmpx_lt_u32_e64 v4, v8
	s_cbranch_execz .LBB99_13
; %bb.10:
	v_lshlrev_b32_e32 v9, 2, v7
	s_mov_b32 s1, 0
	v_lshl_add_u32 v9, s2, 2, v9
	.p2align	6
.LBB99_11:                              ; =>This Inner Loop Header: Depth=1
	v_add_nc_u32_e32 v10, v8, v4
	v_lshrrev_b32_e32 v10, 1, v10
	v_not_b32_e32 v11, v10
	v_lshlrev_b32_e32 v12, 2, v10
	v_add_nc_u32_e32 v13, 1, v10
	v_lshl_add_u32 v11, v11, 2, v9
	ds_read_b32 v12, v12
	ds_read_b32 v11, v11
	s_waitcnt lgkmcnt(1)
	v_and_b32_e32 v12, s3, v12
	s_waitcnt lgkmcnt(0)
	v_and_b32_e32 v11, s3, v11
	v_cmp_gt_i32_e32 vcc_lo, v12, v11
	v_cndmask_b32_e32 v8, v8, v10, vcc_lo
	v_cndmask_b32_e32 v4, v13, v4, vcc_lo
	v_cmp_ge_u32_e32 vcc_lo, v4, v8
	s_or_b32 s1, vcc_lo, s1
	s_andn2_b32 exec_lo, exec_lo, s1
	s_cbranch_execnz .LBB99_11
; %bb.12:
	s_or_b32 exec_lo, exec_lo, s1
.LBB99_13:
	s_or_b32 exec_lo, exec_lo, s0
	v_sub_nc_u32_e32 v7, v7, v4
	v_cmp_ge_u32_e32 vcc_lo, s2, v4
	v_add_nc_u32_e32 v7, s2, v7
	v_cmp_le_u32_e64 s0, v7, v6
	s_or_b32 s0, vcc_lo, s0
	s_and_saveexec_b32 s6, s0
	s_cbranch_execz .LBB99_19
; %bb.14:
	v_cmp_gt_u32_e32 vcc_lo, s2, v4
                                        ; implicit-def: $vgpr2
	s_and_saveexec_b32 s0, vcc_lo
; %bb.15:
	v_lshlrev_b32_e32 v2, 2, v4
	ds_read_b32 v2, v2
; %bb.16:
	s_or_b32 exec_lo, exec_lo, s0
	v_cmp_ge_u32_e64 s0, v7, v6
	s_mov_b32 s9, exec_lo
                                        ; implicit-def: $vgpr3
	v_cmpx_lt_u32_e64 v7, v6
; %bb.17:
	v_lshlrev_b32_e32 v3, 2, v7
	ds_read_b32 v3, v3
; %bb.18:
	s_or_b32 exec_lo, exec_lo, s9
	s_waitcnt lgkmcnt(0)
	v_and_b32_e32 v8, s3, v3
	v_and_b32_e32 v9, s3, v2
	v_cmp_le_i32_e64 s1, v9, v8
	s_and_b32 s1, vcc_lo, s1
	s_or_b32 vcc_lo, s0, s1
	v_cndmask_b32_e32 v8, v7, v4, vcc_lo
	v_cndmask_b32_e64 v9, v6, s2, vcc_lo
	v_add_nc_u32_e32 v8, 1, v8
	v_add_nc_u32_e32 v9, -1, v9
	v_cndmask_b32_e32 v4, v4, v8, vcc_lo
	v_min_u32_e32 v9, v8, v9
	v_cndmask_b32_e32 v7, v8, v7, vcc_lo
	v_cmp_gt_u32_e64 s0, s2, v4
	v_lshlrev_b32_e32 v9, 2, v9
	v_cmp_ge_u32_e64 s2, v7, v6
	ds_read_b32 v9, v9
	s_waitcnt lgkmcnt(0)
	v_cndmask_b32_e32 v10, v9, v3, vcc_lo
	v_cndmask_b32_e32 v9, v2, v9, vcc_lo
	;; [unrolled: 1-line block ×3, first 2 shown]
	v_and_b32_e32 v11, s3, v10
	v_and_b32_e32 v12, s3, v9
	v_cmp_le_i32_e64 s1, v12, v11
	s_and_b32 s0, s0, s1
	s_or_b32 vcc_lo, s2, s0
	v_cndmask_b32_e32 v2, v10, v9, vcc_lo
.LBB99_19:
	s_or_b32 exec_lo, exec_lo, s6
	v_lshrrev_b32_e32 v6, 2, v0
	v_or_b32_e32 v4, 0x200, v0
	v_lshrrev_b32_e32 v7, 3, v0
	s_mov_b32 s11, 0
	v_and_b32_e32 v6, 0x7c, v6
	v_lshrrev_b32_e32 v8, 3, v4
	s_lshl_b64 s[0:1], s[10:11], 2
	s_barrier
	s_add_u32 s0, s4, s0
	v_lshl_add_u32 v1, v1, 2, v6
	v_and_b32_e32 v6, 60, v7
	v_and_b32_e32 v7, 0x7c, v8
	buffer_gl0_inv
	s_barrier
	buffer_gl0_inv
	s_addc_u32 s1, s5, s1
	ds_write2_b32 v1, v3, v2 offset1:1
	v_add_co_u32 v1, s0, s0, v5
	v_add_nc_u32_e32 v6, v6, v5
	v_add_nc_u32_e32 v7, v7, v5
	v_add_co_ci_u32_e64 v2, null, s1, 0, s0
	s_and_b32 vcc_lo, exec_lo, s7
	s_waitcnt lgkmcnt(0)
	s_cbranch_vccz .LBB99_21
; %bb.20:
	s_barrier
	buffer_gl0_inv
	ds_read_b32 v5, v6
	ds_read_b32 v3, v7 offset:2048
	s_mov_b32 s11, -1
	s_waitcnt lgkmcnt(1)
	global_store_dword v[1:2], v5, off
	s_cbranch_execz .LBB99_22
	s_branch .LBB99_25
.LBB99_21:
                                        ; implicit-def: $vgpr3
.LBB99_22:
	s_barrier
	s_waitcnt lgkmcnt(0)
	s_waitcnt_vscnt null, 0x0
	buffer_gl0_inv
	ds_read_b32 v3, v7 offset:2048
	s_sub_i32 s0, s8, s10
	s_mov_b32 s1, exec_lo
	v_cmpx_gt_u32_e64 s0, v0
	s_cbranch_execz .LBB99_24
; %bb.23:
	ds_read_b32 v0, v6
	s_waitcnt lgkmcnt(0)
	global_store_dword v[1:2], v0, off
.LBB99_24:
	s_or_b32 exec_lo, exec_lo, s1
	v_cmp_gt_u32_e64 s11, s0, v4
.LBB99_25:
	s_and_saveexec_b32 s0, s11
	s_cbranch_execz .LBB99_27
; %bb.26:
	v_add_co_u32 v0, vcc_lo, 0x800, v1
	v_add_co_ci_u32_e64 v1, null, 0, v2, vcc_lo
	s_waitcnt lgkmcnt(0)
	global_store_dword v[0:1], v3, off
.LBB99_27:
	s_endpgm
	.section	.rodata,"a",@progbits
	.p2align	6, 0x0
	.amdhsa_kernel _ZN7rocprim17ROCPRIM_400000_NS6detail17trampoline_kernelINS0_14default_configENS1_38merge_sort_block_merge_config_selectorIiNS0_10empty_typeEEEZZNS1_27merge_sort_block_merge_implIS3_N6thrust23THRUST_200600_302600_NS6detail15normal_iteratorINS9_10device_ptrIiEEEEPS5_jNS1_19radix_merge_compareILb0ELb1EiNS0_19identity_decomposerEEEEE10hipError_tT0_T1_T2_jT3_P12ihipStream_tbPNSt15iterator_traitsISK_E10value_typeEPNSQ_ISL_E10value_typeEPSM_NS1_7vsmem_tEENKUlT_SK_SL_SM_E_clIPiSE_SF_SF_EESJ_SZ_SK_SL_SM_EUlSZ_E0_NS1_11comp_targetILNS1_3genE8ELNS1_11target_archE1030ELNS1_3gpuE2ELNS1_3repE0EEENS1_38merge_mergepath_config_static_selectorELNS0_4arch9wavefront6targetE0EEEvSL_
		.amdhsa_group_segment_fixed_size 4224
		.amdhsa_private_segment_fixed_size 0
		.amdhsa_kernarg_size 320
		.amdhsa_user_sgpr_count 6
		.amdhsa_user_sgpr_private_segment_buffer 1
		.amdhsa_user_sgpr_dispatch_ptr 0
		.amdhsa_user_sgpr_queue_ptr 0
		.amdhsa_user_sgpr_kernarg_segment_ptr 1
		.amdhsa_user_sgpr_dispatch_id 0
		.amdhsa_user_sgpr_flat_scratch_init 0
		.amdhsa_user_sgpr_private_segment_size 0
		.amdhsa_wavefront_size32 1
		.amdhsa_uses_dynamic_stack 0
		.amdhsa_system_sgpr_private_segment_wavefront_offset 0
		.amdhsa_system_sgpr_workgroup_id_x 1
		.amdhsa_system_sgpr_workgroup_id_y 1
		.amdhsa_system_sgpr_workgroup_id_z 1
		.amdhsa_system_sgpr_workgroup_info 0
		.amdhsa_system_vgpr_workitem_id 0
		.amdhsa_next_free_vgpr 14
		.amdhsa_next_free_sgpr 24
		.amdhsa_reserve_vcc 1
		.amdhsa_reserve_flat_scratch 0
		.amdhsa_float_round_mode_32 0
		.amdhsa_float_round_mode_16_64 0
		.amdhsa_float_denorm_mode_32 3
		.amdhsa_float_denorm_mode_16_64 3
		.amdhsa_dx10_clamp 1
		.amdhsa_ieee_mode 1
		.amdhsa_fp16_overflow 0
		.amdhsa_workgroup_processor_mode 1
		.amdhsa_memory_ordered 1
		.amdhsa_forward_progress 1
		.amdhsa_shared_vgpr_count 0
		.amdhsa_exception_fp_ieee_invalid_op 0
		.amdhsa_exception_fp_denorm_src 0
		.amdhsa_exception_fp_ieee_div_zero 0
		.amdhsa_exception_fp_ieee_overflow 0
		.amdhsa_exception_fp_ieee_underflow 0
		.amdhsa_exception_fp_ieee_inexact 0
		.amdhsa_exception_int_div_zero 0
	.end_amdhsa_kernel
	.section	.text._ZN7rocprim17ROCPRIM_400000_NS6detail17trampoline_kernelINS0_14default_configENS1_38merge_sort_block_merge_config_selectorIiNS0_10empty_typeEEEZZNS1_27merge_sort_block_merge_implIS3_N6thrust23THRUST_200600_302600_NS6detail15normal_iteratorINS9_10device_ptrIiEEEEPS5_jNS1_19radix_merge_compareILb0ELb1EiNS0_19identity_decomposerEEEEE10hipError_tT0_T1_T2_jT3_P12ihipStream_tbPNSt15iterator_traitsISK_E10value_typeEPNSQ_ISL_E10value_typeEPSM_NS1_7vsmem_tEENKUlT_SK_SL_SM_E_clIPiSE_SF_SF_EESJ_SZ_SK_SL_SM_EUlSZ_E0_NS1_11comp_targetILNS1_3genE8ELNS1_11target_archE1030ELNS1_3gpuE2ELNS1_3repE0EEENS1_38merge_mergepath_config_static_selectorELNS0_4arch9wavefront6targetE0EEEvSL_,"axG",@progbits,_ZN7rocprim17ROCPRIM_400000_NS6detail17trampoline_kernelINS0_14default_configENS1_38merge_sort_block_merge_config_selectorIiNS0_10empty_typeEEEZZNS1_27merge_sort_block_merge_implIS3_N6thrust23THRUST_200600_302600_NS6detail15normal_iteratorINS9_10device_ptrIiEEEEPS5_jNS1_19radix_merge_compareILb0ELb1EiNS0_19identity_decomposerEEEEE10hipError_tT0_T1_T2_jT3_P12ihipStream_tbPNSt15iterator_traitsISK_E10value_typeEPNSQ_ISL_E10value_typeEPSM_NS1_7vsmem_tEENKUlT_SK_SL_SM_E_clIPiSE_SF_SF_EESJ_SZ_SK_SL_SM_EUlSZ_E0_NS1_11comp_targetILNS1_3genE8ELNS1_11target_archE1030ELNS1_3gpuE2ELNS1_3repE0EEENS1_38merge_mergepath_config_static_selectorELNS0_4arch9wavefront6targetE0EEEvSL_,comdat
.Lfunc_end99:
	.size	_ZN7rocprim17ROCPRIM_400000_NS6detail17trampoline_kernelINS0_14default_configENS1_38merge_sort_block_merge_config_selectorIiNS0_10empty_typeEEEZZNS1_27merge_sort_block_merge_implIS3_N6thrust23THRUST_200600_302600_NS6detail15normal_iteratorINS9_10device_ptrIiEEEEPS5_jNS1_19radix_merge_compareILb0ELb1EiNS0_19identity_decomposerEEEEE10hipError_tT0_T1_T2_jT3_P12ihipStream_tbPNSt15iterator_traitsISK_E10value_typeEPNSQ_ISL_E10value_typeEPSM_NS1_7vsmem_tEENKUlT_SK_SL_SM_E_clIPiSE_SF_SF_EESJ_SZ_SK_SL_SM_EUlSZ_E0_NS1_11comp_targetILNS1_3genE8ELNS1_11target_archE1030ELNS1_3gpuE2ELNS1_3repE0EEENS1_38merge_mergepath_config_static_selectorELNS0_4arch9wavefront6targetE0EEEvSL_, .Lfunc_end99-_ZN7rocprim17ROCPRIM_400000_NS6detail17trampoline_kernelINS0_14default_configENS1_38merge_sort_block_merge_config_selectorIiNS0_10empty_typeEEEZZNS1_27merge_sort_block_merge_implIS3_N6thrust23THRUST_200600_302600_NS6detail15normal_iteratorINS9_10device_ptrIiEEEEPS5_jNS1_19radix_merge_compareILb0ELb1EiNS0_19identity_decomposerEEEEE10hipError_tT0_T1_T2_jT3_P12ihipStream_tbPNSt15iterator_traitsISK_E10value_typeEPNSQ_ISL_E10value_typeEPSM_NS1_7vsmem_tEENKUlT_SK_SL_SM_E_clIPiSE_SF_SF_EESJ_SZ_SK_SL_SM_EUlSZ_E0_NS1_11comp_targetILNS1_3genE8ELNS1_11target_archE1030ELNS1_3gpuE2ELNS1_3repE0EEENS1_38merge_mergepath_config_static_selectorELNS0_4arch9wavefront6targetE0EEEvSL_
                                        ; -- End function
	.set _ZN7rocprim17ROCPRIM_400000_NS6detail17trampoline_kernelINS0_14default_configENS1_38merge_sort_block_merge_config_selectorIiNS0_10empty_typeEEEZZNS1_27merge_sort_block_merge_implIS3_N6thrust23THRUST_200600_302600_NS6detail15normal_iteratorINS9_10device_ptrIiEEEEPS5_jNS1_19radix_merge_compareILb0ELb1EiNS0_19identity_decomposerEEEEE10hipError_tT0_T1_T2_jT3_P12ihipStream_tbPNSt15iterator_traitsISK_E10value_typeEPNSQ_ISL_E10value_typeEPSM_NS1_7vsmem_tEENKUlT_SK_SL_SM_E_clIPiSE_SF_SF_EESJ_SZ_SK_SL_SM_EUlSZ_E0_NS1_11comp_targetILNS1_3genE8ELNS1_11target_archE1030ELNS1_3gpuE2ELNS1_3repE0EEENS1_38merge_mergepath_config_static_selectorELNS0_4arch9wavefront6targetE0EEEvSL_.num_vgpr, 14
	.set _ZN7rocprim17ROCPRIM_400000_NS6detail17trampoline_kernelINS0_14default_configENS1_38merge_sort_block_merge_config_selectorIiNS0_10empty_typeEEEZZNS1_27merge_sort_block_merge_implIS3_N6thrust23THRUST_200600_302600_NS6detail15normal_iteratorINS9_10device_ptrIiEEEEPS5_jNS1_19radix_merge_compareILb0ELb1EiNS0_19identity_decomposerEEEEE10hipError_tT0_T1_T2_jT3_P12ihipStream_tbPNSt15iterator_traitsISK_E10value_typeEPNSQ_ISL_E10value_typeEPSM_NS1_7vsmem_tEENKUlT_SK_SL_SM_E_clIPiSE_SF_SF_EESJ_SZ_SK_SL_SM_EUlSZ_E0_NS1_11comp_targetILNS1_3genE8ELNS1_11target_archE1030ELNS1_3gpuE2ELNS1_3repE0EEENS1_38merge_mergepath_config_static_selectorELNS0_4arch9wavefront6targetE0EEEvSL_.num_agpr, 0
	.set _ZN7rocprim17ROCPRIM_400000_NS6detail17trampoline_kernelINS0_14default_configENS1_38merge_sort_block_merge_config_selectorIiNS0_10empty_typeEEEZZNS1_27merge_sort_block_merge_implIS3_N6thrust23THRUST_200600_302600_NS6detail15normal_iteratorINS9_10device_ptrIiEEEEPS5_jNS1_19radix_merge_compareILb0ELb1EiNS0_19identity_decomposerEEEEE10hipError_tT0_T1_T2_jT3_P12ihipStream_tbPNSt15iterator_traitsISK_E10value_typeEPNSQ_ISL_E10value_typeEPSM_NS1_7vsmem_tEENKUlT_SK_SL_SM_E_clIPiSE_SF_SF_EESJ_SZ_SK_SL_SM_EUlSZ_E0_NS1_11comp_targetILNS1_3genE8ELNS1_11target_archE1030ELNS1_3gpuE2ELNS1_3repE0EEENS1_38merge_mergepath_config_static_selectorELNS0_4arch9wavefront6targetE0EEEvSL_.numbered_sgpr, 24
	.set _ZN7rocprim17ROCPRIM_400000_NS6detail17trampoline_kernelINS0_14default_configENS1_38merge_sort_block_merge_config_selectorIiNS0_10empty_typeEEEZZNS1_27merge_sort_block_merge_implIS3_N6thrust23THRUST_200600_302600_NS6detail15normal_iteratorINS9_10device_ptrIiEEEEPS5_jNS1_19radix_merge_compareILb0ELb1EiNS0_19identity_decomposerEEEEE10hipError_tT0_T1_T2_jT3_P12ihipStream_tbPNSt15iterator_traitsISK_E10value_typeEPNSQ_ISL_E10value_typeEPSM_NS1_7vsmem_tEENKUlT_SK_SL_SM_E_clIPiSE_SF_SF_EESJ_SZ_SK_SL_SM_EUlSZ_E0_NS1_11comp_targetILNS1_3genE8ELNS1_11target_archE1030ELNS1_3gpuE2ELNS1_3repE0EEENS1_38merge_mergepath_config_static_selectorELNS0_4arch9wavefront6targetE0EEEvSL_.num_named_barrier, 0
	.set _ZN7rocprim17ROCPRIM_400000_NS6detail17trampoline_kernelINS0_14default_configENS1_38merge_sort_block_merge_config_selectorIiNS0_10empty_typeEEEZZNS1_27merge_sort_block_merge_implIS3_N6thrust23THRUST_200600_302600_NS6detail15normal_iteratorINS9_10device_ptrIiEEEEPS5_jNS1_19radix_merge_compareILb0ELb1EiNS0_19identity_decomposerEEEEE10hipError_tT0_T1_T2_jT3_P12ihipStream_tbPNSt15iterator_traitsISK_E10value_typeEPNSQ_ISL_E10value_typeEPSM_NS1_7vsmem_tEENKUlT_SK_SL_SM_E_clIPiSE_SF_SF_EESJ_SZ_SK_SL_SM_EUlSZ_E0_NS1_11comp_targetILNS1_3genE8ELNS1_11target_archE1030ELNS1_3gpuE2ELNS1_3repE0EEENS1_38merge_mergepath_config_static_selectorELNS0_4arch9wavefront6targetE0EEEvSL_.private_seg_size, 0
	.set _ZN7rocprim17ROCPRIM_400000_NS6detail17trampoline_kernelINS0_14default_configENS1_38merge_sort_block_merge_config_selectorIiNS0_10empty_typeEEEZZNS1_27merge_sort_block_merge_implIS3_N6thrust23THRUST_200600_302600_NS6detail15normal_iteratorINS9_10device_ptrIiEEEEPS5_jNS1_19radix_merge_compareILb0ELb1EiNS0_19identity_decomposerEEEEE10hipError_tT0_T1_T2_jT3_P12ihipStream_tbPNSt15iterator_traitsISK_E10value_typeEPNSQ_ISL_E10value_typeEPSM_NS1_7vsmem_tEENKUlT_SK_SL_SM_E_clIPiSE_SF_SF_EESJ_SZ_SK_SL_SM_EUlSZ_E0_NS1_11comp_targetILNS1_3genE8ELNS1_11target_archE1030ELNS1_3gpuE2ELNS1_3repE0EEENS1_38merge_mergepath_config_static_selectorELNS0_4arch9wavefront6targetE0EEEvSL_.uses_vcc, 1
	.set _ZN7rocprim17ROCPRIM_400000_NS6detail17trampoline_kernelINS0_14default_configENS1_38merge_sort_block_merge_config_selectorIiNS0_10empty_typeEEEZZNS1_27merge_sort_block_merge_implIS3_N6thrust23THRUST_200600_302600_NS6detail15normal_iteratorINS9_10device_ptrIiEEEEPS5_jNS1_19radix_merge_compareILb0ELb1EiNS0_19identity_decomposerEEEEE10hipError_tT0_T1_T2_jT3_P12ihipStream_tbPNSt15iterator_traitsISK_E10value_typeEPNSQ_ISL_E10value_typeEPSM_NS1_7vsmem_tEENKUlT_SK_SL_SM_E_clIPiSE_SF_SF_EESJ_SZ_SK_SL_SM_EUlSZ_E0_NS1_11comp_targetILNS1_3genE8ELNS1_11target_archE1030ELNS1_3gpuE2ELNS1_3repE0EEENS1_38merge_mergepath_config_static_selectorELNS0_4arch9wavefront6targetE0EEEvSL_.uses_flat_scratch, 0
	.set _ZN7rocprim17ROCPRIM_400000_NS6detail17trampoline_kernelINS0_14default_configENS1_38merge_sort_block_merge_config_selectorIiNS0_10empty_typeEEEZZNS1_27merge_sort_block_merge_implIS3_N6thrust23THRUST_200600_302600_NS6detail15normal_iteratorINS9_10device_ptrIiEEEEPS5_jNS1_19radix_merge_compareILb0ELb1EiNS0_19identity_decomposerEEEEE10hipError_tT0_T1_T2_jT3_P12ihipStream_tbPNSt15iterator_traitsISK_E10value_typeEPNSQ_ISL_E10value_typeEPSM_NS1_7vsmem_tEENKUlT_SK_SL_SM_E_clIPiSE_SF_SF_EESJ_SZ_SK_SL_SM_EUlSZ_E0_NS1_11comp_targetILNS1_3genE8ELNS1_11target_archE1030ELNS1_3gpuE2ELNS1_3repE0EEENS1_38merge_mergepath_config_static_selectorELNS0_4arch9wavefront6targetE0EEEvSL_.has_dyn_sized_stack, 0
	.set _ZN7rocprim17ROCPRIM_400000_NS6detail17trampoline_kernelINS0_14default_configENS1_38merge_sort_block_merge_config_selectorIiNS0_10empty_typeEEEZZNS1_27merge_sort_block_merge_implIS3_N6thrust23THRUST_200600_302600_NS6detail15normal_iteratorINS9_10device_ptrIiEEEEPS5_jNS1_19radix_merge_compareILb0ELb1EiNS0_19identity_decomposerEEEEE10hipError_tT0_T1_T2_jT3_P12ihipStream_tbPNSt15iterator_traitsISK_E10value_typeEPNSQ_ISL_E10value_typeEPSM_NS1_7vsmem_tEENKUlT_SK_SL_SM_E_clIPiSE_SF_SF_EESJ_SZ_SK_SL_SM_EUlSZ_E0_NS1_11comp_targetILNS1_3genE8ELNS1_11target_archE1030ELNS1_3gpuE2ELNS1_3repE0EEENS1_38merge_mergepath_config_static_selectorELNS0_4arch9wavefront6targetE0EEEvSL_.has_recursion, 0
	.set _ZN7rocprim17ROCPRIM_400000_NS6detail17trampoline_kernelINS0_14default_configENS1_38merge_sort_block_merge_config_selectorIiNS0_10empty_typeEEEZZNS1_27merge_sort_block_merge_implIS3_N6thrust23THRUST_200600_302600_NS6detail15normal_iteratorINS9_10device_ptrIiEEEEPS5_jNS1_19radix_merge_compareILb0ELb1EiNS0_19identity_decomposerEEEEE10hipError_tT0_T1_T2_jT3_P12ihipStream_tbPNSt15iterator_traitsISK_E10value_typeEPNSQ_ISL_E10value_typeEPSM_NS1_7vsmem_tEENKUlT_SK_SL_SM_E_clIPiSE_SF_SF_EESJ_SZ_SK_SL_SM_EUlSZ_E0_NS1_11comp_targetILNS1_3genE8ELNS1_11target_archE1030ELNS1_3gpuE2ELNS1_3repE0EEENS1_38merge_mergepath_config_static_selectorELNS0_4arch9wavefront6targetE0EEEvSL_.has_indirect_call, 0
	.section	.AMDGPU.csdata,"",@progbits
; Kernel info:
; codeLenInByte = 1464
; TotalNumSgprs: 26
; NumVgprs: 14
; ScratchSize: 0
; MemoryBound: 0
; FloatMode: 240
; IeeeMode: 1
; LDSByteSize: 4224 bytes/workgroup (compile time only)
; SGPRBlocks: 0
; VGPRBlocks: 1
; NumSGPRsForWavesPerEU: 26
; NumVGPRsForWavesPerEU: 14
; Occupancy: 16
; WaveLimiterHint : 1
; COMPUTE_PGM_RSRC2:SCRATCH_EN: 0
; COMPUTE_PGM_RSRC2:USER_SGPR: 6
; COMPUTE_PGM_RSRC2:TRAP_HANDLER: 0
; COMPUTE_PGM_RSRC2:TGID_X_EN: 1
; COMPUTE_PGM_RSRC2:TGID_Y_EN: 1
; COMPUTE_PGM_RSRC2:TGID_Z_EN: 1
; COMPUTE_PGM_RSRC2:TIDIG_COMP_CNT: 0
	.section	.text._ZN7rocprim17ROCPRIM_400000_NS6detail17trampoline_kernelINS0_14default_configENS1_38merge_sort_block_merge_config_selectorIiNS0_10empty_typeEEEZZNS1_27merge_sort_block_merge_implIS3_N6thrust23THRUST_200600_302600_NS6detail15normal_iteratorINS9_10device_ptrIiEEEEPS5_jNS1_19radix_merge_compareILb0ELb1EiNS0_19identity_decomposerEEEEE10hipError_tT0_T1_T2_jT3_P12ihipStream_tbPNSt15iterator_traitsISK_E10value_typeEPNSQ_ISL_E10value_typeEPSM_NS1_7vsmem_tEENKUlT_SK_SL_SM_E_clIPiSE_SF_SF_EESJ_SZ_SK_SL_SM_EUlSZ_E1_NS1_11comp_targetILNS1_3genE0ELNS1_11target_archE4294967295ELNS1_3gpuE0ELNS1_3repE0EEENS1_36merge_oddeven_config_static_selectorELNS0_4arch9wavefront6targetE0EEEvSL_,"axG",@progbits,_ZN7rocprim17ROCPRIM_400000_NS6detail17trampoline_kernelINS0_14default_configENS1_38merge_sort_block_merge_config_selectorIiNS0_10empty_typeEEEZZNS1_27merge_sort_block_merge_implIS3_N6thrust23THRUST_200600_302600_NS6detail15normal_iteratorINS9_10device_ptrIiEEEEPS5_jNS1_19radix_merge_compareILb0ELb1EiNS0_19identity_decomposerEEEEE10hipError_tT0_T1_T2_jT3_P12ihipStream_tbPNSt15iterator_traitsISK_E10value_typeEPNSQ_ISL_E10value_typeEPSM_NS1_7vsmem_tEENKUlT_SK_SL_SM_E_clIPiSE_SF_SF_EESJ_SZ_SK_SL_SM_EUlSZ_E1_NS1_11comp_targetILNS1_3genE0ELNS1_11target_archE4294967295ELNS1_3gpuE0ELNS1_3repE0EEENS1_36merge_oddeven_config_static_selectorELNS0_4arch9wavefront6targetE0EEEvSL_,comdat
	.protected	_ZN7rocprim17ROCPRIM_400000_NS6detail17trampoline_kernelINS0_14default_configENS1_38merge_sort_block_merge_config_selectorIiNS0_10empty_typeEEEZZNS1_27merge_sort_block_merge_implIS3_N6thrust23THRUST_200600_302600_NS6detail15normal_iteratorINS9_10device_ptrIiEEEEPS5_jNS1_19radix_merge_compareILb0ELb1EiNS0_19identity_decomposerEEEEE10hipError_tT0_T1_T2_jT3_P12ihipStream_tbPNSt15iterator_traitsISK_E10value_typeEPNSQ_ISL_E10value_typeEPSM_NS1_7vsmem_tEENKUlT_SK_SL_SM_E_clIPiSE_SF_SF_EESJ_SZ_SK_SL_SM_EUlSZ_E1_NS1_11comp_targetILNS1_3genE0ELNS1_11target_archE4294967295ELNS1_3gpuE0ELNS1_3repE0EEENS1_36merge_oddeven_config_static_selectorELNS0_4arch9wavefront6targetE0EEEvSL_ ; -- Begin function _ZN7rocprim17ROCPRIM_400000_NS6detail17trampoline_kernelINS0_14default_configENS1_38merge_sort_block_merge_config_selectorIiNS0_10empty_typeEEEZZNS1_27merge_sort_block_merge_implIS3_N6thrust23THRUST_200600_302600_NS6detail15normal_iteratorINS9_10device_ptrIiEEEEPS5_jNS1_19radix_merge_compareILb0ELb1EiNS0_19identity_decomposerEEEEE10hipError_tT0_T1_T2_jT3_P12ihipStream_tbPNSt15iterator_traitsISK_E10value_typeEPNSQ_ISL_E10value_typeEPSM_NS1_7vsmem_tEENKUlT_SK_SL_SM_E_clIPiSE_SF_SF_EESJ_SZ_SK_SL_SM_EUlSZ_E1_NS1_11comp_targetILNS1_3genE0ELNS1_11target_archE4294967295ELNS1_3gpuE0ELNS1_3repE0EEENS1_36merge_oddeven_config_static_selectorELNS0_4arch9wavefront6targetE0EEEvSL_
	.globl	_ZN7rocprim17ROCPRIM_400000_NS6detail17trampoline_kernelINS0_14default_configENS1_38merge_sort_block_merge_config_selectorIiNS0_10empty_typeEEEZZNS1_27merge_sort_block_merge_implIS3_N6thrust23THRUST_200600_302600_NS6detail15normal_iteratorINS9_10device_ptrIiEEEEPS5_jNS1_19radix_merge_compareILb0ELb1EiNS0_19identity_decomposerEEEEE10hipError_tT0_T1_T2_jT3_P12ihipStream_tbPNSt15iterator_traitsISK_E10value_typeEPNSQ_ISL_E10value_typeEPSM_NS1_7vsmem_tEENKUlT_SK_SL_SM_E_clIPiSE_SF_SF_EESJ_SZ_SK_SL_SM_EUlSZ_E1_NS1_11comp_targetILNS1_3genE0ELNS1_11target_archE4294967295ELNS1_3gpuE0ELNS1_3repE0EEENS1_36merge_oddeven_config_static_selectorELNS0_4arch9wavefront6targetE0EEEvSL_
	.p2align	8
	.type	_ZN7rocprim17ROCPRIM_400000_NS6detail17trampoline_kernelINS0_14default_configENS1_38merge_sort_block_merge_config_selectorIiNS0_10empty_typeEEEZZNS1_27merge_sort_block_merge_implIS3_N6thrust23THRUST_200600_302600_NS6detail15normal_iteratorINS9_10device_ptrIiEEEEPS5_jNS1_19radix_merge_compareILb0ELb1EiNS0_19identity_decomposerEEEEE10hipError_tT0_T1_T2_jT3_P12ihipStream_tbPNSt15iterator_traitsISK_E10value_typeEPNSQ_ISL_E10value_typeEPSM_NS1_7vsmem_tEENKUlT_SK_SL_SM_E_clIPiSE_SF_SF_EESJ_SZ_SK_SL_SM_EUlSZ_E1_NS1_11comp_targetILNS1_3genE0ELNS1_11target_archE4294967295ELNS1_3gpuE0ELNS1_3repE0EEENS1_36merge_oddeven_config_static_selectorELNS0_4arch9wavefront6targetE0EEEvSL_,@function
_ZN7rocprim17ROCPRIM_400000_NS6detail17trampoline_kernelINS0_14default_configENS1_38merge_sort_block_merge_config_selectorIiNS0_10empty_typeEEEZZNS1_27merge_sort_block_merge_implIS3_N6thrust23THRUST_200600_302600_NS6detail15normal_iteratorINS9_10device_ptrIiEEEEPS5_jNS1_19radix_merge_compareILb0ELb1EiNS0_19identity_decomposerEEEEE10hipError_tT0_T1_T2_jT3_P12ihipStream_tbPNSt15iterator_traitsISK_E10value_typeEPNSQ_ISL_E10value_typeEPSM_NS1_7vsmem_tEENKUlT_SK_SL_SM_E_clIPiSE_SF_SF_EESJ_SZ_SK_SL_SM_EUlSZ_E1_NS1_11comp_targetILNS1_3genE0ELNS1_11target_archE4294967295ELNS1_3gpuE0ELNS1_3repE0EEENS1_36merge_oddeven_config_static_selectorELNS0_4arch9wavefront6targetE0EEEvSL_: ; @_ZN7rocprim17ROCPRIM_400000_NS6detail17trampoline_kernelINS0_14default_configENS1_38merge_sort_block_merge_config_selectorIiNS0_10empty_typeEEEZZNS1_27merge_sort_block_merge_implIS3_N6thrust23THRUST_200600_302600_NS6detail15normal_iteratorINS9_10device_ptrIiEEEEPS5_jNS1_19radix_merge_compareILb0ELb1EiNS0_19identity_decomposerEEEEE10hipError_tT0_T1_T2_jT3_P12ihipStream_tbPNSt15iterator_traitsISK_E10value_typeEPNSQ_ISL_E10value_typeEPSM_NS1_7vsmem_tEENKUlT_SK_SL_SM_E_clIPiSE_SF_SF_EESJ_SZ_SK_SL_SM_EUlSZ_E1_NS1_11comp_targetILNS1_3genE0ELNS1_11target_archE4294967295ELNS1_3gpuE0ELNS1_3repE0EEENS1_36merge_oddeven_config_static_selectorELNS0_4arch9wavefront6targetE0EEEvSL_
; %bb.0:
	.section	.rodata,"a",@progbits
	.p2align	6, 0x0
	.amdhsa_kernel _ZN7rocprim17ROCPRIM_400000_NS6detail17trampoline_kernelINS0_14default_configENS1_38merge_sort_block_merge_config_selectorIiNS0_10empty_typeEEEZZNS1_27merge_sort_block_merge_implIS3_N6thrust23THRUST_200600_302600_NS6detail15normal_iteratorINS9_10device_ptrIiEEEEPS5_jNS1_19radix_merge_compareILb0ELb1EiNS0_19identity_decomposerEEEEE10hipError_tT0_T1_T2_jT3_P12ihipStream_tbPNSt15iterator_traitsISK_E10value_typeEPNSQ_ISL_E10value_typeEPSM_NS1_7vsmem_tEENKUlT_SK_SL_SM_E_clIPiSE_SF_SF_EESJ_SZ_SK_SL_SM_EUlSZ_E1_NS1_11comp_targetILNS1_3genE0ELNS1_11target_archE4294967295ELNS1_3gpuE0ELNS1_3repE0EEENS1_36merge_oddeven_config_static_selectorELNS0_4arch9wavefront6targetE0EEEvSL_
		.amdhsa_group_segment_fixed_size 0
		.amdhsa_private_segment_fixed_size 0
		.amdhsa_kernarg_size 48
		.amdhsa_user_sgpr_count 6
		.amdhsa_user_sgpr_private_segment_buffer 1
		.amdhsa_user_sgpr_dispatch_ptr 0
		.amdhsa_user_sgpr_queue_ptr 0
		.amdhsa_user_sgpr_kernarg_segment_ptr 1
		.amdhsa_user_sgpr_dispatch_id 0
		.amdhsa_user_sgpr_flat_scratch_init 0
		.amdhsa_user_sgpr_private_segment_size 0
		.amdhsa_wavefront_size32 1
		.amdhsa_uses_dynamic_stack 0
		.amdhsa_system_sgpr_private_segment_wavefront_offset 0
		.amdhsa_system_sgpr_workgroup_id_x 1
		.amdhsa_system_sgpr_workgroup_id_y 0
		.amdhsa_system_sgpr_workgroup_id_z 0
		.amdhsa_system_sgpr_workgroup_info 0
		.amdhsa_system_vgpr_workitem_id 0
		.amdhsa_next_free_vgpr 1
		.amdhsa_next_free_sgpr 1
		.amdhsa_reserve_vcc 0
		.amdhsa_reserve_flat_scratch 0
		.amdhsa_float_round_mode_32 0
		.amdhsa_float_round_mode_16_64 0
		.amdhsa_float_denorm_mode_32 3
		.amdhsa_float_denorm_mode_16_64 3
		.amdhsa_dx10_clamp 1
		.amdhsa_ieee_mode 1
		.amdhsa_fp16_overflow 0
		.amdhsa_workgroup_processor_mode 1
		.amdhsa_memory_ordered 1
		.amdhsa_forward_progress 1
		.amdhsa_shared_vgpr_count 0
		.amdhsa_exception_fp_ieee_invalid_op 0
		.amdhsa_exception_fp_denorm_src 0
		.amdhsa_exception_fp_ieee_div_zero 0
		.amdhsa_exception_fp_ieee_overflow 0
		.amdhsa_exception_fp_ieee_underflow 0
		.amdhsa_exception_fp_ieee_inexact 0
		.amdhsa_exception_int_div_zero 0
	.end_amdhsa_kernel
	.section	.text._ZN7rocprim17ROCPRIM_400000_NS6detail17trampoline_kernelINS0_14default_configENS1_38merge_sort_block_merge_config_selectorIiNS0_10empty_typeEEEZZNS1_27merge_sort_block_merge_implIS3_N6thrust23THRUST_200600_302600_NS6detail15normal_iteratorINS9_10device_ptrIiEEEEPS5_jNS1_19radix_merge_compareILb0ELb1EiNS0_19identity_decomposerEEEEE10hipError_tT0_T1_T2_jT3_P12ihipStream_tbPNSt15iterator_traitsISK_E10value_typeEPNSQ_ISL_E10value_typeEPSM_NS1_7vsmem_tEENKUlT_SK_SL_SM_E_clIPiSE_SF_SF_EESJ_SZ_SK_SL_SM_EUlSZ_E1_NS1_11comp_targetILNS1_3genE0ELNS1_11target_archE4294967295ELNS1_3gpuE0ELNS1_3repE0EEENS1_36merge_oddeven_config_static_selectorELNS0_4arch9wavefront6targetE0EEEvSL_,"axG",@progbits,_ZN7rocprim17ROCPRIM_400000_NS6detail17trampoline_kernelINS0_14default_configENS1_38merge_sort_block_merge_config_selectorIiNS0_10empty_typeEEEZZNS1_27merge_sort_block_merge_implIS3_N6thrust23THRUST_200600_302600_NS6detail15normal_iteratorINS9_10device_ptrIiEEEEPS5_jNS1_19radix_merge_compareILb0ELb1EiNS0_19identity_decomposerEEEEE10hipError_tT0_T1_T2_jT3_P12ihipStream_tbPNSt15iterator_traitsISK_E10value_typeEPNSQ_ISL_E10value_typeEPSM_NS1_7vsmem_tEENKUlT_SK_SL_SM_E_clIPiSE_SF_SF_EESJ_SZ_SK_SL_SM_EUlSZ_E1_NS1_11comp_targetILNS1_3genE0ELNS1_11target_archE4294967295ELNS1_3gpuE0ELNS1_3repE0EEENS1_36merge_oddeven_config_static_selectorELNS0_4arch9wavefront6targetE0EEEvSL_,comdat
.Lfunc_end100:
	.size	_ZN7rocprim17ROCPRIM_400000_NS6detail17trampoline_kernelINS0_14default_configENS1_38merge_sort_block_merge_config_selectorIiNS0_10empty_typeEEEZZNS1_27merge_sort_block_merge_implIS3_N6thrust23THRUST_200600_302600_NS6detail15normal_iteratorINS9_10device_ptrIiEEEEPS5_jNS1_19radix_merge_compareILb0ELb1EiNS0_19identity_decomposerEEEEE10hipError_tT0_T1_T2_jT3_P12ihipStream_tbPNSt15iterator_traitsISK_E10value_typeEPNSQ_ISL_E10value_typeEPSM_NS1_7vsmem_tEENKUlT_SK_SL_SM_E_clIPiSE_SF_SF_EESJ_SZ_SK_SL_SM_EUlSZ_E1_NS1_11comp_targetILNS1_3genE0ELNS1_11target_archE4294967295ELNS1_3gpuE0ELNS1_3repE0EEENS1_36merge_oddeven_config_static_selectorELNS0_4arch9wavefront6targetE0EEEvSL_, .Lfunc_end100-_ZN7rocprim17ROCPRIM_400000_NS6detail17trampoline_kernelINS0_14default_configENS1_38merge_sort_block_merge_config_selectorIiNS0_10empty_typeEEEZZNS1_27merge_sort_block_merge_implIS3_N6thrust23THRUST_200600_302600_NS6detail15normal_iteratorINS9_10device_ptrIiEEEEPS5_jNS1_19radix_merge_compareILb0ELb1EiNS0_19identity_decomposerEEEEE10hipError_tT0_T1_T2_jT3_P12ihipStream_tbPNSt15iterator_traitsISK_E10value_typeEPNSQ_ISL_E10value_typeEPSM_NS1_7vsmem_tEENKUlT_SK_SL_SM_E_clIPiSE_SF_SF_EESJ_SZ_SK_SL_SM_EUlSZ_E1_NS1_11comp_targetILNS1_3genE0ELNS1_11target_archE4294967295ELNS1_3gpuE0ELNS1_3repE0EEENS1_36merge_oddeven_config_static_selectorELNS0_4arch9wavefront6targetE0EEEvSL_
                                        ; -- End function
	.set _ZN7rocprim17ROCPRIM_400000_NS6detail17trampoline_kernelINS0_14default_configENS1_38merge_sort_block_merge_config_selectorIiNS0_10empty_typeEEEZZNS1_27merge_sort_block_merge_implIS3_N6thrust23THRUST_200600_302600_NS6detail15normal_iteratorINS9_10device_ptrIiEEEEPS5_jNS1_19radix_merge_compareILb0ELb1EiNS0_19identity_decomposerEEEEE10hipError_tT0_T1_T2_jT3_P12ihipStream_tbPNSt15iterator_traitsISK_E10value_typeEPNSQ_ISL_E10value_typeEPSM_NS1_7vsmem_tEENKUlT_SK_SL_SM_E_clIPiSE_SF_SF_EESJ_SZ_SK_SL_SM_EUlSZ_E1_NS1_11comp_targetILNS1_3genE0ELNS1_11target_archE4294967295ELNS1_3gpuE0ELNS1_3repE0EEENS1_36merge_oddeven_config_static_selectorELNS0_4arch9wavefront6targetE0EEEvSL_.num_vgpr, 0
	.set _ZN7rocprim17ROCPRIM_400000_NS6detail17trampoline_kernelINS0_14default_configENS1_38merge_sort_block_merge_config_selectorIiNS0_10empty_typeEEEZZNS1_27merge_sort_block_merge_implIS3_N6thrust23THRUST_200600_302600_NS6detail15normal_iteratorINS9_10device_ptrIiEEEEPS5_jNS1_19radix_merge_compareILb0ELb1EiNS0_19identity_decomposerEEEEE10hipError_tT0_T1_T2_jT3_P12ihipStream_tbPNSt15iterator_traitsISK_E10value_typeEPNSQ_ISL_E10value_typeEPSM_NS1_7vsmem_tEENKUlT_SK_SL_SM_E_clIPiSE_SF_SF_EESJ_SZ_SK_SL_SM_EUlSZ_E1_NS1_11comp_targetILNS1_3genE0ELNS1_11target_archE4294967295ELNS1_3gpuE0ELNS1_3repE0EEENS1_36merge_oddeven_config_static_selectorELNS0_4arch9wavefront6targetE0EEEvSL_.num_agpr, 0
	.set _ZN7rocprim17ROCPRIM_400000_NS6detail17trampoline_kernelINS0_14default_configENS1_38merge_sort_block_merge_config_selectorIiNS0_10empty_typeEEEZZNS1_27merge_sort_block_merge_implIS3_N6thrust23THRUST_200600_302600_NS6detail15normal_iteratorINS9_10device_ptrIiEEEEPS5_jNS1_19radix_merge_compareILb0ELb1EiNS0_19identity_decomposerEEEEE10hipError_tT0_T1_T2_jT3_P12ihipStream_tbPNSt15iterator_traitsISK_E10value_typeEPNSQ_ISL_E10value_typeEPSM_NS1_7vsmem_tEENKUlT_SK_SL_SM_E_clIPiSE_SF_SF_EESJ_SZ_SK_SL_SM_EUlSZ_E1_NS1_11comp_targetILNS1_3genE0ELNS1_11target_archE4294967295ELNS1_3gpuE0ELNS1_3repE0EEENS1_36merge_oddeven_config_static_selectorELNS0_4arch9wavefront6targetE0EEEvSL_.numbered_sgpr, 0
	.set _ZN7rocprim17ROCPRIM_400000_NS6detail17trampoline_kernelINS0_14default_configENS1_38merge_sort_block_merge_config_selectorIiNS0_10empty_typeEEEZZNS1_27merge_sort_block_merge_implIS3_N6thrust23THRUST_200600_302600_NS6detail15normal_iteratorINS9_10device_ptrIiEEEEPS5_jNS1_19radix_merge_compareILb0ELb1EiNS0_19identity_decomposerEEEEE10hipError_tT0_T1_T2_jT3_P12ihipStream_tbPNSt15iterator_traitsISK_E10value_typeEPNSQ_ISL_E10value_typeEPSM_NS1_7vsmem_tEENKUlT_SK_SL_SM_E_clIPiSE_SF_SF_EESJ_SZ_SK_SL_SM_EUlSZ_E1_NS1_11comp_targetILNS1_3genE0ELNS1_11target_archE4294967295ELNS1_3gpuE0ELNS1_3repE0EEENS1_36merge_oddeven_config_static_selectorELNS0_4arch9wavefront6targetE0EEEvSL_.num_named_barrier, 0
	.set _ZN7rocprim17ROCPRIM_400000_NS6detail17trampoline_kernelINS0_14default_configENS1_38merge_sort_block_merge_config_selectorIiNS0_10empty_typeEEEZZNS1_27merge_sort_block_merge_implIS3_N6thrust23THRUST_200600_302600_NS6detail15normal_iteratorINS9_10device_ptrIiEEEEPS5_jNS1_19radix_merge_compareILb0ELb1EiNS0_19identity_decomposerEEEEE10hipError_tT0_T1_T2_jT3_P12ihipStream_tbPNSt15iterator_traitsISK_E10value_typeEPNSQ_ISL_E10value_typeEPSM_NS1_7vsmem_tEENKUlT_SK_SL_SM_E_clIPiSE_SF_SF_EESJ_SZ_SK_SL_SM_EUlSZ_E1_NS1_11comp_targetILNS1_3genE0ELNS1_11target_archE4294967295ELNS1_3gpuE0ELNS1_3repE0EEENS1_36merge_oddeven_config_static_selectorELNS0_4arch9wavefront6targetE0EEEvSL_.private_seg_size, 0
	.set _ZN7rocprim17ROCPRIM_400000_NS6detail17trampoline_kernelINS0_14default_configENS1_38merge_sort_block_merge_config_selectorIiNS0_10empty_typeEEEZZNS1_27merge_sort_block_merge_implIS3_N6thrust23THRUST_200600_302600_NS6detail15normal_iteratorINS9_10device_ptrIiEEEEPS5_jNS1_19radix_merge_compareILb0ELb1EiNS0_19identity_decomposerEEEEE10hipError_tT0_T1_T2_jT3_P12ihipStream_tbPNSt15iterator_traitsISK_E10value_typeEPNSQ_ISL_E10value_typeEPSM_NS1_7vsmem_tEENKUlT_SK_SL_SM_E_clIPiSE_SF_SF_EESJ_SZ_SK_SL_SM_EUlSZ_E1_NS1_11comp_targetILNS1_3genE0ELNS1_11target_archE4294967295ELNS1_3gpuE0ELNS1_3repE0EEENS1_36merge_oddeven_config_static_selectorELNS0_4arch9wavefront6targetE0EEEvSL_.uses_vcc, 0
	.set _ZN7rocprim17ROCPRIM_400000_NS6detail17trampoline_kernelINS0_14default_configENS1_38merge_sort_block_merge_config_selectorIiNS0_10empty_typeEEEZZNS1_27merge_sort_block_merge_implIS3_N6thrust23THRUST_200600_302600_NS6detail15normal_iteratorINS9_10device_ptrIiEEEEPS5_jNS1_19radix_merge_compareILb0ELb1EiNS0_19identity_decomposerEEEEE10hipError_tT0_T1_T2_jT3_P12ihipStream_tbPNSt15iterator_traitsISK_E10value_typeEPNSQ_ISL_E10value_typeEPSM_NS1_7vsmem_tEENKUlT_SK_SL_SM_E_clIPiSE_SF_SF_EESJ_SZ_SK_SL_SM_EUlSZ_E1_NS1_11comp_targetILNS1_3genE0ELNS1_11target_archE4294967295ELNS1_3gpuE0ELNS1_3repE0EEENS1_36merge_oddeven_config_static_selectorELNS0_4arch9wavefront6targetE0EEEvSL_.uses_flat_scratch, 0
	.set _ZN7rocprim17ROCPRIM_400000_NS6detail17trampoline_kernelINS0_14default_configENS1_38merge_sort_block_merge_config_selectorIiNS0_10empty_typeEEEZZNS1_27merge_sort_block_merge_implIS3_N6thrust23THRUST_200600_302600_NS6detail15normal_iteratorINS9_10device_ptrIiEEEEPS5_jNS1_19radix_merge_compareILb0ELb1EiNS0_19identity_decomposerEEEEE10hipError_tT0_T1_T2_jT3_P12ihipStream_tbPNSt15iterator_traitsISK_E10value_typeEPNSQ_ISL_E10value_typeEPSM_NS1_7vsmem_tEENKUlT_SK_SL_SM_E_clIPiSE_SF_SF_EESJ_SZ_SK_SL_SM_EUlSZ_E1_NS1_11comp_targetILNS1_3genE0ELNS1_11target_archE4294967295ELNS1_3gpuE0ELNS1_3repE0EEENS1_36merge_oddeven_config_static_selectorELNS0_4arch9wavefront6targetE0EEEvSL_.has_dyn_sized_stack, 0
	.set _ZN7rocprim17ROCPRIM_400000_NS6detail17trampoline_kernelINS0_14default_configENS1_38merge_sort_block_merge_config_selectorIiNS0_10empty_typeEEEZZNS1_27merge_sort_block_merge_implIS3_N6thrust23THRUST_200600_302600_NS6detail15normal_iteratorINS9_10device_ptrIiEEEEPS5_jNS1_19radix_merge_compareILb0ELb1EiNS0_19identity_decomposerEEEEE10hipError_tT0_T1_T2_jT3_P12ihipStream_tbPNSt15iterator_traitsISK_E10value_typeEPNSQ_ISL_E10value_typeEPSM_NS1_7vsmem_tEENKUlT_SK_SL_SM_E_clIPiSE_SF_SF_EESJ_SZ_SK_SL_SM_EUlSZ_E1_NS1_11comp_targetILNS1_3genE0ELNS1_11target_archE4294967295ELNS1_3gpuE0ELNS1_3repE0EEENS1_36merge_oddeven_config_static_selectorELNS0_4arch9wavefront6targetE0EEEvSL_.has_recursion, 0
	.set _ZN7rocprim17ROCPRIM_400000_NS6detail17trampoline_kernelINS0_14default_configENS1_38merge_sort_block_merge_config_selectorIiNS0_10empty_typeEEEZZNS1_27merge_sort_block_merge_implIS3_N6thrust23THRUST_200600_302600_NS6detail15normal_iteratorINS9_10device_ptrIiEEEEPS5_jNS1_19radix_merge_compareILb0ELb1EiNS0_19identity_decomposerEEEEE10hipError_tT0_T1_T2_jT3_P12ihipStream_tbPNSt15iterator_traitsISK_E10value_typeEPNSQ_ISL_E10value_typeEPSM_NS1_7vsmem_tEENKUlT_SK_SL_SM_E_clIPiSE_SF_SF_EESJ_SZ_SK_SL_SM_EUlSZ_E1_NS1_11comp_targetILNS1_3genE0ELNS1_11target_archE4294967295ELNS1_3gpuE0ELNS1_3repE0EEENS1_36merge_oddeven_config_static_selectorELNS0_4arch9wavefront6targetE0EEEvSL_.has_indirect_call, 0
	.section	.AMDGPU.csdata,"",@progbits
; Kernel info:
; codeLenInByte = 0
; TotalNumSgprs: 0
; NumVgprs: 0
; ScratchSize: 0
; MemoryBound: 0
; FloatMode: 240
; IeeeMode: 1
; LDSByteSize: 0 bytes/workgroup (compile time only)
; SGPRBlocks: 0
; VGPRBlocks: 0
; NumSGPRsForWavesPerEU: 1
; NumVGPRsForWavesPerEU: 1
; Occupancy: 16
; WaveLimiterHint : 0
; COMPUTE_PGM_RSRC2:SCRATCH_EN: 0
; COMPUTE_PGM_RSRC2:USER_SGPR: 6
; COMPUTE_PGM_RSRC2:TRAP_HANDLER: 0
; COMPUTE_PGM_RSRC2:TGID_X_EN: 1
; COMPUTE_PGM_RSRC2:TGID_Y_EN: 0
; COMPUTE_PGM_RSRC2:TGID_Z_EN: 0
; COMPUTE_PGM_RSRC2:TIDIG_COMP_CNT: 0
	.section	.text._ZN7rocprim17ROCPRIM_400000_NS6detail17trampoline_kernelINS0_14default_configENS1_38merge_sort_block_merge_config_selectorIiNS0_10empty_typeEEEZZNS1_27merge_sort_block_merge_implIS3_N6thrust23THRUST_200600_302600_NS6detail15normal_iteratorINS9_10device_ptrIiEEEEPS5_jNS1_19radix_merge_compareILb0ELb1EiNS0_19identity_decomposerEEEEE10hipError_tT0_T1_T2_jT3_P12ihipStream_tbPNSt15iterator_traitsISK_E10value_typeEPNSQ_ISL_E10value_typeEPSM_NS1_7vsmem_tEENKUlT_SK_SL_SM_E_clIPiSE_SF_SF_EESJ_SZ_SK_SL_SM_EUlSZ_E1_NS1_11comp_targetILNS1_3genE10ELNS1_11target_archE1201ELNS1_3gpuE5ELNS1_3repE0EEENS1_36merge_oddeven_config_static_selectorELNS0_4arch9wavefront6targetE0EEEvSL_,"axG",@progbits,_ZN7rocprim17ROCPRIM_400000_NS6detail17trampoline_kernelINS0_14default_configENS1_38merge_sort_block_merge_config_selectorIiNS0_10empty_typeEEEZZNS1_27merge_sort_block_merge_implIS3_N6thrust23THRUST_200600_302600_NS6detail15normal_iteratorINS9_10device_ptrIiEEEEPS5_jNS1_19radix_merge_compareILb0ELb1EiNS0_19identity_decomposerEEEEE10hipError_tT0_T1_T2_jT3_P12ihipStream_tbPNSt15iterator_traitsISK_E10value_typeEPNSQ_ISL_E10value_typeEPSM_NS1_7vsmem_tEENKUlT_SK_SL_SM_E_clIPiSE_SF_SF_EESJ_SZ_SK_SL_SM_EUlSZ_E1_NS1_11comp_targetILNS1_3genE10ELNS1_11target_archE1201ELNS1_3gpuE5ELNS1_3repE0EEENS1_36merge_oddeven_config_static_selectorELNS0_4arch9wavefront6targetE0EEEvSL_,comdat
	.protected	_ZN7rocprim17ROCPRIM_400000_NS6detail17trampoline_kernelINS0_14default_configENS1_38merge_sort_block_merge_config_selectorIiNS0_10empty_typeEEEZZNS1_27merge_sort_block_merge_implIS3_N6thrust23THRUST_200600_302600_NS6detail15normal_iteratorINS9_10device_ptrIiEEEEPS5_jNS1_19radix_merge_compareILb0ELb1EiNS0_19identity_decomposerEEEEE10hipError_tT0_T1_T2_jT3_P12ihipStream_tbPNSt15iterator_traitsISK_E10value_typeEPNSQ_ISL_E10value_typeEPSM_NS1_7vsmem_tEENKUlT_SK_SL_SM_E_clIPiSE_SF_SF_EESJ_SZ_SK_SL_SM_EUlSZ_E1_NS1_11comp_targetILNS1_3genE10ELNS1_11target_archE1201ELNS1_3gpuE5ELNS1_3repE0EEENS1_36merge_oddeven_config_static_selectorELNS0_4arch9wavefront6targetE0EEEvSL_ ; -- Begin function _ZN7rocprim17ROCPRIM_400000_NS6detail17trampoline_kernelINS0_14default_configENS1_38merge_sort_block_merge_config_selectorIiNS0_10empty_typeEEEZZNS1_27merge_sort_block_merge_implIS3_N6thrust23THRUST_200600_302600_NS6detail15normal_iteratorINS9_10device_ptrIiEEEEPS5_jNS1_19radix_merge_compareILb0ELb1EiNS0_19identity_decomposerEEEEE10hipError_tT0_T1_T2_jT3_P12ihipStream_tbPNSt15iterator_traitsISK_E10value_typeEPNSQ_ISL_E10value_typeEPSM_NS1_7vsmem_tEENKUlT_SK_SL_SM_E_clIPiSE_SF_SF_EESJ_SZ_SK_SL_SM_EUlSZ_E1_NS1_11comp_targetILNS1_3genE10ELNS1_11target_archE1201ELNS1_3gpuE5ELNS1_3repE0EEENS1_36merge_oddeven_config_static_selectorELNS0_4arch9wavefront6targetE0EEEvSL_
	.globl	_ZN7rocprim17ROCPRIM_400000_NS6detail17trampoline_kernelINS0_14default_configENS1_38merge_sort_block_merge_config_selectorIiNS0_10empty_typeEEEZZNS1_27merge_sort_block_merge_implIS3_N6thrust23THRUST_200600_302600_NS6detail15normal_iteratorINS9_10device_ptrIiEEEEPS5_jNS1_19radix_merge_compareILb0ELb1EiNS0_19identity_decomposerEEEEE10hipError_tT0_T1_T2_jT3_P12ihipStream_tbPNSt15iterator_traitsISK_E10value_typeEPNSQ_ISL_E10value_typeEPSM_NS1_7vsmem_tEENKUlT_SK_SL_SM_E_clIPiSE_SF_SF_EESJ_SZ_SK_SL_SM_EUlSZ_E1_NS1_11comp_targetILNS1_3genE10ELNS1_11target_archE1201ELNS1_3gpuE5ELNS1_3repE0EEENS1_36merge_oddeven_config_static_selectorELNS0_4arch9wavefront6targetE0EEEvSL_
	.p2align	8
	.type	_ZN7rocprim17ROCPRIM_400000_NS6detail17trampoline_kernelINS0_14default_configENS1_38merge_sort_block_merge_config_selectorIiNS0_10empty_typeEEEZZNS1_27merge_sort_block_merge_implIS3_N6thrust23THRUST_200600_302600_NS6detail15normal_iteratorINS9_10device_ptrIiEEEEPS5_jNS1_19radix_merge_compareILb0ELb1EiNS0_19identity_decomposerEEEEE10hipError_tT0_T1_T2_jT3_P12ihipStream_tbPNSt15iterator_traitsISK_E10value_typeEPNSQ_ISL_E10value_typeEPSM_NS1_7vsmem_tEENKUlT_SK_SL_SM_E_clIPiSE_SF_SF_EESJ_SZ_SK_SL_SM_EUlSZ_E1_NS1_11comp_targetILNS1_3genE10ELNS1_11target_archE1201ELNS1_3gpuE5ELNS1_3repE0EEENS1_36merge_oddeven_config_static_selectorELNS0_4arch9wavefront6targetE0EEEvSL_,@function
_ZN7rocprim17ROCPRIM_400000_NS6detail17trampoline_kernelINS0_14default_configENS1_38merge_sort_block_merge_config_selectorIiNS0_10empty_typeEEEZZNS1_27merge_sort_block_merge_implIS3_N6thrust23THRUST_200600_302600_NS6detail15normal_iteratorINS9_10device_ptrIiEEEEPS5_jNS1_19radix_merge_compareILb0ELb1EiNS0_19identity_decomposerEEEEE10hipError_tT0_T1_T2_jT3_P12ihipStream_tbPNSt15iterator_traitsISK_E10value_typeEPNSQ_ISL_E10value_typeEPSM_NS1_7vsmem_tEENKUlT_SK_SL_SM_E_clIPiSE_SF_SF_EESJ_SZ_SK_SL_SM_EUlSZ_E1_NS1_11comp_targetILNS1_3genE10ELNS1_11target_archE1201ELNS1_3gpuE5ELNS1_3repE0EEENS1_36merge_oddeven_config_static_selectorELNS0_4arch9wavefront6targetE0EEEvSL_: ; @_ZN7rocprim17ROCPRIM_400000_NS6detail17trampoline_kernelINS0_14default_configENS1_38merge_sort_block_merge_config_selectorIiNS0_10empty_typeEEEZZNS1_27merge_sort_block_merge_implIS3_N6thrust23THRUST_200600_302600_NS6detail15normal_iteratorINS9_10device_ptrIiEEEEPS5_jNS1_19radix_merge_compareILb0ELb1EiNS0_19identity_decomposerEEEEE10hipError_tT0_T1_T2_jT3_P12ihipStream_tbPNSt15iterator_traitsISK_E10value_typeEPNSQ_ISL_E10value_typeEPSM_NS1_7vsmem_tEENKUlT_SK_SL_SM_E_clIPiSE_SF_SF_EESJ_SZ_SK_SL_SM_EUlSZ_E1_NS1_11comp_targetILNS1_3genE10ELNS1_11target_archE1201ELNS1_3gpuE5ELNS1_3repE0EEENS1_36merge_oddeven_config_static_selectorELNS0_4arch9wavefront6targetE0EEEvSL_
; %bb.0:
	.section	.rodata,"a",@progbits
	.p2align	6, 0x0
	.amdhsa_kernel _ZN7rocprim17ROCPRIM_400000_NS6detail17trampoline_kernelINS0_14default_configENS1_38merge_sort_block_merge_config_selectorIiNS0_10empty_typeEEEZZNS1_27merge_sort_block_merge_implIS3_N6thrust23THRUST_200600_302600_NS6detail15normal_iteratorINS9_10device_ptrIiEEEEPS5_jNS1_19radix_merge_compareILb0ELb1EiNS0_19identity_decomposerEEEEE10hipError_tT0_T1_T2_jT3_P12ihipStream_tbPNSt15iterator_traitsISK_E10value_typeEPNSQ_ISL_E10value_typeEPSM_NS1_7vsmem_tEENKUlT_SK_SL_SM_E_clIPiSE_SF_SF_EESJ_SZ_SK_SL_SM_EUlSZ_E1_NS1_11comp_targetILNS1_3genE10ELNS1_11target_archE1201ELNS1_3gpuE5ELNS1_3repE0EEENS1_36merge_oddeven_config_static_selectorELNS0_4arch9wavefront6targetE0EEEvSL_
		.amdhsa_group_segment_fixed_size 0
		.amdhsa_private_segment_fixed_size 0
		.amdhsa_kernarg_size 48
		.amdhsa_user_sgpr_count 6
		.amdhsa_user_sgpr_private_segment_buffer 1
		.amdhsa_user_sgpr_dispatch_ptr 0
		.amdhsa_user_sgpr_queue_ptr 0
		.amdhsa_user_sgpr_kernarg_segment_ptr 1
		.amdhsa_user_sgpr_dispatch_id 0
		.amdhsa_user_sgpr_flat_scratch_init 0
		.amdhsa_user_sgpr_private_segment_size 0
		.amdhsa_wavefront_size32 1
		.amdhsa_uses_dynamic_stack 0
		.amdhsa_system_sgpr_private_segment_wavefront_offset 0
		.amdhsa_system_sgpr_workgroup_id_x 1
		.amdhsa_system_sgpr_workgroup_id_y 0
		.amdhsa_system_sgpr_workgroup_id_z 0
		.amdhsa_system_sgpr_workgroup_info 0
		.amdhsa_system_vgpr_workitem_id 0
		.amdhsa_next_free_vgpr 1
		.amdhsa_next_free_sgpr 1
		.amdhsa_reserve_vcc 0
		.amdhsa_reserve_flat_scratch 0
		.amdhsa_float_round_mode_32 0
		.amdhsa_float_round_mode_16_64 0
		.amdhsa_float_denorm_mode_32 3
		.amdhsa_float_denorm_mode_16_64 3
		.amdhsa_dx10_clamp 1
		.amdhsa_ieee_mode 1
		.amdhsa_fp16_overflow 0
		.amdhsa_workgroup_processor_mode 1
		.amdhsa_memory_ordered 1
		.amdhsa_forward_progress 1
		.amdhsa_shared_vgpr_count 0
		.amdhsa_exception_fp_ieee_invalid_op 0
		.amdhsa_exception_fp_denorm_src 0
		.amdhsa_exception_fp_ieee_div_zero 0
		.amdhsa_exception_fp_ieee_overflow 0
		.amdhsa_exception_fp_ieee_underflow 0
		.amdhsa_exception_fp_ieee_inexact 0
		.amdhsa_exception_int_div_zero 0
	.end_amdhsa_kernel
	.section	.text._ZN7rocprim17ROCPRIM_400000_NS6detail17trampoline_kernelINS0_14default_configENS1_38merge_sort_block_merge_config_selectorIiNS0_10empty_typeEEEZZNS1_27merge_sort_block_merge_implIS3_N6thrust23THRUST_200600_302600_NS6detail15normal_iteratorINS9_10device_ptrIiEEEEPS5_jNS1_19radix_merge_compareILb0ELb1EiNS0_19identity_decomposerEEEEE10hipError_tT0_T1_T2_jT3_P12ihipStream_tbPNSt15iterator_traitsISK_E10value_typeEPNSQ_ISL_E10value_typeEPSM_NS1_7vsmem_tEENKUlT_SK_SL_SM_E_clIPiSE_SF_SF_EESJ_SZ_SK_SL_SM_EUlSZ_E1_NS1_11comp_targetILNS1_3genE10ELNS1_11target_archE1201ELNS1_3gpuE5ELNS1_3repE0EEENS1_36merge_oddeven_config_static_selectorELNS0_4arch9wavefront6targetE0EEEvSL_,"axG",@progbits,_ZN7rocprim17ROCPRIM_400000_NS6detail17trampoline_kernelINS0_14default_configENS1_38merge_sort_block_merge_config_selectorIiNS0_10empty_typeEEEZZNS1_27merge_sort_block_merge_implIS3_N6thrust23THRUST_200600_302600_NS6detail15normal_iteratorINS9_10device_ptrIiEEEEPS5_jNS1_19radix_merge_compareILb0ELb1EiNS0_19identity_decomposerEEEEE10hipError_tT0_T1_T2_jT3_P12ihipStream_tbPNSt15iterator_traitsISK_E10value_typeEPNSQ_ISL_E10value_typeEPSM_NS1_7vsmem_tEENKUlT_SK_SL_SM_E_clIPiSE_SF_SF_EESJ_SZ_SK_SL_SM_EUlSZ_E1_NS1_11comp_targetILNS1_3genE10ELNS1_11target_archE1201ELNS1_3gpuE5ELNS1_3repE0EEENS1_36merge_oddeven_config_static_selectorELNS0_4arch9wavefront6targetE0EEEvSL_,comdat
.Lfunc_end101:
	.size	_ZN7rocprim17ROCPRIM_400000_NS6detail17trampoline_kernelINS0_14default_configENS1_38merge_sort_block_merge_config_selectorIiNS0_10empty_typeEEEZZNS1_27merge_sort_block_merge_implIS3_N6thrust23THRUST_200600_302600_NS6detail15normal_iteratorINS9_10device_ptrIiEEEEPS5_jNS1_19radix_merge_compareILb0ELb1EiNS0_19identity_decomposerEEEEE10hipError_tT0_T1_T2_jT3_P12ihipStream_tbPNSt15iterator_traitsISK_E10value_typeEPNSQ_ISL_E10value_typeEPSM_NS1_7vsmem_tEENKUlT_SK_SL_SM_E_clIPiSE_SF_SF_EESJ_SZ_SK_SL_SM_EUlSZ_E1_NS1_11comp_targetILNS1_3genE10ELNS1_11target_archE1201ELNS1_3gpuE5ELNS1_3repE0EEENS1_36merge_oddeven_config_static_selectorELNS0_4arch9wavefront6targetE0EEEvSL_, .Lfunc_end101-_ZN7rocprim17ROCPRIM_400000_NS6detail17trampoline_kernelINS0_14default_configENS1_38merge_sort_block_merge_config_selectorIiNS0_10empty_typeEEEZZNS1_27merge_sort_block_merge_implIS3_N6thrust23THRUST_200600_302600_NS6detail15normal_iteratorINS9_10device_ptrIiEEEEPS5_jNS1_19radix_merge_compareILb0ELb1EiNS0_19identity_decomposerEEEEE10hipError_tT0_T1_T2_jT3_P12ihipStream_tbPNSt15iterator_traitsISK_E10value_typeEPNSQ_ISL_E10value_typeEPSM_NS1_7vsmem_tEENKUlT_SK_SL_SM_E_clIPiSE_SF_SF_EESJ_SZ_SK_SL_SM_EUlSZ_E1_NS1_11comp_targetILNS1_3genE10ELNS1_11target_archE1201ELNS1_3gpuE5ELNS1_3repE0EEENS1_36merge_oddeven_config_static_selectorELNS0_4arch9wavefront6targetE0EEEvSL_
                                        ; -- End function
	.set _ZN7rocprim17ROCPRIM_400000_NS6detail17trampoline_kernelINS0_14default_configENS1_38merge_sort_block_merge_config_selectorIiNS0_10empty_typeEEEZZNS1_27merge_sort_block_merge_implIS3_N6thrust23THRUST_200600_302600_NS6detail15normal_iteratorINS9_10device_ptrIiEEEEPS5_jNS1_19radix_merge_compareILb0ELb1EiNS0_19identity_decomposerEEEEE10hipError_tT0_T1_T2_jT3_P12ihipStream_tbPNSt15iterator_traitsISK_E10value_typeEPNSQ_ISL_E10value_typeEPSM_NS1_7vsmem_tEENKUlT_SK_SL_SM_E_clIPiSE_SF_SF_EESJ_SZ_SK_SL_SM_EUlSZ_E1_NS1_11comp_targetILNS1_3genE10ELNS1_11target_archE1201ELNS1_3gpuE5ELNS1_3repE0EEENS1_36merge_oddeven_config_static_selectorELNS0_4arch9wavefront6targetE0EEEvSL_.num_vgpr, 0
	.set _ZN7rocprim17ROCPRIM_400000_NS6detail17trampoline_kernelINS0_14default_configENS1_38merge_sort_block_merge_config_selectorIiNS0_10empty_typeEEEZZNS1_27merge_sort_block_merge_implIS3_N6thrust23THRUST_200600_302600_NS6detail15normal_iteratorINS9_10device_ptrIiEEEEPS5_jNS1_19radix_merge_compareILb0ELb1EiNS0_19identity_decomposerEEEEE10hipError_tT0_T1_T2_jT3_P12ihipStream_tbPNSt15iterator_traitsISK_E10value_typeEPNSQ_ISL_E10value_typeEPSM_NS1_7vsmem_tEENKUlT_SK_SL_SM_E_clIPiSE_SF_SF_EESJ_SZ_SK_SL_SM_EUlSZ_E1_NS1_11comp_targetILNS1_3genE10ELNS1_11target_archE1201ELNS1_3gpuE5ELNS1_3repE0EEENS1_36merge_oddeven_config_static_selectorELNS0_4arch9wavefront6targetE0EEEvSL_.num_agpr, 0
	.set _ZN7rocprim17ROCPRIM_400000_NS6detail17trampoline_kernelINS0_14default_configENS1_38merge_sort_block_merge_config_selectorIiNS0_10empty_typeEEEZZNS1_27merge_sort_block_merge_implIS3_N6thrust23THRUST_200600_302600_NS6detail15normal_iteratorINS9_10device_ptrIiEEEEPS5_jNS1_19radix_merge_compareILb0ELb1EiNS0_19identity_decomposerEEEEE10hipError_tT0_T1_T2_jT3_P12ihipStream_tbPNSt15iterator_traitsISK_E10value_typeEPNSQ_ISL_E10value_typeEPSM_NS1_7vsmem_tEENKUlT_SK_SL_SM_E_clIPiSE_SF_SF_EESJ_SZ_SK_SL_SM_EUlSZ_E1_NS1_11comp_targetILNS1_3genE10ELNS1_11target_archE1201ELNS1_3gpuE5ELNS1_3repE0EEENS1_36merge_oddeven_config_static_selectorELNS0_4arch9wavefront6targetE0EEEvSL_.numbered_sgpr, 0
	.set _ZN7rocprim17ROCPRIM_400000_NS6detail17trampoline_kernelINS0_14default_configENS1_38merge_sort_block_merge_config_selectorIiNS0_10empty_typeEEEZZNS1_27merge_sort_block_merge_implIS3_N6thrust23THRUST_200600_302600_NS6detail15normal_iteratorINS9_10device_ptrIiEEEEPS5_jNS1_19radix_merge_compareILb0ELb1EiNS0_19identity_decomposerEEEEE10hipError_tT0_T1_T2_jT3_P12ihipStream_tbPNSt15iterator_traitsISK_E10value_typeEPNSQ_ISL_E10value_typeEPSM_NS1_7vsmem_tEENKUlT_SK_SL_SM_E_clIPiSE_SF_SF_EESJ_SZ_SK_SL_SM_EUlSZ_E1_NS1_11comp_targetILNS1_3genE10ELNS1_11target_archE1201ELNS1_3gpuE5ELNS1_3repE0EEENS1_36merge_oddeven_config_static_selectorELNS0_4arch9wavefront6targetE0EEEvSL_.num_named_barrier, 0
	.set _ZN7rocprim17ROCPRIM_400000_NS6detail17trampoline_kernelINS0_14default_configENS1_38merge_sort_block_merge_config_selectorIiNS0_10empty_typeEEEZZNS1_27merge_sort_block_merge_implIS3_N6thrust23THRUST_200600_302600_NS6detail15normal_iteratorINS9_10device_ptrIiEEEEPS5_jNS1_19radix_merge_compareILb0ELb1EiNS0_19identity_decomposerEEEEE10hipError_tT0_T1_T2_jT3_P12ihipStream_tbPNSt15iterator_traitsISK_E10value_typeEPNSQ_ISL_E10value_typeEPSM_NS1_7vsmem_tEENKUlT_SK_SL_SM_E_clIPiSE_SF_SF_EESJ_SZ_SK_SL_SM_EUlSZ_E1_NS1_11comp_targetILNS1_3genE10ELNS1_11target_archE1201ELNS1_3gpuE5ELNS1_3repE0EEENS1_36merge_oddeven_config_static_selectorELNS0_4arch9wavefront6targetE0EEEvSL_.private_seg_size, 0
	.set _ZN7rocprim17ROCPRIM_400000_NS6detail17trampoline_kernelINS0_14default_configENS1_38merge_sort_block_merge_config_selectorIiNS0_10empty_typeEEEZZNS1_27merge_sort_block_merge_implIS3_N6thrust23THRUST_200600_302600_NS6detail15normal_iteratorINS9_10device_ptrIiEEEEPS5_jNS1_19radix_merge_compareILb0ELb1EiNS0_19identity_decomposerEEEEE10hipError_tT0_T1_T2_jT3_P12ihipStream_tbPNSt15iterator_traitsISK_E10value_typeEPNSQ_ISL_E10value_typeEPSM_NS1_7vsmem_tEENKUlT_SK_SL_SM_E_clIPiSE_SF_SF_EESJ_SZ_SK_SL_SM_EUlSZ_E1_NS1_11comp_targetILNS1_3genE10ELNS1_11target_archE1201ELNS1_3gpuE5ELNS1_3repE0EEENS1_36merge_oddeven_config_static_selectorELNS0_4arch9wavefront6targetE0EEEvSL_.uses_vcc, 0
	.set _ZN7rocprim17ROCPRIM_400000_NS6detail17trampoline_kernelINS0_14default_configENS1_38merge_sort_block_merge_config_selectorIiNS0_10empty_typeEEEZZNS1_27merge_sort_block_merge_implIS3_N6thrust23THRUST_200600_302600_NS6detail15normal_iteratorINS9_10device_ptrIiEEEEPS5_jNS1_19radix_merge_compareILb0ELb1EiNS0_19identity_decomposerEEEEE10hipError_tT0_T1_T2_jT3_P12ihipStream_tbPNSt15iterator_traitsISK_E10value_typeEPNSQ_ISL_E10value_typeEPSM_NS1_7vsmem_tEENKUlT_SK_SL_SM_E_clIPiSE_SF_SF_EESJ_SZ_SK_SL_SM_EUlSZ_E1_NS1_11comp_targetILNS1_3genE10ELNS1_11target_archE1201ELNS1_3gpuE5ELNS1_3repE0EEENS1_36merge_oddeven_config_static_selectorELNS0_4arch9wavefront6targetE0EEEvSL_.uses_flat_scratch, 0
	.set _ZN7rocprim17ROCPRIM_400000_NS6detail17trampoline_kernelINS0_14default_configENS1_38merge_sort_block_merge_config_selectorIiNS0_10empty_typeEEEZZNS1_27merge_sort_block_merge_implIS3_N6thrust23THRUST_200600_302600_NS6detail15normal_iteratorINS9_10device_ptrIiEEEEPS5_jNS1_19radix_merge_compareILb0ELb1EiNS0_19identity_decomposerEEEEE10hipError_tT0_T1_T2_jT3_P12ihipStream_tbPNSt15iterator_traitsISK_E10value_typeEPNSQ_ISL_E10value_typeEPSM_NS1_7vsmem_tEENKUlT_SK_SL_SM_E_clIPiSE_SF_SF_EESJ_SZ_SK_SL_SM_EUlSZ_E1_NS1_11comp_targetILNS1_3genE10ELNS1_11target_archE1201ELNS1_3gpuE5ELNS1_3repE0EEENS1_36merge_oddeven_config_static_selectorELNS0_4arch9wavefront6targetE0EEEvSL_.has_dyn_sized_stack, 0
	.set _ZN7rocprim17ROCPRIM_400000_NS6detail17trampoline_kernelINS0_14default_configENS1_38merge_sort_block_merge_config_selectorIiNS0_10empty_typeEEEZZNS1_27merge_sort_block_merge_implIS3_N6thrust23THRUST_200600_302600_NS6detail15normal_iteratorINS9_10device_ptrIiEEEEPS5_jNS1_19radix_merge_compareILb0ELb1EiNS0_19identity_decomposerEEEEE10hipError_tT0_T1_T2_jT3_P12ihipStream_tbPNSt15iterator_traitsISK_E10value_typeEPNSQ_ISL_E10value_typeEPSM_NS1_7vsmem_tEENKUlT_SK_SL_SM_E_clIPiSE_SF_SF_EESJ_SZ_SK_SL_SM_EUlSZ_E1_NS1_11comp_targetILNS1_3genE10ELNS1_11target_archE1201ELNS1_3gpuE5ELNS1_3repE0EEENS1_36merge_oddeven_config_static_selectorELNS0_4arch9wavefront6targetE0EEEvSL_.has_recursion, 0
	.set _ZN7rocprim17ROCPRIM_400000_NS6detail17trampoline_kernelINS0_14default_configENS1_38merge_sort_block_merge_config_selectorIiNS0_10empty_typeEEEZZNS1_27merge_sort_block_merge_implIS3_N6thrust23THRUST_200600_302600_NS6detail15normal_iteratorINS9_10device_ptrIiEEEEPS5_jNS1_19radix_merge_compareILb0ELb1EiNS0_19identity_decomposerEEEEE10hipError_tT0_T1_T2_jT3_P12ihipStream_tbPNSt15iterator_traitsISK_E10value_typeEPNSQ_ISL_E10value_typeEPSM_NS1_7vsmem_tEENKUlT_SK_SL_SM_E_clIPiSE_SF_SF_EESJ_SZ_SK_SL_SM_EUlSZ_E1_NS1_11comp_targetILNS1_3genE10ELNS1_11target_archE1201ELNS1_3gpuE5ELNS1_3repE0EEENS1_36merge_oddeven_config_static_selectorELNS0_4arch9wavefront6targetE0EEEvSL_.has_indirect_call, 0
	.section	.AMDGPU.csdata,"",@progbits
; Kernel info:
; codeLenInByte = 0
; TotalNumSgprs: 0
; NumVgprs: 0
; ScratchSize: 0
; MemoryBound: 0
; FloatMode: 240
; IeeeMode: 1
; LDSByteSize: 0 bytes/workgroup (compile time only)
; SGPRBlocks: 0
; VGPRBlocks: 0
; NumSGPRsForWavesPerEU: 1
; NumVGPRsForWavesPerEU: 1
; Occupancy: 16
; WaveLimiterHint : 0
; COMPUTE_PGM_RSRC2:SCRATCH_EN: 0
; COMPUTE_PGM_RSRC2:USER_SGPR: 6
; COMPUTE_PGM_RSRC2:TRAP_HANDLER: 0
; COMPUTE_PGM_RSRC2:TGID_X_EN: 1
; COMPUTE_PGM_RSRC2:TGID_Y_EN: 0
; COMPUTE_PGM_RSRC2:TGID_Z_EN: 0
; COMPUTE_PGM_RSRC2:TIDIG_COMP_CNT: 0
	.section	.text._ZN7rocprim17ROCPRIM_400000_NS6detail17trampoline_kernelINS0_14default_configENS1_38merge_sort_block_merge_config_selectorIiNS0_10empty_typeEEEZZNS1_27merge_sort_block_merge_implIS3_N6thrust23THRUST_200600_302600_NS6detail15normal_iteratorINS9_10device_ptrIiEEEEPS5_jNS1_19radix_merge_compareILb0ELb1EiNS0_19identity_decomposerEEEEE10hipError_tT0_T1_T2_jT3_P12ihipStream_tbPNSt15iterator_traitsISK_E10value_typeEPNSQ_ISL_E10value_typeEPSM_NS1_7vsmem_tEENKUlT_SK_SL_SM_E_clIPiSE_SF_SF_EESJ_SZ_SK_SL_SM_EUlSZ_E1_NS1_11comp_targetILNS1_3genE5ELNS1_11target_archE942ELNS1_3gpuE9ELNS1_3repE0EEENS1_36merge_oddeven_config_static_selectorELNS0_4arch9wavefront6targetE0EEEvSL_,"axG",@progbits,_ZN7rocprim17ROCPRIM_400000_NS6detail17trampoline_kernelINS0_14default_configENS1_38merge_sort_block_merge_config_selectorIiNS0_10empty_typeEEEZZNS1_27merge_sort_block_merge_implIS3_N6thrust23THRUST_200600_302600_NS6detail15normal_iteratorINS9_10device_ptrIiEEEEPS5_jNS1_19radix_merge_compareILb0ELb1EiNS0_19identity_decomposerEEEEE10hipError_tT0_T1_T2_jT3_P12ihipStream_tbPNSt15iterator_traitsISK_E10value_typeEPNSQ_ISL_E10value_typeEPSM_NS1_7vsmem_tEENKUlT_SK_SL_SM_E_clIPiSE_SF_SF_EESJ_SZ_SK_SL_SM_EUlSZ_E1_NS1_11comp_targetILNS1_3genE5ELNS1_11target_archE942ELNS1_3gpuE9ELNS1_3repE0EEENS1_36merge_oddeven_config_static_selectorELNS0_4arch9wavefront6targetE0EEEvSL_,comdat
	.protected	_ZN7rocprim17ROCPRIM_400000_NS6detail17trampoline_kernelINS0_14default_configENS1_38merge_sort_block_merge_config_selectorIiNS0_10empty_typeEEEZZNS1_27merge_sort_block_merge_implIS3_N6thrust23THRUST_200600_302600_NS6detail15normal_iteratorINS9_10device_ptrIiEEEEPS5_jNS1_19radix_merge_compareILb0ELb1EiNS0_19identity_decomposerEEEEE10hipError_tT0_T1_T2_jT3_P12ihipStream_tbPNSt15iterator_traitsISK_E10value_typeEPNSQ_ISL_E10value_typeEPSM_NS1_7vsmem_tEENKUlT_SK_SL_SM_E_clIPiSE_SF_SF_EESJ_SZ_SK_SL_SM_EUlSZ_E1_NS1_11comp_targetILNS1_3genE5ELNS1_11target_archE942ELNS1_3gpuE9ELNS1_3repE0EEENS1_36merge_oddeven_config_static_selectorELNS0_4arch9wavefront6targetE0EEEvSL_ ; -- Begin function _ZN7rocprim17ROCPRIM_400000_NS6detail17trampoline_kernelINS0_14default_configENS1_38merge_sort_block_merge_config_selectorIiNS0_10empty_typeEEEZZNS1_27merge_sort_block_merge_implIS3_N6thrust23THRUST_200600_302600_NS6detail15normal_iteratorINS9_10device_ptrIiEEEEPS5_jNS1_19radix_merge_compareILb0ELb1EiNS0_19identity_decomposerEEEEE10hipError_tT0_T1_T2_jT3_P12ihipStream_tbPNSt15iterator_traitsISK_E10value_typeEPNSQ_ISL_E10value_typeEPSM_NS1_7vsmem_tEENKUlT_SK_SL_SM_E_clIPiSE_SF_SF_EESJ_SZ_SK_SL_SM_EUlSZ_E1_NS1_11comp_targetILNS1_3genE5ELNS1_11target_archE942ELNS1_3gpuE9ELNS1_3repE0EEENS1_36merge_oddeven_config_static_selectorELNS0_4arch9wavefront6targetE0EEEvSL_
	.globl	_ZN7rocprim17ROCPRIM_400000_NS6detail17trampoline_kernelINS0_14default_configENS1_38merge_sort_block_merge_config_selectorIiNS0_10empty_typeEEEZZNS1_27merge_sort_block_merge_implIS3_N6thrust23THRUST_200600_302600_NS6detail15normal_iteratorINS9_10device_ptrIiEEEEPS5_jNS1_19radix_merge_compareILb0ELb1EiNS0_19identity_decomposerEEEEE10hipError_tT0_T1_T2_jT3_P12ihipStream_tbPNSt15iterator_traitsISK_E10value_typeEPNSQ_ISL_E10value_typeEPSM_NS1_7vsmem_tEENKUlT_SK_SL_SM_E_clIPiSE_SF_SF_EESJ_SZ_SK_SL_SM_EUlSZ_E1_NS1_11comp_targetILNS1_3genE5ELNS1_11target_archE942ELNS1_3gpuE9ELNS1_3repE0EEENS1_36merge_oddeven_config_static_selectorELNS0_4arch9wavefront6targetE0EEEvSL_
	.p2align	8
	.type	_ZN7rocprim17ROCPRIM_400000_NS6detail17trampoline_kernelINS0_14default_configENS1_38merge_sort_block_merge_config_selectorIiNS0_10empty_typeEEEZZNS1_27merge_sort_block_merge_implIS3_N6thrust23THRUST_200600_302600_NS6detail15normal_iteratorINS9_10device_ptrIiEEEEPS5_jNS1_19radix_merge_compareILb0ELb1EiNS0_19identity_decomposerEEEEE10hipError_tT0_T1_T2_jT3_P12ihipStream_tbPNSt15iterator_traitsISK_E10value_typeEPNSQ_ISL_E10value_typeEPSM_NS1_7vsmem_tEENKUlT_SK_SL_SM_E_clIPiSE_SF_SF_EESJ_SZ_SK_SL_SM_EUlSZ_E1_NS1_11comp_targetILNS1_3genE5ELNS1_11target_archE942ELNS1_3gpuE9ELNS1_3repE0EEENS1_36merge_oddeven_config_static_selectorELNS0_4arch9wavefront6targetE0EEEvSL_,@function
_ZN7rocprim17ROCPRIM_400000_NS6detail17trampoline_kernelINS0_14default_configENS1_38merge_sort_block_merge_config_selectorIiNS0_10empty_typeEEEZZNS1_27merge_sort_block_merge_implIS3_N6thrust23THRUST_200600_302600_NS6detail15normal_iteratorINS9_10device_ptrIiEEEEPS5_jNS1_19radix_merge_compareILb0ELb1EiNS0_19identity_decomposerEEEEE10hipError_tT0_T1_T2_jT3_P12ihipStream_tbPNSt15iterator_traitsISK_E10value_typeEPNSQ_ISL_E10value_typeEPSM_NS1_7vsmem_tEENKUlT_SK_SL_SM_E_clIPiSE_SF_SF_EESJ_SZ_SK_SL_SM_EUlSZ_E1_NS1_11comp_targetILNS1_3genE5ELNS1_11target_archE942ELNS1_3gpuE9ELNS1_3repE0EEENS1_36merge_oddeven_config_static_selectorELNS0_4arch9wavefront6targetE0EEEvSL_: ; @_ZN7rocprim17ROCPRIM_400000_NS6detail17trampoline_kernelINS0_14default_configENS1_38merge_sort_block_merge_config_selectorIiNS0_10empty_typeEEEZZNS1_27merge_sort_block_merge_implIS3_N6thrust23THRUST_200600_302600_NS6detail15normal_iteratorINS9_10device_ptrIiEEEEPS5_jNS1_19radix_merge_compareILb0ELb1EiNS0_19identity_decomposerEEEEE10hipError_tT0_T1_T2_jT3_P12ihipStream_tbPNSt15iterator_traitsISK_E10value_typeEPNSQ_ISL_E10value_typeEPSM_NS1_7vsmem_tEENKUlT_SK_SL_SM_E_clIPiSE_SF_SF_EESJ_SZ_SK_SL_SM_EUlSZ_E1_NS1_11comp_targetILNS1_3genE5ELNS1_11target_archE942ELNS1_3gpuE9ELNS1_3repE0EEENS1_36merge_oddeven_config_static_selectorELNS0_4arch9wavefront6targetE0EEEvSL_
; %bb.0:
	.section	.rodata,"a",@progbits
	.p2align	6, 0x0
	.amdhsa_kernel _ZN7rocprim17ROCPRIM_400000_NS6detail17trampoline_kernelINS0_14default_configENS1_38merge_sort_block_merge_config_selectorIiNS0_10empty_typeEEEZZNS1_27merge_sort_block_merge_implIS3_N6thrust23THRUST_200600_302600_NS6detail15normal_iteratorINS9_10device_ptrIiEEEEPS5_jNS1_19radix_merge_compareILb0ELb1EiNS0_19identity_decomposerEEEEE10hipError_tT0_T1_T2_jT3_P12ihipStream_tbPNSt15iterator_traitsISK_E10value_typeEPNSQ_ISL_E10value_typeEPSM_NS1_7vsmem_tEENKUlT_SK_SL_SM_E_clIPiSE_SF_SF_EESJ_SZ_SK_SL_SM_EUlSZ_E1_NS1_11comp_targetILNS1_3genE5ELNS1_11target_archE942ELNS1_3gpuE9ELNS1_3repE0EEENS1_36merge_oddeven_config_static_selectorELNS0_4arch9wavefront6targetE0EEEvSL_
		.amdhsa_group_segment_fixed_size 0
		.amdhsa_private_segment_fixed_size 0
		.amdhsa_kernarg_size 48
		.amdhsa_user_sgpr_count 6
		.amdhsa_user_sgpr_private_segment_buffer 1
		.amdhsa_user_sgpr_dispatch_ptr 0
		.amdhsa_user_sgpr_queue_ptr 0
		.amdhsa_user_sgpr_kernarg_segment_ptr 1
		.amdhsa_user_sgpr_dispatch_id 0
		.amdhsa_user_sgpr_flat_scratch_init 0
		.amdhsa_user_sgpr_private_segment_size 0
		.amdhsa_wavefront_size32 1
		.amdhsa_uses_dynamic_stack 0
		.amdhsa_system_sgpr_private_segment_wavefront_offset 0
		.amdhsa_system_sgpr_workgroup_id_x 1
		.amdhsa_system_sgpr_workgroup_id_y 0
		.amdhsa_system_sgpr_workgroup_id_z 0
		.amdhsa_system_sgpr_workgroup_info 0
		.amdhsa_system_vgpr_workitem_id 0
		.amdhsa_next_free_vgpr 1
		.amdhsa_next_free_sgpr 1
		.amdhsa_reserve_vcc 0
		.amdhsa_reserve_flat_scratch 0
		.amdhsa_float_round_mode_32 0
		.amdhsa_float_round_mode_16_64 0
		.amdhsa_float_denorm_mode_32 3
		.amdhsa_float_denorm_mode_16_64 3
		.amdhsa_dx10_clamp 1
		.amdhsa_ieee_mode 1
		.amdhsa_fp16_overflow 0
		.amdhsa_workgroup_processor_mode 1
		.amdhsa_memory_ordered 1
		.amdhsa_forward_progress 1
		.amdhsa_shared_vgpr_count 0
		.amdhsa_exception_fp_ieee_invalid_op 0
		.amdhsa_exception_fp_denorm_src 0
		.amdhsa_exception_fp_ieee_div_zero 0
		.amdhsa_exception_fp_ieee_overflow 0
		.amdhsa_exception_fp_ieee_underflow 0
		.amdhsa_exception_fp_ieee_inexact 0
		.amdhsa_exception_int_div_zero 0
	.end_amdhsa_kernel
	.section	.text._ZN7rocprim17ROCPRIM_400000_NS6detail17trampoline_kernelINS0_14default_configENS1_38merge_sort_block_merge_config_selectorIiNS0_10empty_typeEEEZZNS1_27merge_sort_block_merge_implIS3_N6thrust23THRUST_200600_302600_NS6detail15normal_iteratorINS9_10device_ptrIiEEEEPS5_jNS1_19radix_merge_compareILb0ELb1EiNS0_19identity_decomposerEEEEE10hipError_tT0_T1_T2_jT3_P12ihipStream_tbPNSt15iterator_traitsISK_E10value_typeEPNSQ_ISL_E10value_typeEPSM_NS1_7vsmem_tEENKUlT_SK_SL_SM_E_clIPiSE_SF_SF_EESJ_SZ_SK_SL_SM_EUlSZ_E1_NS1_11comp_targetILNS1_3genE5ELNS1_11target_archE942ELNS1_3gpuE9ELNS1_3repE0EEENS1_36merge_oddeven_config_static_selectorELNS0_4arch9wavefront6targetE0EEEvSL_,"axG",@progbits,_ZN7rocprim17ROCPRIM_400000_NS6detail17trampoline_kernelINS0_14default_configENS1_38merge_sort_block_merge_config_selectorIiNS0_10empty_typeEEEZZNS1_27merge_sort_block_merge_implIS3_N6thrust23THRUST_200600_302600_NS6detail15normal_iteratorINS9_10device_ptrIiEEEEPS5_jNS1_19radix_merge_compareILb0ELb1EiNS0_19identity_decomposerEEEEE10hipError_tT0_T1_T2_jT3_P12ihipStream_tbPNSt15iterator_traitsISK_E10value_typeEPNSQ_ISL_E10value_typeEPSM_NS1_7vsmem_tEENKUlT_SK_SL_SM_E_clIPiSE_SF_SF_EESJ_SZ_SK_SL_SM_EUlSZ_E1_NS1_11comp_targetILNS1_3genE5ELNS1_11target_archE942ELNS1_3gpuE9ELNS1_3repE0EEENS1_36merge_oddeven_config_static_selectorELNS0_4arch9wavefront6targetE0EEEvSL_,comdat
.Lfunc_end102:
	.size	_ZN7rocprim17ROCPRIM_400000_NS6detail17trampoline_kernelINS0_14default_configENS1_38merge_sort_block_merge_config_selectorIiNS0_10empty_typeEEEZZNS1_27merge_sort_block_merge_implIS3_N6thrust23THRUST_200600_302600_NS6detail15normal_iteratorINS9_10device_ptrIiEEEEPS5_jNS1_19radix_merge_compareILb0ELb1EiNS0_19identity_decomposerEEEEE10hipError_tT0_T1_T2_jT3_P12ihipStream_tbPNSt15iterator_traitsISK_E10value_typeEPNSQ_ISL_E10value_typeEPSM_NS1_7vsmem_tEENKUlT_SK_SL_SM_E_clIPiSE_SF_SF_EESJ_SZ_SK_SL_SM_EUlSZ_E1_NS1_11comp_targetILNS1_3genE5ELNS1_11target_archE942ELNS1_3gpuE9ELNS1_3repE0EEENS1_36merge_oddeven_config_static_selectorELNS0_4arch9wavefront6targetE0EEEvSL_, .Lfunc_end102-_ZN7rocprim17ROCPRIM_400000_NS6detail17trampoline_kernelINS0_14default_configENS1_38merge_sort_block_merge_config_selectorIiNS0_10empty_typeEEEZZNS1_27merge_sort_block_merge_implIS3_N6thrust23THRUST_200600_302600_NS6detail15normal_iteratorINS9_10device_ptrIiEEEEPS5_jNS1_19radix_merge_compareILb0ELb1EiNS0_19identity_decomposerEEEEE10hipError_tT0_T1_T2_jT3_P12ihipStream_tbPNSt15iterator_traitsISK_E10value_typeEPNSQ_ISL_E10value_typeEPSM_NS1_7vsmem_tEENKUlT_SK_SL_SM_E_clIPiSE_SF_SF_EESJ_SZ_SK_SL_SM_EUlSZ_E1_NS1_11comp_targetILNS1_3genE5ELNS1_11target_archE942ELNS1_3gpuE9ELNS1_3repE0EEENS1_36merge_oddeven_config_static_selectorELNS0_4arch9wavefront6targetE0EEEvSL_
                                        ; -- End function
	.set _ZN7rocprim17ROCPRIM_400000_NS6detail17trampoline_kernelINS0_14default_configENS1_38merge_sort_block_merge_config_selectorIiNS0_10empty_typeEEEZZNS1_27merge_sort_block_merge_implIS3_N6thrust23THRUST_200600_302600_NS6detail15normal_iteratorINS9_10device_ptrIiEEEEPS5_jNS1_19radix_merge_compareILb0ELb1EiNS0_19identity_decomposerEEEEE10hipError_tT0_T1_T2_jT3_P12ihipStream_tbPNSt15iterator_traitsISK_E10value_typeEPNSQ_ISL_E10value_typeEPSM_NS1_7vsmem_tEENKUlT_SK_SL_SM_E_clIPiSE_SF_SF_EESJ_SZ_SK_SL_SM_EUlSZ_E1_NS1_11comp_targetILNS1_3genE5ELNS1_11target_archE942ELNS1_3gpuE9ELNS1_3repE0EEENS1_36merge_oddeven_config_static_selectorELNS0_4arch9wavefront6targetE0EEEvSL_.num_vgpr, 0
	.set _ZN7rocprim17ROCPRIM_400000_NS6detail17trampoline_kernelINS0_14default_configENS1_38merge_sort_block_merge_config_selectorIiNS0_10empty_typeEEEZZNS1_27merge_sort_block_merge_implIS3_N6thrust23THRUST_200600_302600_NS6detail15normal_iteratorINS9_10device_ptrIiEEEEPS5_jNS1_19radix_merge_compareILb0ELb1EiNS0_19identity_decomposerEEEEE10hipError_tT0_T1_T2_jT3_P12ihipStream_tbPNSt15iterator_traitsISK_E10value_typeEPNSQ_ISL_E10value_typeEPSM_NS1_7vsmem_tEENKUlT_SK_SL_SM_E_clIPiSE_SF_SF_EESJ_SZ_SK_SL_SM_EUlSZ_E1_NS1_11comp_targetILNS1_3genE5ELNS1_11target_archE942ELNS1_3gpuE9ELNS1_3repE0EEENS1_36merge_oddeven_config_static_selectorELNS0_4arch9wavefront6targetE0EEEvSL_.num_agpr, 0
	.set _ZN7rocprim17ROCPRIM_400000_NS6detail17trampoline_kernelINS0_14default_configENS1_38merge_sort_block_merge_config_selectorIiNS0_10empty_typeEEEZZNS1_27merge_sort_block_merge_implIS3_N6thrust23THRUST_200600_302600_NS6detail15normal_iteratorINS9_10device_ptrIiEEEEPS5_jNS1_19radix_merge_compareILb0ELb1EiNS0_19identity_decomposerEEEEE10hipError_tT0_T1_T2_jT3_P12ihipStream_tbPNSt15iterator_traitsISK_E10value_typeEPNSQ_ISL_E10value_typeEPSM_NS1_7vsmem_tEENKUlT_SK_SL_SM_E_clIPiSE_SF_SF_EESJ_SZ_SK_SL_SM_EUlSZ_E1_NS1_11comp_targetILNS1_3genE5ELNS1_11target_archE942ELNS1_3gpuE9ELNS1_3repE0EEENS1_36merge_oddeven_config_static_selectorELNS0_4arch9wavefront6targetE0EEEvSL_.numbered_sgpr, 0
	.set _ZN7rocprim17ROCPRIM_400000_NS6detail17trampoline_kernelINS0_14default_configENS1_38merge_sort_block_merge_config_selectorIiNS0_10empty_typeEEEZZNS1_27merge_sort_block_merge_implIS3_N6thrust23THRUST_200600_302600_NS6detail15normal_iteratorINS9_10device_ptrIiEEEEPS5_jNS1_19radix_merge_compareILb0ELb1EiNS0_19identity_decomposerEEEEE10hipError_tT0_T1_T2_jT3_P12ihipStream_tbPNSt15iterator_traitsISK_E10value_typeEPNSQ_ISL_E10value_typeEPSM_NS1_7vsmem_tEENKUlT_SK_SL_SM_E_clIPiSE_SF_SF_EESJ_SZ_SK_SL_SM_EUlSZ_E1_NS1_11comp_targetILNS1_3genE5ELNS1_11target_archE942ELNS1_3gpuE9ELNS1_3repE0EEENS1_36merge_oddeven_config_static_selectorELNS0_4arch9wavefront6targetE0EEEvSL_.num_named_barrier, 0
	.set _ZN7rocprim17ROCPRIM_400000_NS6detail17trampoline_kernelINS0_14default_configENS1_38merge_sort_block_merge_config_selectorIiNS0_10empty_typeEEEZZNS1_27merge_sort_block_merge_implIS3_N6thrust23THRUST_200600_302600_NS6detail15normal_iteratorINS9_10device_ptrIiEEEEPS5_jNS1_19radix_merge_compareILb0ELb1EiNS0_19identity_decomposerEEEEE10hipError_tT0_T1_T2_jT3_P12ihipStream_tbPNSt15iterator_traitsISK_E10value_typeEPNSQ_ISL_E10value_typeEPSM_NS1_7vsmem_tEENKUlT_SK_SL_SM_E_clIPiSE_SF_SF_EESJ_SZ_SK_SL_SM_EUlSZ_E1_NS1_11comp_targetILNS1_3genE5ELNS1_11target_archE942ELNS1_3gpuE9ELNS1_3repE0EEENS1_36merge_oddeven_config_static_selectorELNS0_4arch9wavefront6targetE0EEEvSL_.private_seg_size, 0
	.set _ZN7rocprim17ROCPRIM_400000_NS6detail17trampoline_kernelINS0_14default_configENS1_38merge_sort_block_merge_config_selectorIiNS0_10empty_typeEEEZZNS1_27merge_sort_block_merge_implIS3_N6thrust23THRUST_200600_302600_NS6detail15normal_iteratorINS9_10device_ptrIiEEEEPS5_jNS1_19radix_merge_compareILb0ELb1EiNS0_19identity_decomposerEEEEE10hipError_tT0_T1_T2_jT3_P12ihipStream_tbPNSt15iterator_traitsISK_E10value_typeEPNSQ_ISL_E10value_typeEPSM_NS1_7vsmem_tEENKUlT_SK_SL_SM_E_clIPiSE_SF_SF_EESJ_SZ_SK_SL_SM_EUlSZ_E1_NS1_11comp_targetILNS1_3genE5ELNS1_11target_archE942ELNS1_3gpuE9ELNS1_3repE0EEENS1_36merge_oddeven_config_static_selectorELNS0_4arch9wavefront6targetE0EEEvSL_.uses_vcc, 0
	.set _ZN7rocprim17ROCPRIM_400000_NS6detail17trampoline_kernelINS0_14default_configENS1_38merge_sort_block_merge_config_selectorIiNS0_10empty_typeEEEZZNS1_27merge_sort_block_merge_implIS3_N6thrust23THRUST_200600_302600_NS6detail15normal_iteratorINS9_10device_ptrIiEEEEPS5_jNS1_19radix_merge_compareILb0ELb1EiNS0_19identity_decomposerEEEEE10hipError_tT0_T1_T2_jT3_P12ihipStream_tbPNSt15iterator_traitsISK_E10value_typeEPNSQ_ISL_E10value_typeEPSM_NS1_7vsmem_tEENKUlT_SK_SL_SM_E_clIPiSE_SF_SF_EESJ_SZ_SK_SL_SM_EUlSZ_E1_NS1_11comp_targetILNS1_3genE5ELNS1_11target_archE942ELNS1_3gpuE9ELNS1_3repE0EEENS1_36merge_oddeven_config_static_selectorELNS0_4arch9wavefront6targetE0EEEvSL_.uses_flat_scratch, 0
	.set _ZN7rocprim17ROCPRIM_400000_NS6detail17trampoline_kernelINS0_14default_configENS1_38merge_sort_block_merge_config_selectorIiNS0_10empty_typeEEEZZNS1_27merge_sort_block_merge_implIS3_N6thrust23THRUST_200600_302600_NS6detail15normal_iteratorINS9_10device_ptrIiEEEEPS5_jNS1_19radix_merge_compareILb0ELb1EiNS0_19identity_decomposerEEEEE10hipError_tT0_T1_T2_jT3_P12ihipStream_tbPNSt15iterator_traitsISK_E10value_typeEPNSQ_ISL_E10value_typeEPSM_NS1_7vsmem_tEENKUlT_SK_SL_SM_E_clIPiSE_SF_SF_EESJ_SZ_SK_SL_SM_EUlSZ_E1_NS1_11comp_targetILNS1_3genE5ELNS1_11target_archE942ELNS1_3gpuE9ELNS1_3repE0EEENS1_36merge_oddeven_config_static_selectorELNS0_4arch9wavefront6targetE0EEEvSL_.has_dyn_sized_stack, 0
	.set _ZN7rocprim17ROCPRIM_400000_NS6detail17trampoline_kernelINS0_14default_configENS1_38merge_sort_block_merge_config_selectorIiNS0_10empty_typeEEEZZNS1_27merge_sort_block_merge_implIS3_N6thrust23THRUST_200600_302600_NS6detail15normal_iteratorINS9_10device_ptrIiEEEEPS5_jNS1_19radix_merge_compareILb0ELb1EiNS0_19identity_decomposerEEEEE10hipError_tT0_T1_T2_jT3_P12ihipStream_tbPNSt15iterator_traitsISK_E10value_typeEPNSQ_ISL_E10value_typeEPSM_NS1_7vsmem_tEENKUlT_SK_SL_SM_E_clIPiSE_SF_SF_EESJ_SZ_SK_SL_SM_EUlSZ_E1_NS1_11comp_targetILNS1_3genE5ELNS1_11target_archE942ELNS1_3gpuE9ELNS1_3repE0EEENS1_36merge_oddeven_config_static_selectorELNS0_4arch9wavefront6targetE0EEEvSL_.has_recursion, 0
	.set _ZN7rocprim17ROCPRIM_400000_NS6detail17trampoline_kernelINS0_14default_configENS1_38merge_sort_block_merge_config_selectorIiNS0_10empty_typeEEEZZNS1_27merge_sort_block_merge_implIS3_N6thrust23THRUST_200600_302600_NS6detail15normal_iteratorINS9_10device_ptrIiEEEEPS5_jNS1_19radix_merge_compareILb0ELb1EiNS0_19identity_decomposerEEEEE10hipError_tT0_T1_T2_jT3_P12ihipStream_tbPNSt15iterator_traitsISK_E10value_typeEPNSQ_ISL_E10value_typeEPSM_NS1_7vsmem_tEENKUlT_SK_SL_SM_E_clIPiSE_SF_SF_EESJ_SZ_SK_SL_SM_EUlSZ_E1_NS1_11comp_targetILNS1_3genE5ELNS1_11target_archE942ELNS1_3gpuE9ELNS1_3repE0EEENS1_36merge_oddeven_config_static_selectorELNS0_4arch9wavefront6targetE0EEEvSL_.has_indirect_call, 0
	.section	.AMDGPU.csdata,"",@progbits
; Kernel info:
; codeLenInByte = 0
; TotalNumSgprs: 0
; NumVgprs: 0
; ScratchSize: 0
; MemoryBound: 0
; FloatMode: 240
; IeeeMode: 1
; LDSByteSize: 0 bytes/workgroup (compile time only)
; SGPRBlocks: 0
; VGPRBlocks: 0
; NumSGPRsForWavesPerEU: 1
; NumVGPRsForWavesPerEU: 1
; Occupancy: 16
; WaveLimiterHint : 0
; COMPUTE_PGM_RSRC2:SCRATCH_EN: 0
; COMPUTE_PGM_RSRC2:USER_SGPR: 6
; COMPUTE_PGM_RSRC2:TRAP_HANDLER: 0
; COMPUTE_PGM_RSRC2:TGID_X_EN: 1
; COMPUTE_PGM_RSRC2:TGID_Y_EN: 0
; COMPUTE_PGM_RSRC2:TGID_Z_EN: 0
; COMPUTE_PGM_RSRC2:TIDIG_COMP_CNT: 0
	.section	.text._ZN7rocprim17ROCPRIM_400000_NS6detail17trampoline_kernelINS0_14default_configENS1_38merge_sort_block_merge_config_selectorIiNS0_10empty_typeEEEZZNS1_27merge_sort_block_merge_implIS3_N6thrust23THRUST_200600_302600_NS6detail15normal_iteratorINS9_10device_ptrIiEEEEPS5_jNS1_19radix_merge_compareILb0ELb1EiNS0_19identity_decomposerEEEEE10hipError_tT0_T1_T2_jT3_P12ihipStream_tbPNSt15iterator_traitsISK_E10value_typeEPNSQ_ISL_E10value_typeEPSM_NS1_7vsmem_tEENKUlT_SK_SL_SM_E_clIPiSE_SF_SF_EESJ_SZ_SK_SL_SM_EUlSZ_E1_NS1_11comp_targetILNS1_3genE4ELNS1_11target_archE910ELNS1_3gpuE8ELNS1_3repE0EEENS1_36merge_oddeven_config_static_selectorELNS0_4arch9wavefront6targetE0EEEvSL_,"axG",@progbits,_ZN7rocprim17ROCPRIM_400000_NS6detail17trampoline_kernelINS0_14default_configENS1_38merge_sort_block_merge_config_selectorIiNS0_10empty_typeEEEZZNS1_27merge_sort_block_merge_implIS3_N6thrust23THRUST_200600_302600_NS6detail15normal_iteratorINS9_10device_ptrIiEEEEPS5_jNS1_19radix_merge_compareILb0ELb1EiNS0_19identity_decomposerEEEEE10hipError_tT0_T1_T2_jT3_P12ihipStream_tbPNSt15iterator_traitsISK_E10value_typeEPNSQ_ISL_E10value_typeEPSM_NS1_7vsmem_tEENKUlT_SK_SL_SM_E_clIPiSE_SF_SF_EESJ_SZ_SK_SL_SM_EUlSZ_E1_NS1_11comp_targetILNS1_3genE4ELNS1_11target_archE910ELNS1_3gpuE8ELNS1_3repE0EEENS1_36merge_oddeven_config_static_selectorELNS0_4arch9wavefront6targetE0EEEvSL_,comdat
	.protected	_ZN7rocprim17ROCPRIM_400000_NS6detail17trampoline_kernelINS0_14default_configENS1_38merge_sort_block_merge_config_selectorIiNS0_10empty_typeEEEZZNS1_27merge_sort_block_merge_implIS3_N6thrust23THRUST_200600_302600_NS6detail15normal_iteratorINS9_10device_ptrIiEEEEPS5_jNS1_19radix_merge_compareILb0ELb1EiNS0_19identity_decomposerEEEEE10hipError_tT0_T1_T2_jT3_P12ihipStream_tbPNSt15iterator_traitsISK_E10value_typeEPNSQ_ISL_E10value_typeEPSM_NS1_7vsmem_tEENKUlT_SK_SL_SM_E_clIPiSE_SF_SF_EESJ_SZ_SK_SL_SM_EUlSZ_E1_NS1_11comp_targetILNS1_3genE4ELNS1_11target_archE910ELNS1_3gpuE8ELNS1_3repE0EEENS1_36merge_oddeven_config_static_selectorELNS0_4arch9wavefront6targetE0EEEvSL_ ; -- Begin function _ZN7rocprim17ROCPRIM_400000_NS6detail17trampoline_kernelINS0_14default_configENS1_38merge_sort_block_merge_config_selectorIiNS0_10empty_typeEEEZZNS1_27merge_sort_block_merge_implIS3_N6thrust23THRUST_200600_302600_NS6detail15normal_iteratorINS9_10device_ptrIiEEEEPS5_jNS1_19radix_merge_compareILb0ELb1EiNS0_19identity_decomposerEEEEE10hipError_tT0_T1_T2_jT3_P12ihipStream_tbPNSt15iterator_traitsISK_E10value_typeEPNSQ_ISL_E10value_typeEPSM_NS1_7vsmem_tEENKUlT_SK_SL_SM_E_clIPiSE_SF_SF_EESJ_SZ_SK_SL_SM_EUlSZ_E1_NS1_11comp_targetILNS1_3genE4ELNS1_11target_archE910ELNS1_3gpuE8ELNS1_3repE0EEENS1_36merge_oddeven_config_static_selectorELNS0_4arch9wavefront6targetE0EEEvSL_
	.globl	_ZN7rocprim17ROCPRIM_400000_NS6detail17trampoline_kernelINS0_14default_configENS1_38merge_sort_block_merge_config_selectorIiNS0_10empty_typeEEEZZNS1_27merge_sort_block_merge_implIS3_N6thrust23THRUST_200600_302600_NS6detail15normal_iteratorINS9_10device_ptrIiEEEEPS5_jNS1_19radix_merge_compareILb0ELb1EiNS0_19identity_decomposerEEEEE10hipError_tT0_T1_T2_jT3_P12ihipStream_tbPNSt15iterator_traitsISK_E10value_typeEPNSQ_ISL_E10value_typeEPSM_NS1_7vsmem_tEENKUlT_SK_SL_SM_E_clIPiSE_SF_SF_EESJ_SZ_SK_SL_SM_EUlSZ_E1_NS1_11comp_targetILNS1_3genE4ELNS1_11target_archE910ELNS1_3gpuE8ELNS1_3repE0EEENS1_36merge_oddeven_config_static_selectorELNS0_4arch9wavefront6targetE0EEEvSL_
	.p2align	8
	.type	_ZN7rocprim17ROCPRIM_400000_NS6detail17trampoline_kernelINS0_14default_configENS1_38merge_sort_block_merge_config_selectorIiNS0_10empty_typeEEEZZNS1_27merge_sort_block_merge_implIS3_N6thrust23THRUST_200600_302600_NS6detail15normal_iteratorINS9_10device_ptrIiEEEEPS5_jNS1_19radix_merge_compareILb0ELb1EiNS0_19identity_decomposerEEEEE10hipError_tT0_T1_T2_jT3_P12ihipStream_tbPNSt15iterator_traitsISK_E10value_typeEPNSQ_ISL_E10value_typeEPSM_NS1_7vsmem_tEENKUlT_SK_SL_SM_E_clIPiSE_SF_SF_EESJ_SZ_SK_SL_SM_EUlSZ_E1_NS1_11comp_targetILNS1_3genE4ELNS1_11target_archE910ELNS1_3gpuE8ELNS1_3repE0EEENS1_36merge_oddeven_config_static_selectorELNS0_4arch9wavefront6targetE0EEEvSL_,@function
_ZN7rocprim17ROCPRIM_400000_NS6detail17trampoline_kernelINS0_14default_configENS1_38merge_sort_block_merge_config_selectorIiNS0_10empty_typeEEEZZNS1_27merge_sort_block_merge_implIS3_N6thrust23THRUST_200600_302600_NS6detail15normal_iteratorINS9_10device_ptrIiEEEEPS5_jNS1_19radix_merge_compareILb0ELb1EiNS0_19identity_decomposerEEEEE10hipError_tT0_T1_T2_jT3_P12ihipStream_tbPNSt15iterator_traitsISK_E10value_typeEPNSQ_ISL_E10value_typeEPSM_NS1_7vsmem_tEENKUlT_SK_SL_SM_E_clIPiSE_SF_SF_EESJ_SZ_SK_SL_SM_EUlSZ_E1_NS1_11comp_targetILNS1_3genE4ELNS1_11target_archE910ELNS1_3gpuE8ELNS1_3repE0EEENS1_36merge_oddeven_config_static_selectorELNS0_4arch9wavefront6targetE0EEEvSL_: ; @_ZN7rocprim17ROCPRIM_400000_NS6detail17trampoline_kernelINS0_14default_configENS1_38merge_sort_block_merge_config_selectorIiNS0_10empty_typeEEEZZNS1_27merge_sort_block_merge_implIS3_N6thrust23THRUST_200600_302600_NS6detail15normal_iteratorINS9_10device_ptrIiEEEEPS5_jNS1_19radix_merge_compareILb0ELb1EiNS0_19identity_decomposerEEEEE10hipError_tT0_T1_T2_jT3_P12ihipStream_tbPNSt15iterator_traitsISK_E10value_typeEPNSQ_ISL_E10value_typeEPSM_NS1_7vsmem_tEENKUlT_SK_SL_SM_E_clIPiSE_SF_SF_EESJ_SZ_SK_SL_SM_EUlSZ_E1_NS1_11comp_targetILNS1_3genE4ELNS1_11target_archE910ELNS1_3gpuE8ELNS1_3repE0EEENS1_36merge_oddeven_config_static_selectorELNS0_4arch9wavefront6targetE0EEEvSL_
; %bb.0:
	.section	.rodata,"a",@progbits
	.p2align	6, 0x0
	.amdhsa_kernel _ZN7rocprim17ROCPRIM_400000_NS6detail17trampoline_kernelINS0_14default_configENS1_38merge_sort_block_merge_config_selectorIiNS0_10empty_typeEEEZZNS1_27merge_sort_block_merge_implIS3_N6thrust23THRUST_200600_302600_NS6detail15normal_iteratorINS9_10device_ptrIiEEEEPS5_jNS1_19radix_merge_compareILb0ELb1EiNS0_19identity_decomposerEEEEE10hipError_tT0_T1_T2_jT3_P12ihipStream_tbPNSt15iterator_traitsISK_E10value_typeEPNSQ_ISL_E10value_typeEPSM_NS1_7vsmem_tEENKUlT_SK_SL_SM_E_clIPiSE_SF_SF_EESJ_SZ_SK_SL_SM_EUlSZ_E1_NS1_11comp_targetILNS1_3genE4ELNS1_11target_archE910ELNS1_3gpuE8ELNS1_3repE0EEENS1_36merge_oddeven_config_static_selectorELNS0_4arch9wavefront6targetE0EEEvSL_
		.amdhsa_group_segment_fixed_size 0
		.amdhsa_private_segment_fixed_size 0
		.amdhsa_kernarg_size 48
		.amdhsa_user_sgpr_count 6
		.amdhsa_user_sgpr_private_segment_buffer 1
		.amdhsa_user_sgpr_dispatch_ptr 0
		.amdhsa_user_sgpr_queue_ptr 0
		.amdhsa_user_sgpr_kernarg_segment_ptr 1
		.amdhsa_user_sgpr_dispatch_id 0
		.amdhsa_user_sgpr_flat_scratch_init 0
		.amdhsa_user_sgpr_private_segment_size 0
		.amdhsa_wavefront_size32 1
		.amdhsa_uses_dynamic_stack 0
		.amdhsa_system_sgpr_private_segment_wavefront_offset 0
		.amdhsa_system_sgpr_workgroup_id_x 1
		.amdhsa_system_sgpr_workgroup_id_y 0
		.amdhsa_system_sgpr_workgroup_id_z 0
		.amdhsa_system_sgpr_workgroup_info 0
		.amdhsa_system_vgpr_workitem_id 0
		.amdhsa_next_free_vgpr 1
		.amdhsa_next_free_sgpr 1
		.amdhsa_reserve_vcc 0
		.amdhsa_reserve_flat_scratch 0
		.amdhsa_float_round_mode_32 0
		.amdhsa_float_round_mode_16_64 0
		.amdhsa_float_denorm_mode_32 3
		.amdhsa_float_denorm_mode_16_64 3
		.amdhsa_dx10_clamp 1
		.amdhsa_ieee_mode 1
		.amdhsa_fp16_overflow 0
		.amdhsa_workgroup_processor_mode 1
		.amdhsa_memory_ordered 1
		.amdhsa_forward_progress 1
		.amdhsa_shared_vgpr_count 0
		.amdhsa_exception_fp_ieee_invalid_op 0
		.amdhsa_exception_fp_denorm_src 0
		.amdhsa_exception_fp_ieee_div_zero 0
		.amdhsa_exception_fp_ieee_overflow 0
		.amdhsa_exception_fp_ieee_underflow 0
		.amdhsa_exception_fp_ieee_inexact 0
		.amdhsa_exception_int_div_zero 0
	.end_amdhsa_kernel
	.section	.text._ZN7rocprim17ROCPRIM_400000_NS6detail17trampoline_kernelINS0_14default_configENS1_38merge_sort_block_merge_config_selectorIiNS0_10empty_typeEEEZZNS1_27merge_sort_block_merge_implIS3_N6thrust23THRUST_200600_302600_NS6detail15normal_iteratorINS9_10device_ptrIiEEEEPS5_jNS1_19radix_merge_compareILb0ELb1EiNS0_19identity_decomposerEEEEE10hipError_tT0_T1_T2_jT3_P12ihipStream_tbPNSt15iterator_traitsISK_E10value_typeEPNSQ_ISL_E10value_typeEPSM_NS1_7vsmem_tEENKUlT_SK_SL_SM_E_clIPiSE_SF_SF_EESJ_SZ_SK_SL_SM_EUlSZ_E1_NS1_11comp_targetILNS1_3genE4ELNS1_11target_archE910ELNS1_3gpuE8ELNS1_3repE0EEENS1_36merge_oddeven_config_static_selectorELNS0_4arch9wavefront6targetE0EEEvSL_,"axG",@progbits,_ZN7rocprim17ROCPRIM_400000_NS6detail17trampoline_kernelINS0_14default_configENS1_38merge_sort_block_merge_config_selectorIiNS0_10empty_typeEEEZZNS1_27merge_sort_block_merge_implIS3_N6thrust23THRUST_200600_302600_NS6detail15normal_iteratorINS9_10device_ptrIiEEEEPS5_jNS1_19radix_merge_compareILb0ELb1EiNS0_19identity_decomposerEEEEE10hipError_tT0_T1_T2_jT3_P12ihipStream_tbPNSt15iterator_traitsISK_E10value_typeEPNSQ_ISL_E10value_typeEPSM_NS1_7vsmem_tEENKUlT_SK_SL_SM_E_clIPiSE_SF_SF_EESJ_SZ_SK_SL_SM_EUlSZ_E1_NS1_11comp_targetILNS1_3genE4ELNS1_11target_archE910ELNS1_3gpuE8ELNS1_3repE0EEENS1_36merge_oddeven_config_static_selectorELNS0_4arch9wavefront6targetE0EEEvSL_,comdat
.Lfunc_end103:
	.size	_ZN7rocprim17ROCPRIM_400000_NS6detail17trampoline_kernelINS0_14default_configENS1_38merge_sort_block_merge_config_selectorIiNS0_10empty_typeEEEZZNS1_27merge_sort_block_merge_implIS3_N6thrust23THRUST_200600_302600_NS6detail15normal_iteratorINS9_10device_ptrIiEEEEPS5_jNS1_19radix_merge_compareILb0ELb1EiNS0_19identity_decomposerEEEEE10hipError_tT0_T1_T2_jT3_P12ihipStream_tbPNSt15iterator_traitsISK_E10value_typeEPNSQ_ISL_E10value_typeEPSM_NS1_7vsmem_tEENKUlT_SK_SL_SM_E_clIPiSE_SF_SF_EESJ_SZ_SK_SL_SM_EUlSZ_E1_NS1_11comp_targetILNS1_3genE4ELNS1_11target_archE910ELNS1_3gpuE8ELNS1_3repE0EEENS1_36merge_oddeven_config_static_selectorELNS0_4arch9wavefront6targetE0EEEvSL_, .Lfunc_end103-_ZN7rocprim17ROCPRIM_400000_NS6detail17trampoline_kernelINS0_14default_configENS1_38merge_sort_block_merge_config_selectorIiNS0_10empty_typeEEEZZNS1_27merge_sort_block_merge_implIS3_N6thrust23THRUST_200600_302600_NS6detail15normal_iteratorINS9_10device_ptrIiEEEEPS5_jNS1_19radix_merge_compareILb0ELb1EiNS0_19identity_decomposerEEEEE10hipError_tT0_T1_T2_jT3_P12ihipStream_tbPNSt15iterator_traitsISK_E10value_typeEPNSQ_ISL_E10value_typeEPSM_NS1_7vsmem_tEENKUlT_SK_SL_SM_E_clIPiSE_SF_SF_EESJ_SZ_SK_SL_SM_EUlSZ_E1_NS1_11comp_targetILNS1_3genE4ELNS1_11target_archE910ELNS1_3gpuE8ELNS1_3repE0EEENS1_36merge_oddeven_config_static_selectorELNS0_4arch9wavefront6targetE0EEEvSL_
                                        ; -- End function
	.set _ZN7rocprim17ROCPRIM_400000_NS6detail17trampoline_kernelINS0_14default_configENS1_38merge_sort_block_merge_config_selectorIiNS0_10empty_typeEEEZZNS1_27merge_sort_block_merge_implIS3_N6thrust23THRUST_200600_302600_NS6detail15normal_iteratorINS9_10device_ptrIiEEEEPS5_jNS1_19radix_merge_compareILb0ELb1EiNS0_19identity_decomposerEEEEE10hipError_tT0_T1_T2_jT3_P12ihipStream_tbPNSt15iterator_traitsISK_E10value_typeEPNSQ_ISL_E10value_typeEPSM_NS1_7vsmem_tEENKUlT_SK_SL_SM_E_clIPiSE_SF_SF_EESJ_SZ_SK_SL_SM_EUlSZ_E1_NS1_11comp_targetILNS1_3genE4ELNS1_11target_archE910ELNS1_3gpuE8ELNS1_3repE0EEENS1_36merge_oddeven_config_static_selectorELNS0_4arch9wavefront6targetE0EEEvSL_.num_vgpr, 0
	.set _ZN7rocprim17ROCPRIM_400000_NS6detail17trampoline_kernelINS0_14default_configENS1_38merge_sort_block_merge_config_selectorIiNS0_10empty_typeEEEZZNS1_27merge_sort_block_merge_implIS3_N6thrust23THRUST_200600_302600_NS6detail15normal_iteratorINS9_10device_ptrIiEEEEPS5_jNS1_19radix_merge_compareILb0ELb1EiNS0_19identity_decomposerEEEEE10hipError_tT0_T1_T2_jT3_P12ihipStream_tbPNSt15iterator_traitsISK_E10value_typeEPNSQ_ISL_E10value_typeEPSM_NS1_7vsmem_tEENKUlT_SK_SL_SM_E_clIPiSE_SF_SF_EESJ_SZ_SK_SL_SM_EUlSZ_E1_NS1_11comp_targetILNS1_3genE4ELNS1_11target_archE910ELNS1_3gpuE8ELNS1_3repE0EEENS1_36merge_oddeven_config_static_selectorELNS0_4arch9wavefront6targetE0EEEvSL_.num_agpr, 0
	.set _ZN7rocprim17ROCPRIM_400000_NS6detail17trampoline_kernelINS0_14default_configENS1_38merge_sort_block_merge_config_selectorIiNS0_10empty_typeEEEZZNS1_27merge_sort_block_merge_implIS3_N6thrust23THRUST_200600_302600_NS6detail15normal_iteratorINS9_10device_ptrIiEEEEPS5_jNS1_19radix_merge_compareILb0ELb1EiNS0_19identity_decomposerEEEEE10hipError_tT0_T1_T2_jT3_P12ihipStream_tbPNSt15iterator_traitsISK_E10value_typeEPNSQ_ISL_E10value_typeEPSM_NS1_7vsmem_tEENKUlT_SK_SL_SM_E_clIPiSE_SF_SF_EESJ_SZ_SK_SL_SM_EUlSZ_E1_NS1_11comp_targetILNS1_3genE4ELNS1_11target_archE910ELNS1_3gpuE8ELNS1_3repE0EEENS1_36merge_oddeven_config_static_selectorELNS0_4arch9wavefront6targetE0EEEvSL_.numbered_sgpr, 0
	.set _ZN7rocprim17ROCPRIM_400000_NS6detail17trampoline_kernelINS0_14default_configENS1_38merge_sort_block_merge_config_selectorIiNS0_10empty_typeEEEZZNS1_27merge_sort_block_merge_implIS3_N6thrust23THRUST_200600_302600_NS6detail15normal_iteratorINS9_10device_ptrIiEEEEPS5_jNS1_19radix_merge_compareILb0ELb1EiNS0_19identity_decomposerEEEEE10hipError_tT0_T1_T2_jT3_P12ihipStream_tbPNSt15iterator_traitsISK_E10value_typeEPNSQ_ISL_E10value_typeEPSM_NS1_7vsmem_tEENKUlT_SK_SL_SM_E_clIPiSE_SF_SF_EESJ_SZ_SK_SL_SM_EUlSZ_E1_NS1_11comp_targetILNS1_3genE4ELNS1_11target_archE910ELNS1_3gpuE8ELNS1_3repE0EEENS1_36merge_oddeven_config_static_selectorELNS0_4arch9wavefront6targetE0EEEvSL_.num_named_barrier, 0
	.set _ZN7rocprim17ROCPRIM_400000_NS6detail17trampoline_kernelINS0_14default_configENS1_38merge_sort_block_merge_config_selectorIiNS0_10empty_typeEEEZZNS1_27merge_sort_block_merge_implIS3_N6thrust23THRUST_200600_302600_NS6detail15normal_iteratorINS9_10device_ptrIiEEEEPS5_jNS1_19radix_merge_compareILb0ELb1EiNS0_19identity_decomposerEEEEE10hipError_tT0_T1_T2_jT3_P12ihipStream_tbPNSt15iterator_traitsISK_E10value_typeEPNSQ_ISL_E10value_typeEPSM_NS1_7vsmem_tEENKUlT_SK_SL_SM_E_clIPiSE_SF_SF_EESJ_SZ_SK_SL_SM_EUlSZ_E1_NS1_11comp_targetILNS1_3genE4ELNS1_11target_archE910ELNS1_3gpuE8ELNS1_3repE0EEENS1_36merge_oddeven_config_static_selectorELNS0_4arch9wavefront6targetE0EEEvSL_.private_seg_size, 0
	.set _ZN7rocprim17ROCPRIM_400000_NS6detail17trampoline_kernelINS0_14default_configENS1_38merge_sort_block_merge_config_selectorIiNS0_10empty_typeEEEZZNS1_27merge_sort_block_merge_implIS3_N6thrust23THRUST_200600_302600_NS6detail15normal_iteratorINS9_10device_ptrIiEEEEPS5_jNS1_19radix_merge_compareILb0ELb1EiNS0_19identity_decomposerEEEEE10hipError_tT0_T1_T2_jT3_P12ihipStream_tbPNSt15iterator_traitsISK_E10value_typeEPNSQ_ISL_E10value_typeEPSM_NS1_7vsmem_tEENKUlT_SK_SL_SM_E_clIPiSE_SF_SF_EESJ_SZ_SK_SL_SM_EUlSZ_E1_NS1_11comp_targetILNS1_3genE4ELNS1_11target_archE910ELNS1_3gpuE8ELNS1_3repE0EEENS1_36merge_oddeven_config_static_selectorELNS0_4arch9wavefront6targetE0EEEvSL_.uses_vcc, 0
	.set _ZN7rocprim17ROCPRIM_400000_NS6detail17trampoline_kernelINS0_14default_configENS1_38merge_sort_block_merge_config_selectorIiNS0_10empty_typeEEEZZNS1_27merge_sort_block_merge_implIS3_N6thrust23THRUST_200600_302600_NS6detail15normal_iteratorINS9_10device_ptrIiEEEEPS5_jNS1_19radix_merge_compareILb0ELb1EiNS0_19identity_decomposerEEEEE10hipError_tT0_T1_T2_jT3_P12ihipStream_tbPNSt15iterator_traitsISK_E10value_typeEPNSQ_ISL_E10value_typeEPSM_NS1_7vsmem_tEENKUlT_SK_SL_SM_E_clIPiSE_SF_SF_EESJ_SZ_SK_SL_SM_EUlSZ_E1_NS1_11comp_targetILNS1_3genE4ELNS1_11target_archE910ELNS1_3gpuE8ELNS1_3repE0EEENS1_36merge_oddeven_config_static_selectorELNS0_4arch9wavefront6targetE0EEEvSL_.uses_flat_scratch, 0
	.set _ZN7rocprim17ROCPRIM_400000_NS6detail17trampoline_kernelINS0_14default_configENS1_38merge_sort_block_merge_config_selectorIiNS0_10empty_typeEEEZZNS1_27merge_sort_block_merge_implIS3_N6thrust23THRUST_200600_302600_NS6detail15normal_iteratorINS9_10device_ptrIiEEEEPS5_jNS1_19radix_merge_compareILb0ELb1EiNS0_19identity_decomposerEEEEE10hipError_tT0_T1_T2_jT3_P12ihipStream_tbPNSt15iterator_traitsISK_E10value_typeEPNSQ_ISL_E10value_typeEPSM_NS1_7vsmem_tEENKUlT_SK_SL_SM_E_clIPiSE_SF_SF_EESJ_SZ_SK_SL_SM_EUlSZ_E1_NS1_11comp_targetILNS1_3genE4ELNS1_11target_archE910ELNS1_3gpuE8ELNS1_3repE0EEENS1_36merge_oddeven_config_static_selectorELNS0_4arch9wavefront6targetE0EEEvSL_.has_dyn_sized_stack, 0
	.set _ZN7rocprim17ROCPRIM_400000_NS6detail17trampoline_kernelINS0_14default_configENS1_38merge_sort_block_merge_config_selectorIiNS0_10empty_typeEEEZZNS1_27merge_sort_block_merge_implIS3_N6thrust23THRUST_200600_302600_NS6detail15normal_iteratorINS9_10device_ptrIiEEEEPS5_jNS1_19radix_merge_compareILb0ELb1EiNS0_19identity_decomposerEEEEE10hipError_tT0_T1_T2_jT3_P12ihipStream_tbPNSt15iterator_traitsISK_E10value_typeEPNSQ_ISL_E10value_typeEPSM_NS1_7vsmem_tEENKUlT_SK_SL_SM_E_clIPiSE_SF_SF_EESJ_SZ_SK_SL_SM_EUlSZ_E1_NS1_11comp_targetILNS1_3genE4ELNS1_11target_archE910ELNS1_3gpuE8ELNS1_3repE0EEENS1_36merge_oddeven_config_static_selectorELNS0_4arch9wavefront6targetE0EEEvSL_.has_recursion, 0
	.set _ZN7rocprim17ROCPRIM_400000_NS6detail17trampoline_kernelINS0_14default_configENS1_38merge_sort_block_merge_config_selectorIiNS0_10empty_typeEEEZZNS1_27merge_sort_block_merge_implIS3_N6thrust23THRUST_200600_302600_NS6detail15normal_iteratorINS9_10device_ptrIiEEEEPS5_jNS1_19radix_merge_compareILb0ELb1EiNS0_19identity_decomposerEEEEE10hipError_tT0_T1_T2_jT3_P12ihipStream_tbPNSt15iterator_traitsISK_E10value_typeEPNSQ_ISL_E10value_typeEPSM_NS1_7vsmem_tEENKUlT_SK_SL_SM_E_clIPiSE_SF_SF_EESJ_SZ_SK_SL_SM_EUlSZ_E1_NS1_11comp_targetILNS1_3genE4ELNS1_11target_archE910ELNS1_3gpuE8ELNS1_3repE0EEENS1_36merge_oddeven_config_static_selectorELNS0_4arch9wavefront6targetE0EEEvSL_.has_indirect_call, 0
	.section	.AMDGPU.csdata,"",@progbits
; Kernel info:
; codeLenInByte = 0
; TotalNumSgprs: 0
; NumVgprs: 0
; ScratchSize: 0
; MemoryBound: 0
; FloatMode: 240
; IeeeMode: 1
; LDSByteSize: 0 bytes/workgroup (compile time only)
; SGPRBlocks: 0
; VGPRBlocks: 0
; NumSGPRsForWavesPerEU: 1
; NumVGPRsForWavesPerEU: 1
; Occupancy: 16
; WaveLimiterHint : 0
; COMPUTE_PGM_RSRC2:SCRATCH_EN: 0
; COMPUTE_PGM_RSRC2:USER_SGPR: 6
; COMPUTE_PGM_RSRC2:TRAP_HANDLER: 0
; COMPUTE_PGM_RSRC2:TGID_X_EN: 1
; COMPUTE_PGM_RSRC2:TGID_Y_EN: 0
; COMPUTE_PGM_RSRC2:TGID_Z_EN: 0
; COMPUTE_PGM_RSRC2:TIDIG_COMP_CNT: 0
	.section	.text._ZN7rocprim17ROCPRIM_400000_NS6detail17trampoline_kernelINS0_14default_configENS1_38merge_sort_block_merge_config_selectorIiNS0_10empty_typeEEEZZNS1_27merge_sort_block_merge_implIS3_N6thrust23THRUST_200600_302600_NS6detail15normal_iteratorINS9_10device_ptrIiEEEEPS5_jNS1_19radix_merge_compareILb0ELb1EiNS0_19identity_decomposerEEEEE10hipError_tT0_T1_T2_jT3_P12ihipStream_tbPNSt15iterator_traitsISK_E10value_typeEPNSQ_ISL_E10value_typeEPSM_NS1_7vsmem_tEENKUlT_SK_SL_SM_E_clIPiSE_SF_SF_EESJ_SZ_SK_SL_SM_EUlSZ_E1_NS1_11comp_targetILNS1_3genE3ELNS1_11target_archE908ELNS1_3gpuE7ELNS1_3repE0EEENS1_36merge_oddeven_config_static_selectorELNS0_4arch9wavefront6targetE0EEEvSL_,"axG",@progbits,_ZN7rocprim17ROCPRIM_400000_NS6detail17trampoline_kernelINS0_14default_configENS1_38merge_sort_block_merge_config_selectorIiNS0_10empty_typeEEEZZNS1_27merge_sort_block_merge_implIS3_N6thrust23THRUST_200600_302600_NS6detail15normal_iteratorINS9_10device_ptrIiEEEEPS5_jNS1_19radix_merge_compareILb0ELb1EiNS0_19identity_decomposerEEEEE10hipError_tT0_T1_T2_jT3_P12ihipStream_tbPNSt15iterator_traitsISK_E10value_typeEPNSQ_ISL_E10value_typeEPSM_NS1_7vsmem_tEENKUlT_SK_SL_SM_E_clIPiSE_SF_SF_EESJ_SZ_SK_SL_SM_EUlSZ_E1_NS1_11comp_targetILNS1_3genE3ELNS1_11target_archE908ELNS1_3gpuE7ELNS1_3repE0EEENS1_36merge_oddeven_config_static_selectorELNS0_4arch9wavefront6targetE0EEEvSL_,comdat
	.protected	_ZN7rocprim17ROCPRIM_400000_NS6detail17trampoline_kernelINS0_14default_configENS1_38merge_sort_block_merge_config_selectorIiNS0_10empty_typeEEEZZNS1_27merge_sort_block_merge_implIS3_N6thrust23THRUST_200600_302600_NS6detail15normal_iteratorINS9_10device_ptrIiEEEEPS5_jNS1_19radix_merge_compareILb0ELb1EiNS0_19identity_decomposerEEEEE10hipError_tT0_T1_T2_jT3_P12ihipStream_tbPNSt15iterator_traitsISK_E10value_typeEPNSQ_ISL_E10value_typeEPSM_NS1_7vsmem_tEENKUlT_SK_SL_SM_E_clIPiSE_SF_SF_EESJ_SZ_SK_SL_SM_EUlSZ_E1_NS1_11comp_targetILNS1_3genE3ELNS1_11target_archE908ELNS1_3gpuE7ELNS1_3repE0EEENS1_36merge_oddeven_config_static_selectorELNS0_4arch9wavefront6targetE0EEEvSL_ ; -- Begin function _ZN7rocprim17ROCPRIM_400000_NS6detail17trampoline_kernelINS0_14default_configENS1_38merge_sort_block_merge_config_selectorIiNS0_10empty_typeEEEZZNS1_27merge_sort_block_merge_implIS3_N6thrust23THRUST_200600_302600_NS6detail15normal_iteratorINS9_10device_ptrIiEEEEPS5_jNS1_19radix_merge_compareILb0ELb1EiNS0_19identity_decomposerEEEEE10hipError_tT0_T1_T2_jT3_P12ihipStream_tbPNSt15iterator_traitsISK_E10value_typeEPNSQ_ISL_E10value_typeEPSM_NS1_7vsmem_tEENKUlT_SK_SL_SM_E_clIPiSE_SF_SF_EESJ_SZ_SK_SL_SM_EUlSZ_E1_NS1_11comp_targetILNS1_3genE3ELNS1_11target_archE908ELNS1_3gpuE7ELNS1_3repE0EEENS1_36merge_oddeven_config_static_selectorELNS0_4arch9wavefront6targetE0EEEvSL_
	.globl	_ZN7rocprim17ROCPRIM_400000_NS6detail17trampoline_kernelINS0_14default_configENS1_38merge_sort_block_merge_config_selectorIiNS0_10empty_typeEEEZZNS1_27merge_sort_block_merge_implIS3_N6thrust23THRUST_200600_302600_NS6detail15normal_iteratorINS9_10device_ptrIiEEEEPS5_jNS1_19radix_merge_compareILb0ELb1EiNS0_19identity_decomposerEEEEE10hipError_tT0_T1_T2_jT3_P12ihipStream_tbPNSt15iterator_traitsISK_E10value_typeEPNSQ_ISL_E10value_typeEPSM_NS1_7vsmem_tEENKUlT_SK_SL_SM_E_clIPiSE_SF_SF_EESJ_SZ_SK_SL_SM_EUlSZ_E1_NS1_11comp_targetILNS1_3genE3ELNS1_11target_archE908ELNS1_3gpuE7ELNS1_3repE0EEENS1_36merge_oddeven_config_static_selectorELNS0_4arch9wavefront6targetE0EEEvSL_
	.p2align	8
	.type	_ZN7rocprim17ROCPRIM_400000_NS6detail17trampoline_kernelINS0_14default_configENS1_38merge_sort_block_merge_config_selectorIiNS0_10empty_typeEEEZZNS1_27merge_sort_block_merge_implIS3_N6thrust23THRUST_200600_302600_NS6detail15normal_iteratorINS9_10device_ptrIiEEEEPS5_jNS1_19radix_merge_compareILb0ELb1EiNS0_19identity_decomposerEEEEE10hipError_tT0_T1_T2_jT3_P12ihipStream_tbPNSt15iterator_traitsISK_E10value_typeEPNSQ_ISL_E10value_typeEPSM_NS1_7vsmem_tEENKUlT_SK_SL_SM_E_clIPiSE_SF_SF_EESJ_SZ_SK_SL_SM_EUlSZ_E1_NS1_11comp_targetILNS1_3genE3ELNS1_11target_archE908ELNS1_3gpuE7ELNS1_3repE0EEENS1_36merge_oddeven_config_static_selectorELNS0_4arch9wavefront6targetE0EEEvSL_,@function
_ZN7rocprim17ROCPRIM_400000_NS6detail17trampoline_kernelINS0_14default_configENS1_38merge_sort_block_merge_config_selectorIiNS0_10empty_typeEEEZZNS1_27merge_sort_block_merge_implIS3_N6thrust23THRUST_200600_302600_NS6detail15normal_iteratorINS9_10device_ptrIiEEEEPS5_jNS1_19radix_merge_compareILb0ELb1EiNS0_19identity_decomposerEEEEE10hipError_tT0_T1_T2_jT3_P12ihipStream_tbPNSt15iterator_traitsISK_E10value_typeEPNSQ_ISL_E10value_typeEPSM_NS1_7vsmem_tEENKUlT_SK_SL_SM_E_clIPiSE_SF_SF_EESJ_SZ_SK_SL_SM_EUlSZ_E1_NS1_11comp_targetILNS1_3genE3ELNS1_11target_archE908ELNS1_3gpuE7ELNS1_3repE0EEENS1_36merge_oddeven_config_static_selectorELNS0_4arch9wavefront6targetE0EEEvSL_: ; @_ZN7rocprim17ROCPRIM_400000_NS6detail17trampoline_kernelINS0_14default_configENS1_38merge_sort_block_merge_config_selectorIiNS0_10empty_typeEEEZZNS1_27merge_sort_block_merge_implIS3_N6thrust23THRUST_200600_302600_NS6detail15normal_iteratorINS9_10device_ptrIiEEEEPS5_jNS1_19radix_merge_compareILb0ELb1EiNS0_19identity_decomposerEEEEE10hipError_tT0_T1_T2_jT3_P12ihipStream_tbPNSt15iterator_traitsISK_E10value_typeEPNSQ_ISL_E10value_typeEPSM_NS1_7vsmem_tEENKUlT_SK_SL_SM_E_clIPiSE_SF_SF_EESJ_SZ_SK_SL_SM_EUlSZ_E1_NS1_11comp_targetILNS1_3genE3ELNS1_11target_archE908ELNS1_3gpuE7ELNS1_3repE0EEENS1_36merge_oddeven_config_static_selectorELNS0_4arch9wavefront6targetE0EEEvSL_
; %bb.0:
	.section	.rodata,"a",@progbits
	.p2align	6, 0x0
	.amdhsa_kernel _ZN7rocprim17ROCPRIM_400000_NS6detail17trampoline_kernelINS0_14default_configENS1_38merge_sort_block_merge_config_selectorIiNS0_10empty_typeEEEZZNS1_27merge_sort_block_merge_implIS3_N6thrust23THRUST_200600_302600_NS6detail15normal_iteratorINS9_10device_ptrIiEEEEPS5_jNS1_19radix_merge_compareILb0ELb1EiNS0_19identity_decomposerEEEEE10hipError_tT0_T1_T2_jT3_P12ihipStream_tbPNSt15iterator_traitsISK_E10value_typeEPNSQ_ISL_E10value_typeEPSM_NS1_7vsmem_tEENKUlT_SK_SL_SM_E_clIPiSE_SF_SF_EESJ_SZ_SK_SL_SM_EUlSZ_E1_NS1_11comp_targetILNS1_3genE3ELNS1_11target_archE908ELNS1_3gpuE7ELNS1_3repE0EEENS1_36merge_oddeven_config_static_selectorELNS0_4arch9wavefront6targetE0EEEvSL_
		.amdhsa_group_segment_fixed_size 0
		.amdhsa_private_segment_fixed_size 0
		.amdhsa_kernarg_size 48
		.amdhsa_user_sgpr_count 6
		.amdhsa_user_sgpr_private_segment_buffer 1
		.amdhsa_user_sgpr_dispatch_ptr 0
		.amdhsa_user_sgpr_queue_ptr 0
		.amdhsa_user_sgpr_kernarg_segment_ptr 1
		.amdhsa_user_sgpr_dispatch_id 0
		.amdhsa_user_sgpr_flat_scratch_init 0
		.amdhsa_user_sgpr_private_segment_size 0
		.amdhsa_wavefront_size32 1
		.amdhsa_uses_dynamic_stack 0
		.amdhsa_system_sgpr_private_segment_wavefront_offset 0
		.amdhsa_system_sgpr_workgroup_id_x 1
		.amdhsa_system_sgpr_workgroup_id_y 0
		.amdhsa_system_sgpr_workgroup_id_z 0
		.amdhsa_system_sgpr_workgroup_info 0
		.amdhsa_system_vgpr_workitem_id 0
		.amdhsa_next_free_vgpr 1
		.amdhsa_next_free_sgpr 1
		.amdhsa_reserve_vcc 0
		.amdhsa_reserve_flat_scratch 0
		.amdhsa_float_round_mode_32 0
		.amdhsa_float_round_mode_16_64 0
		.amdhsa_float_denorm_mode_32 3
		.amdhsa_float_denorm_mode_16_64 3
		.amdhsa_dx10_clamp 1
		.amdhsa_ieee_mode 1
		.amdhsa_fp16_overflow 0
		.amdhsa_workgroup_processor_mode 1
		.amdhsa_memory_ordered 1
		.amdhsa_forward_progress 1
		.amdhsa_shared_vgpr_count 0
		.amdhsa_exception_fp_ieee_invalid_op 0
		.amdhsa_exception_fp_denorm_src 0
		.amdhsa_exception_fp_ieee_div_zero 0
		.amdhsa_exception_fp_ieee_overflow 0
		.amdhsa_exception_fp_ieee_underflow 0
		.amdhsa_exception_fp_ieee_inexact 0
		.amdhsa_exception_int_div_zero 0
	.end_amdhsa_kernel
	.section	.text._ZN7rocprim17ROCPRIM_400000_NS6detail17trampoline_kernelINS0_14default_configENS1_38merge_sort_block_merge_config_selectorIiNS0_10empty_typeEEEZZNS1_27merge_sort_block_merge_implIS3_N6thrust23THRUST_200600_302600_NS6detail15normal_iteratorINS9_10device_ptrIiEEEEPS5_jNS1_19radix_merge_compareILb0ELb1EiNS0_19identity_decomposerEEEEE10hipError_tT0_T1_T2_jT3_P12ihipStream_tbPNSt15iterator_traitsISK_E10value_typeEPNSQ_ISL_E10value_typeEPSM_NS1_7vsmem_tEENKUlT_SK_SL_SM_E_clIPiSE_SF_SF_EESJ_SZ_SK_SL_SM_EUlSZ_E1_NS1_11comp_targetILNS1_3genE3ELNS1_11target_archE908ELNS1_3gpuE7ELNS1_3repE0EEENS1_36merge_oddeven_config_static_selectorELNS0_4arch9wavefront6targetE0EEEvSL_,"axG",@progbits,_ZN7rocprim17ROCPRIM_400000_NS6detail17trampoline_kernelINS0_14default_configENS1_38merge_sort_block_merge_config_selectorIiNS0_10empty_typeEEEZZNS1_27merge_sort_block_merge_implIS3_N6thrust23THRUST_200600_302600_NS6detail15normal_iteratorINS9_10device_ptrIiEEEEPS5_jNS1_19radix_merge_compareILb0ELb1EiNS0_19identity_decomposerEEEEE10hipError_tT0_T1_T2_jT3_P12ihipStream_tbPNSt15iterator_traitsISK_E10value_typeEPNSQ_ISL_E10value_typeEPSM_NS1_7vsmem_tEENKUlT_SK_SL_SM_E_clIPiSE_SF_SF_EESJ_SZ_SK_SL_SM_EUlSZ_E1_NS1_11comp_targetILNS1_3genE3ELNS1_11target_archE908ELNS1_3gpuE7ELNS1_3repE0EEENS1_36merge_oddeven_config_static_selectorELNS0_4arch9wavefront6targetE0EEEvSL_,comdat
.Lfunc_end104:
	.size	_ZN7rocprim17ROCPRIM_400000_NS6detail17trampoline_kernelINS0_14default_configENS1_38merge_sort_block_merge_config_selectorIiNS0_10empty_typeEEEZZNS1_27merge_sort_block_merge_implIS3_N6thrust23THRUST_200600_302600_NS6detail15normal_iteratorINS9_10device_ptrIiEEEEPS5_jNS1_19radix_merge_compareILb0ELb1EiNS0_19identity_decomposerEEEEE10hipError_tT0_T1_T2_jT3_P12ihipStream_tbPNSt15iterator_traitsISK_E10value_typeEPNSQ_ISL_E10value_typeEPSM_NS1_7vsmem_tEENKUlT_SK_SL_SM_E_clIPiSE_SF_SF_EESJ_SZ_SK_SL_SM_EUlSZ_E1_NS1_11comp_targetILNS1_3genE3ELNS1_11target_archE908ELNS1_3gpuE7ELNS1_3repE0EEENS1_36merge_oddeven_config_static_selectorELNS0_4arch9wavefront6targetE0EEEvSL_, .Lfunc_end104-_ZN7rocprim17ROCPRIM_400000_NS6detail17trampoline_kernelINS0_14default_configENS1_38merge_sort_block_merge_config_selectorIiNS0_10empty_typeEEEZZNS1_27merge_sort_block_merge_implIS3_N6thrust23THRUST_200600_302600_NS6detail15normal_iteratorINS9_10device_ptrIiEEEEPS5_jNS1_19radix_merge_compareILb0ELb1EiNS0_19identity_decomposerEEEEE10hipError_tT0_T1_T2_jT3_P12ihipStream_tbPNSt15iterator_traitsISK_E10value_typeEPNSQ_ISL_E10value_typeEPSM_NS1_7vsmem_tEENKUlT_SK_SL_SM_E_clIPiSE_SF_SF_EESJ_SZ_SK_SL_SM_EUlSZ_E1_NS1_11comp_targetILNS1_3genE3ELNS1_11target_archE908ELNS1_3gpuE7ELNS1_3repE0EEENS1_36merge_oddeven_config_static_selectorELNS0_4arch9wavefront6targetE0EEEvSL_
                                        ; -- End function
	.set _ZN7rocprim17ROCPRIM_400000_NS6detail17trampoline_kernelINS0_14default_configENS1_38merge_sort_block_merge_config_selectorIiNS0_10empty_typeEEEZZNS1_27merge_sort_block_merge_implIS3_N6thrust23THRUST_200600_302600_NS6detail15normal_iteratorINS9_10device_ptrIiEEEEPS5_jNS1_19radix_merge_compareILb0ELb1EiNS0_19identity_decomposerEEEEE10hipError_tT0_T1_T2_jT3_P12ihipStream_tbPNSt15iterator_traitsISK_E10value_typeEPNSQ_ISL_E10value_typeEPSM_NS1_7vsmem_tEENKUlT_SK_SL_SM_E_clIPiSE_SF_SF_EESJ_SZ_SK_SL_SM_EUlSZ_E1_NS1_11comp_targetILNS1_3genE3ELNS1_11target_archE908ELNS1_3gpuE7ELNS1_3repE0EEENS1_36merge_oddeven_config_static_selectorELNS0_4arch9wavefront6targetE0EEEvSL_.num_vgpr, 0
	.set _ZN7rocprim17ROCPRIM_400000_NS6detail17trampoline_kernelINS0_14default_configENS1_38merge_sort_block_merge_config_selectorIiNS0_10empty_typeEEEZZNS1_27merge_sort_block_merge_implIS3_N6thrust23THRUST_200600_302600_NS6detail15normal_iteratorINS9_10device_ptrIiEEEEPS5_jNS1_19radix_merge_compareILb0ELb1EiNS0_19identity_decomposerEEEEE10hipError_tT0_T1_T2_jT3_P12ihipStream_tbPNSt15iterator_traitsISK_E10value_typeEPNSQ_ISL_E10value_typeEPSM_NS1_7vsmem_tEENKUlT_SK_SL_SM_E_clIPiSE_SF_SF_EESJ_SZ_SK_SL_SM_EUlSZ_E1_NS1_11comp_targetILNS1_3genE3ELNS1_11target_archE908ELNS1_3gpuE7ELNS1_3repE0EEENS1_36merge_oddeven_config_static_selectorELNS0_4arch9wavefront6targetE0EEEvSL_.num_agpr, 0
	.set _ZN7rocprim17ROCPRIM_400000_NS6detail17trampoline_kernelINS0_14default_configENS1_38merge_sort_block_merge_config_selectorIiNS0_10empty_typeEEEZZNS1_27merge_sort_block_merge_implIS3_N6thrust23THRUST_200600_302600_NS6detail15normal_iteratorINS9_10device_ptrIiEEEEPS5_jNS1_19radix_merge_compareILb0ELb1EiNS0_19identity_decomposerEEEEE10hipError_tT0_T1_T2_jT3_P12ihipStream_tbPNSt15iterator_traitsISK_E10value_typeEPNSQ_ISL_E10value_typeEPSM_NS1_7vsmem_tEENKUlT_SK_SL_SM_E_clIPiSE_SF_SF_EESJ_SZ_SK_SL_SM_EUlSZ_E1_NS1_11comp_targetILNS1_3genE3ELNS1_11target_archE908ELNS1_3gpuE7ELNS1_3repE0EEENS1_36merge_oddeven_config_static_selectorELNS0_4arch9wavefront6targetE0EEEvSL_.numbered_sgpr, 0
	.set _ZN7rocprim17ROCPRIM_400000_NS6detail17trampoline_kernelINS0_14default_configENS1_38merge_sort_block_merge_config_selectorIiNS0_10empty_typeEEEZZNS1_27merge_sort_block_merge_implIS3_N6thrust23THRUST_200600_302600_NS6detail15normal_iteratorINS9_10device_ptrIiEEEEPS5_jNS1_19radix_merge_compareILb0ELb1EiNS0_19identity_decomposerEEEEE10hipError_tT0_T1_T2_jT3_P12ihipStream_tbPNSt15iterator_traitsISK_E10value_typeEPNSQ_ISL_E10value_typeEPSM_NS1_7vsmem_tEENKUlT_SK_SL_SM_E_clIPiSE_SF_SF_EESJ_SZ_SK_SL_SM_EUlSZ_E1_NS1_11comp_targetILNS1_3genE3ELNS1_11target_archE908ELNS1_3gpuE7ELNS1_3repE0EEENS1_36merge_oddeven_config_static_selectorELNS0_4arch9wavefront6targetE0EEEvSL_.num_named_barrier, 0
	.set _ZN7rocprim17ROCPRIM_400000_NS6detail17trampoline_kernelINS0_14default_configENS1_38merge_sort_block_merge_config_selectorIiNS0_10empty_typeEEEZZNS1_27merge_sort_block_merge_implIS3_N6thrust23THRUST_200600_302600_NS6detail15normal_iteratorINS9_10device_ptrIiEEEEPS5_jNS1_19radix_merge_compareILb0ELb1EiNS0_19identity_decomposerEEEEE10hipError_tT0_T1_T2_jT3_P12ihipStream_tbPNSt15iterator_traitsISK_E10value_typeEPNSQ_ISL_E10value_typeEPSM_NS1_7vsmem_tEENKUlT_SK_SL_SM_E_clIPiSE_SF_SF_EESJ_SZ_SK_SL_SM_EUlSZ_E1_NS1_11comp_targetILNS1_3genE3ELNS1_11target_archE908ELNS1_3gpuE7ELNS1_3repE0EEENS1_36merge_oddeven_config_static_selectorELNS0_4arch9wavefront6targetE0EEEvSL_.private_seg_size, 0
	.set _ZN7rocprim17ROCPRIM_400000_NS6detail17trampoline_kernelINS0_14default_configENS1_38merge_sort_block_merge_config_selectorIiNS0_10empty_typeEEEZZNS1_27merge_sort_block_merge_implIS3_N6thrust23THRUST_200600_302600_NS6detail15normal_iteratorINS9_10device_ptrIiEEEEPS5_jNS1_19radix_merge_compareILb0ELb1EiNS0_19identity_decomposerEEEEE10hipError_tT0_T1_T2_jT3_P12ihipStream_tbPNSt15iterator_traitsISK_E10value_typeEPNSQ_ISL_E10value_typeEPSM_NS1_7vsmem_tEENKUlT_SK_SL_SM_E_clIPiSE_SF_SF_EESJ_SZ_SK_SL_SM_EUlSZ_E1_NS1_11comp_targetILNS1_3genE3ELNS1_11target_archE908ELNS1_3gpuE7ELNS1_3repE0EEENS1_36merge_oddeven_config_static_selectorELNS0_4arch9wavefront6targetE0EEEvSL_.uses_vcc, 0
	.set _ZN7rocprim17ROCPRIM_400000_NS6detail17trampoline_kernelINS0_14default_configENS1_38merge_sort_block_merge_config_selectorIiNS0_10empty_typeEEEZZNS1_27merge_sort_block_merge_implIS3_N6thrust23THRUST_200600_302600_NS6detail15normal_iteratorINS9_10device_ptrIiEEEEPS5_jNS1_19radix_merge_compareILb0ELb1EiNS0_19identity_decomposerEEEEE10hipError_tT0_T1_T2_jT3_P12ihipStream_tbPNSt15iterator_traitsISK_E10value_typeEPNSQ_ISL_E10value_typeEPSM_NS1_7vsmem_tEENKUlT_SK_SL_SM_E_clIPiSE_SF_SF_EESJ_SZ_SK_SL_SM_EUlSZ_E1_NS1_11comp_targetILNS1_3genE3ELNS1_11target_archE908ELNS1_3gpuE7ELNS1_3repE0EEENS1_36merge_oddeven_config_static_selectorELNS0_4arch9wavefront6targetE0EEEvSL_.uses_flat_scratch, 0
	.set _ZN7rocprim17ROCPRIM_400000_NS6detail17trampoline_kernelINS0_14default_configENS1_38merge_sort_block_merge_config_selectorIiNS0_10empty_typeEEEZZNS1_27merge_sort_block_merge_implIS3_N6thrust23THRUST_200600_302600_NS6detail15normal_iteratorINS9_10device_ptrIiEEEEPS5_jNS1_19radix_merge_compareILb0ELb1EiNS0_19identity_decomposerEEEEE10hipError_tT0_T1_T2_jT3_P12ihipStream_tbPNSt15iterator_traitsISK_E10value_typeEPNSQ_ISL_E10value_typeEPSM_NS1_7vsmem_tEENKUlT_SK_SL_SM_E_clIPiSE_SF_SF_EESJ_SZ_SK_SL_SM_EUlSZ_E1_NS1_11comp_targetILNS1_3genE3ELNS1_11target_archE908ELNS1_3gpuE7ELNS1_3repE0EEENS1_36merge_oddeven_config_static_selectorELNS0_4arch9wavefront6targetE0EEEvSL_.has_dyn_sized_stack, 0
	.set _ZN7rocprim17ROCPRIM_400000_NS6detail17trampoline_kernelINS0_14default_configENS1_38merge_sort_block_merge_config_selectorIiNS0_10empty_typeEEEZZNS1_27merge_sort_block_merge_implIS3_N6thrust23THRUST_200600_302600_NS6detail15normal_iteratorINS9_10device_ptrIiEEEEPS5_jNS1_19radix_merge_compareILb0ELb1EiNS0_19identity_decomposerEEEEE10hipError_tT0_T1_T2_jT3_P12ihipStream_tbPNSt15iterator_traitsISK_E10value_typeEPNSQ_ISL_E10value_typeEPSM_NS1_7vsmem_tEENKUlT_SK_SL_SM_E_clIPiSE_SF_SF_EESJ_SZ_SK_SL_SM_EUlSZ_E1_NS1_11comp_targetILNS1_3genE3ELNS1_11target_archE908ELNS1_3gpuE7ELNS1_3repE0EEENS1_36merge_oddeven_config_static_selectorELNS0_4arch9wavefront6targetE0EEEvSL_.has_recursion, 0
	.set _ZN7rocprim17ROCPRIM_400000_NS6detail17trampoline_kernelINS0_14default_configENS1_38merge_sort_block_merge_config_selectorIiNS0_10empty_typeEEEZZNS1_27merge_sort_block_merge_implIS3_N6thrust23THRUST_200600_302600_NS6detail15normal_iteratorINS9_10device_ptrIiEEEEPS5_jNS1_19radix_merge_compareILb0ELb1EiNS0_19identity_decomposerEEEEE10hipError_tT0_T1_T2_jT3_P12ihipStream_tbPNSt15iterator_traitsISK_E10value_typeEPNSQ_ISL_E10value_typeEPSM_NS1_7vsmem_tEENKUlT_SK_SL_SM_E_clIPiSE_SF_SF_EESJ_SZ_SK_SL_SM_EUlSZ_E1_NS1_11comp_targetILNS1_3genE3ELNS1_11target_archE908ELNS1_3gpuE7ELNS1_3repE0EEENS1_36merge_oddeven_config_static_selectorELNS0_4arch9wavefront6targetE0EEEvSL_.has_indirect_call, 0
	.section	.AMDGPU.csdata,"",@progbits
; Kernel info:
; codeLenInByte = 0
; TotalNumSgprs: 0
; NumVgprs: 0
; ScratchSize: 0
; MemoryBound: 0
; FloatMode: 240
; IeeeMode: 1
; LDSByteSize: 0 bytes/workgroup (compile time only)
; SGPRBlocks: 0
; VGPRBlocks: 0
; NumSGPRsForWavesPerEU: 1
; NumVGPRsForWavesPerEU: 1
; Occupancy: 16
; WaveLimiterHint : 0
; COMPUTE_PGM_RSRC2:SCRATCH_EN: 0
; COMPUTE_PGM_RSRC2:USER_SGPR: 6
; COMPUTE_PGM_RSRC2:TRAP_HANDLER: 0
; COMPUTE_PGM_RSRC2:TGID_X_EN: 1
; COMPUTE_PGM_RSRC2:TGID_Y_EN: 0
; COMPUTE_PGM_RSRC2:TGID_Z_EN: 0
; COMPUTE_PGM_RSRC2:TIDIG_COMP_CNT: 0
	.section	.text._ZN7rocprim17ROCPRIM_400000_NS6detail17trampoline_kernelINS0_14default_configENS1_38merge_sort_block_merge_config_selectorIiNS0_10empty_typeEEEZZNS1_27merge_sort_block_merge_implIS3_N6thrust23THRUST_200600_302600_NS6detail15normal_iteratorINS9_10device_ptrIiEEEEPS5_jNS1_19radix_merge_compareILb0ELb1EiNS0_19identity_decomposerEEEEE10hipError_tT0_T1_T2_jT3_P12ihipStream_tbPNSt15iterator_traitsISK_E10value_typeEPNSQ_ISL_E10value_typeEPSM_NS1_7vsmem_tEENKUlT_SK_SL_SM_E_clIPiSE_SF_SF_EESJ_SZ_SK_SL_SM_EUlSZ_E1_NS1_11comp_targetILNS1_3genE2ELNS1_11target_archE906ELNS1_3gpuE6ELNS1_3repE0EEENS1_36merge_oddeven_config_static_selectorELNS0_4arch9wavefront6targetE0EEEvSL_,"axG",@progbits,_ZN7rocprim17ROCPRIM_400000_NS6detail17trampoline_kernelINS0_14default_configENS1_38merge_sort_block_merge_config_selectorIiNS0_10empty_typeEEEZZNS1_27merge_sort_block_merge_implIS3_N6thrust23THRUST_200600_302600_NS6detail15normal_iteratorINS9_10device_ptrIiEEEEPS5_jNS1_19radix_merge_compareILb0ELb1EiNS0_19identity_decomposerEEEEE10hipError_tT0_T1_T2_jT3_P12ihipStream_tbPNSt15iterator_traitsISK_E10value_typeEPNSQ_ISL_E10value_typeEPSM_NS1_7vsmem_tEENKUlT_SK_SL_SM_E_clIPiSE_SF_SF_EESJ_SZ_SK_SL_SM_EUlSZ_E1_NS1_11comp_targetILNS1_3genE2ELNS1_11target_archE906ELNS1_3gpuE6ELNS1_3repE0EEENS1_36merge_oddeven_config_static_selectorELNS0_4arch9wavefront6targetE0EEEvSL_,comdat
	.protected	_ZN7rocprim17ROCPRIM_400000_NS6detail17trampoline_kernelINS0_14default_configENS1_38merge_sort_block_merge_config_selectorIiNS0_10empty_typeEEEZZNS1_27merge_sort_block_merge_implIS3_N6thrust23THRUST_200600_302600_NS6detail15normal_iteratorINS9_10device_ptrIiEEEEPS5_jNS1_19radix_merge_compareILb0ELb1EiNS0_19identity_decomposerEEEEE10hipError_tT0_T1_T2_jT3_P12ihipStream_tbPNSt15iterator_traitsISK_E10value_typeEPNSQ_ISL_E10value_typeEPSM_NS1_7vsmem_tEENKUlT_SK_SL_SM_E_clIPiSE_SF_SF_EESJ_SZ_SK_SL_SM_EUlSZ_E1_NS1_11comp_targetILNS1_3genE2ELNS1_11target_archE906ELNS1_3gpuE6ELNS1_3repE0EEENS1_36merge_oddeven_config_static_selectorELNS0_4arch9wavefront6targetE0EEEvSL_ ; -- Begin function _ZN7rocprim17ROCPRIM_400000_NS6detail17trampoline_kernelINS0_14default_configENS1_38merge_sort_block_merge_config_selectorIiNS0_10empty_typeEEEZZNS1_27merge_sort_block_merge_implIS3_N6thrust23THRUST_200600_302600_NS6detail15normal_iteratorINS9_10device_ptrIiEEEEPS5_jNS1_19radix_merge_compareILb0ELb1EiNS0_19identity_decomposerEEEEE10hipError_tT0_T1_T2_jT3_P12ihipStream_tbPNSt15iterator_traitsISK_E10value_typeEPNSQ_ISL_E10value_typeEPSM_NS1_7vsmem_tEENKUlT_SK_SL_SM_E_clIPiSE_SF_SF_EESJ_SZ_SK_SL_SM_EUlSZ_E1_NS1_11comp_targetILNS1_3genE2ELNS1_11target_archE906ELNS1_3gpuE6ELNS1_3repE0EEENS1_36merge_oddeven_config_static_selectorELNS0_4arch9wavefront6targetE0EEEvSL_
	.globl	_ZN7rocprim17ROCPRIM_400000_NS6detail17trampoline_kernelINS0_14default_configENS1_38merge_sort_block_merge_config_selectorIiNS0_10empty_typeEEEZZNS1_27merge_sort_block_merge_implIS3_N6thrust23THRUST_200600_302600_NS6detail15normal_iteratorINS9_10device_ptrIiEEEEPS5_jNS1_19radix_merge_compareILb0ELb1EiNS0_19identity_decomposerEEEEE10hipError_tT0_T1_T2_jT3_P12ihipStream_tbPNSt15iterator_traitsISK_E10value_typeEPNSQ_ISL_E10value_typeEPSM_NS1_7vsmem_tEENKUlT_SK_SL_SM_E_clIPiSE_SF_SF_EESJ_SZ_SK_SL_SM_EUlSZ_E1_NS1_11comp_targetILNS1_3genE2ELNS1_11target_archE906ELNS1_3gpuE6ELNS1_3repE0EEENS1_36merge_oddeven_config_static_selectorELNS0_4arch9wavefront6targetE0EEEvSL_
	.p2align	8
	.type	_ZN7rocprim17ROCPRIM_400000_NS6detail17trampoline_kernelINS0_14default_configENS1_38merge_sort_block_merge_config_selectorIiNS0_10empty_typeEEEZZNS1_27merge_sort_block_merge_implIS3_N6thrust23THRUST_200600_302600_NS6detail15normal_iteratorINS9_10device_ptrIiEEEEPS5_jNS1_19radix_merge_compareILb0ELb1EiNS0_19identity_decomposerEEEEE10hipError_tT0_T1_T2_jT3_P12ihipStream_tbPNSt15iterator_traitsISK_E10value_typeEPNSQ_ISL_E10value_typeEPSM_NS1_7vsmem_tEENKUlT_SK_SL_SM_E_clIPiSE_SF_SF_EESJ_SZ_SK_SL_SM_EUlSZ_E1_NS1_11comp_targetILNS1_3genE2ELNS1_11target_archE906ELNS1_3gpuE6ELNS1_3repE0EEENS1_36merge_oddeven_config_static_selectorELNS0_4arch9wavefront6targetE0EEEvSL_,@function
_ZN7rocprim17ROCPRIM_400000_NS6detail17trampoline_kernelINS0_14default_configENS1_38merge_sort_block_merge_config_selectorIiNS0_10empty_typeEEEZZNS1_27merge_sort_block_merge_implIS3_N6thrust23THRUST_200600_302600_NS6detail15normal_iteratorINS9_10device_ptrIiEEEEPS5_jNS1_19radix_merge_compareILb0ELb1EiNS0_19identity_decomposerEEEEE10hipError_tT0_T1_T2_jT3_P12ihipStream_tbPNSt15iterator_traitsISK_E10value_typeEPNSQ_ISL_E10value_typeEPSM_NS1_7vsmem_tEENKUlT_SK_SL_SM_E_clIPiSE_SF_SF_EESJ_SZ_SK_SL_SM_EUlSZ_E1_NS1_11comp_targetILNS1_3genE2ELNS1_11target_archE906ELNS1_3gpuE6ELNS1_3repE0EEENS1_36merge_oddeven_config_static_selectorELNS0_4arch9wavefront6targetE0EEEvSL_: ; @_ZN7rocprim17ROCPRIM_400000_NS6detail17trampoline_kernelINS0_14default_configENS1_38merge_sort_block_merge_config_selectorIiNS0_10empty_typeEEEZZNS1_27merge_sort_block_merge_implIS3_N6thrust23THRUST_200600_302600_NS6detail15normal_iteratorINS9_10device_ptrIiEEEEPS5_jNS1_19radix_merge_compareILb0ELb1EiNS0_19identity_decomposerEEEEE10hipError_tT0_T1_T2_jT3_P12ihipStream_tbPNSt15iterator_traitsISK_E10value_typeEPNSQ_ISL_E10value_typeEPSM_NS1_7vsmem_tEENKUlT_SK_SL_SM_E_clIPiSE_SF_SF_EESJ_SZ_SK_SL_SM_EUlSZ_E1_NS1_11comp_targetILNS1_3genE2ELNS1_11target_archE906ELNS1_3gpuE6ELNS1_3repE0EEENS1_36merge_oddeven_config_static_selectorELNS0_4arch9wavefront6targetE0EEEvSL_
; %bb.0:
	.section	.rodata,"a",@progbits
	.p2align	6, 0x0
	.amdhsa_kernel _ZN7rocprim17ROCPRIM_400000_NS6detail17trampoline_kernelINS0_14default_configENS1_38merge_sort_block_merge_config_selectorIiNS0_10empty_typeEEEZZNS1_27merge_sort_block_merge_implIS3_N6thrust23THRUST_200600_302600_NS6detail15normal_iteratorINS9_10device_ptrIiEEEEPS5_jNS1_19radix_merge_compareILb0ELb1EiNS0_19identity_decomposerEEEEE10hipError_tT0_T1_T2_jT3_P12ihipStream_tbPNSt15iterator_traitsISK_E10value_typeEPNSQ_ISL_E10value_typeEPSM_NS1_7vsmem_tEENKUlT_SK_SL_SM_E_clIPiSE_SF_SF_EESJ_SZ_SK_SL_SM_EUlSZ_E1_NS1_11comp_targetILNS1_3genE2ELNS1_11target_archE906ELNS1_3gpuE6ELNS1_3repE0EEENS1_36merge_oddeven_config_static_selectorELNS0_4arch9wavefront6targetE0EEEvSL_
		.amdhsa_group_segment_fixed_size 0
		.amdhsa_private_segment_fixed_size 0
		.amdhsa_kernarg_size 48
		.amdhsa_user_sgpr_count 6
		.amdhsa_user_sgpr_private_segment_buffer 1
		.amdhsa_user_sgpr_dispatch_ptr 0
		.amdhsa_user_sgpr_queue_ptr 0
		.amdhsa_user_sgpr_kernarg_segment_ptr 1
		.amdhsa_user_sgpr_dispatch_id 0
		.amdhsa_user_sgpr_flat_scratch_init 0
		.amdhsa_user_sgpr_private_segment_size 0
		.amdhsa_wavefront_size32 1
		.amdhsa_uses_dynamic_stack 0
		.amdhsa_system_sgpr_private_segment_wavefront_offset 0
		.amdhsa_system_sgpr_workgroup_id_x 1
		.amdhsa_system_sgpr_workgroup_id_y 0
		.amdhsa_system_sgpr_workgroup_id_z 0
		.amdhsa_system_sgpr_workgroup_info 0
		.amdhsa_system_vgpr_workitem_id 0
		.amdhsa_next_free_vgpr 1
		.amdhsa_next_free_sgpr 1
		.amdhsa_reserve_vcc 0
		.amdhsa_reserve_flat_scratch 0
		.amdhsa_float_round_mode_32 0
		.amdhsa_float_round_mode_16_64 0
		.amdhsa_float_denorm_mode_32 3
		.amdhsa_float_denorm_mode_16_64 3
		.amdhsa_dx10_clamp 1
		.amdhsa_ieee_mode 1
		.amdhsa_fp16_overflow 0
		.amdhsa_workgroup_processor_mode 1
		.amdhsa_memory_ordered 1
		.amdhsa_forward_progress 1
		.amdhsa_shared_vgpr_count 0
		.amdhsa_exception_fp_ieee_invalid_op 0
		.amdhsa_exception_fp_denorm_src 0
		.amdhsa_exception_fp_ieee_div_zero 0
		.amdhsa_exception_fp_ieee_overflow 0
		.amdhsa_exception_fp_ieee_underflow 0
		.amdhsa_exception_fp_ieee_inexact 0
		.amdhsa_exception_int_div_zero 0
	.end_amdhsa_kernel
	.section	.text._ZN7rocprim17ROCPRIM_400000_NS6detail17trampoline_kernelINS0_14default_configENS1_38merge_sort_block_merge_config_selectorIiNS0_10empty_typeEEEZZNS1_27merge_sort_block_merge_implIS3_N6thrust23THRUST_200600_302600_NS6detail15normal_iteratorINS9_10device_ptrIiEEEEPS5_jNS1_19radix_merge_compareILb0ELb1EiNS0_19identity_decomposerEEEEE10hipError_tT0_T1_T2_jT3_P12ihipStream_tbPNSt15iterator_traitsISK_E10value_typeEPNSQ_ISL_E10value_typeEPSM_NS1_7vsmem_tEENKUlT_SK_SL_SM_E_clIPiSE_SF_SF_EESJ_SZ_SK_SL_SM_EUlSZ_E1_NS1_11comp_targetILNS1_3genE2ELNS1_11target_archE906ELNS1_3gpuE6ELNS1_3repE0EEENS1_36merge_oddeven_config_static_selectorELNS0_4arch9wavefront6targetE0EEEvSL_,"axG",@progbits,_ZN7rocprim17ROCPRIM_400000_NS6detail17trampoline_kernelINS0_14default_configENS1_38merge_sort_block_merge_config_selectorIiNS0_10empty_typeEEEZZNS1_27merge_sort_block_merge_implIS3_N6thrust23THRUST_200600_302600_NS6detail15normal_iteratorINS9_10device_ptrIiEEEEPS5_jNS1_19radix_merge_compareILb0ELb1EiNS0_19identity_decomposerEEEEE10hipError_tT0_T1_T2_jT3_P12ihipStream_tbPNSt15iterator_traitsISK_E10value_typeEPNSQ_ISL_E10value_typeEPSM_NS1_7vsmem_tEENKUlT_SK_SL_SM_E_clIPiSE_SF_SF_EESJ_SZ_SK_SL_SM_EUlSZ_E1_NS1_11comp_targetILNS1_3genE2ELNS1_11target_archE906ELNS1_3gpuE6ELNS1_3repE0EEENS1_36merge_oddeven_config_static_selectorELNS0_4arch9wavefront6targetE0EEEvSL_,comdat
.Lfunc_end105:
	.size	_ZN7rocprim17ROCPRIM_400000_NS6detail17trampoline_kernelINS0_14default_configENS1_38merge_sort_block_merge_config_selectorIiNS0_10empty_typeEEEZZNS1_27merge_sort_block_merge_implIS3_N6thrust23THRUST_200600_302600_NS6detail15normal_iteratorINS9_10device_ptrIiEEEEPS5_jNS1_19radix_merge_compareILb0ELb1EiNS0_19identity_decomposerEEEEE10hipError_tT0_T1_T2_jT3_P12ihipStream_tbPNSt15iterator_traitsISK_E10value_typeEPNSQ_ISL_E10value_typeEPSM_NS1_7vsmem_tEENKUlT_SK_SL_SM_E_clIPiSE_SF_SF_EESJ_SZ_SK_SL_SM_EUlSZ_E1_NS1_11comp_targetILNS1_3genE2ELNS1_11target_archE906ELNS1_3gpuE6ELNS1_3repE0EEENS1_36merge_oddeven_config_static_selectorELNS0_4arch9wavefront6targetE0EEEvSL_, .Lfunc_end105-_ZN7rocprim17ROCPRIM_400000_NS6detail17trampoline_kernelINS0_14default_configENS1_38merge_sort_block_merge_config_selectorIiNS0_10empty_typeEEEZZNS1_27merge_sort_block_merge_implIS3_N6thrust23THRUST_200600_302600_NS6detail15normal_iteratorINS9_10device_ptrIiEEEEPS5_jNS1_19radix_merge_compareILb0ELb1EiNS0_19identity_decomposerEEEEE10hipError_tT0_T1_T2_jT3_P12ihipStream_tbPNSt15iterator_traitsISK_E10value_typeEPNSQ_ISL_E10value_typeEPSM_NS1_7vsmem_tEENKUlT_SK_SL_SM_E_clIPiSE_SF_SF_EESJ_SZ_SK_SL_SM_EUlSZ_E1_NS1_11comp_targetILNS1_3genE2ELNS1_11target_archE906ELNS1_3gpuE6ELNS1_3repE0EEENS1_36merge_oddeven_config_static_selectorELNS0_4arch9wavefront6targetE0EEEvSL_
                                        ; -- End function
	.set _ZN7rocprim17ROCPRIM_400000_NS6detail17trampoline_kernelINS0_14default_configENS1_38merge_sort_block_merge_config_selectorIiNS0_10empty_typeEEEZZNS1_27merge_sort_block_merge_implIS3_N6thrust23THRUST_200600_302600_NS6detail15normal_iteratorINS9_10device_ptrIiEEEEPS5_jNS1_19radix_merge_compareILb0ELb1EiNS0_19identity_decomposerEEEEE10hipError_tT0_T1_T2_jT3_P12ihipStream_tbPNSt15iterator_traitsISK_E10value_typeEPNSQ_ISL_E10value_typeEPSM_NS1_7vsmem_tEENKUlT_SK_SL_SM_E_clIPiSE_SF_SF_EESJ_SZ_SK_SL_SM_EUlSZ_E1_NS1_11comp_targetILNS1_3genE2ELNS1_11target_archE906ELNS1_3gpuE6ELNS1_3repE0EEENS1_36merge_oddeven_config_static_selectorELNS0_4arch9wavefront6targetE0EEEvSL_.num_vgpr, 0
	.set _ZN7rocprim17ROCPRIM_400000_NS6detail17trampoline_kernelINS0_14default_configENS1_38merge_sort_block_merge_config_selectorIiNS0_10empty_typeEEEZZNS1_27merge_sort_block_merge_implIS3_N6thrust23THRUST_200600_302600_NS6detail15normal_iteratorINS9_10device_ptrIiEEEEPS5_jNS1_19radix_merge_compareILb0ELb1EiNS0_19identity_decomposerEEEEE10hipError_tT0_T1_T2_jT3_P12ihipStream_tbPNSt15iterator_traitsISK_E10value_typeEPNSQ_ISL_E10value_typeEPSM_NS1_7vsmem_tEENKUlT_SK_SL_SM_E_clIPiSE_SF_SF_EESJ_SZ_SK_SL_SM_EUlSZ_E1_NS1_11comp_targetILNS1_3genE2ELNS1_11target_archE906ELNS1_3gpuE6ELNS1_3repE0EEENS1_36merge_oddeven_config_static_selectorELNS0_4arch9wavefront6targetE0EEEvSL_.num_agpr, 0
	.set _ZN7rocprim17ROCPRIM_400000_NS6detail17trampoline_kernelINS0_14default_configENS1_38merge_sort_block_merge_config_selectorIiNS0_10empty_typeEEEZZNS1_27merge_sort_block_merge_implIS3_N6thrust23THRUST_200600_302600_NS6detail15normal_iteratorINS9_10device_ptrIiEEEEPS5_jNS1_19radix_merge_compareILb0ELb1EiNS0_19identity_decomposerEEEEE10hipError_tT0_T1_T2_jT3_P12ihipStream_tbPNSt15iterator_traitsISK_E10value_typeEPNSQ_ISL_E10value_typeEPSM_NS1_7vsmem_tEENKUlT_SK_SL_SM_E_clIPiSE_SF_SF_EESJ_SZ_SK_SL_SM_EUlSZ_E1_NS1_11comp_targetILNS1_3genE2ELNS1_11target_archE906ELNS1_3gpuE6ELNS1_3repE0EEENS1_36merge_oddeven_config_static_selectorELNS0_4arch9wavefront6targetE0EEEvSL_.numbered_sgpr, 0
	.set _ZN7rocprim17ROCPRIM_400000_NS6detail17trampoline_kernelINS0_14default_configENS1_38merge_sort_block_merge_config_selectorIiNS0_10empty_typeEEEZZNS1_27merge_sort_block_merge_implIS3_N6thrust23THRUST_200600_302600_NS6detail15normal_iteratorINS9_10device_ptrIiEEEEPS5_jNS1_19radix_merge_compareILb0ELb1EiNS0_19identity_decomposerEEEEE10hipError_tT0_T1_T2_jT3_P12ihipStream_tbPNSt15iterator_traitsISK_E10value_typeEPNSQ_ISL_E10value_typeEPSM_NS1_7vsmem_tEENKUlT_SK_SL_SM_E_clIPiSE_SF_SF_EESJ_SZ_SK_SL_SM_EUlSZ_E1_NS1_11comp_targetILNS1_3genE2ELNS1_11target_archE906ELNS1_3gpuE6ELNS1_3repE0EEENS1_36merge_oddeven_config_static_selectorELNS0_4arch9wavefront6targetE0EEEvSL_.num_named_barrier, 0
	.set _ZN7rocprim17ROCPRIM_400000_NS6detail17trampoline_kernelINS0_14default_configENS1_38merge_sort_block_merge_config_selectorIiNS0_10empty_typeEEEZZNS1_27merge_sort_block_merge_implIS3_N6thrust23THRUST_200600_302600_NS6detail15normal_iteratorINS9_10device_ptrIiEEEEPS5_jNS1_19radix_merge_compareILb0ELb1EiNS0_19identity_decomposerEEEEE10hipError_tT0_T1_T2_jT3_P12ihipStream_tbPNSt15iterator_traitsISK_E10value_typeEPNSQ_ISL_E10value_typeEPSM_NS1_7vsmem_tEENKUlT_SK_SL_SM_E_clIPiSE_SF_SF_EESJ_SZ_SK_SL_SM_EUlSZ_E1_NS1_11comp_targetILNS1_3genE2ELNS1_11target_archE906ELNS1_3gpuE6ELNS1_3repE0EEENS1_36merge_oddeven_config_static_selectorELNS0_4arch9wavefront6targetE0EEEvSL_.private_seg_size, 0
	.set _ZN7rocprim17ROCPRIM_400000_NS6detail17trampoline_kernelINS0_14default_configENS1_38merge_sort_block_merge_config_selectorIiNS0_10empty_typeEEEZZNS1_27merge_sort_block_merge_implIS3_N6thrust23THRUST_200600_302600_NS6detail15normal_iteratorINS9_10device_ptrIiEEEEPS5_jNS1_19radix_merge_compareILb0ELb1EiNS0_19identity_decomposerEEEEE10hipError_tT0_T1_T2_jT3_P12ihipStream_tbPNSt15iterator_traitsISK_E10value_typeEPNSQ_ISL_E10value_typeEPSM_NS1_7vsmem_tEENKUlT_SK_SL_SM_E_clIPiSE_SF_SF_EESJ_SZ_SK_SL_SM_EUlSZ_E1_NS1_11comp_targetILNS1_3genE2ELNS1_11target_archE906ELNS1_3gpuE6ELNS1_3repE0EEENS1_36merge_oddeven_config_static_selectorELNS0_4arch9wavefront6targetE0EEEvSL_.uses_vcc, 0
	.set _ZN7rocprim17ROCPRIM_400000_NS6detail17trampoline_kernelINS0_14default_configENS1_38merge_sort_block_merge_config_selectorIiNS0_10empty_typeEEEZZNS1_27merge_sort_block_merge_implIS3_N6thrust23THRUST_200600_302600_NS6detail15normal_iteratorINS9_10device_ptrIiEEEEPS5_jNS1_19radix_merge_compareILb0ELb1EiNS0_19identity_decomposerEEEEE10hipError_tT0_T1_T2_jT3_P12ihipStream_tbPNSt15iterator_traitsISK_E10value_typeEPNSQ_ISL_E10value_typeEPSM_NS1_7vsmem_tEENKUlT_SK_SL_SM_E_clIPiSE_SF_SF_EESJ_SZ_SK_SL_SM_EUlSZ_E1_NS1_11comp_targetILNS1_3genE2ELNS1_11target_archE906ELNS1_3gpuE6ELNS1_3repE0EEENS1_36merge_oddeven_config_static_selectorELNS0_4arch9wavefront6targetE0EEEvSL_.uses_flat_scratch, 0
	.set _ZN7rocprim17ROCPRIM_400000_NS6detail17trampoline_kernelINS0_14default_configENS1_38merge_sort_block_merge_config_selectorIiNS0_10empty_typeEEEZZNS1_27merge_sort_block_merge_implIS3_N6thrust23THRUST_200600_302600_NS6detail15normal_iteratorINS9_10device_ptrIiEEEEPS5_jNS1_19radix_merge_compareILb0ELb1EiNS0_19identity_decomposerEEEEE10hipError_tT0_T1_T2_jT3_P12ihipStream_tbPNSt15iterator_traitsISK_E10value_typeEPNSQ_ISL_E10value_typeEPSM_NS1_7vsmem_tEENKUlT_SK_SL_SM_E_clIPiSE_SF_SF_EESJ_SZ_SK_SL_SM_EUlSZ_E1_NS1_11comp_targetILNS1_3genE2ELNS1_11target_archE906ELNS1_3gpuE6ELNS1_3repE0EEENS1_36merge_oddeven_config_static_selectorELNS0_4arch9wavefront6targetE0EEEvSL_.has_dyn_sized_stack, 0
	.set _ZN7rocprim17ROCPRIM_400000_NS6detail17trampoline_kernelINS0_14default_configENS1_38merge_sort_block_merge_config_selectorIiNS0_10empty_typeEEEZZNS1_27merge_sort_block_merge_implIS3_N6thrust23THRUST_200600_302600_NS6detail15normal_iteratorINS9_10device_ptrIiEEEEPS5_jNS1_19radix_merge_compareILb0ELb1EiNS0_19identity_decomposerEEEEE10hipError_tT0_T1_T2_jT3_P12ihipStream_tbPNSt15iterator_traitsISK_E10value_typeEPNSQ_ISL_E10value_typeEPSM_NS1_7vsmem_tEENKUlT_SK_SL_SM_E_clIPiSE_SF_SF_EESJ_SZ_SK_SL_SM_EUlSZ_E1_NS1_11comp_targetILNS1_3genE2ELNS1_11target_archE906ELNS1_3gpuE6ELNS1_3repE0EEENS1_36merge_oddeven_config_static_selectorELNS0_4arch9wavefront6targetE0EEEvSL_.has_recursion, 0
	.set _ZN7rocprim17ROCPRIM_400000_NS6detail17trampoline_kernelINS0_14default_configENS1_38merge_sort_block_merge_config_selectorIiNS0_10empty_typeEEEZZNS1_27merge_sort_block_merge_implIS3_N6thrust23THRUST_200600_302600_NS6detail15normal_iteratorINS9_10device_ptrIiEEEEPS5_jNS1_19radix_merge_compareILb0ELb1EiNS0_19identity_decomposerEEEEE10hipError_tT0_T1_T2_jT3_P12ihipStream_tbPNSt15iterator_traitsISK_E10value_typeEPNSQ_ISL_E10value_typeEPSM_NS1_7vsmem_tEENKUlT_SK_SL_SM_E_clIPiSE_SF_SF_EESJ_SZ_SK_SL_SM_EUlSZ_E1_NS1_11comp_targetILNS1_3genE2ELNS1_11target_archE906ELNS1_3gpuE6ELNS1_3repE0EEENS1_36merge_oddeven_config_static_selectorELNS0_4arch9wavefront6targetE0EEEvSL_.has_indirect_call, 0
	.section	.AMDGPU.csdata,"",@progbits
; Kernel info:
; codeLenInByte = 0
; TotalNumSgprs: 0
; NumVgprs: 0
; ScratchSize: 0
; MemoryBound: 0
; FloatMode: 240
; IeeeMode: 1
; LDSByteSize: 0 bytes/workgroup (compile time only)
; SGPRBlocks: 0
; VGPRBlocks: 0
; NumSGPRsForWavesPerEU: 1
; NumVGPRsForWavesPerEU: 1
; Occupancy: 16
; WaveLimiterHint : 0
; COMPUTE_PGM_RSRC2:SCRATCH_EN: 0
; COMPUTE_PGM_RSRC2:USER_SGPR: 6
; COMPUTE_PGM_RSRC2:TRAP_HANDLER: 0
; COMPUTE_PGM_RSRC2:TGID_X_EN: 1
; COMPUTE_PGM_RSRC2:TGID_Y_EN: 0
; COMPUTE_PGM_RSRC2:TGID_Z_EN: 0
; COMPUTE_PGM_RSRC2:TIDIG_COMP_CNT: 0
	.section	.text._ZN7rocprim17ROCPRIM_400000_NS6detail17trampoline_kernelINS0_14default_configENS1_38merge_sort_block_merge_config_selectorIiNS0_10empty_typeEEEZZNS1_27merge_sort_block_merge_implIS3_N6thrust23THRUST_200600_302600_NS6detail15normal_iteratorINS9_10device_ptrIiEEEEPS5_jNS1_19radix_merge_compareILb0ELb1EiNS0_19identity_decomposerEEEEE10hipError_tT0_T1_T2_jT3_P12ihipStream_tbPNSt15iterator_traitsISK_E10value_typeEPNSQ_ISL_E10value_typeEPSM_NS1_7vsmem_tEENKUlT_SK_SL_SM_E_clIPiSE_SF_SF_EESJ_SZ_SK_SL_SM_EUlSZ_E1_NS1_11comp_targetILNS1_3genE9ELNS1_11target_archE1100ELNS1_3gpuE3ELNS1_3repE0EEENS1_36merge_oddeven_config_static_selectorELNS0_4arch9wavefront6targetE0EEEvSL_,"axG",@progbits,_ZN7rocprim17ROCPRIM_400000_NS6detail17trampoline_kernelINS0_14default_configENS1_38merge_sort_block_merge_config_selectorIiNS0_10empty_typeEEEZZNS1_27merge_sort_block_merge_implIS3_N6thrust23THRUST_200600_302600_NS6detail15normal_iteratorINS9_10device_ptrIiEEEEPS5_jNS1_19radix_merge_compareILb0ELb1EiNS0_19identity_decomposerEEEEE10hipError_tT0_T1_T2_jT3_P12ihipStream_tbPNSt15iterator_traitsISK_E10value_typeEPNSQ_ISL_E10value_typeEPSM_NS1_7vsmem_tEENKUlT_SK_SL_SM_E_clIPiSE_SF_SF_EESJ_SZ_SK_SL_SM_EUlSZ_E1_NS1_11comp_targetILNS1_3genE9ELNS1_11target_archE1100ELNS1_3gpuE3ELNS1_3repE0EEENS1_36merge_oddeven_config_static_selectorELNS0_4arch9wavefront6targetE0EEEvSL_,comdat
	.protected	_ZN7rocprim17ROCPRIM_400000_NS6detail17trampoline_kernelINS0_14default_configENS1_38merge_sort_block_merge_config_selectorIiNS0_10empty_typeEEEZZNS1_27merge_sort_block_merge_implIS3_N6thrust23THRUST_200600_302600_NS6detail15normal_iteratorINS9_10device_ptrIiEEEEPS5_jNS1_19radix_merge_compareILb0ELb1EiNS0_19identity_decomposerEEEEE10hipError_tT0_T1_T2_jT3_P12ihipStream_tbPNSt15iterator_traitsISK_E10value_typeEPNSQ_ISL_E10value_typeEPSM_NS1_7vsmem_tEENKUlT_SK_SL_SM_E_clIPiSE_SF_SF_EESJ_SZ_SK_SL_SM_EUlSZ_E1_NS1_11comp_targetILNS1_3genE9ELNS1_11target_archE1100ELNS1_3gpuE3ELNS1_3repE0EEENS1_36merge_oddeven_config_static_selectorELNS0_4arch9wavefront6targetE0EEEvSL_ ; -- Begin function _ZN7rocprim17ROCPRIM_400000_NS6detail17trampoline_kernelINS0_14default_configENS1_38merge_sort_block_merge_config_selectorIiNS0_10empty_typeEEEZZNS1_27merge_sort_block_merge_implIS3_N6thrust23THRUST_200600_302600_NS6detail15normal_iteratorINS9_10device_ptrIiEEEEPS5_jNS1_19radix_merge_compareILb0ELb1EiNS0_19identity_decomposerEEEEE10hipError_tT0_T1_T2_jT3_P12ihipStream_tbPNSt15iterator_traitsISK_E10value_typeEPNSQ_ISL_E10value_typeEPSM_NS1_7vsmem_tEENKUlT_SK_SL_SM_E_clIPiSE_SF_SF_EESJ_SZ_SK_SL_SM_EUlSZ_E1_NS1_11comp_targetILNS1_3genE9ELNS1_11target_archE1100ELNS1_3gpuE3ELNS1_3repE0EEENS1_36merge_oddeven_config_static_selectorELNS0_4arch9wavefront6targetE0EEEvSL_
	.globl	_ZN7rocprim17ROCPRIM_400000_NS6detail17trampoline_kernelINS0_14default_configENS1_38merge_sort_block_merge_config_selectorIiNS0_10empty_typeEEEZZNS1_27merge_sort_block_merge_implIS3_N6thrust23THRUST_200600_302600_NS6detail15normal_iteratorINS9_10device_ptrIiEEEEPS5_jNS1_19radix_merge_compareILb0ELb1EiNS0_19identity_decomposerEEEEE10hipError_tT0_T1_T2_jT3_P12ihipStream_tbPNSt15iterator_traitsISK_E10value_typeEPNSQ_ISL_E10value_typeEPSM_NS1_7vsmem_tEENKUlT_SK_SL_SM_E_clIPiSE_SF_SF_EESJ_SZ_SK_SL_SM_EUlSZ_E1_NS1_11comp_targetILNS1_3genE9ELNS1_11target_archE1100ELNS1_3gpuE3ELNS1_3repE0EEENS1_36merge_oddeven_config_static_selectorELNS0_4arch9wavefront6targetE0EEEvSL_
	.p2align	8
	.type	_ZN7rocprim17ROCPRIM_400000_NS6detail17trampoline_kernelINS0_14default_configENS1_38merge_sort_block_merge_config_selectorIiNS0_10empty_typeEEEZZNS1_27merge_sort_block_merge_implIS3_N6thrust23THRUST_200600_302600_NS6detail15normal_iteratorINS9_10device_ptrIiEEEEPS5_jNS1_19radix_merge_compareILb0ELb1EiNS0_19identity_decomposerEEEEE10hipError_tT0_T1_T2_jT3_P12ihipStream_tbPNSt15iterator_traitsISK_E10value_typeEPNSQ_ISL_E10value_typeEPSM_NS1_7vsmem_tEENKUlT_SK_SL_SM_E_clIPiSE_SF_SF_EESJ_SZ_SK_SL_SM_EUlSZ_E1_NS1_11comp_targetILNS1_3genE9ELNS1_11target_archE1100ELNS1_3gpuE3ELNS1_3repE0EEENS1_36merge_oddeven_config_static_selectorELNS0_4arch9wavefront6targetE0EEEvSL_,@function
_ZN7rocprim17ROCPRIM_400000_NS6detail17trampoline_kernelINS0_14default_configENS1_38merge_sort_block_merge_config_selectorIiNS0_10empty_typeEEEZZNS1_27merge_sort_block_merge_implIS3_N6thrust23THRUST_200600_302600_NS6detail15normal_iteratorINS9_10device_ptrIiEEEEPS5_jNS1_19radix_merge_compareILb0ELb1EiNS0_19identity_decomposerEEEEE10hipError_tT0_T1_T2_jT3_P12ihipStream_tbPNSt15iterator_traitsISK_E10value_typeEPNSQ_ISL_E10value_typeEPSM_NS1_7vsmem_tEENKUlT_SK_SL_SM_E_clIPiSE_SF_SF_EESJ_SZ_SK_SL_SM_EUlSZ_E1_NS1_11comp_targetILNS1_3genE9ELNS1_11target_archE1100ELNS1_3gpuE3ELNS1_3repE0EEENS1_36merge_oddeven_config_static_selectorELNS0_4arch9wavefront6targetE0EEEvSL_: ; @_ZN7rocprim17ROCPRIM_400000_NS6detail17trampoline_kernelINS0_14default_configENS1_38merge_sort_block_merge_config_selectorIiNS0_10empty_typeEEEZZNS1_27merge_sort_block_merge_implIS3_N6thrust23THRUST_200600_302600_NS6detail15normal_iteratorINS9_10device_ptrIiEEEEPS5_jNS1_19radix_merge_compareILb0ELb1EiNS0_19identity_decomposerEEEEE10hipError_tT0_T1_T2_jT3_P12ihipStream_tbPNSt15iterator_traitsISK_E10value_typeEPNSQ_ISL_E10value_typeEPSM_NS1_7vsmem_tEENKUlT_SK_SL_SM_E_clIPiSE_SF_SF_EESJ_SZ_SK_SL_SM_EUlSZ_E1_NS1_11comp_targetILNS1_3genE9ELNS1_11target_archE1100ELNS1_3gpuE3ELNS1_3repE0EEENS1_36merge_oddeven_config_static_selectorELNS0_4arch9wavefront6targetE0EEEvSL_
; %bb.0:
	.section	.rodata,"a",@progbits
	.p2align	6, 0x0
	.amdhsa_kernel _ZN7rocprim17ROCPRIM_400000_NS6detail17trampoline_kernelINS0_14default_configENS1_38merge_sort_block_merge_config_selectorIiNS0_10empty_typeEEEZZNS1_27merge_sort_block_merge_implIS3_N6thrust23THRUST_200600_302600_NS6detail15normal_iteratorINS9_10device_ptrIiEEEEPS5_jNS1_19radix_merge_compareILb0ELb1EiNS0_19identity_decomposerEEEEE10hipError_tT0_T1_T2_jT3_P12ihipStream_tbPNSt15iterator_traitsISK_E10value_typeEPNSQ_ISL_E10value_typeEPSM_NS1_7vsmem_tEENKUlT_SK_SL_SM_E_clIPiSE_SF_SF_EESJ_SZ_SK_SL_SM_EUlSZ_E1_NS1_11comp_targetILNS1_3genE9ELNS1_11target_archE1100ELNS1_3gpuE3ELNS1_3repE0EEENS1_36merge_oddeven_config_static_selectorELNS0_4arch9wavefront6targetE0EEEvSL_
		.amdhsa_group_segment_fixed_size 0
		.amdhsa_private_segment_fixed_size 0
		.amdhsa_kernarg_size 48
		.amdhsa_user_sgpr_count 6
		.amdhsa_user_sgpr_private_segment_buffer 1
		.amdhsa_user_sgpr_dispatch_ptr 0
		.amdhsa_user_sgpr_queue_ptr 0
		.amdhsa_user_sgpr_kernarg_segment_ptr 1
		.amdhsa_user_sgpr_dispatch_id 0
		.amdhsa_user_sgpr_flat_scratch_init 0
		.amdhsa_user_sgpr_private_segment_size 0
		.amdhsa_wavefront_size32 1
		.amdhsa_uses_dynamic_stack 0
		.amdhsa_system_sgpr_private_segment_wavefront_offset 0
		.amdhsa_system_sgpr_workgroup_id_x 1
		.amdhsa_system_sgpr_workgroup_id_y 0
		.amdhsa_system_sgpr_workgroup_id_z 0
		.amdhsa_system_sgpr_workgroup_info 0
		.amdhsa_system_vgpr_workitem_id 0
		.amdhsa_next_free_vgpr 1
		.amdhsa_next_free_sgpr 1
		.amdhsa_reserve_vcc 0
		.amdhsa_reserve_flat_scratch 0
		.amdhsa_float_round_mode_32 0
		.amdhsa_float_round_mode_16_64 0
		.amdhsa_float_denorm_mode_32 3
		.amdhsa_float_denorm_mode_16_64 3
		.amdhsa_dx10_clamp 1
		.amdhsa_ieee_mode 1
		.amdhsa_fp16_overflow 0
		.amdhsa_workgroup_processor_mode 1
		.amdhsa_memory_ordered 1
		.amdhsa_forward_progress 1
		.amdhsa_shared_vgpr_count 0
		.amdhsa_exception_fp_ieee_invalid_op 0
		.amdhsa_exception_fp_denorm_src 0
		.amdhsa_exception_fp_ieee_div_zero 0
		.amdhsa_exception_fp_ieee_overflow 0
		.amdhsa_exception_fp_ieee_underflow 0
		.amdhsa_exception_fp_ieee_inexact 0
		.amdhsa_exception_int_div_zero 0
	.end_amdhsa_kernel
	.section	.text._ZN7rocprim17ROCPRIM_400000_NS6detail17trampoline_kernelINS0_14default_configENS1_38merge_sort_block_merge_config_selectorIiNS0_10empty_typeEEEZZNS1_27merge_sort_block_merge_implIS3_N6thrust23THRUST_200600_302600_NS6detail15normal_iteratorINS9_10device_ptrIiEEEEPS5_jNS1_19radix_merge_compareILb0ELb1EiNS0_19identity_decomposerEEEEE10hipError_tT0_T1_T2_jT3_P12ihipStream_tbPNSt15iterator_traitsISK_E10value_typeEPNSQ_ISL_E10value_typeEPSM_NS1_7vsmem_tEENKUlT_SK_SL_SM_E_clIPiSE_SF_SF_EESJ_SZ_SK_SL_SM_EUlSZ_E1_NS1_11comp_targetILNS1_3genE9ELNS1_11target_archE1100ELNS1_3gpuE3ELNS1_3repE0EEENS1_36merge_oddeven_config_static_selectorELNS0_4arch9wavefront6targetE0EEEvSL_,"axG",@progbits,_ZN7rocprim17ROCPRIM_400000_NS6detail17trampoline_kernelINS0_14default_configENS1_38merge_sort_block_merge_config_selectorIiNS0_10empty_typeEEEZZNS1_27merge_sort_block_merge_implIS3_N6thrust23THRUST_200600_302600_NS6detail15normal_iteratorINS9_10device_ptrIiEEEEPS5_jNS1_19radix_merge_compareILb0ELb1EiNS0_19identity_decomposerEEEEE10hipError_tT0_T1_T2_jT3_P12ihipStream_tbPNSt15iterator_traitsISK_E10value_typeEPNSQ_ISL_E10value_typeEPSM_NS1_7vsmem_tEENKUlT_SK_SL_SM_E_clIPiSE_SF_SF_EESJ_SZ_SK_SL_SM_EUlSZ_E1_NS1_11comp_targetILNS1_3genE9ELNS1_11target_archE1100ELNS1_3gpuE3ELNS1_3repE0EEENS1_36merge_oddeven_config_static_selectorELNS0_4arch9wavefront6targetE0EEEvSL_,comdat
.Lfunc_end106:
	.size	_ZN7rocprim17ROCPRIM_400000_NS6detail17trampoline_kernelINS0_14default_configENS1_38merge_sort_block_merge_config_selectorIiNS0_10empty_typeEEEZZNS1_27merge_sort_block_merge_implIS3_N6thrust23THRUST_200600_302600_NS6detail15normal_iteratorINS9_10device_ptrIiEEEEPS5_jNS1_19radix_merge_compareILb0ELb1EiNS0_19identity_decomposerEEEEE10hipError_tT0_T1_T2_jT3_P12ihipStream_tbPNSt15iterator_traitsISK_E10value_typeEPNSQ_ISL_E10value_typeEPSM_NS1_7vsmem_tEENKUlT_SK_SL_SM_E_clIPiSE_SF_SF_EESJ_SZ_SK_SL_SM_EUlSZ_E1_NS1_11comp_targetILNS1_3genE9ELNS1_11target_archE1100ELNS1_3gpuE3ELNS1_3repE0EEENS1_36merge_oddeven_config_static_selectorELNS0_4arch9wavefront6targetE0EEEvSL_, .Lfunc_end106-_ZN7rocprim17ROCPRIM_400000_NS6detail17trampoline_kernelINS0_14default_configENS1_38merge_sort_block_merge_config_selectorIiNS0_10empty_typeEEEZZNS1_27merge_sort_block_merge_implIS3_N6thrust23THRUST_200600_302600_NS6detail15normal_iteratorINS9_10device_ptrIiEEEEPS5_jNS1_19radix_merge_compareILb0ELb1EiNS0_19identity_decomposerEEEEE10hipError_tT0_T1_T2_jT3_P12ihipStream_tbPNSt15iterator_traitsISK_E10value_typeEPNSQ_ISL_E10value_typeEPSM_NS1_7vsmem_tEENKUlT_SK_SL_SM_E_clIPiSE_SF_SF_EESJ_SZ_SK_SL_SM_EUlSZ_E1_NS1_11comp_targetILNS1_3genE9ELNS1_11target_archE1100ELNS1_3gpuE3ELNS1_3repE0EEENS1_36merge_oddeven_config_static_selectorELNS0_4arch9wavefront6targetE0EEEvSL_
                                        ; -- End function
	.set _ZN7rocprim17ROCPRIM_400000_NS6detail17trampoline_kernelINS0_14default_configENS1_38merge_sort_block_merge_config_selectorIiNS0_10empty_typeEEEZZNS1_27merge_sort_block_merge_implIS3_N6thrust23THRUST_200600_302600_NS6detail15normal_iteratorINS9_10device_ptrIiEEEEPS5_jNS1_19radix_merge_compareILb0ELb1EiNS0_19identity_decomposerEEEEE10hipError_tT0_T1_T2_jT3_P12ihipStream_tbPNSt15iterator_traitsISK_E10value_typeEPNSQ_ISL_E10value_typeEPSM_NS1_7vsmem_tEENKUlT_SK_SL_SM_E_clIPiSE_SF_SF_EESJ_SZ_SK_SL_SM_EUlSZ_E1_NS1_11comp_targetILNS1_3genE9ELNS1_11target_archE1100ELNS1_3gpuE3ELNS1_3repE0EEENS1_36merge_oddeven_config_static_selectorELNS0_4arch9wavefront6targetE0EEEvSL_.num_vgpr, 0
	.set _ZN7rocprim17ROCPRIM_400000_NS6detail17trampoline_kernelINS0_14default_configENS1_38merge_sort_block_merge_config_selectorIiNS0_10empty_typeEEEZZNS1_27merge_sort_block_merge_implIS3_N6thrust23THRUST_200600_302600_NS6detail15normal_iteratorINS9_10device_ptrIiEEEEPS5_jNS1_19radix_merge_compareILb0ELb1EiNS0_19identity_decomposerEEEEE10hipError_tT0_T1_T2_jT3_P12ihipStream_tbPNSt15iterator_traitsISK_E10value_typeEPNSQ_ISL_E10value_typeEPSM_NS1_7vsmem_tEENKUlT_SK_SL_SM_E_clIPiSE_SF_SF_EESJ_SZ_SK_SL_SM_EUlSZ_E1_NS1_11comp_targetILNS1_3genE9ELNS1_11target_archE1100ELNS1_3gpuE3ELNS1_3repE0EEENS1_36merge_oddeven_config_static_selectorELNS0_4arch9wavefront6targetE0EEEvSL_.num_agpr, 0
	.set _ZN7rocprim17ROCPRIM_400000_NS6detail17trampoline_kernelINS0_14default_configENS1_38merge_sort_block_merge_config_selectorIiNS0_10empty_typeEEEZZNS1_27merge_sort_block_merge_implIS3_N6thrust23THRUST_200600_302600_NS6detail15normal_iteratorINS9_10device_ptrIiEEEEPS5_jNS1_19radix_merge_compareILb0ELb1EiNS0_19identity_decomposerEEEEE10hipError_tT0_T1_T2_jT3_P12ihipStream_tbPNSt15iterator_traitsISK_E10value_typeEPNSQ_ISL_E10value_typeEPSM_NS1_7vsmem_tEENKUlT_SK_SL_SM_E_clIPiSE_SF_SF_EESJ_SZ_SK_SL_SM_EUlSZ_E1_NS1_11comp_targetILNS1_3genE9ELNS1_11target_archE1100ELNS1_3gpuE3ELNS1_3repE0EEENS1_36merge_oddeven_config_static_selectorELNS0_4arch9wavefront6targetE0EEEvSL_.numbered_sgpr, 0
	.set _ZN7rocprim17ROCPRIM_400000_NS6detail17trampoline_kernelINS0_14default_configENS1_38merge_sort_block_merge_config_selectorIiNS0_10empty_typeEEEZZNS1_27merge_sort_block_merge_implIS3_N6thrust23THRUST_200600_302600_NS6detail15normal_iteratorINS9_10device_ptrIiEEEEPS5_jNS1_19radix_merge_compareILb0ELb1EiNS0_19identity_decomposerEEEEE10hipError_tT0_T1_T2_jT3_P12ihipStream_tbPNSt15iterator_traitsISK_E10value_typeEPNSQ_ISL_E10value_typeEPSM_NS1_7vsmem_tEENKUlT_SK_SL_SM_E_clIPiSE_SF_SF_EESJ_SZ_SK_SL_SM_EUlSZ_E1_NS1_11comp_targetILNS1_3genE9ELNS1_11target_archE1100ELNS1_3gpuE3ELNS1_3repE0EEENS1_36merge_oddeven_config_static_selectorELNS0_4arch9wavefront6targetE0EEEvSL_.num_named_barrier, 0
	.set _ZN7rocprim17ROCPRIM_400000_NS6detail17trampoline_kernelINS0_14default_configENS1_38merge_sort_block_merge_config_selectorIiNS0_10empty_typeEEEZZNS1_27merge_sort_block_merge_implIS3_N6thrust23THRUST_200600_302600_NS6detail15normal_iteratorINS9_10device_ptrIiEEEEPS5_jNS1_19radix_merge_compareILb0ELb1EiNS0_19identity_decomposerEEEEE10hipError_tT0_T1_T2_jT3_P12ihipStream_tbPNSt15iterator_traitsISK_E10value_typeEPNSQ_ISL_E10value_typeEPSM_NS1_7vsmem_tEENKUlT_SK_SL_SM_E_clIPiSE_SF_SF_EESJ_SZ_SK_SL_SM_EUlSZ_E1_NS1_11comp_targetILNS1_3genE9ELNS1_11target_archE1100ELNS1_3gpuE3ELNS1_3repE0EEENS1_36merge_oddeven_config_static_selectorELNS0_4arch9wavefront6targetE0EEEvSL_.private_seg_size, 0
	.set _ZN7rocprim17ROCPRIM_400000_NS6detail17trampoline_kernelINS0_14default_configENS1_38merge_sort_block_merge_config_selectorIiNS0_10empty_typeEEEZZNS1_27merge_sort_block_merge_implIS3_N6thrust23THRUST_200600_302600_NS6detail15normal_iteratorINS9_10device_ptrIiEEEEPS5_jNS1_19radix_merge_compareILb0ELb1EiNS0_19identity_decomposerEEEEE10hipError_tT0_T1_T2_jT3_P12ihipStream_tbPNSt15iterator_traitsISK_E10value_typeEPNSQ_ISL_E10value_typeEPSM_NS1_7vsmem_tEENKUlT_SK_SL_SM_E_clIPiSE_SF_SF_EESJ_SZ_SK_SL_SM_EUlSZ_E1_NS1_11comp_targetILNS1_3genE9ELNS1_11target_archE1100ELNS1_3gpuE3ELNS1_3repE0EEENS1_36merge_oddeven_config_static_selectorELNS0_4arch9wavefront6targetE0EEEvSL_.uses_vcc, 0
	.set _ZN7rocprim17ROCPRIM_400000_NS6detail17trampoline_kernelINS0_14default_configENS1_38merge_sort_block_merge_config_selectorIiNS0_10empty_typeEEEZZNS1_27merge_sort_block_merge_implIS3_N6thrust23THRUST_200600_302600_NS6detail15normal_iteratorINS9_10device_ptrIiEEEEPS5_jNS1_19radix_merge_compareILb0ELb1EiNS0_19identity_decomposerEEEEE10hipError_tT0_T1_T2_jT3_P12ihipStream_tbPNSt15iterator_traitsISK_E10value_typeEPNSQ_ISL_E10value_typeEPSM_NS1_7vsmem_tEENKUlT_SK_SL_SM_E_clIPiSE_SF_SF_EESJ_SZ_SK_SL_SM_EUlSZ_E1_NS1_11comp_targetILNS1_3genE9ELNS1_11target_archE1100ELNS1_3gpuE3ELNS1_3repE0EEENS1_36merge_oddeven_config_static_selectorELNS0_4arch9wavefront6targetE0EEEvSL_.uses_flat_scratch, 0
	.set _ZN7rocprim17ROCPRIM_400000_NS6detail17trampoline_kernelINS0_14default_configENS1_38merge_sort_block_merge_config_selectorIiNS0_10empty_typeEEEZZNS1_27merge_sort_block_merge_implIS3_N6thrust23THRUST_200600_302600_NS6detail15normal_iteratorINS9_10device_ptrIiEEEEPS5_jNS1_19radix_merge_compareILb0ELb1EiNS0_19identity_decomposerEEEEE10hipError_tT0_T1_T2_jT3_P12ihipStream_tbPNSt15iterator_traitsISK_E10value_typeEPNSQ_ISL_E10value_typeEPSM_NS1_7vsmem_tEENKUlT_SK_SL_SM_E_clIPiSE_SF_SF_EESJ_SZ_SK_SL_SM_EUlSZ_E1_NS1_11comp_targetILNS1_3genE9ELNS1_11target_archE1100ELNS1_3gpuE3ELNS1_3repE0EEENS1_36merge_oddeven_config_static_selectorELNS0_4arch9wavefront6targetE0EEEvSL_.has_dyn_sized_stack, 0
	.set _ZN7rocprim17ROCPRIM_400000_NS6detail17trampoline_kernelINS0_14default_configENS1_38merge_sort_block_merge_config_selectorIiNS0_10empty_typeEEEZZNS1_27merge_sort_block_merge_implIS3_N6thrust23THRUST_200600_302600_NS6detail15normal_iteratorINS9_10device_ptrIiEEEEPS5_jNS1_19radix_merge_compareILb0ELb1EiNS0_19identity_decomposerEEEEE10hipError_tT0_T1_T2_jT3_P12ihipStream_tbPNSt15iterator_traitsISK_E10value_typeEPNSQ_ISL_E10value_typeEPSM_NS1_7vsmem_tEENKUlT_SK_SL_SM_E_clIPiSE_SF_SF_EESJ_SZ_SK_SL_SM_EUlSZ_E1_NS1_11comp_targetILNS1_3genE9ELNS1_11target_archE1100ELNS1_3gpuE3ELNS1_3repE0EEENS1_36merge_oddeven_config_static_selectorELNS0_4arch9wavefront6targetE0EEEvSL_.has_recursion, 0
	.set _ZN7rocprim17ROCPRIM_400000_NS6detail17trampoline_kernelINS0_14default_configENS1_38merge_sort_block_merge_config_selectorIiNS0_10empty_typeEEEZZNS1_27merge_sort_block_merge_implIS3_N6thrust23THRUST_200600_302600_NS6detail15normal_iteratorINS9_10device_ptrIiEEEEPS5_jNS1_19radix_merge_compareILb0ELb1EiNS0_19identity_decomposerEEEEE10hipError_tT0_T1_T2_jT3_P12ihipStream_tbPNSt15iterator_traitsISK_E10value_typeEPNSQ_ISL_E10value_typeEPSM_NS1_7vsmem_tEENKUlT_SK_SL_SM_E_clIPiSE_SF_SF_EESJ_SZ_SK_SL_SM_EUlSZ_E1_NS1_11comp_targetILNS1_3genE9ELNS1_11target_archE1100ELNS1_3gpuE3ELNS1_3repE0EEENS1_36merge_oddeven_config_static_selectorELNS0_4arch9wavefront6targetE0EEEvSL_.has_indirect_call, 0
	.section	.AMDGPU.csdata,"",@progbits
; Kernel info:
; codeLenInByte = 0
; TotalNumSgprs: 0
; NumVgprs: 0
; ScratchSize: 0
; MemoryBound: 0
; FloatMode: 240
; IeeeMode: 1
; LDSByteSize: 0 bytes/workgroup (compile time only)
; SGPRBlocks: 0
; VGPRBlocks: 0
; NumSGPRsForWavesPerEU: 1
; NumVGPRsForWavesPerEU: 1
; Occupancy: 16
; WaveLimiterHint : 0
; COMPUTE_PGM_RSRC2:SCRATCH_EN: 0
; COMPUTE_PGM_RSRC2:USER_SGPR: 6
; COMPUTE_PGM_RSRC2:TRAP_HANDLER: 0
; COMPUTE_PGM_RSRC2:TGID_X_EN: 1
; COMPUTE_PGM_RSRC2:TGID_Y_EN: 0
; COMPUTE_PGM_RSRC2:TGID_Z_EN: 0
; COMPUTE_PGM_RSRC2:TIDIG_COMP_CNT: 0
	.section	.text._ZN7rocprim17ROCPRIM_400000_NS6detail17trampoline_kernelINS0_14default_configENS1_38merge_sort_block_merge_config_selectorIiNS0_10empty_typeEEEZZNS1_27merge_sort_block_merge_implIS3_N6thrust23THRUST_200600_302600_NS6detail15normal_iteratorINS9_10device_ptrIiEEEEPS5_jNS1_19radix_merge_compareILb0ELb1EiNS0_19identity_decomposerEEEEE10hipError_tT0_T1_T2_jT3_P12ihipStream_tbPNSt15iterator_traitsISK_E10value_typeEPNSQ_ISL_E10value_typeEPSM_NS1_7vsmem_tEENKUlT_SK_SL_SM_E_clIPiSE_SF_SF_EESJ_SZ_SK_SL_SM_EUlSZ_E1_NS1_11comp_targetILNS1_3genE8ELNS1_11target_archE1030ELNS1_3gpuE2ELNS1_3repE0EEENS1_36merge_oddeven_config_static_selectorELNS0_4arch9wavefront6targetE0EEEvSL_,"axG",@progbits,_ZN7rocprim17ROCPRIM_400000_NS6detail17trampoline_kernelINS0_14default_configENS1_38merge_sort_block_merge_config_selectorIiNS0_10empty_typeEEEZZNS1_27merge_sort_block_merge_implIS3_N6thrust23THRUST_200600_302600_NS6detail15normal_iteratorINS9_10device_ptrIiEEEEPS5_jNS1_19radix_merge_compareILb0ELb1EiNS0_19identity_decomposerEEEEE10hipError_tT0_T1_T2_jT3_P12ihipStream_tbPNSt15iterator_traitsISK_E10value_typeEPNSQ_ISL_E10value_typeEPSM_NS1_7vsmem_tEENKUlT_SK_SL_SM_E_clIPiSE_SF_SF_EESJ_SZ_SK_SL_SM_EUlSZ_E1_NS1_11comp_targetILNS1_3genE8ELNS1_11target_archE1030ELNS1_3gpuE2ELNS1_3repE0EEENS1_36merge_oddeven_config_static_selectorELNS0_4arch9wavefront6targetE0EEEvSL_,comdat
	.protected	_ZN7rocprim17ROCPRIM_400000_NS6detail17trampoline_kernelINS0_14default_configENS1_38merge_sort_block_merge_config_selectorIiNS0_10empty_typeEEEZZNS1_27merge_sort_block_merge_implIS3_N6thrust23THRUST_200600_302600_NS6detail15normal_iteratorINS9_10device_ptrIiEEEEPS5_jNS1_19radix_merge_compareILb0ELb1EiNS0_19identity_decomposerEEEEE10hipError_tT0_T1_T2_jT3_P12ihipStream_tbPNSt15iterator_traitsISK_E10value_typeEPNSQ_ISL_E10value_typeEPSM_NS1_7vsmem_tEENKUlT_SK_SL_SM_E_clIPiSE_SF_SF_EESJ_SZ_SK_SL_SM_EUlSZ_E1_NS1_11comp_targetILNS1_3genE8ELNS1_11target_archE1030ELNS1_3gpuE2ELNS1_3repE0EEENS1_36merge_oddeven_config_static_selectorELNS0_4arch9wavefront6targetE0EEEvSL_ ; -- Begin function _ZN7rocprim17ROCPRIM_400000_NS6detail17trampoline_kernelINS0_14default_configENS1_38merge_sort_block_merge_config_selectorIiNS0_10empty_typeEEEZZNS1_27merge_sort_block_merge_implIS3_N6thrust23THRUST_200600_302600_NS6detail15normal_iteratorINS9_10device_ptrIiEEEEPS5_jNS1_19radix_merge_compareILb0ELb1EiNS0_19identity_decomposerEEEEE10hipError_tT0_T1_T2_jT3_P12ihipStream_tbPNSt15iterator_traitsISK_E10value_typeEPNSQ_ISL_E10value_typeEPSM_NS1_7vsmem_tEENKUlT_SK_SL_SM_E_clIPiSE_SF_SF_EESJ_SZ_SK_SL_SM_EUlSZ_E1_NS1_11comp_targetILNS1_3genE8ELNS1_11target_archE1030ELNS1_3gpuE2ELNS1_3repE0EEENS1_36merge_oddeven_config_static_selectorELNS0_4arch9wavefront6targetE0EEEvSL_
	.globl	_ZN7rocprim17ROCPRIM_400000_NS6detail17trampoline_kernelINS0_14default_configENS1_38merge_sort_block_merge_config_selectorIiNS0_10empty_typeEEEZZNS1_27merge_sort_block_merge_implIS3_N6thrust23THRUST_200600_302600_NS6detail15normal_iteratorINS9_10device_ptrIiEEEEPS5_jNS1_19radix_merge_compareILb0ELb1EiNS0_19identity_decomposerEEEEE10hipError_tT0_T1_T2_jT3_P12ihipStream_tbPNSt15iterator_traitsISK_E10value_typeEPNSQ_ISL_E10value_typeEPSM_NS1_7vsmem_tEENKUlT_SK_SL_SM_E_clIPiSE_SF_SF_EESJ_SZ_SK_SL_SM_EUlSZ_E1_NS1_11comp_targetILNS1_3genE8ELNS1_11target_archE1030ELNS1_3gpuE2ELNS1_3repE0EEENS1_36merge_oddeven_config_static_selectorELNS0_4arch9wavefront6targetE0EEEvSL_
	.p2align	8
	.type	_ZN7rocprim17ROCPRIM_400000_NS6detail17trampoline_kernelINS0_14default_configENS1_38merge_sort_block_merge_config_selectorIiNS0_10empty_typeEEEZZNS1_27merge_sort_block_merge_implIS3_N6thrust23THRUST_200600_302600_NS6detail15normal_iteratorINS9_10device_ptrIiEEEEPS5_jNS1_19radix_merge_compareILb0ELb1EiNS0_19identity_decomposerEEEEE10hipError_tT0_T1_T2_jT3_P12ihipStream_tbPNSt15iterator_traitsISK_E10value_typeEPNSQ_ISL_E10value_typeEPSM_NS1_7vsmem_tEENKUlT_SK_SL_SM_E_clIPiSE_SF_SF_EESJ_SZ_SK_SL_SM_EUlSZ_E1_NS1_11comp_targetILNS1_3genE8ELNS1_11target_archE1030ELNS1_3gpuE2ELNS1_3repE0EEENS1_36merge_oddeven_config_static_selectorELNS0_4arch9wavefront6targetE0EEEvSL_,@function
_ZN7rocprim17ROCPRIM_400000_NS6detail17trampoline_kernelINS0_14default_configENS1_38merge_sort_block_merge_config_selectorIiNS0_10empty_typeEEEZZNS1_27merge_sort_block_merge_implIS3_N6thrust23THRUST_200600_302600_NS6detail15normal_iteratorINS9_10device_ptrIiEEEEPS5_jNS1_19radix_merge_compareILb0ELb1EiNS0_19identity_decomposerEEEEE10hipError_tT0_T1_T2_jT3_P12ihipStream_tbPNSt15iterator_traitsISK_E10value_typeEPNSQ_ISL_E10value_typeEPSM_NS1_7vsmem_tEENKUlT_SK_SL_SM_E_clIPiSE_SF_SF_EESJ_SZ_SK_SL_SM_EUlSZ_E1_NS1_11comp_targetILNS1_3genE8ELNS1_11target_archE1030ELNS1_3gpuE2ELNS1_3repE0EEENS1_36merge_oddeven_config_static_selectorELNS0_4arch9wavefront6targetE0EEEvSL_: ; @_ZN7rocprim17ROCPRIM_400000_NS6detail17trampoline_kernelINS0_14default_configENS1_38merge_sort_block_merge_config_selectorIiNS0_10empty_typeEEEZZNS1_27merge_sort_block_merge_implIS3_N6thrust23THRUST_200600_302600_NS6detail15normal_iteratorINS9_10device_ptrIiEEEEPS5_jNS1_19radix_merge_compareILb0ELb1EiNS0_19identity_decomposerEEEEE10hipError_tT0_T1_T2_jT3_P12ihipStream_tbPNSt15iterator_traitsISK_E10value_typeEPNSQ_ISL_E10value_typeEPSM_NS1_7vsmem_tEENKUlT_SK_SL_SM_E_clIPiSE_SF_SF_EESJ_SZ_SK_SL_SM_EUlSZ_E1_NS1_11comp_targetILNS1_3genE8ELNS1_11target_archE1030ELNS1_3gpuE2ELNS1_3repE0EEENS1_36merge_oddeven_config_static_selectorELNS0_4arch9wavefront6targetE0EEEvSL_
; %bb.0:
	s_load_dword s7, s[4:5], 0x20
	s_waitcnt lgkmcnt(0)
	s_lshr_b32 s0, s7, 8
	s_cmp_lg_u32 s6, s0
	s_cselect_b32 s14, -1, 0
	s_cmp_eq_u32 s6, s0
	s_cselect_b32 s12, -1, 0
	s_lshl_b32 s2, s6, 8
	s_sub_i32 s0, s7, s2
	v_cmp_gt_u32_e64 s1, s0, v0
	s_or_b32 s0, s14, s1
	s_and_saveexec_b32 s3, s0
	s_cbranch_execz .LBB107_20
; %bb.1:
	s_clause 0x1
	s_load_dwordx4 s[8:11], s[4:5], 0x0
	s_load_dword s13, s[4:5], 0x24
	s_mov_b32 s3, 0
	v_lshlrev_b32_e32 v1, 2, v0
	s_lshl_b64 s[16:17], s[2:3], 2
	v_add_nc_u32_e32 v0, s2, v0
	s_waitcnt lgkmcnt(0)
	s_add_u32 s16, s8, s16
	s_addc_u32 s17, s9, s17
	s_lshr_b32 s0, s13, 8
	global_load_dword v2, v1, s[16:17]
	s_sub_i32 s15, 0, s0
	s_and_b32 s6, s6, s15
	s_and_b32 s0, s6, s0
	s_lshl_b32 s15, s6, 8
	s_sub_i32 s6, 0, s13
	s_cmp_eq_u32 s0, 0
	s_cselect_b32 s0, -1, 0
	s_and_b32 s16, s0, exec_lo
	s_cselect_b32 s6, s13, s6
	s_add_i32 s6, s6, s15
	s_cmp_gt_u32 s7, s6
	s_cbranch_scc1 .LBB107_3
; %bb.2:
	v_cmp_gt_u32_e32 vcc_lo, s7, v0
	s_or_b32 s3, vcc_lo, s14
	s_and_b32 s3, s3, exec_lo
	s_cbranch_execz .LBB107_4
	s_branch .LBB107_18
.LBB107_3:
.LBB107_4:
	s_load_dword s2, s[4:5], 0x28
	s_min_u32 s4, s6, s7
	s_and_b32 vcc_lo, exec_lo, s12
	s_add_i32 s5, s15, s4
	s_add_i32 s13, s4, s13
	v_subrev_nc_u32_e32 v0, s5, v0
	s_min_u32 s5, s15, s4
	v_add_nc_u32_e32 v3, s5, v0
	s_min_u32 s5, s13, s7
	s_waitcnt vmcnt(0) lgkmcnt(0)
	v_and_b32_e32 v4, s2, v2
	s_cbranch_vccz .LBB107_12
; %bb.5:
                                        ; implicit-def: $vgpr0
	s_and_saveexec_b32 s7, s1
	s_cbranch_execz .LBB107_11
; %bb.6:
	v_mov_b32_e32 v5, s4
	s_cmp_ge_u32 s6, s5
	s_cbranch_scc1 .LBB107_10
; %bb.7:
	v_mov_b32_e32 v6, s5
	v_mov_b32_e32 v5, s4
	;; [unrolled: 1-line block ×3, first 2 shown]
	s_mov_b32 s1, 0
	.p2align	6
.LBB107_8:                              ; =>This Inner Loop Header: Depth=1
	v_add_nc_u32_e32 v0, v5, v6
	v_lshrrev_b32_e32 v0, 1, v0
	v_lshlrev_b64 v[7:8], 2, v[0:1]
	v_add_co_u32 v7, vcc_lo, s8, v7
	v_add_co_ci_u32_e64 v8, null, s9, v8, vcc_lo
	global_load_dword v7, v[7:8], off
	s_waitcnt vmcnt(0)
	v_and_b32_e32 v7, s2, v7
	v_cmp_gt_i32_e32 vcc_lo, v4, v7
	v_cndmask_b32_e64 v8, 0, 1, vcc_lo
	v_cmp_le_i32_e32 vcc_lo, v7, v4
	v_cndmask_b32_e64 v7, 0, 1, vcc_lo
	v_cndmask_b32_e64 v7, v7, v8, s0
	v_add_nc_u32_e32 v8, 1, v0
	v_and_b32_e32 v7, 1, v7
	v_cmp_eq_u32_e32 vcc_lo, 1, v7
	v_cndmask_b32_e32 v6, v0, v6, vcc_lo
	v_cndmask_b32_e32 v5, v5, v8, vcc_lo
	v_cmp_ge_u32_e32 vcc_lo, v5, v6
	s_or_b32 s1, vcc_lo, s1
	s_andn2_b32 exec_lo, exec_lo, s1
	s_cbranch_execnz .LBB107_8
; %bb.9:
	s_or_b32 exec_lo, exec_lo, s1
.LBB107_10:
	v_add_nc_u32_e32 v0, v5, v3
	s_or_b32 s3, s3, exec_lo
.LBB107_11:
	s_or_b32 exec_lo, exec_lo, s7
	s_branch .LBB107_18
.LBB107_12:
                                        ; implicit-def: $vgpr0
	s_cbranch_execz .LBB107_18
; %bb.13:
	v_mov_b32_e32 v5, s4
	s_cmp_ge_u32 s6, s5
	s_cbranch_scc1 .LBB107_17
; %bb.14:
	v_mov_b32_e32 v6, s5
	v_mov_b32_e32 v5, s4
	;; [unrolled: 1-line block ×3, first 2 shown]
	s_mov_b32 s1, 0
	.p2align	6
.LBB107_15:                             ; =>This Inner Loop Header: Depth=1
	v_add_nc_u32_e32 v0, v5, v6
	v_lshrrev_b32_e32 v0, 1, v0
	v_lshlrev_b64 v[7:8], 2, v[0:1]
	v_add_co_u32 v7, vcc_lo, s8, v7
	v_add_co_ci_u32_e64 v8, null, s9, v8, vcc_lo
	global_load_dword v7, v[7:8], off
	s_waitcnt vmcnt(0)
	v_and_b32_e32 v7, s2, v7
	v_cmp_gt_i32_e32 vcc_lo, v4, v7
	v_cndmask_b32_e64 v8, 0, 1, vcc_lo
	v_cmp_le_i32_e32 vcc_lo, v7, v4
	v_cndmask_b32_e64 v7, 0, 1, vcc_lo
	v_cndmask_b32_e64 v7, v7, v8, s0
	v_add_nc_u32_e32 v8, 1, v0
	v_and_b32_e32 v7, 1, v7
	v_cmp_eq_u32_e32 vcc_lo, 1, v7
	v_cndmask_b32_e32 v6, v0, v6, vcc_lo
	v_cndmask_b32_e32 v5, v5, v8, vcc_lo
	v_cmp_ge_u32_e32 vcc_lo, v5, v6
	s_or_b32 s1, vcc_lo, s1
	s_andn2_b32 exec_lo, exec_lo, s1
	s_cbranch_execnz .LBB107_15
; %bb.16:
	s_or_b32 exec_lo, exec_lo, s1
.LBB107_17:
	v_add_nc_u32_e32 v0, v5, v3
	s_mov_b32 s3, -1
.LBB107_18:
	s_and_b32 exec_lo, exec_lo, s3
	s_cbranch_execz .LBB107_20
; %bb.19:
	v_mov_b32_e32 v1, 0
	v_lshlrev_b64 v[0:1], 2, v[0:1]
	v_add_co_u32 v0, vcc_lo, s10, v0
	v_add_co_ci_u32_e64 v1, null, s11, v1, vcc_lo
	s_waitcnt vmcnt(0)
	global_store_dword v[0:1], v2, off
.LBB107_20:
	s_endpgm
	.section	.rodata,"a",@progbits
	.p2align	6, 0x0
	.amdhsa_kernel _ZN7rocprim17ROCPRIM_400000_NS6detail17trampoline_kernelINS0_14default_configENS1_38merge_sort_block_merge_config_selectorIiNS0_10empty_typeEEEZZNS1_27merge_sort_block_merge_implIS3_N6thrust23THRUST_200600_302600_NS6detail15normal_iteratorINS9_10device_ptrIiEEEEPS5_jNS1_19radix_merge_compareILb0ELb1EiNS0_19identity_decomposerEEEEE10hipError_tT0_T1_T2_jT3_P12ihipStream_tbPNSt15iterator_traitsISK_E10value_typeEPNSQ_ISL_E10value_typeEPSM_NS1_7vsmem_tEENKUlT_SK_SL_SM_E_clIPiSE_SF_SF_EESJ_SZ_SK_SL_SM_EUlSZ_E1_NS1_11comp_targetILNS1_3genE8ELNS1_11target_archE1030ELNS1_3gpuE2ELNS1_3repE0EEENS1_36merge_oddeven_config_static_selectorELNS0_4arch9wavefront6targetE0EEEvSL_
		.amdhsa_group_segment_fixed_size 0
		.amdhsa_private_segment_fixed_size 0
		.amdhsa_kernarg_size 48
		.amdhsa_user_sgpr_count 6
		.amdhsa_user_sgpr_private_segment_buffer 1
		.amdhsa_user_sgpr_dispatch_ptr 0
		.amdhsa_user_sgpr_queue_ptr 0
		.amdhsa_user_sgpr_kernarg_segment_ptr 1
		.amdhsa_user_sgpr_dispatch_id 0
		.amdhsa_user_sgpr_flat_scratch_init 0
		.amdhsa_user_sgpr_private_segment_size 0
		.amdhsa_wavefront_size32 1
		.amdhsa_uses_dynamic_stack 0
		.amdhsa_system_sgpr_private_segment_wavefront_offset 0
		.amdhsa_system_sgpr_workgroup_id_x 1
		.amdhsa_system_sgpr_workgroup_id_y 0
		.amdhsa_system_sgpr_workgroup_id_z 0
		.amdhsa_system_sgpr_workgroup_info 0
		.amdhsa_system_vgpr_workitem_id 0
		.amdhsa_next_free_vgpr 9
		.amdhsa_next_free_sgpr 18
		.amdhsa_reserve_vcc 1
		.amdhsa_reserve_flat_scratch 0
		.amdhsa_float_round_mode_32 0
		.amdhsa_float_round_mode_16_64 0
		.amdhsa_float_denorm_mode_32 3
		.amdhsa_float_denorm_mode_16_64 3
		.amdhsa_dx10_clamp 1
		.amdhsa_ieee_mode 1
		.amdhsa_fp16_overflow 0
		.amdhsa_workgroup_processor_mode 1
		.amdhsa_memory_ordered 1
		.amdhsa_forward_progress 1
		.amdhsa_shared_vgpr_count 0
		.amdhsa_exception_fp_ieee_invalid_op 0
		.amdhsa_exception_fp_denorm_src 0
		.amdhsa_exception_fp_ieee_div_zero 0
		.amdhsa_exception_fp_ieee_overflow 0
		.amdhsa_exception_fp_ieee_underflow 0
		.amdhsa_exception_fp_ieee_inexact 0
		.amdhsa_exception_int_div_zero 0
	.end_amdhsa_kernel
	.section	.text._ZN7rocprim17ROCPRIM_400000_NS6detail17trampoline_kernelINS0_14default_configENS1_38merge_sort_block_merge_config_selectorIiNS0_10empty_typeEEEZZNS1_27merge_sort_block_merge_implIS3_N6thrust23THRUST_200600_302600_NS6detail15normal_iteratorINS9_10device_ptrIiEEEEPS5_jNS1_19radix_merge_compareILb0ELb1EiNS0_19identity_decomposerEEEEE10hipError_tT0_T1_T2_jT3_P12ihipStream_tbPNSt15iterator_traitsISK_E10value_typeEPNSQ_ISL_E10value_typeEPSM_NS1_7vsmem_tEENKUlT_SK_SL_SM_E_clIPiSE_SF_SF_EESJ_SZ_SK_SL_SM_EUlSZ_E1_NS1_11comp_targetILNS1_3genE8ELNS1_11target_archE1030ELNS1_3gpuE2ELNS1_3repE0EEENS1_36merge_oddeven_config_static_selectorELNS0_4arch9wavefront6targetE0EEEvSL_,"axG",@progbits,_ZN7rocprim17ROCPRIM_400000_NS6detail17trampoline_kernelINS0_14default_configENS1_38merge_sort_block_merge_config_selectorIiNS0_10empty_typeEEEZZNS1_27merge_sort_block_merge_implIS3_N6thrust23THRUST_200600_302600_NS6detail15normal_iteratorINS9_10device_ptrIiEEEEPS5_jNS1_19radix_merge_compareILb0ELb1EiNS0_19identity_decomposerEEEEE10hipError_tT0_T1_T2_jT3_P12ihipStream_tbPNSt15iterator_traitsISK_E10value_typeEPNSQ_ISL_E10value_typeEPSM_NS1_7vsmem_tEENKUlT_SK_SL_SM_E_clIPiSE_SF_SF_EESJ_SZ_SK_SL_SM_EUlSZ_E1_NS1_11comp_targetILNS1_3genE8ELNS1_11target_archE1030ELNS1_3gpuE2ELNS1_3repE0EEENS1_36merge_oddeven_config_static_selectorELNS0_4arch9wavefront6targetE0EEEvSL_,comdat
.Lfunc_end107:
	.size	_ZN7rocprim17ROCPRIM_400000_NS6detail17trampoline_kernelINS0_14default_configENS1_38merge_sort_block_merge_config_selectorIiNS0_10empty_typeEEEZZNS1_27merge_sort_block_merge_implIS3_N6thrust23THRUST_200600_302600_NS6detail15normal_iteratorINS9_10device_ptrIiEEEEPS5_jNS1_19radix_merge_compareILb0ELb1EiNS0_19identity_decomposerEEEEE10hipError_tT0_T1_T2_jT3_P12ihipStream_tbPNSt15iterator_traitsISK_E10value_typeEPNSQ_ISL_E10value_typeEPSM_NS1_7vsmem_tEENKUlT_SK_SL_SM_E_clIPiSE_SF_SF_EESJ_SZ_SK_SL_SM_EUlSZ_E1_NS1_11comp_targetILNS1_3genE8ELNS1_11target_archE1030ELNS1_3gpuE2ELNS1_3repE0EEENS1_36merge_oddeven_config_static_selectorELNS0_4arch9wavefront6targetE0EEEvSL_, .Lfunc_end107-_ZN7rocprim17ROCPRIM_400000_NS6detail17trampoline_kernelINS0_14default_configENS1_38merge_sort_block_merge_config_selectorIiNS0_10empty_typeEEEZZNS1_27merge_sort_block_merge_implIS3_N6thrust23THRUST_200600_302600_NS6detail15normal_iteratorINS9_10device_ptrIiEEEEPS5_jNS1_19radix_merge_compareILb0ELb1EiNS0_19identity_decomposerEEEEE10hipError_tT0_T1_T2_jT3_P12ihipStream_tbPNSt15iterator_traitsISK_E10value_typeEPNSQ_ISL_E10value_typeEPSM_NS1_7vsmem_tEENKUlT_SK_SL_SM_E_clIPiSE_SF_SF_EESJ_SZ_SK_SL_SM_EUlSZ_E1_NS1_11comp_targetILNS1_3genE8ELNS1_11target_archE1030ELNS1_3gpuE2ELNS1_3repE0EEENS1_36merge_oddeven_config_static_selectorELNS0_4arch9wavefront6targetE0EEEvSL_
                                        ; -- End function
	.set _ZN7rocprim17ROCPRIM_400000_NS6detail17trampoline_kernelINS0_14default_configENS1_38merge_sort_block_merge_config_selectorIiNS0_10empty_typeEEEZZNS1_27merge_sort_block_merge_implIS3_N6thrust23THRUST_200600_302600_NS6detail15normal_iteratorINS9_10device_ptrIiEEEEPS5_jNS1_19radix_merge_compareILb0ELb1EiNS0_19identity_decomposerEEEEE10hipError_tT0_T1_T2_jT3_P12ihipStream_tbPNSt15iterator_traitsISK_E10value_typeEPNSQ_ISL_E10value_typeEPSM_NS1_7vsmem_tEENKUlT_SK_SL_SM_E_clIPiSE_SF_SF_EESJ_SZ_SK_SL_SM_EUlSZ_E1_NS1_11comp_targetILNS1_3genE8ELNS1_11target_archE1030ELNS1_3gpuE2ELNS1_3repE0EEENS1_36merge_oddeven_config_static_selectorELNS0_4arch9wavefront6targetE0EEEvSL_.num_vgpr, 9
	.set _ZN7rocprim17ROCPRIM_400000_NS6detail17trampoline_kernelINS0_14default_configENS1_38merge_sort_block_merge_config_selectorIiNS0_10empty_typeEEEZZNS1_27merge_sort_block_merge_implIS3_N6thrust23THRUST_200600_302600_NS6detail15normal_iteratorINS9_10device_ptrIiEEEEPS5_jNS1_19radix_merge_compareILb0ELb1EiNS0_19identity_decomposerEEEEE10hipError_tT0_T1_T2_jT3_P12ihipStream_tbPNSt15iterator_traitsISK_E10value_typeEPNSQ_ISL_E10value_typeEPSM_NS1_7vsmem_tEENKUlT_SK_SL_SM_E_clIPiSE_SF_SF_EESJ_SZ_SK_SL_SM_EUlSZ_E1_NS1_11comp_targetILNS1_3genE8ELNS1_11target_archE1030ELNS1_3gpuE2ELNS1_3repE0EEENS1_36merge_oddeven_config_static_selectorELNS0_4arch9wavefront6targetE0EEEvSL_.num_agpr, 0
	.set _ZN7rocprim17ROCPRIM_400000_NS6detail17trampoline_kernelINS0_14default_configENS1_38merge_sort_block_merge_config_selectorIiNS0_10empty_typeEEEZZNS1_27merge_sort_block_merge_implIS3_N6thrust23THRUST_200600_302600_NS6detail15normal_iteratorINS9_10device_ptrIiEEEEPS5_jNS1_19radix_merge_compareILb0ELb1EiNS0_19identity_decomposerEEEEE10hipError_tT0_T1_T2_jT3_P12ihipStream_tbPNSt15iterator_traitsISK_E10value_typeEPNSQ_ISL_E10value_typeEPSM_NS1_7vsmem_tEENKUlT_SK_SL_SM_E_clIPiSE_SF_SF_EESJ_SZ_SK_SL_SM_EUlSZ_E1_NS1_11comp_targetILNS1_3genE8ELNS1_11target_archE1030ELNS1_3gpuE2ELNS1_3repE0EEENS1_36merge_oddeven_config_static_selectorELNS0_4arch9wavefront6targetE0EEEvSL_.numbered_sgpr, 18
	.set _ZN7rocprim17ROCPRIM_400000_NS6detail17trampoline_kernelINS0_14default_configENS1_38merge_sort_block_merge_config_selectorIiNS0_10empty_typeEEEZZNS1_27merge_sort_block_merge_implIS3_N6thrust23THRUST_200600_302600_NS6detail15normal_iteratorINS9_10device_ptrIiEEEEPS5_jNS1_19radix_merge_compareILb0ELb1EiNS0_19identity_decomposerEEEEE10hipError_tT0_T1_T2_jT3_P12ihipStream_tbPNSt15iterator_traitsISK_E10value_typeEPNSQ_ISL_E10value_typeEPSM_NS1_7vsmem_tEENKUlT_SK_SL_SM_E_clIPiSE_SF_SF_EESJ_SZ_SK_SL_SM_EUlSZ_E1_NS1_11comp_targetILNS1_3genE8ELNS1_11target_archE1030ELNS1_3gpuE2ELNS1_3repE0EEENS1_36merge_oddeven_config_static_selectorELNS0_4arch9wavefront6targetE0EEEvSL_.num_named_barrier, 0
	.set _ZN7rocprim17ROCPRIM_400000_NS6detail17trampoline_kernelINS0_14default_configENS1_38merge_sort_block_merge_config_selectorIiNS0_10empty_typeEEEZZNS1_27merge_sort_block_merge_implIS3_N6thrust23THRUST_200600_302600_NS6detail15normal_iteratorINS9_10device_ptrIiEEEEPS5_jNS1_19radix_merge_compareILb0ELb1EiNS0_19identity_decomposerEEEEE10hipError_tT0_T1_T2_jT3_P12ihipStream_tbPNSt15iterator_traitsISK_E10value_typeEPNSQ_ISL_E10value_typeEPSM_NS1_7vsmem_tEENKUlT_SK_SL_SM_E_clIPiSE_SF_SF_EESJ_SZ_SK_SL_SM_EUlSZ_E1_NS1_11comp_targetILNS1_3genE8ELNS1_11target_archE1030ELNS1_3gpuE2ELNS1_3repE0EEENS1_36merge_oddeven_config_static_selectorELNS0_4arch9wavefront6targetE0EEEvSL_.private_seg_size, 0
	.set _ZN7rocprim17ROCPRIM_400000_NS6detail17trampoline_kernelINS0_14default_configENS1_38merge_sort_block_merge_config_selectorIiNS0_10empty_typeEEEZZNS1_27merge_sort_block_merge_implIS3_N6thrust23THRUST_200600_302600_NS6detail15normal_iteratorINS9_10device_ptrIiEEEEPS5_jNS1_19radix_merge_compareILb0ELb1EiNS0_19identity_decomposerEEEEE10hipError_tT0_T1_T2_jT3_P12ihipStream_tbPNSt15iterator_traitsISK_E10value_typeEPNSQ_ISL_E10value_typeEPSM_NS1_7vsmem_tEENKUlT_SK_SL_SM_E_clIPiSE_SF_SF_EESJ_SZ_SK_SL_SM_EUlSZ_E1_NS1_11comp_targetILNS1_3genE8ELNS1_11target_archE1030ELNS1_3gpuE2ELNS1_3repE0EEENS1_36merge_oddeven_config_static_selectorELNS0_4arch9wavefront6targetE0EEEvSL_.uses_vcc, 1
	.set _ZN7rocprim17ROCPRIM_400000_NS6detail17trampoline_kernelINS0_14default_configENS1_38merge_sort_block_merge_config_selectorIiNS0_10empty_typeEEEZZNS1_27merge_sort_block_merge_implIS3_N6thrust23THRUST_200600_302600_NS6detail15normal_iteratorINS9_10device_ptrIiEEEEPS5_jNS1_19radix_merge_compareILb0ELb1EiNS0_19identity_decomposerEEEEE10hipError_tT0_T1_T2_jT3_P12ihipStream_tbPNSt15iterator_traitsISK_E10value_typeEPNSQ_ISL_E10value_typeEPSM_NS1_7vsmem_tEENKUlT_SK_SL_SM_E_clIPiSE_SF_SF_EESJ_SZ_SK_SL_SM_EUlSZ_E1_NS1_11comp_targetILNS1_3genE8ELNS1_11target_archE1030ELNS1_3gpuE2ELNS1_3repE0EEENS1_36merge_oddeven_config_static_selectorELNS0_4arch9wavefront6targetE0EEEvSL_.uses_flat_scratch, 0
	.set _ZN7rocprim17ROCPRIM_400000_NS6detail17trampoline_kernelINS0_14default_configENS1_38merge_sort_block_merge_config_selectorIiNS0_10empty_typeEEEZZNS1_27merge_sort_block_merge_implIS3_N6thrust23THRUST_200600_302600_NS6detail15normal_iteratorINS9_10device_ptrIiEEEEPS5_jNS1_19radix_merge_compareILb0ELb1EiNS0_19identity_decomposerEEEEE10hipError_tT0_T1_T2_jT3_P12ihipStream_tbPNSt15iterator_traitsISK_E10value_typeEPNSQ_ISL_E10value_typeEPSM_NS1_7vsmem_tEENKUlT_SK_SL_SM_E_clIPiSE_SF_SF_EESJ_SZ_SK_SL_SM_EUlSZ_E1_NS1_11comp_targetILNS1_3genE8ELNS1_11target_archE1030ELNS1_3gpuE2ELNS1_3repE0EEENS1_36merge_oddeven_config_static_selectorELNS0_4arch9wavefront6targetE0EEEvSL_.has_dyn_sized_stack, 0
	.set _ZN7rocprim17ROCPRIM_400000_NS6detail17trampoline_kernelINS0_14default_configENS1_38merge_sort_block_merge_config_selectorIiNS0_10empty_typeEEEZZNS1_27merge_sort_block_merge_implIS3_N6thrust23THRUST_200600_302600_NS6detail15normal_iteratorINS9_10device_ptrIiEEEEPS5_jNS1_19radix_merge_compareILb0ELb1EiNS0_19identity_decomposerEEEEE10hipError_tT0_T1_T2_jT3_P12ihipStream_tbPNSt15iterator_traitsISK_E10value_typeEPNSQ_ISL_E10value_typeEPSM_NS1_7vsmem_tEENKUlT_SK_SL_SM_E_clIPiSE_SF_SF_EESJ_SZ_SK_SL_SM_EUlSZ_E1_NS1_11comp_targetILNS1_3genE8ELNS1_11target_archE1030ELNS1_3gpuE2ELNS1_3repE0EEENS1_36merge_oddeven_config_static_selectorELNS0_4arch9wavefront6targetE0EEEvSL_.has_recursion, 0
	.set _ZN7rocprim17ROCPRIM_400000_NS6detail17trampoline_kernelINS0_14default_configENS1_38merge_sort_block_merge_config_selectorIiNS0_10empty_typeEEEZZNS1_27merge_sort_block_merge_implIS3_N6thrust23THRUST_200600_302600_NS6detail15normal_iteratorINS9_10device_ptrIiEEEEPS5_jNS1_19radix_merge_compareILb0ELb1EiNS0_19identity_decomposerEEEEE10hipError_tT0_T1_T2_jT3_P12ihipStream_tbPNSt15iterator_traitsISK_E10value_typeEPNSQ_ISL_E10value_typeEPSM_NS1_7vsmem_tEENKUlT_SK_SL_SM_E_clIPiSE_SF_SF_EESJ_SZ_SK_SL_SM_EUlSZ_E1_NS1_11comp_targetILNS1_3genE8ELNS1_11target_archE1030ELNS1_3gpuE2ELNS1_3repE0EEENS1_36merge_oddeven_config_static_selectorELNS0_4arch9wavefront6targetE0EEEvSL_.has_indirect_call, 0
	.section	.AMDGPU.csdata,"",@progbits
; Kernel info:
; codeLenInByte = 692
; TotalNumSgprs: 20
; NumVgprs: 9
; ScratchSize: 0
; MemoryBound: 0
; FloatMode: 240
; IeeeMode: 1
; LDSByteSize: 0 bytes/workgroup (compile time only)
; SGPRBlocks: 0
; VGPRBlocks: 1
; NumSGPRsForWavesPerEU: 20
; NumVGPRsForWavesPerEU: 9
; Occupancy: 16
; WaveLimiterHint : 0
; COMPUTE_PGM_RSRC2:SCRATCH_EN: 0
; COMPUTE_PGM_RSRC2:USER_SGPR: 6
; COMPUTE_PGM_RSRC2:TRAP_HANDLER: 0
; COMPUTE_PGM_RSRC2:TGID_X_EN: 1
; COMPUTE_PGM_RSRC2:TGID_Y_EN: 0
; COMPUTE_PGM_RSRC2:TGID_Z_EN: 0
; COMPUTE_PGM_RSRC2:TIDIG_COMP_CNT: 0
	.section	.text._ZN7rocprim17ROCPRIM_400000_NS6detail17trampoline_kernelINS0_14default_configENS1_38merge_sort_block_merge_config_selectorIiNS0_10empty_typeEEEZZNS1_27merge_sort_block_merge_implIS3_N6thrust23THRUST_200600_302600_NS6detail15normal_iteratorINS9_10device_ptrIiEEEEPS5_jNS1_19radix_merge_compareILb0ELb1EiNS0_19identity_decomposerEEEEE10hipError_tT0_T1_T2_jT3_P12ihipStream_tbPNSt15iterator_traitsISK_E10value_typeEPNSQ_ISL_E10value_typeEPSM_NS1_7vsmem_tEENKUlT_SK_SL_SM_E_clISE_PiSF_SF_EESJ_SZ_SK_SL_SM_EUlSZ_E_NS1_11comp_targetILNS1_3genE0ELNS1_11target_archE4294967295ELNS1_3gpuE0ELNS1_3repE0EEENS1_48merge_mergepath_partition_config_static_selectorELNS0_4arch9wavefront6targetE0EEEvSL_,"axG",@progbits,_ZN7rocprim17ROCPRIM_400000_NS6detail17trampoline_kernelINS0_14default_configENS1_38merge_sort_block_merge_config_selectorIiNS0_10empty_typeEEEZZNS1_27merge_sort_block_merge_implIS3_N6thrust23THRUST_200600_302600_NS6detail15normal_iteratorINS9_10device_ptrIiEEEEPS5_jNS1_19radix_merge_compareILb0ELb1EiNS0_19identity_decomposerEEEEE10hipError_tT0_T1_T2_jT3_P12ihipStream_tbPNSt15iterator_traitsISK_E10value_typeEPNSQ_ISL_E10value_typeEPSM_NS1_7vsmem_tEENKUlT_SK_SL_SM_E_clISE_PiSF_SF_EESJ_SZ_SK_SL_SM_EUlSZ_E_NS1_11comp_targetILNS1_3genE0ELNS1_11target_archE4294967295ELNS1_3gpuE0ELNS1_3repE0EEENS1_48merge_mergepath_partition_config_static_selectorELNS0_4arch9wavefront6targetE0EEEvSL_,comdat
	.protected	_ZN7rocprim17ROCPRIM_400000_NS6detail17trampoline_kernelINS0_14default_configENS1_38merge_sort_block_merge_config_selectorIiNS0_10empty_typeEEEZZNS1_27merge_sort_block_merge_implIS3_N6thrust23THRUST_200600_302600_NS6detail15normal_iteratorINS9_10device_ptrIiEEEEPS5_jNS1_19radix_merge_compareILb0ELb1EiNS0_19identity_decomposerEEEEE10hipError_tT0_T1_T2_jT3_P12ihipStream_tbPNSt15iterator_traitsISK_E10value_typeEPNSQ_ISL_E10value_typeEPSM_NS1_7vsmem_tEENKUlT_SK_SL_SM_E_clISE_PiSF_SF_EESJ_SZ_SK_SL_SM_EUlSZ_E_NS1_11comp_targetILNS1_3genE0ELNS1_11target_archE4294967295ELNS1_3gpuE0ELNS1_3repE0EEENS1_48merge_mergepath_partition_config_static_selectorELNS0_4arch9wavefront6targetE0EEEvSL_ ; -- Begin function _ZN7rocprim17ROCPRIM_400000_NS6detail17trampoline_kernelINS0_14default_configENS1_38merge_sort_block_merge_config_selectorIiNS0_10empty_typeEEEZZNS1_27merge_sort_block_merge_implIS3_N6thrust23THRUST_200600_302600_NS6detail15normal_iteratorINS9_10device_ptrIiEEEEPS5_jNS1_19radix_merge_compareILb0ELb1EiNS0_19identity_decomposerEEEEE10hipError_tT0_T1_T2_jT3_P12ihipStream_tbPNSt15iterator_traitsISK_E10value_typeEPNSQ_ISL_E10value_typeEPSM_NS1_7vsmem_tEENKUlT_SK_SL_SM_E_clISE_PiSF_SF_EESJ_SZ_SK_SL_SM_EUlSZ_E_NS1_11comp_targetILNS1_3genE0ELNS1_11target_archE4294967295ELNS1_3gpuE0ELNS1_3repE0EEENS1_48merge_mergepath_partition_config_static_selectorELNS0_4arch9wavefront6targetE0EEEvSL_
	.globl	_ZN7rocprim17ROCPRIM_400000_NS6detail17trampoline_kernelINS0_14default_configENS1_38merge_sort_block_merge_config_selectorIiNS0_10empty_typeEEEZZNS1_27merge_sort_block_merge_implIS3_N6thrust23THRUST_200600_302600_NS6detail15normal_iteratorINS9_10device_ptrIiEEEEPS5_jNS1_19radix_merge_compareILb0ELb1EiNS0_19identity_decomposerEEEEE10hipError_tT0_T1_T2_jT3_P12ihipStream_tbPNSt15iterator_traitsISK_E10value_typeEPNSQ_ISL_E10value_typeEPSM_NS1_7vsmem_tEENKUlT_SK_SL_SM_E_clISE_PiSF_SF_EESJ_SZ_SK_SL_SM_EUlSZ_E_NS1_11comp_targetILNS1_3genE0ELNS1_11target_archE4294967295ELNS1_3gpuE0ELNS1_3repE0EEENS1_48merge_mergepath_partition_config_static_selectorELNS0_4arch9wavefront6targetE0EEEvSL_
	.p2align	8
	.type	_ZN7rocprim17ROCPRIM_400000_NS6detail17trampoline_kernelINS0_14default_configENS1_38merge_sort_block_merge_config_selectorIiNS0_10empty_typeEEEZZNS1_27merge_sort_block_merge_implIS3_N6thrust23THRUST_200600_302600_NS6detail15normal_iteratorINS9_10device_ptrIiEEEEPS5_jNS1_19radix_merge_compareILb0ELb1EiNS0_19identity_decomposerEEEEE10hipError_tT0_T1_T2_jT3_P12ihipStream_tbPNSt15iterator_traitsISK_E10value_typeEPNSQ_ISL_E10value_typeEPSM_NS1_7vsmem_tEENKUlT_SK_SL_SM_E_clISE_PiSF_SF_EESJ_SZ_SK_SL_SM_EUlSZ_E_NS1_11comp_targetILNS1_3genE0ELNS1_11target_archE4294967295ELNS1_3gpuE0ELNS1_3repE0EEENS1_48merge_mergepath_partition_config_static_selectorELNS0_4arch9wavefront6targetE0EEEvSL_,@function
_ZN7rocprim17ROCPRIM_400000_NS6detail17trampoline_kernelINS0_14default_configENS1_38merge_sort_block_merge_config_selectorIiNS0_10empty_typeEEEZZNS1_27merge_sort_block_merge_implIS3_N6thrust23THRUST_200600_302600_NS6detail15normal_iteratorINS9_10device_ptrIiEEEEPS5_jNS1_19radix_merge_compareILb0ELb1EiNS0_19identity_decomposerEEEEE10hipError_tT0_T1_T2_jT3_P12ihipStream_tbPNSt15iterator_traitsISK_E10value_typeEPNSQ_ISL_E10value_typeEPSM_NS1_7vsmem_tEENKUlT_SK_SL_SM_E_clISE_PiSF_SF_EESJ_SZ_SK_SL_SM_EUlSZ_E_NS1_11comp_targetILNS1_3genE0ELNS1_11target_archE4294967295ELNS1_3gpuE0ELNS1_3repE0EEENS1_48merge_mergepath_partition_config_static_selectorELNS0_4arch9wavefront6targetE0EEEvSL_: ; @_ZN7rocprim17ROCPRIM_400000_NS6detail17trampoline_kernelINS0_14default_configENS1_38merge_sort_block_merge_config_selectorIiNS0_10empty_typeEEEZZNS1_27merge_sort_block_merge_implIS3_N6thrust23THRUST_200600_302600_NS6detail15normal_iteratorINS9_10device_ptrIiEEEEPS5_jNS1_19radix_merge_compareILb0ELb1EiNS0_19identity_decomposerEEEEE10hipError_tT0_T1_T2_jT3_P12ihipStream_tbPNSt15iterator_traitsISK_E10value_typeEPNSQ_ISL_E10value_typeEPSM_NS1_7vsmem_tEENKUlT_SK_SL_SM_E_clISE_PiSF_SF_EESJ_SZ_SK_SL_SM_EUlSZ_E_NS1_11comp_targetILNS1_3genE0ELNS1_11target_archE4294967295ELNS1_3gpuE0ELNS1_3repE0EEENS1_48merge_mergepath_partition_config_static_selectorELNS0_4arch9wavefront6targetE0EEEvSL_
; %bb.0:
	.section	.rodata,"a",@progbits
	.p2align	6, 0x0
	.amdhsa_kernel _ZN7rocprim17ROCPRIM_400000_NS6detail17trampoline_kernelINS0_14default_configENS1_38merge_sort_block_merge_config_selectorIiNS0_10empty_typeEEEZZNS1_27merge_sort_block_merge_implIS3_N6thrust23THRUST_200600_302600_NS6detail15normal_iteratorINS9_10device_ptrIiEEEEPS5_jNS1_19radix_merge_compareILb0ELb1EiNS0_19identity_decomposerEEEEE10hipError_tT0_T1_T2_jT3_P12ihipStream_tbPNSt15iterator_traitsISK_E10value_typeEPNSQ_ISL_E10value_typeEPSM_NS1_7vsmem_tEENKUlT_SK_SL_SM_E_clISE_PiSF_SF_EESJ_SZ_SK_SL_SM_EUlSZ_E_NS1_11comp_targetILNS1_3genE0ELNS1_11target_archE4294967295ELNS1_3gpuE0ELNS1_3repE0EEENS1_48merge_mergepath_partition_config_static_selectorELNS0_4arch9wavefront6targetE0EEEvSL_
		.amdhsa_group_segment_fixed_size 0
		.amdhsa_private_segment_fixed_size 0
		.amdhsa_kernarg_size 40
		.amdhsa_user_sgpr_count 6
		.amdhsa_user_sgpr_private_segment_buffer 1
		.amdhsa_user_sgpr_dispatch_ptr 0
		.amdhsa_user_sgpr_queue_ptr 0
		.amdhsa_user_sgpr_kernarg_segment_ptr 1
		.amdhsa_user_sgpr_dispatch_id 0
		.amdhsa_user_sgpr_flat_scratch_init 0
		.amdhsa_user_sgpr_private_segment_size 0
		.amdhsa_wavefront_size32 1
		.amdhsa_uses_dynamic_stack 0
		.amdhsa_system_sgpr_private_segment_wavefront_offset 0
		.amdhsa_system_sgpr_workgroup_id_x 1
		.amdhsa_system_sgpr_workgroup_id_y 0
		.amdhsa_system_sgpr_workgroup_id_z 0
		.amdhsa_system_sgpr_workgroup_info 0
		.amdhsa_system_vgpr_workitem_id 0
		.amdhsa_next_free_vgpr 1
		.amdhsa_next_free_sgpr 1
		.amdhsa_reserve_vcc 0
		.amdhsa_reserve_flat_scratch 0
		.amdhsa_float_round_mode_32 0
		.amdhsa_float_round_mode_16_64 0
		.amdhsa_float_denorm_mode_32 3
		.amdhsa_float_denorm_mode_16_64 3
		.amdhsa_dx10_clamp 1
		.amdhsa_ieee_mode 1
		.amdhsa_fp16_overflow 0
		.amdhsa_workgroup_processor_mode 1
		.amdhsa_memory_ordered 1
		.amdhsa_forward_progress 1
		.amdhsa_shared_vgpr_count 0
		.amdhsa_exception_fp_ieee_invalid_op 0
		.amdhsa_exception_fp_denorm_src 0
		.amdhsa_exception_fp_ieee_div_zero 0
		.amdhsa_exception_fp_ieee_overflow 0
		.amdhsa_exception_fp_ieee_underflow 0
		.amdhsa_exception_fp_ieee_inexact 0
		.amdhsa_exception_int_div_zero 0
	.end_amdhsa_kernel
	.section	.text._ZN7rocprim17ROCPRIM_400000_NS6detail17trampoline_kernelINS0_14default_configENS1_38merge_sort_block_merge_config_selectorIiNS0_10empty_typeEEEZZNS1_27merge_sort_block_merge_implIS3_N6thrust23THRUST_200600_302600_NS6detail15normal_iteratorINS9_10device_ptrIiEEEEPS5_jNS1_19radix_merge_compareILb0ELb1EiNS0_19identity_decomposerEEEEE10hipError_tT0_T1_T2_jT3_P12ihipStream_tbPNSt15iterator_traitsISK_E10value_typeEPNSQ_ISL_E10value_typeEPSM_NS1_7vsmem_tEENKUlT_SK_SL_SM_E_clISE_PiSF_SF_EESJ_SZ_SK_SL_SM_EUlSZ_E_NS1_11comp_targetILNS1_3genE0ELNS1_11target_archE4294967295ELNS1_3gpuE0ELNS1_3repE0EEENS1_48merge_mergepath_partition_config_static_selectorELNS0_4arch9wavefront6targetE0EEEvSL_,"axG",@progbits,_ZN7rocprim17ROCPRIM_400000_NS6detail17trampoline_kernelINS0_14default_configENS1_38merge_sort_block_merge_config_selectorIiNS0_10empty_typeEEEZZNS1_27merge_sort_block_merge_implIS3_N6thrust23THRUST_200600_302600_NS6detail15normal_iteratorINS9_10device_ptrIiEEEEPS5_jNS1_19radix_merge_compareILb0ELb1EiNS0_19identity_decomposerEEEEE10hipError_tT0_T1_T2_jT3_P12ihipStream_tbPNSt15iterator_traitsISK_E10value_typeEPNSQ_ISL_E10value_typeEPSM_NS1_7vsmem_tEENKUlT_SK_SL_SM_E_clISE_PiSF_SF_EESJ_SZ_SK_SL_SM_EUlSZ_E_NS1_11comp_targetILNS1_3genE0ELNS1_11target_archE4294967295ELNS1_3gpuE0ELNS1_3repE0EEENS1_48merge_mergepath_partition_config_static_selectorELNS0_4arch9wavefront6targetE0EEEvSL_,comdat
.Lfunc_end108:
	.size	_ZN7rocprim17ROCPRIM_400000_NS6detail17trampoline_kernelINS0_14default_configENS1_38merge_sort_block_merge_config_selectorIiNS0_10empty_typeEEEZZNS1_27merge_sort_block_merge_implIS3_N6thrust23THRUST_200600_302600_NS6detail15normal_iteratorINS9_10device_ptrIiEEEEPS5_jNS1_19radix_merge_compareILb0ELb1EiNS0_19identity_decomposerEEEEE10hipError_tT0_T1_T2_jT3_P12ihipStream_tbPNSt15iterator_traitsISK_E10value_typeEPNSQ_ISL_E10value_typeEPSM_NS1_7vsmem_tEENKUlT_SK_SL_SM_E_clISE_PiSF_SF_EESJ_SZ_SK_SL_SM_EUlSZ_E_NS1_11comp_targetILNS1_3genE0ELNS1_11target_archE4294967295ELNS1_3gpuE0ELNS1_3repE0EEENS1_48merge_mergepath_partition_config_static_selectorELNS0_4arch9wavefront6targetE0EEEvSL_, .Lfunc_end108-_ZN7rocprim17ROCPRIM_400000_NS6detail17trampoline_kernelINS0_14default_configENS1_38merge_sort_block_merge_config_selectorIiNS0_10empty_typeEEEZZNS1_27merge_sort_block_merge_implIS3_N6thrust23THRUST_200600_302600_NS6detail15normal_iteratorINS9_10device_ptrIiEEEEPS5_jNS1_19radix_merge_compareILb0ELb1EiNS0_19identity_decomposerEEEEE10hipError_tT0_T1_T2_jT3_P12ihipStream_tbPNSt15iterator_traitsISK_E10value_typeEPNSQ_ISL_E10value_typeEPSM_NS1_7vsmem_tEENKUlT_SK_SL_SM_E_clISE_PiSF_SF_EESJ_SZ_SK_SL_SM_EUlSZ_E_NS1_11comp_targetILNS1_3genE0ELNS1_11target_archE4294967295ELNS1_3gpuE0ELNS1_3repE0EEENS1_48merge_mergepath_partition_config_static_selectorELNS0_4arch9wavefront6targetE0EEEvSL_
                                        ; -- End function
	.set _ZN7rocprim17ROCPRIM_400000_NS6detail17trampoline_kernelINS0_14default_configENS1_38merge_sort_block_merge_config_selectorIiNS0_10empty_typeEEEZZNS1_27merge_sort_block_merge_implIS3_N6thrust23THRUST_200600_302600_NS6detail15normal_iteratorINS9_10device_ptrIiEEEEPS5_jNS1_19radix_merge_compareILb0ELb1EiNS0_19identity_decomposerEEEEE10hipError_tT0_T1_T2_jT3_P12ihipStream_tbPNSt15iterator_traitsISK_E10value_typeEPNSQ_ISL_E10value_typeEPSM_NS1_7vsmem_tEENKUlT_SK_SL_SM_E_clISE_PiSF_SF_EESJ_SZ_SK_SL_SM_EUlSZ_E_NS1_11comp_targetILNS1_3genE0ELNS1_11target_archE4294967295ELNS1_3gpuE0ELNS1_3repE0EEENS1_48merge_mergepath_partition_config_static_selectorELNS0_4arch9wavefront6targetE0EEEvSL_.num_vgpr, 0
	.set _ZN7rocprim17ROCPRIM_400000_NS6detail17trampoline_kernelINS0_14default_configENS1_38merge_sort_block_merge_config_selectorIiNS0_10empty_typeEEEZZNS1_27merge_sort_block_merge_implIS3_N6thrust23THRUST_200600_302600_NS6detail15normal_iteratorINS9_10device_ptrIiEEEEPS5_jNS1_19radix_merge_compareILb0ELb1EiNS0_19identity_decomposerEEEEE10hipError_tT0_T1_T2_jT3_P12ihipStream_tbPNSt15iterator_traitsISK_E10value_typeEPNSQ_ISL_E10value_typeEPSM_NS1_7vsmem_tEENKUlT_SK_SL_SM_E_clISE_PiSF_SF_EESJ_SZ_SK_SL_SM_EUlSZ_E_NS1_11comp_targetILNS1_3genE0ELNS1_11target_archE4294967295ELNS1_3gpuE0ELNS1_3repE0EEENS1_48merge_mergepath_partition_config_static_selectorELNS0_4arch9wavefront6targetE0EEEvSL_.num_agpr, 0
	.set _ZN7rocprim17ROCPRIM_400000_NS6detail17trampoline_kernelINS0_14default_configENS1_38merge_sort_block_merge_config_selectorIiNS0_10empty_typeEEEZZNS1_27merge_sort_block_merge_implIS3_N6thrust23THRUST_200600_302600_NS6detail15normal_iteratorINS9_10device_ptrIiEEEEPS5_jNS1_19radix_merge_compareILb0ELb1EiNS0_19identity_decomposerEEEEE10hipError_tT0_T1_T2_jT3_P12ihipStream_tbPNSt15iterator_traitsISK_E10value_typeEPNSQ_ISL_E10value_typeEPSM_NS1_7vsmem_tEENKUlT_SK_SL_SM_E_clISE_PiSF_SF_EESJ_SZ_SK_SL_SM_EUlSZ_E_NS1_11comp_targetILNS1_3genE0ELNS1_11target_archE4294967295ELNS1_3gpuE0ELNS1_3repE0EEENS1_48merge_mergepath_partition_config_static_selectorELNS0_4arch9wavefront6targetE0EEEvSL_.numbered_sgpr, 0
	.set _ZN7rocprim17ROCPRIM_400000_NS6detail17trampoline_kernelINS0_14default_configENS1_38merge_sort_block_merge_config_selectorIiNS0_10empty_typeEEEZZNS1_27merge_sort_block_merge_implIS3_N6thrust23THRUST_200600_302600_NS6detail15normal_iteratorINS9_10device_ptrIiEEEEPS5_jNS1_19radix_merge_compareILb0ELb1EiNS0_19identity_decomposerEEEEE10hipError_tT0_T1_T2_jT3_P12ihipStream_tbPNSt15iterator_traitsISK_E10value_typeEPNSQ_ISL_E10value_typeEPSM_NS1_7vsmem_tEENKUlT_SK_SL_SM_E_clISE_PiSF_SF_EESJ_SZ_SK_SL_SM_EUlSZ_E_NS1_11comp_targetILNS1_3genE0ELNS1_11target_archE4294967295ELNS1_3gpuE0ELNS1_3repE0EEENS1_48merge_mergepath_partition_config_static_selectorELNS0_4arch9wavefront6targetE0EEEvSL_.num_named_barrier, 0
	.set _ZN7rocprim17ROCPRIM_400000_NS6detail17trampoline_kernelINS0_14default_configENS1_38merge_sort_block_merge_config_selectorIiNS0_10empty_typeEEEZZNS1_27merge_sort_block_merge_implIS3_N6thrust23THRUST_200600_302600_NS6detail15normal_iteratorINS9_10device_ptrIiEEEEPS5_jNS1_19radix_merge_compareILb0ELb1EiNS0_19identity_decomposerEEEEE10hipError_tT0_T1_T2_jT3_P12ihipStream_tbPNSt15iterator_traitsISK_E10value_typeEPNSQ_ISL_E10value_typeEPSM_NS1_7vsmem_tEENKUlT_SK_SL_SM_E_clISE_PiSF_SF_EESJ_SZ_SK_SL_SM_EUlSZ_E_NS1_11comp_targetILNS1_3genE0ELNS1_11target_archE4294967295ELNS1_3gpuE0ELNS1_3repE0EEENS1_48merge_mergepath_partition_config_static_selectorELNS0_4arch9wavefront6targetE0EEEvSL_.private_seg_size, 0
	.set _ZN7rocprim17ROCPRIM_400000_NS6detail17trampoline_kernelINS0_14default_configENS1_38merge_sort_block_merge_config_selectorIiNS0_10empty_typeEEEZZNS1_27merge_sort_block_merge_implIS3_N6thrust23THRUST_200600_302600_NS6detail15normal_iteratorINS9_10device_ptrIiEEEEPS5_jNS1_19radix_merge_compareILb0ELb1EiNS0_19identity_decomposerEEEEE10hipError_tT0_T1_T2_jT3_P12ihipStream_tbPNSt15iterator_traitsISK_E10value_typeEPNSQ_ISL_E10value_typeEPSM_NS1_7vsmem_tEENKUlT_SK_SL_SM_E_clISE_PiSF_SF_EESJ_SZ_SK_SL_SM_EUlSZ_E_NS1_11comp_targetILNS1_3genE0ELNS1_11target_archE4294967295ELNS1_3gpuE0ELNS1_3repE0EEENS1_48merge_mergepath_partition_config_static_selectorELNS0_4arch9wavefront6targetE0EEEvSL_.uses_vcc, 0
	.set _ZN7rocprim17ROCPRIM_400000_NS6detail17trampoline_kernelINS0_14default_configENS1_38merge_sort_block_merge_config_selectorIiNS0_10empty_typeEEEZZNS1_27merge_sort_block_merge_implIS3_N6thrust23THRUST_200600_302600_NS6detail15normal_iteratorINS9_10device_ptrIiEEEEPS5_jNS1_19radix_merge_compareILb0ELb1EiNS0_19identity_decomposerEEEEE10hipError_tT0_T1_T2_jT3_P12ihipStream_tbPNSt15iterator_traitsISK_E10value_typeEPNSQ_ISL_E10value_typeEPSM_NS1_7vsmem_tEENKUlT_SK_SL_SM_E_clISE_PiSF_SF_EESJ_SZ_SK_SL_SM_EUlSZ_E_NS1_11comp_targetILNS1_3genE0ELNS1_11target_archE4294967295ELNS1_3gpuE0ELNS1_3repE0EEENS1_48merge_mergepath_partition_config_static_selectorELNS0_4arch9wavefront6targetE0EEEvSL_.uses_flat_scratch, 0
	.set _ZN7rocprim17ROCPRIM_400000_NS6detail17trampoline_kernelINS0_14default_configENS1_38merge_sort_block_merge_config_selectorIiNS0_10empty_typeEEEZZNS1_27merge_sort_block_merge_implIS3_N6thrust23THRUST_200600_302600_NS6detail15normal_iteratorINS9_10device_ptrIiEEEEPS5_jNS1_19radix_merge_compareILb0ELb1EiNS0_19identity_decomposerEEEEE10hipError_tT0_T1_T2_jT3_P12ihipStream_tbPNSt15iterator_traitsISK_E10value_typeEPNSQ_ISL_E10value_typeEPSM_NS1_7vsmem_tEENKUlT_SK_SL_SM_E_clISE_PiSF_SF_EESJ_SZ_SK_SL_SM_EUlSZ_E_NS1_11comp_targetILNS1_3genE0ELNS1_11target_archE4294967295ELNS1_3gpuE0ELNS1_3repE0EEENS1_48merge_mergepath_partition_config_static_selectorELNS0_4arch9wavefront6targetE0EEEvSL_.has_dyn_sized_stack, 0
	.set _ZN7rocprim17ROCPRIM_400000_NS6detail17trampoline_kernelINS0_14default_configENS1_38merge_sort_block_merge_config_selectorIiNS0_10empty_typeEEEZZNS1_27merge_sort_block_merge_implIS3_N6thrust23THRUST_200600_302600_NS6detail15normal_iteratorINS9_10device_ptrIiEEEEPS5_jNS1_19radix_merge_compareILb0ELb1EiNS0_19identity_decomposerEEEEE10hipError_tT0_T1_T2_jT3_P12ihipStream_tbPNSt15iterator_traitsISK_E10value_typeEPNSQ_ISL_E10value_typeEPSM_NS1_7vsmem_tEENKUlT_SK_SL_SM_E_clISE_PiSF_SF_EESJ_SZ_SK_SL_SM_EUlSZ_E_NS1_11comp_targetILNS1_3genE0ELNS1_11target_archE4294967295ELNS1_3gpuE0ELNS1_3repE0EEENS1_48merge_mergepath_partition_config_static_selectorELNS0_4arch9wavefront6targetE0EEEvSL_.has_recursion, 0
	.set _ZN7rocprim17ROCPRIM_400000_NS6detail17trampoline_kernelINS0_14default_configENS1_38merge_sort_block_merge_config_selectorIiNS0_10empty_typeEEEZZNS1_27merge_sort_block_merge_implIS3_N6thrust23THRUST_200600_302600_NS6detail15normal_iteratorINS9_10device_ptrIiEEEEPS5_jNS1_19radix_merge_compareILb0ELb1EiNS0_19identity_decomposerEEEEE10hipError_tT0_T1_T2_jT3_P12ihipStream_tbPNSt15iterator_traitsISK_E10value_typeEPNSQ_ISL_E10value_typeEPSM_NS1_7vsmem_tEENKUlT_SK_SL_SM_E_clISE_PiSF_SF_EESJ_SZ_SK_SL_SM_EUlSZ_E_NS1_11comp_targetILNS1_3genE0ELNS1_11target_archE4294967295ELNS1_3gpuE0ELNS1_3repE0EEENS1_48merge_mergepath_partition_config_static_selectorELNS0_4arch9wavefront6targetE0EEEvSL_.has_indirect_call, 0
	.section	.AMDGPU.csdata,"",@progbits
; Kernel info:
; codeLenInByte = 0
; TotalNumSgprs: 0
; NumVgprs: 0
; ScratchSize: 0
; MemoryBound: 0
; FloatMode: 240
; IeeeMode: 1
; LDSByteSize: 0 bytes/workgroup (compile time only)
; SGPRBlocks: 0
; VGPRBlocks: 0
; NumSGPRsForWavesPerEU: 1
; NumVGPRsForWavesPerEU: 1
; Occupancy: 16
; WaveLimiterHint : 0
; COMPUTE_PGM_RSRC2:SCRATCH_EN: 0
; COMPUTE_PGM_RSRC2:USER_SGPR: 6
; COMPUTE_PGM_RSRC2:TRAP_HANDLER: 0
; COMPUTE_PGM_RSRC2:TGID_X_EN: 1
; COMPUTE_PGM_RSRC2:TGID_Y_EN: 0
; COMPUTE_PGM_RSRC2:TGID_Z_EN: 0
; COMPUTE_PGM_RSRC2:TIDIG_COMP_CNT: 0
	.section	.text._ZN7rocprim17ROCPRIM_400000_NS6detail17trampoline_kernelINS0_14default_configENS1_38merge_sort_block_merge_config_selectorIiNS0_10empty_typeEEEZZNS1_27merge_sort_block_merge_implIS3_N6thrust23THRUST_200600_302600_NS6detail15normal_iteratorINS9_10device_ptrIiEEEEPS5_jNS1_19radix_merge_compareILb0ELb1EiNS0_19identity_decomposerEEEEE10hipError_tT0_T1_T2_jT3_P12ihipStream_tbPNSt15iterator_traitsISK_E10value_typeEPNSQ_ISL_E10value_typeEPSM_NS1_7vsmem_tEENKUlT_SK_SL_SM_E_clISE_PiSF_SF_EESJ_SZ_SK_SL_SM_EUlSZ_E_NS1_11comp_targetILNS1_3genE10ELNS1_11target_archE1201ELNS1_3gpuE5ELNS1_3repE0EEENS1_48merge_mergepath_partition_config_static_selectorELNS0_4arch9wavefront6targetE0EEEvSL_,"axG",@progbits,_ZN7rocprim17ROCPRIM_400000_NS6detail17trampoline_kernelINS0_14default_configENS1_38merge_sort_block_merge_config_selectorIiNS0_10empty_typeEEEZZNS1_27merge_sort_block_merge_implIS3_N6thrust23THRUST_200600_302600_NS6detail15normal_iteratorINS9_10device_ptrIiEEEEPS5_jNS1_19radix_merge_compareILb0ELb1EiNS0_19identity_decomposerEEEEE10hipError_tT0_T1_T2_jT3_P12ihipStream_tbPNSt15iterator_traitsISK_E10value_typeEPNSQ_ISL_E10value_typeEPSM_NS1_7vsmem_tEENKUlT_SK_SL_SM_E_clISE_PiSF_SF_EESJ_SZ_SK_SL_SM_EUlSZ_E_NS1_11comp_targetILNS1_3genE10ELNS1_11target_archE1201ELNS1_3gpuE5ELNS1_3repE0EEENS1_48merge_mergepath_partition_config_static_selectorELNS0_4arch9wavefront6targetE0EEEvSL_,comdat
	.protected	_ZN7rocprim17ROCPRIM_400000_NS6detail17trampoline_kernelINS0_14default_configENS1_38merge_sort_block_merge_config_selectorIiNS0_10empty_typeEEEZZNS1_27merge_sort_block_merge_implIS3_N6thrust23THRUST_200600_302600_NS6detail15normal_iteratorINS9_10device_ptrIiEEEEPS5_jNS1_19radix_merge_compareILb0ELb1EiNS0_19identity_decomposerEEEEE10hipError_tT0_T1_T2_jT3_P12ihipStream_tbPNSt15iterator_traitsISK_E10value_typeEPNSQ_ISL_E10value_typeEPSM_NS1_7vsmem_tEENKUlT_SK_SL_SM_E_clISE_PiSF_SF_EESJ_SZ_SK_SL_SM_EUlSZ_E_NS1_11comp_targetILNS1_3genE10ELNS1_11target_archE1201ELNS1_3gpuE5ELNS1_3repE0EEENS1_48merge_mergepath_partition_config_static_selectorELNS0_4arch9wavefront6targetE0EEEvSL_ ; -- Begin function _ZN7rocprim17ROCPRIM_400000_NS6detail17trampoline_kernelINS0_14default_configENS1_38merge_sort_block_merge_config_selectorIiNS0_10empty_typeEEEZZNS1_27merge_sort_block_merge_implIS3_N6thrust23THRUST_200600_302600_NS6detail15normal_iteratorINS9_10device_ptrIiEEEEPS5_jNS1_19radix_merge_compareILb0ELb1EiNS0_19identity_decomposerEEEEE10hipError_tT0_T1_T2_jT3_P12ihipStream_tbPNSt15iterator_traitsISK_E10value_typeEPNSQ_ISL_E10value_typeEPSM_NS1_7vsmem_tEENKUlT_SK_SL_SM_E_clISE_PiSF_SF_EESJ_SZ_SK_SL_SM_EUlSZ_E_NS1_11comp_targetILNS1_3genE10ELNS1_11target_archE1201ELNS1_3gpuE5ELNS1_3repE0EEENS1_48merge_mergepath_partition_config_static_selectorELNS0_4arch9wavefront6targetE0EEEvSL_
	.globl	_ZN7rocprim17ROCPRIM_400000_NS6detail17trampoline_kernelINS0_14default_configENS1_38merge_sort_block_merge_config_selectorIiNS0_10empty_typeEEEZZNS1_27merge_sort_block_merge_implIS3_N6thrust23THRUST_200600_302600_NS6detail15normal_iteratorINS9_10device_ptrIiEEEEPS5_jNS1_19radix_merge_compareILb0ELb1EiNS0_19identity_decomposerEEEEE10hipError_tT0_T1_T2_jT3_P12ihipStream_tbPNSt15iterator_traitsISK_E10value_typeEPNSQ_ISL_E10value_typeEPSM_NS1_7vsmem_tEENKUlT_SK_SL_SM_E_clISE_PiSF_SF_EESJ_SZ_SK_SL_SM_EUlSZ_E_NS1_11comp_targetILNS1_3genE10ELNS1_11target_archE1201ELNS1_3gpuE5ELNS1_3repE0EEENS1_48merge_mergepath_partition_config_static_selectorELNS0_4arch9wavefront6targetE0EEEvSL_
	.p2align	8
	.type	_ZN7rocprim17ROCPRIM_400000_NS6detail17trampoline_kernelINS0_14default_configENS1_38merge_sort_block_merge_config_selectorIiNS0_10empty_typeEEEZZNS1_27merge_sort_block_merge_implIS3_N6thrust23THRUST_200600_302600_NS6detail15normal_iteratorINS9_10device_ptrIiEEEEPS5_jNS1_19radix_merge_compareILb0ELb1EiNS0_19identity_decomposerEEEEE10hipError_tT0_T1_T2_jT3_P12ihipStream_tbPNSt15iterator_traitsISK_E10value_typeEPNSQ_ISL_E10value_typeEPSM_NS1_7vsmem_tEENKUlT_SK_SL_SM_E_clISE_PiSF_SF_EESJ_SZ_SK_SL_SM_EUlSZ_E_NS1_11comp_targetILNS1_3genE10ELNS1_11target_archE1201ELNS1_3gpuE5ELNS1_3repE0EEENS1_48merge_mergepath_partition_config_static_selectorELNS0_4arch9wavefront6targetE0EEEvSL_,@function
_ZN7rocprim17ROCPRIM_400000_NS6detail17trampoline_kernelINS0_14default_configENS1_38merge_sort_block_merge_config_selectorIiNS0_10empty_typeEEEZZNS1_27merge_sort_block_merge_implIS3_N6thrust23THRUST_200600_302600_NS6detail15normal_iteratorINS9_10device_ptrIiEEEEPS5_jNS1_19radix_merge_compareILb0ELb1EiNS0_19identity_decomposerEEEEE10hipError_tT0_T1_T2_jT3_P12ihipStream_tbPNSt15iterator_traitsISK_E10value_typeEPNSQ_ISL_E10value_typeEPSM_NS1_7vsmem_tEENKUlT_SK_SL_SM_E_clISE_PiSF_SF_EESJ_SZ_SK_SL_SM_EUlSZ_E_NS1_11comp_targetILNS1_3genE10ELNS1_11target_archE1201ELNS1_3gpuE5ELNS1_3repE0EEENS1_48merge_mergepath_partition_config_static_selectorELNS0_4arch9wavefront6targetE0EEEvSL_: ; @_ZN7rocprim17ROCPRIM_400000_NS6detail17trampoline_kernelINS0_14default_configENS1_38merge_sort_block_merge_config_selectorIiNS0_10empty_typeEEEZZNS1_27merge_sort_block_merge_implIS3_N6thrust23THRUST_200600_302600_NS6detail15normal_iteratorINS9_10device_ptrIiEEEEPS5_jNS1_19radix_merge_compareILb0ELb1EiNS0_19identity_decomposerEEEEE10hipError_tT0_T1_T2_jT3_P12ihipStream_tbPNSt15iterator_traitsISK_E10value_typeEPNSQ_ISL_E10value_typeEPSM_NS1_7vsmem_tEENKUlT_SK_SL_SM_E_clISE_PiSF_SF_EESJ_SZ_SK_SL_SM_EUlSZ_E_NS1_11comp_targetILNS1_3genE10ELNS1_11target_archE1201ELNS1_3gpuE5ELNS1_3repE0EEENS1_48merge_mergepath_partition_config_static_selectorELNS0_4arch9wavefront6targetE0EEEvSL_
; %bb.0:
	.section	.rodata,"a",@progbits
	.p2align	6, 0x0
	.amdhsa_kernel _ZN7rocprim17ROCPRIM_400000_NS6detail17trampoline_kernelINS0_14default_configENS1_38merge_sort_block_merge_config_selectorIiNS0_10empty_typeEEEZZNS1_27merge_sort_block_merge_implIS3_N6thrust23THRUST_200600_302600_NS6detail15normal_iteratorINS9_10device_ptrIiEEEEPS5_jNS1_19radix_merge_compareILb0ELb1EiNS0_19identity_decomposerEEEEE10hipError_tT0_T1_T2_jT3_P12ihipStream_tbPNSt15iterator_traitsISK_E10value_typeEPNSQ_ISL_E10value_typeEPSM_NS1_7vsmem_tEENKUlT_SK_SL_SM_E_clISE_PiSF_SF_EESJ_SZ_SK_SL_SM_EUlSZ_E_NS1_11comp_targetILNS1_3genE10ELNS1_11target_archE1201ELNS1_3gpuE5ELNS1_3repE0EEENS1_48merge_mergepath_partition_config_static_selectorELNS0_4arch9wavefront6targetE0EEEvSL_
		.amdhsa_group_segment_fixed_size 0
		.amdhsa_private_segment_fixed_size 0
		.amdhsa_kernarg_size 40
		.amdhsa_user_sgpr_count 6
		.amdhsa_user_sgpr_private_segment_buffer 1
		.amdhsa_user_sgpr_dispatch_ptr 0
		.amdhsa_user_sgpr_queue_ptr 0
		.amdhsa_user_sgpr_kernarg_segment_ptr 1
		.amdhsa_user_sgpr_dispatch_id 0
		.amdhsa_user_sgpr_flat_scratch_init 0
		.amdhsa_user_sgpr_private_segment_size 0
		.amdhsa_wavefront_size32 1
		.amdhsa_uses_dynamic_stack 0
		.amdhsa_system_sgpr_private_segment_wavefront_offset 0
		.amdhsa_system_sgpr_workgroup_id_x 1
		.amdhsa_system_sgpr_workgroup_id_y 0
		.amdhsa_system_sgpr_workgroup_id_z 0
		.amdhsa_system_sgpr_workgroup_info 0
		.amdhsa_system_vgpr_workitem_id 0
		.amdhsa_next_free_vgpr 1
		.amdhsa_next_free_sgpr 1
		.amdhsa_reserve_vcc 0
		.amdhsa_reserve_flat_scratch 0
		.amdhsa_float_round_mode_32 0
		.amdhsa_float_round_mode_16_64 0
		.amdhsa_float_denorm_mode_32 3
		.amdhsa_float_denorm_mode_16_64 3
		.amdhsa_dx10_clamp 1
		.amdhsa_ieee_mode 1
		.amdhsa_fp16_overflow 0
		.amdhsa_workgroup_processor_mode 1
		.amdhsa_memory_ordered 1
		.amdhsa_forward_progress 1
		.amdhsa_shared_vgpr_count 0
		.amdhsa_exception_fp_ieee_invalid_op 0
		.amdhsa_exception_fp_denorm_src 0
		.amdhsa_exception_fp_ieee_div_zero 0
		.amdhsa_exception_fp_ieee_overflow 0
		.amdhsa_exception_fp_ieee_underflow 0
		.amdhsa_exception_fp_ieee_inexact 0
		.amdhsa_exception_int_div_zero 0
	.end_amdhsa_kernel
	.section	.text._ZN7rocprim17ROCPRIM_400000_NS6detail17trampoline_kernelINS0_14default_configENS1_38merge_sort_block_merge_config_selectorIiNS0_10empty_typeEEEZZNS1_27merge_sort_block_merge_implIS3_N6thrust23THRUST_200600_302600_NS6detail15normal_iteratorINS9_10device_ptrIiEEEEPS5_jNS1_19radix_merge_compareILb0ELb1EiNS0_19identity_decomposerEEEEE10hipError_tT0_T1_T2_jT3_P12ihipStream_tbPNSt15iterator_traitsISK_E10value_typeEPNSQ_ISL_E10value_typeEPSM_NS1_7vsmem_tEENKUlT_SK_SL_SM_E_clISE_PiSF_SF_EESJ_SZ_SK_SL_SM_EUlSZ_E_NS1_11comp_targetILNS1_3genE10ELNS1_11target_archE1201ELNS1_3gpuE5ELNS1_3repE0EEENS1_48merge_mergepath_partition_config_static_selectorELNS0_4arch9wavefront6targetE0EEEvSL_,"axG",@progbits,_ZN7rocprim17ROCPRIM_400000_NS6detail17trampoline_kernelINS0_14default_configENS1_38merge_sort_block_merge_config_selectorIiNS0_10empty_typeEEEZZNS1_27merge_sort_block_merge_implIS3_N6thrust23THRUST_200600_302600_NS6detail15normal_iteratorINS9_10device_ptrIiEEEEPS5_jNS1_19radix_merge_compareILb0ELb1EiNS0_19identity_decomposerEEEEE10hipError_tT0_T1_T2_jT3_P12ihipStream_tbPNSt15iterator_traitsISK_E10value_typeEPNSQ_ISL_E10value_typeEPSM_NS1_7vsmem_tEENKUlT_SK_SL_SM_E_clISE_PiSF_SF_EESJ_SZ_SK_SL_SM_EUlSZ_E_NS1_11comp_targetILNS1_3genE10ELNS1_11target_archE1201ELNS1_3gpuE5ELNS1_3repE0EEENS1_48merge_mergepath_partition_config_static_selectorELNS0_4arch9wavefront6targetE0EEEvSL_,comdat
.Lfunc_end109:
	.size	_ZN7rocprim17ROCPRIM_400000_NS6detail17trampoline_kernelINS0_14default_configENS1_38merge_sort_block_merge_config_selectorIiNS0_10empty_typeEEEZZNS1_27merge_sort_block_merge_implIS3_N6thrust23THRUST_200600_302600_NS6detail15normal_iteratorINS9_10device_ptrIiEEEEPS5_jNS1_19radix_merge_compareILb0ELb1EiNS0_19identity_decomposerEEEEE10hipError_tT0_T1_T2_jT3_P12ihipStream_tbPNSt15iterator_traitsISK_E10value_typeEPNSQ_ISL_E10value_typeEPSM_NS1_7vsmem_tEENKUlT_SK_SL_SM_E_clISE_PiSF_SF_EESJ_SZ_SK_SL_SM_EUlSZ_E_NS1_11comp_targetILNS1_3genE10ELNS1_11target_archE1201ELNS1_3gpuE5ELNS1_3repE0EEENS1_48merge_mergepath_partition_config_static_selectorELNS0_4arch9wavefront6targetE0EEEvSL_, .Lfunc_end109-_ZN7rocprim17ROCPRIM_400000_NS6detail17trampoline_kernelINS0_14default_configENS1_38merge_sort_block_merge_config_selectorIiNS0_10empty_typeEEEZZNS1_27merge_sort_block_merge_implIS3_N6thrust23THRUST_200600_302600_NS6detail15normal_iteratorINS9_10device_ptrIiEEEEPS5_jNS1_19radix_merge_compareILb0ELb1EiNS0_19identity_decomposerEEEEE10hipError_tT0_T1_T2_jT3_P12ihipStream_tbPNSt15iterator_traitsISK_E10value_typeEPNSQ_ISL_E10value_typeEPSM_NS1_7vsmem_tEENKUlT_SK_SL_SM_E_clISE_PiSF_SF_EESJ_SZ_SK_SL_SM_EUlSZ_E_NS1_11comp_targetILNS1_3genE10ELNS1_11target_archE1201ELNS1_3gpuE5ELNS1_3repE0EEENS1_48merge_mergepath_partition_config_static_selectorELNS0_4arch9wavefront6targetE0EEEvSL_
                                        ; -- End function
	.set _ZN7rocprim17ROCPRIM_400000_NS6detail17trampoline_kernelINS0_14default_configENS1_38merge_sort_block_merge_config_selectorIiNS0_10empty_typeEEEZZNS1_27merge_sort_block_merge_implIS3_N6thrust23THRUST_200600_302600_NS6detail15normal_iteratorINS9_10device_ptrIiEEEEPS5_jNS1_19radix_merge_compareILb0ELb1EiNS0_19identity_decomposerEEEEE10hipError_tT0_T1_T2_jT3_P12ihipStream_tbPNSt15iterator_traitsISK_E10value_typeEPNSQ_ISL_E10value_typeEPSM_NS1_7vsmem_tEENKUlT_SK_SL_SM_E_clISE_PiSF_SF_EESJ_SZ_SK_SL_SM_EUlSZ_E_NS1_11comp_targetILNS1_3genE10ELNS1_11target_archE1201ELNS1_3gpuE5ELNS1_3repE0EEENS1_48merge_mergepath_partition_config_static_selectorELNS0_4arch9wavefront6targetE0EEEvSL_.num_vgpr, 0
	.set _ZN7rocprim17ROCPRIM_400000_NS6detail17trampoline_kernelINS0_14default_configENS1_38merge_sort_block_merge_config_selectorIiNS0_10empty_typeEEEZZNS1_27merge_sort_block_merge_implIS3_N6thrust23THRUST_200600_302600_NS6detail15normal_iteratorINS9_10device_ptrIiEEEEPS5_jNS1_19radix_merge_compareILb0ELb1EiNS0_19identity_decomposerEEEEE10hipError_tT0_T1_T2_jT3_P12ihipStream_tbPNSt15iterator_traitsISK_E10value_typeEPNSQ_ISL_E10value_typeEPSM_NS1_7vsmem_tEENKUlT_SK_SL_SM_E_clISE_PiSF_SF_EESJ_SZ_SK_SL_SM_EUlSZ_E_NS1_11comp_targetILNS1_3genE10ELNS1_11target_archE1201ELNS1_3gpuE5ELNS1_3repE0EEENS1_48merge_mergepath_partition_config_static_selectorELNS0_4arch9wavefront6targetE0EEEvSL_.num_agpr, 0
	.set _ZN7rocprim17ROCPRIM_400000_NS6detail17trampoline_kernelINS0_14default_configENS1_38merge_sort_block_merge_config_selectorIiNS0_10empty_typeEEEZZNS1_27merge_sort_block_merge_implIS3_N6thrust23THRUST_200600_302600_NS6detail15normal_iteratorINS9_10device_ptrIiEEEEPS5_jNS1_19radix_merge_compareILb0ELb1EiNS0_19identity_decomposerEEEEE10hipError_tT0_T1_T2_jT3_P12ihipStream_tbPNSt15iterator_traitsISK_E10value_typeEPNSQ_ISL_E10value_typeEPSM_NS1_7vsmem_tEENKUlT_SK_SL_SM_E_clISE_PiSF_SF_EESJ_SZ_SK_SL_SM_EUlSZ_E_NS1_11comp_targetILNS1_3genE10ELNS1_11target_archE1201ELNS1_3gpuE5ELNS1_3repE0EEENS1_48merge_mergepath_partition_config_static_selectorELNS0_4arch9wavefront6targetE0EEEvSL_.numbered_sgpr, 0
	.set _ZN7rocprim17ROCPRIM_400000_NS6detail17trampoline_kernelINS0_14default_configENS1_38merge_sort_block_merge_config_selectorIiNS0_10empty_typeEEEZZNS1_27merge_sort_block_merge_implIS3_N6thrust23THRUST_200600_302600_NS6detail15normal_iteratorINS9_10device_ptrIiEEEEPS5_jNS1_19radix_merge_compareILb0ELb1EiNS0_19identity_decomposerEEEEE10hipError_tT0_T1_T2_jT3_P12ihipStream_tbPNSt15iterator_traitsISK_E10value_typeEPNSQ_ISL_E10value_typeEPSM_NS1_7vsmem_tEENKUlT_SK_SL_SM_E_clISE_PiSF_SF_EESJ_SZ_SK_SL_SM_EUlSZ_E_NS1_11comp_targetILNS1_3genE10ELNS1_11target_archE1201ELNS1_3gpuE5ELNS1_3repE0EEENS1_48merge_mergepath_partition_config_static_selectorELNS0_4arch9wavefront6targetE0EEEvSL_.num_named_barrier, 0
	.set _ZN7rocprim17ROCPRIM_400000_NS6detail17trampoline_kernelINS0_14default_configENS1_38merge_sort_block_merge_config_selectorIiNS0_10empty_typeEEEZZNS1_27merge_sort_block_merge_implIS3_N6thrust23THRUST_200600_302600_NS6detail15normal_iteratorINS9_10device_ptrIiEEEEPS5_jNS1_19radix_merge_compareILb0ELb1EiNS0_19identity_decomposerEEEEE10hipError_tT0_T1_T2_jT3_P12ihipStream_tbPNSt15iterator_traitsISK_E10value_typeEPNSQ_ISL_E10value_typeEPSM_NS1_7vsmem_tEENKUlT_SK_SL_SM_E_clISE_PiSF_SF_EESJ_SZ_SK_SL_SM_EUlSZ_E_NS1_11comp_targetILNS1_3genE10ELNS1_11target_archE1201ELNS1_3gpuE5ELNS1_3repE0EEENS1_48merge_mergepath_partition_config_static_selectorELNS0_4arch9wavefront6targetE0EEEvSL_.private_seg_size, 0
	.set _ZN7rocprim17ROCPRIM_400000_NS6detail17trampoline_kernelINS0_14default_configENS1_38merge_sort_block_merge_config_selectorIiNS0_10empty_typeEEEZZNS1_27merge_sort_block_merge_implIS3_N6thrust23THRUST_200600_302600_NS6detail15normal_iteratorINS9_10device_ptrIiEEEEPS5_jNS1_19radix_merge_compareILb0ELb1EiNS0_19identity_decomposerEEEEE10hipError_tT0_T1_T2_jT3_P12ihipStream_tbPNSt15iterator_traitsISK_E10value_typeEPNSQ_ISL_E10value_typeEPSM_NS1_7vsmem_tEENKUlT_SK_SL_SM_E_clISE_PiSF_SF_EESJ_SZ_SK_SL_SM_EUlSZ_E_NS1_11comp_targetILNS1_3genE10ELNS1_11target_archE1201ELNS1_3gpuE5ELNS1_3repE0EEENS1_48merge_mergepath_partition_config_static_selectorELNS0_4arch9wavefront6targetE0EEEvSL_.uses_vcc, 0
	.set _ZN7rocprim17ROCPRIM_400000_NS6detail17trampoline_kernelINS0_14default_configENS1_38merge_sort_block_merge_config_selectorIiNS0_10empty_typeEEEZZNS1_27merge_sort_block_merge_implIS3_N6thrust23THRUST_200600_302600_NS6detail15normal_iteratorINS9_10device_ptrIiEEEEPS5_jNS1_19radix_merge_compareILb0ELb1EiNS0_19identity_decomposerEEEEE10hipError_tT0_T1_T2_jT3_P12ihipStream_tbPNSt15iterator_traitsISK_E10value_typeEPNSQ_ISL_E10value_typeEPSM_NS1_7vsmem_tEENKUlT_SK_SL_SM_E_clISE_PiSF_SF_EESJ_SZ_SK_SL_SM_EUlSZ_E_NS1_11comp_targetILNS1_3genE10ELNS1_11target_archE1201ELNS1_3gpuE5ELNS1_3repE0EEENS1_48merge_mergepath_partition_config_static_selectorELNS0_4arch9wavefront6targetE0EEEvSL_.uses_flat_scratch, 0
	.set _ZN7rocprim17ROCPRIM_400000_NS6detail17trampoline_kernelINS0_14default_configENS1_38merge_sort_block_merge_config_selectorIiNS0_10empty_typeEEEZZNS1_27merge_sort_block_merge_implIS3_N6thrust23THRUST_200600_302600_NS6detail15normal_iteratorINS9_10device_ptrIiEEEEPS5_jNS1_19radix_merge_compareILb0ELb1EiNS0_19identity_decomposerEEEEE10hipError_tT0_T1_T2_jT3_P12ihipStream_tbPNSt15iterator_traitsISK_E10value_typeEPNSQ_ISL_E10value_typeEPSM_NS1_7vsmem_tEENKUlT_SK_SL_SM_E_clISE_PiSF_SF_EESJ_SZ_SK_SL_SM_EUlSZ_E_NS1_11comp_targetILNS1_3genE10ELNS1_11target_archE1201ELNS1_3gpuE5ELNS1_3repE0EEENS1_48merge_mergepath_partition_config_static_selectorELNS0_4arch9wavefront6targetE0EEEvSL_.has_dyn_sized_stack, 0
	.set _ZN7rocprim17ROCPRIM_400000_NS6detail17trampoline_kernelINS0_14default_configENS1_38merge_sort_block_merge_config_selectorIiNS0_10empty_typeEEEZZNS1_27merge_sort_block_merge_implIS3_N6thrust23THRUST_200600_302600_NS6detail15normal_iteratorINS9_10device_ptrIiEEEEPS5_jNS1_19radix_merge_compareILb0ELb1EiNS0_19identity_decomposerEEEEE10hipError_tT0_T1_T2_jT3_P12ihipStream_tbPNSt15iterator_traitsISK_E10value_typeEPNSQ_ISL_E10value_typeEPSM_NS1_7vsmem_tEENKUlT_SK_SL_SM_E_clISE_PiSF_SF_EESJ_SZ_SK_SL_SM_EUlSZ_E_NS1_11comp_targetILNS1_3genE10ELNS1_11target_archE1201ELNS1_3gpuE5ELNS1_3repE0EEENS1_48merge_mergepath_partition_config_static_selectorELNS0_4arch9wavefront6targetE0EEEvSL_.has_recursion, 0
	.set _ZN7rocprim17ROCPRIM_400000_NS6detail17trampoline_kernelINS0_14default_configENS1_38merge_sort_block_merge_config_selectorIiNS0_10empty_typeEEEZZNS1_27merge_sort_block_merge_implIS3_N6thrust23THRUST_200600_302600_NS6detail15normal_iteratorINS9_10device_ptrIiEEEEPS5_jNS1_19radix_merge_compareILb0ELb1EiNS0_19identity_decomposerEEEEE10hipError_tT0_T1_T2_jT3_P12ihipStream_tbPNSt15iterator_traitsISK_E10value_typeEPNSQ_ISL_E10value_typeEPSM_NS1_7vsmem_tEENKUlT_SK_SL_SM_E_clISE_PiSF_SF_EESJ_SZ_SK_SL_SM_EUlSZ_E_NS1_11comp_targetILNS1_3genE10ELNS1_11target_archE1201ELNS1_3gpuE5ELNS1_3repE0EEENS1_48merge_mergepath_partition_config_static_selectorELNS0_4arch9wavefront6targetE0EEEvSL_.has_indirect_call, 0
	.section	.AMDGPU.csdata,"",@progbits
; Kernel info:
; codeLenInByte = 0
; TotalNumSgprs: 0
; NumVgprs: 0
; ScratchSize: 0
; MemoryBound: 0
; FloatMode: 240
; IeeeMode: 1
; LDSByteSize: 0 bytes/workgroup (compile time only)
; SGPRBlocks: 0
; VGPRBlocks: 0
; NumSGPRsForWavesPerEU: 1
; NumVGPRsForWavesPerEU: 1
; Occupancy: 16
; WaveLimiterHint : 0
; COMPUTE_PGM_RSRC2:SCRATCH_EN: 0
; COMPUTE_PGM_RSRC2:USER_SGPR: 6
; COMPUTE_PGM_RSRC2:TRAP_HANDLER: 0
; COMPUTE_PGM_RSRC2:TGID_X_EN: 1
; COMPUTE_PGM_RSRC2:TGID_Y_EN: 0
; COMPUTE_PGM_RSRC2:TGID_Z_EN: 0
; COMPUTE_PGM_RSRC2:TIDIG_COMP_CNT: 0
	.section	.text._ZN7rocprim17ROCPRIM_400000_NS6detail17trampoline_kernelINS0_14default_configENS1_38merge_sort_block_merge_config_selectorIiNS0_10empty_typeEEEZZNS1_27merge_sort_block_merge_implIS3_N6thrust23THRUST_200600_302600_NS6detail15normal_iteratorINS9_10device_ptrIiEEEEPS5_jNS1_19radix_merge_compareILb0ELb1EiNS0_19identity_decomposerEEEEE10hipError_tT0_T1_T2_jT3_P12ihipStream_tbPNSt15iterator_traitsISK_E10value_typeEPNSQ_ISL_E10value_typeEPSM_NS1_7vsmem_tEENKUlT_SK_SL_SM_E_clISE_PiSF_SF_EESJ_SZ_SK_SL_SM_EUlSZ_E_NS1_11comp_targetILNS1_3genE5ELNS1_11target_archE942ELNS1_3gpuE9ELNS1_3repE0EEENS1_48merge_mergepath_partition_config_static_selectorELNS0_4arch9wavefront6targetE0EEEvSL_,"axG",@progbits,_ZN7rocprim17ROCPRIM_400000_NS6detail17trampoline_kernelINS0_14default_configENS1_38merge_sort_block_merge_config_selectorIiNS0_10empty_typeEEEZZNS1_27merge_sort_block_merge_implIS3_N6thrust23THRUST_200600_302600_NS6detail15normal_iteratorINS9_10device_ptrIiEEEEPS5_jNS1_19radix_merge_compareILb0ELb1EiNS0_19identity_decomposerEEEEE10hipError_tT0_T1_T2_jT3_P12ihipStream_tbPNSt15iterator_traitsISK_E10value_typeEPNSQ_ISL_E10value_typeEPSM_NS1_7vsmem_tEENKUlT_SK_SL_SM_E_clISE_PiSF_SF_EESJ_SZ_SK_SL_SM_EUlSZ_E_NS1_11comp_targetILNS1_3genE5ELNS1_11target_archE942ELNS1_3gpuE9ELNS1_3repE0EEENS1_48merge_mergepath_partition_config_static_selectorELNS0_4arch9wavefront6targetE0EEEvSL_,comdat
	.protected	_ZN7rocprim17ROCPRIM_400000_NS6detail17trampoline_kernelINS0_14default_configENS1_38merge_sort_block_merge_config_selectorIiNS0_10empty_typeEEEZZNS1_27merge_sort_block_merge_implIS3_N6thrust23THRUST_200600_302600_NS6detail15normal_iteratorINS9_10device_ptrIiEEEEPS5_jNS1_19radix_merge_compareILb0ELb1EiNS0_19identity_decomposerEEEEE10hipError_tT0_T1_T2_jT3_P12ihipStream_tbPNSt15iterator_traitsISK_E10value_typeEPNSQ_ISL_E10value_typeEPSM_NS1_7vsmem_tEENKUlT_SK_SL_SM_E_clISE_PiSF_SF_EESJ_SZ_SK_SL_SM_EUlSZ_E_NS1_11comp_targetILNS1_3genE5ELNS1_11target_archE942ELNS1_3gpuE9ELNS1_3repE0EEENS1_48merge_mergepath_partition_config_static_selectorELNS0_4arch9wavefront6targetE0EEEvSL_ ; -- Begin function _ZN7rocprim17ROCPRIM_400000_NS6detail17trampoline_kernelINS0_14default_configENS1_38merge_sort_block_merge_config_selectorIiNS0_10empty_typeEEEZZNS1_27merge_sort_block_merge_implIS3_N6thrust23THRUST_200600_302600_NS6detail15normal_iteratorINS9_10device_ptrIiEEEEPS5_jNS1_19radix_merge_compareILb0ELb1EiNS0_19identity_decomposerEEEEE10hipError_tT0_T1_T2_jT3_P12ihipStream_tbPNSt15iterator_traitsISK_E10value_typeEPNSQ_ISL_E10value_typeEPSM_NS1_7vsmem_tEENKUlT_SK_SL_SM_E_clISE_PiSF_SF_EESJ_SZ_SK_SL_SM_EUlSZ_E_NS1_11comp_targetILNS1_3genE5ELNS1_11target_archE942ELNS1_3gpuE9ELNS1_3repE0EEENS1_48merge_mergepath_partition_config_static_selectorELNS0_4arch9wavefront6targetE0EEEvSL_
	.globl	_ZN7rocprim17ROCPRIM_400000_NS6detail17trampoline_kernelINS0_14default_configENS1_38merge_sort_block_merge_config_selectorIiNS0_10empty_typeEEEZZNS1_27merge_sort_block_merge_implIS3_N6thrust23THRUST_200600_302600_NS6detail15normal_iteratorINS9_10device_ptrIiEEEEPS5_jNS1_19radix_merge_compareILb0ELb1EiNS0_19identity_decomposerEEEEE10hipError_tT0_T1_T2_jT3_P12ihipStream_tbPNSt15iterator_traitsISK_E10value_typeEPNSQ_ISL_E10value_typeEPSM_NS1_7vsmem_tEENKUlT_SK_SL_SM_E_clISE_PiSF_SF_EESJ_SZ_SK_SL_SM_EUlSZ_E_NS1_11comp_targetILNS1_3genE5ELNS1_11target_archE942ELNS1_3gpuE9ELNS1_3repE0EEENS1_48merge_mergepath_partition_config_static_selectorELNS0_4arch9wavefront6targetE0EEEvSL_
	.p2align	8
	.type	_ZN7rocprim17ROCPRIM_400000_NS6detail17trampoline_kernelINS0_14default_configENS1_38merge_sort_block_merge_config_selectorIiNS0_10empty_typeEEEZZNS1_27merge_sort_block_merge_implIS3_N6thrust23THRUST_200600_302600_NS6detail15normal_iteratorINS9_10device_ptrIiEEEEPS5_jNS1_19radix_merge_compareILb0ELb1EiNS0_19identity_decomposerEEEEE10hipError_tT0_T1_T2_jT3_P12ihipStream_tbPNSt15iterator_traitsISK_E10value_typeEPNSQ_ISL_E10value_typeEPSM_NS1_7vsmem_tEENKUlT_SK_SL_SM_E_clISE_PiSF_SF_EESJ_SZ_SK_SL_SM_EUlSZ_E_NS1_11comp_targetILNS1_3genE5ELNS1_11target_archE942ELNS1_3gpuE9ELNS1_3repE0EEENS1_48merge_mergepath_partition_config_static_selectorELNS0_4arch9wavefront6targetE0EEEvSL_,@function
_ZN7rocprim17ROCPRIM_400000_NS6detail17trampoline_kernelINS0_14default_configENS1_38merge_sort_block_merge_config_selectorIiNS0_10empty_typeEEEZZNS1_27merge_sort_block_merge_implIS3_N6thrust23THRUST_200600_302600_NS6detail15normal_iteratorINS9_10device_ptrIiEEEEPS5_jNS1_19radix_merge_compareILb0ELb1EiNS0_19identity_decomposerEEEEE10hipError_tT0_T1_T2_jT3_P12ihipStream_tbPNSt15iterator_traitsISK_E10value_typeEPNSQ_ISL_E10value_typeEPSM_NS1_7vsmem_tEENKUlT_SK_SL_SM_E_clISE_PiSF_SF_EESJ_SZ_SK_SL_SM_EUlSZ_E_NS1_11comp_targetILNS1_3genE5ELNS1_11target_archE942ELNS1_3gpuE9ELNS1_3repE0EEENS1_48merge_mergepath_partition_config_static_selectorELNS0_4arch9wavefront6targetE0EEEvSL_: ; @_ZN7rocprim17ROCPRIM_400000_NS6detail17trampoline_kernelINS0_14default_configENS1_38merge_sort_block_merge_config_selectorIiNS0_10empty_typeEEEZZNS1_27merge_sort_block_merge_implIS3_N6thrust23THRUST_200600_302600_NS6detail15normal_iteratorINS9_10device_ptrIiEEEEPS5_jNS1_19radix_merge_compareILb0ELb1EiNS0_19identity_decomposerEEEEE10hipError_tT0_T1_T2_jT3_P12ihipStream_tbPNSt15iterator_traitsISK_E10value_typeEPNSQ_ISL_E10value_typeEPSM_NS1_7vsmem_tEENKUlT_SK_SL_SM_E_clISE_PiSF_SF_EESJ_SZ_SK_SL_SM_EUlSZ_E_NS1_11comp_targetILNS1_3genE5ELNS1_11target_archE942ELNS1_3gpuE9ELNS1_3repE0EEENS1_48merge_mergepath_partition_config_static_selectorELNS0_4arch9wavefront6targetE0EEEvSL_
; %bb.0:
	.section	.rodata,"a",@progbits
	.p2align	6, 0x0
	.amdhsa_kernel _ZN7rocprim17ROCPRIM_400000_NS6detail17trampoline_kernelINS0_14default_configENS1_38merge_sort_block_merge_config_selectorIiNS0_10empty_typeEEEZZNS1_27merge_sort_block_merge_implIS3_N6thrust23THRUST_200600_302600_NS6detail15normal_iteratorINS9_10device_ptrIiEEEEPS5_jNS1_19radix_merge_compareILb0ELb1EiNS0_19identity_decomposerEEEEE10hipError_tT0_T1_T2_jT3_P12ihipStream_tbPNSt15iterator_traitsISK_E10value_typeEPNSQ_ISL_E10value_typeEPSM_NS1_7vsmem_tEENKUlT_SK_SL_SM_E_clISE_PiSF_SF_EESJ_SZ_SK_SL_SM_EUlSZ_E_NS1_11comp_targetILNS1_3genE5ELNS1_11target_archE942ELNS1_3gpuE9ELNS1_3repE0EEENS1_48merge_mergepath_partition_config_static_selectorELNS0_4arch9wavefront6targetE0EEEvSL_
		.amdhsa_group_segment_fixed_size 0
		.amdhsa_private_segment_fixed_size 0
		.amdhsa_kernarg_size 40
		.amdhsa_user_sgpr_count 6
		.amdhsa_user_sgpr_private_segment_buffer 1
		.amdhsa_user_sgpr_dispatch_ptr 0
		.amdhsa_user_sgpr_queue_ptr 0
		.amdhsa_user_sgpr_kernarg_segment_ptr 1
		.amdhsa_user_sgpr_dispatch_id 0
		.amdhsa_user_sgpr_flat_scratch_init 0
		.amdhsa_user_sgpr_private_segment_size 0
		.amdhsa_wavefront_size32 1
		.amdhsa_uses_dynamic_stack 0
		.amdhsa_system_sgpr_private_segment_wavefront_offset 0
		.amdhsa_system_sgpr_workgroup_id_x 1
		.amdhsa_system_sgpr_workgroup_id_y 0
		.amdhsa_system_sgpr_workgroup_id_z 0
		.amdhsa_system_sgpr_workgroup_info 0
		.amdhsa_system_vgpr_workitem_id 0
		.amdhsa_next_free_vgpr 1
		.amdhsa_next_free_sgpr 1
		.amdhsa_reserve_vcc 0
		.amdhsa_reserve_flat_scratch 0
		.amdhsa_float_round_mode_32 0
		.amdhsa_float_round_mode_16_64 0
		.amdhsa_float_denorm_mode_32 3
		.amdhsa_float_denorm_mode_16_64 3
		.amdhsa_dx10_clamp 1
		.amdhsa_ieee_mode 1
		.amdhsa_fp16_overflow 0
		.amdhsa_workgroup_processor_mode 1
		.amdhsa_memory_ordered 1
		.amdhsa_forward_progress 1
		.amdhsa_shared_vgpr_count 0
		.amdhsa_exception_fp_ieee_invalid_op 0
		.amdhsa_exception_fp_denorm_src 0
		.amdhsa_exception_fp_ieee_div_zero 0
		.amdhsa_exception_fp_ieee_overflow 0
		.amdhsa_exception_fp_ieee_underflow 0
		.amdhsa_exception_fp_ieee_inexact 0
		.amdhsa_exception_int_div_zero 0
	.end_amdhsa_kernel
	.section	.text._ZN7rocprim17ROCPRIM_400000_NS6detail17trampoline_kernelINS0_14default_configENS1_38merge_sort_block_merge_config_selectorIiNS0_10empty_typeEEEZZNS1_27merge_sort_block_merge_implIS3_N6thrust23THRUST_200600_302600_NS6detail15normal_iteratorINS9_10device_ptrIiEEEEPS5_jNS1_19radix_merge_compareILb0ELb1EiNS0_19identity_decomposerEEEEE10hipError_tT0_T1_T2_jT3_P12ihipStream_tbPNSt15iterator_traitsISK_E10value_typeEPNSQ_ISL_E10value_typeEPSM_NS1_7vsmem_tEENKUlT_SK_SL_SM_E_clISE_PiSF_SF_EESJ_SZ_SK_SL_SM_EUlSZ_E_NS1_11comp_targetILNS1_3genE5ELNS1_11target_archE942ELNS1_3gpuE9ELNS1_3repE0EEENS1_48merge_mergepath_partition_config_static_selectorELNS0_4arch9wavefront6targetE0EEEvSL_,"axG",@progbits,_ZN7rocprim17ROCPRIM_400000_NS6detail17trampoline_kernelINS0_14default_configENS1_38merge_sort_block_merge_config_selectorIiNS0_10empty_typeEEEZZNS1_27merge_sort_block_merge_implIS3_N6thrust23THRUST_200600_302600_NS6detail15normal_iteratorINS9_10device_ptrIiEEEEPS5_jNS1_19radix_merge_compareILb0ELb1EiNS0_19identity_decomposerEEEEE10hipError_tT0_T1_T2_jT3_P12ihipStream_tbPNSt15iterator_traitsISK_E10value_typeEPNSQ_ISL_E10value_typeEPSM_NS1_7vsmem_tEENKUlT_SK_SL_SM_E_clISE_PiSF_SF_EESJ_SZ_SK_SL_SM_EUlSZ_E_NS1_11comp_targetILNS1_3genE5ELNS1_11target_archE942ELNS1_3gpuE9ELNS1_3repE0EEENS1_48merge_mergepath_partition_config_static_selectorELNS0_4arch9wavefront6targetE0EEEvSL_,comdat
.Lfunc_end110:
	.size	_ZN7rocprim17ROCPRIM_400000_NS6detail17trampoline_kernelINS0_14default_configENS1_38merge_sort_block_merge_config_selectorIiNS0_10empty_typeEEEZZNS1_27merge_sort_block_merge_implIS3_N6thrust23THRUST_200600_302600_NS6detail15normal_iteratorINS9_10device_ptrIiEEEEPS5_jNS1_19radix_merge_compareILb0ELb1EiNS0_19identity_decomposerEEEEE10hipError_tT0_T1_T2_jT3_P12ihipStream_tbPNSt15iterator_traitsISK_E10value_typeEPNSQ_ISL_E10value_typeEPSM_NS1_7vsmem_tEENKUlT_SK_SL_SM_E_clISE_PiSF_SF_EESJ_SZ_SK_SL_SM_EUlSZ_E_NS1_11comp_targetILNS1_3genE5ELNS1_11target_archE942ELNS1_3gpuE9ELNS1_3repE0EEENS1_48merge_mergepath_partition_config_static_selectorELNS0_4arch9wavefront6targetE0EEEvSL_, .Lfunc_end110-_ZN7rocprim17ROCPRIM_400000_NS6detail17trampoline_kernelINS0_14default_configENS1_38merge_sort_block_merge_config_selectorIiNS0_10empty_typeEEEZZNS1_27merge_sort_block_merge_implIS3_N6thrust23THRUST_200600_302600_NS6detail15normal_iteratorINS9_10device_ptrIiEEEEPS5_jNS1_19radix_merge_compareILb0ELb1EiNS0_19identity_decomposerEEEEE10hipError_tT0_T1_T2_jT3_P12ihipStream_tbPNSt15iterator_traitsISK_E10value_typeEPNSQ_ISL_E10value_typeEPSM_NS1_7vsmem_tEENKUlT_SK_SL_SM_E_clISE_PiSF_SF_EESJ_SZ_SK_SL_SM_EUlSZ_E_NS1_11comp_targetILNS1_3genE5ELNS1_11target_archE942ELNS1_3gpuE9ELNS1_3repE0EEENS1_48merge_mergepath_partition_config_static_selectorELNS0_4arch9wavefront6targetE0EEEvSL_
                                        ; -- End function
	.set _ZN7rocprim17ROCPRIM_400000_NS6detail17trampoline_kernelINS0_14default_configENS1_38merge_sort_block_merge_config_selectorIiNS0_10empty_typeEEEZZNS1_27merge_sort_block_merge_implIS3_N6thrust23THRUST_200600_302600_NS6detail15normal_iteratorINS9_10device_ptrIiEEEEPS5_jNS1_19radix_merge_compareILb0ELb1EiNS0_19identity_decomposerEEEEE10hipError_tT0_T1_T2_jT3_P12ihipStream_tbPNSt15iterator_traitsISK_E10value_typeEPNSQ_ISL_E10value_typeEPSM_NS1_7vsmem_tEENKUlT_SK_SL_SM_E_clISE_PiSF_SF_EESJ_SZ_SK_SL_SM_EUlSZ_E_NS1_11comp_targetILNS1_3genE5ELNS1_11target_archE942ELNS1_3gpuE9ELNS1_3repE0EEENS1_48merge_mergepath_partition_config_static_selectorELNS0_4arch9wavefront6targetE0EEEvSL_.num_vgpr, 0
	.set _ZN7rocprim17ROCPRIM_400000_NS6detail17trampoline_kernelINS0_14default_configENS1_38merge_sort_block_merge_config_selectorIiNS0_10empty_typeEEEZZNS1_27merge_sort_block_merge_implIS3_N6thrust23THRUST_200600_302600_NS6detail15normal_iteratorINS9_10device_ptrIiEEEEPS5_jNS1_19radix_merge_compareILb0ELb1EiNS0_19identity_decomposerEEEEE10hipError_tT0_T1_T2_jT3_P12ihipStream_tbPNSt15iterator_traitsISK_E10value_typeEPNSQ_ISL_E10value_typeEPSM_NS1_7vsmem_tEENKUlT_SK_SL_SM_E_clISE_PiSF_SF_EESJ_SZ_SK_SL_SM_EUlSZ_E_NS1_11comp_targetILNS1_3genE5ELNS1_11target_archE942ELNS1_3gpuE9ELNS1_3repE0EEENS1_48merge_mergepath_partition_config_static_selectorELNS0_4arch9wavefront6targetE0EEEvSL_.num_agpr, 0
	.set _ZN7rocprim17ROCPRIM_400000_NS6detail17trampoline_kernelINS0_14default_configENS1_38merge_sort_block_merge_config_selectorIiNS0_10empty_typeEEEZZNS1_27merge_sort_block_merge_implIS3_N6thrust23THRUST_200600_302600_NS6detail15normal_iteratorINS9_10device_ptrIiEEEEPS5_jNS1_19radix_merge_compareILb0ELb1EiNS0_19identity_decomposerEEEEE10hipError_tT0_T1_T2_jT3_P12ihipStream_tbPNSt15iterator_traitsISK_E10value_typeEPNSQ_ISL_E10value_typeEPSM_NS1_7vsmem_tEENKUlT_SK_SL_SM_E_clISE_PiSF_SF_EESJ_SZ_SK_SL_SM_EUlSZ_E_NS1_11comp_targetILNS1_3genE5ELNS1_11target_archE942ELNS1_3gpuE9ELNS1_3repE0EEENS1_48merge_mergepath_partition_config_static_selectorELNS0_4arch9wavefront6targetE0EEEvSL_.numbered_sgpr, 0
	.set _ZN7rocprim17ROCPRIM_400000_NS6detail17trampoline_kernelINS0_14default_configENS1_38merge_sort_block_merge_config_selectorIiNS0_10empty_typeEEEZZNS1_27merge_sort_block_merge_implIS3_N6thrust23THRUST_200600_302600_NS6detail15normal_iteratorINS9_10device_ptrIiEEEEPS5_jNS1_19radix_merge_compareILb0ELb1EiNS0_19identity_decomposerEEEEE10hipError_tT0_T1_T2_jT3_P12ihipStream_tbPNSt15iterator_traitsISK_E10value_typeEPNSQ_ISL_E10value_typeEPSM_NS1_7vsmem_tEENKUlT_SK_SL_SM_E_clISE_PiSF_SF_EESJ_SZ_SK_SL_SM_EUlSZ_E_NS1_11comp_targetILNS1_3genE5ELNS1_11target_archE942ELNS1_3gpuE9ELNS1_3repE0EEENS1_48merge_mergepath_partition_config_static_selectorELNS0_4arch9wavefront6targetE0EEEvSL_.num_named_barrier, 0
	.set _ZN7rocprim17ROCPRIM_400000_NS6detail17trampoline_kernelINS0_14default_configENS1_38merge_sort_block_merge_config_selectorIiNS0_10empty_typeEEEZZNS1_27merge_sort_block_merge_implIS3_N6thrust23THRUST_200600_302600_NS6detail15normal_iteratorINS9_10device_ptrIiEEEEPS5_jNS1_19radix_merge_compareILb0ELb1EiNS0_19identity_decomposerEEEEE10hipError_tT0_T1_T2_jT3_P12ihipStream_tbPNSt15iterator_traitsISK_E10value_typeEPNSQ_ISL_E10value_typeEPSM_NS1_7vsmem_tEENKUlT_SK_SL_SM_E_clISE_PiSF_SF_EESJ_SZ_SK_SL_SM_EUlSZ_E_NS1_11comp_targetILNS1_3genE5ELNS1_11target_archE942ELNS1_3gpuE9ELNS1_3repE0EEENS1_48merge_mergepath_partition_config_static_selectorELNS0_4arch9wavefront6targetE0EEEvSL_.private_seg_size, 0
	.set _ZN7rocprim17ROCPRIM_400000_NS6detail17trampoline_kernelINS0_14default_configENS1_38merge_sort_block_merge_config_selectorIiNS0_10empty_typeEEEZZNS1_27merge_sort_block_merge_implIS3_N6thrust23THRUST_200600_302600_NS6detail15normal_iteratorINS9_10device_ptrIiEEEEPS5_jNS1_19radix_merge_compareILb0ELb1EiNS0_19identity_decomposerEEEEE10hipError_tT0_T1_T2_jT3_P12ihipStream_tbPNSt15iterator_traitsISK_E10value_typeEPNSQ_ISL_E10value_typeEPSM_NS1_7vsmem_tEENKUlT_SK_SL_SM_E_clISE_PiSF_SF_EESJ_SZ_SK_SL_SM_EUlSZ_E_NS1_11comp_targetILNS1_3genE5ELNS1_11target_archE942ELNS1_3gpuE9ELNS1_3repE0EEENS1_48merge_mergepath_partition_config_static_selectorELNS0_4arch9wavefront6targetE0EEEvSL_.uses_vcc, 0
	.set _ZN7rocprim17ROCPRIM_400000_NS6detail17trampoline_kernelINS0_14default_configENS1_38merge_sort_block_merge_config_selectorIiNS0_10empty_typeEEEZZNS1_27merge_sort_block_merge_implIS3_N6thrust23THRUST_200600_302600_NS6detail15normal_iteratorINS9_10device_ptrIiEEEEPS5_jNS1_19radix_merge_compareILb0ELb1EiNS0_19identity_decomposerEEEEE10hipError_tT0_T1_T2_jT3_P12ihipStream_tbPNSt15iterator_traitsISK_E10value_typeEPNSQ_ISL_E10value_typeEPSM_NS1_7vsmem_tEENKUlT_SK_SL_SM_E_clISE_PiSF_SF_EESJ_SZ_SK_SL_SM_EUlSZ_E_NS1_11comp_targetILNS1_3genE5ELNS1_11target_archE942ELNS1_3gpuE9ELNS1_3repE0EEENS1_48merge_mergepath_partition_config_static_selectorELNS0_4arch9wavefront6targetE0EEEvSL_.uses_flat_scratch, 0
	.set _ZN7rocprim17ROCPRIM_400000_NS6detail17trampoline_kernelINS0_14default_configENS1_38merge_sort_block_merge_config_selectorIiNS0_10empty_typeEEEZZNS1_27merge_sort_block_merge_implIS3_N6thrust23THRUST_200600_302600_NS6detail15normal_iteratorINS9_10device_ptrIiEEEEPS5_jNS1_19radix_merge_compareILb0ELb1EiNS0_19identity_decomposerEEEEE10hipError_tT0_T1_T2_jT3_P12ihipStream_tbPNSt15iterator_traitsISK_E10value_typeEPNSQ_ISL_E10value_typeEPSM_NS1_7vsmem_tEENKUlT_SK_SL_SM_E_clISE_PiSF_SF_EESJ_SZ_SK_SL_SM_EUlSZ_E_NS1_11comp_targetILNS1_3genE5ELNS1_11target_archE942ELNS1_3gpuE9ELNS1_3repE0EEENS1_48merge_mergepath_partition_config_static_selectorELNS0_4arch9wavefront6targetE0EEEvSL_.has_dyn_sized_stack, 0
	.set _ZN7rocprim17ROCPRIM_400000_NS6detail17trampoline_kernelINS0_14default_configENS1_38merge_sort_block_merge_config_selectorIiNS0_10empty_typeEEEZZNS1_27merge_sort_block_merge_implIS3_N6thrust23THRUST_200600_302600_NS6detail15normal_iteratorINS9_10device_ptrIiEEEEPS5_jNS1_19radix_merge_compareILb0ELb1EiNS0_19identity_decomposerEEEEE10hipError_tT0_T1_T2_jT3_P12ihipStream_tbPNSt15iterator_traitsISK_E10value_typeEPNSQ_ISL_E10value_typeEPSM_NS1_7vsmem_tEENKUlT_SK_SL_SM_E_clISE_PiSF_SF_EESJ_SZ_SK_SL_SM_EUlSZ_E_NS1_11comp_targetILNS1_3genE5ELNS1_11target_archE942ELNS1_3gpuE9ELNS1_3repE0EEENS1_48merge_mergepath_partition_config_static_selectorELNS0_4arch9wavefront6targetE0EEEvSL_.has_recursion, 0
	.set _ZN7rocprim17ROCPRIM_400000_NS6detail17trampoline_kernelINS0_14default_configENS1_38merge_sort_block_merge_config_selectorIiNS0_10empty_typeEEEZZNS1_27merge_sort_block_merge_implIS3_N6thrust23THRUST_200600_302600_NS6detail15normal_iteratorINS9_10device_ptrIiEEEEPS5_jNS1_19radix_merge_compareILb0ELb1EiNS0_19identity_decomposerEEEEE10hipError_tT0_T1_T2_jT3_P12ihipStream_tbPNSt15iterator_traitsISK_E10value_typeEPNSQ_ISL_E10value_typeEPSM_NS1_7vsmem_tEENKUlT_SK_SL_SM_E_clISE_PiSF_SF_EESJ_SZ_SK_SL_SM_EUlSZ_E_NS1_11comp_targetILNS1_3genE5ELNS1_11target_archE942ELNS1_3gpuE9ELNS1_3repE0EEENS1_48merge_mergepath_partition_config_static_selectorELNS0_4arch9wavefront6targetE0EEEvSL_.has_indirect_call, 0
	.section	.AMDGPU.csdata,"",@progbits
; Kernel info:
; codeLenInByte = 0
; TotalNumSgprs: 0
; NumVgprs: 0
; ScratchSize: 0
; MemoryBound: 0
; FloatMode: 240
; IeeeMode: 1
; LDSByteSize: 0 bytes/workgroup (compile time only)
; SGPRBlocks: 0
; VGPRBlocks: 0
; NumSGPRsForWavesPerEU: 1
; NumVGPRsForWavesPerEU: 1
; Occupancy: 16
; WaveLimiterHint : 0
; COMPUTE_PGM_RSRC2:SCRATCH_EN: 0
; COMPUTE_PGM_RSRC2:USER_SGPR: 6
; COMPUTE_PGM_RSRC2:TRAP_HANDLER: 0
; COMPUTE_PGM_RSRC2:TGID_X_EN: 1
; COMPUTE_PGM_RSRC2:TGID_Y_EN: 0
; COMPUTE_PGM_RSRC2:TGID_Z_EN: 0
; COMPUTE_PGM_RSRC2:TIDIG_COMP_CNT: 0
	.section	.text._ZN7rocprim17ROCPRIM_400000_NS6detail17trampoline_kernelINS0_14default_configENS1_38merge_sort_block_merge_config_selectorIiNS0_10empty_typeEEEZZNS1_27merge_sort_block_merge_implIS3_N6thrust23THRUST_200600_302600_NS6detail15normal_iteratorINS9_10device_ptrIiEEEEPS5_jNS1_19radix_merge_compareILb0ELb1EiNS0_19identity_decomposerEEEEE10hipError_tT0_T1_T2_jT3_P12ihipStream_tbPNSt15iterator_traitsISK_E10value_typeEPNSQ_ISL_E10value_typeEPSM_NS1_7vsmem_tEENKUlT_SK_SL_SM_E_clISE_PiSF_SF_EESJ_SZ_SK_SL_SM_EUlSZ_E_NS1_11comp_targetILNS1_3genE4ELNS1_11target_archE910ELNS1_3gpuE8ELNS1_3repE0EEENS1_48merge_mergepath_partition_config_static_selectorELNS0_4arch9wavefront6targetE0EEEvSL_,"axG",@progbits,_ZN7rocprim17ROCPRIM_400000_NS6detail17trampoline_kernelINS0_14default_configENS1_38merge_sort_block_merge_config_selectorIiNS0_10empty_typeEEEZZNS1_27merge_sort_block_merge_implIS3_N6thrust23THRUST_200600_302600_NS6detail15normal_iteratorINS9_10device_ptrIiEEEEPS5_jNS1_19radix_merge_compareILb0ELb1EiNS0_19identity_decomposerEEEEE10hipError_tT0_T1_T2_jT3_P12ihipStream_tbPNSt15iterator_traitsISK_E10value_typeEPNSQ_ISL_E10value_typeEPSM_NS1_7vsmem_tEENKUlT_SK_SL_SM_E_clISE_PiSF_SF_EESJ_SZ_SK_SL_SM_EUlSZ_E_NS1_11comp_targetILNS1_3genE4ELNS1_11target_archE910ELNS1_3gpuE8ELNS1_3repE0EEENS1_48merge_mergepath_partition_config_static_selectorELNS0_4arch9wavefront6targetE0EEEvSL_,comdat
	.protected	_ZN7rocprim17ROCPRIM_400000_NS6detail17trampoline_kernelINS0_14default_configENS1_38merge_sort_block_merge_config_selectorIiNS0_10empty_typeEEEZZNS1_27merge_sort_block_merge_implIS3_N6thrust23THRUST_200600_302600_NS6detail15normal_iteratorINS9_10device_ptrIiEEEEPS5_jNS1_19radix_merge_compareILb0ELb1EiNS0_19identity_decomposerEEEEE10hipError_tT0_T1_T2_jT3_P12ihipStream_tbPNSt15iterator_traitsISK_E10value_typeEPNSQ_ISL_E10value_typeEPSM_NS1_7vsmem_tEENKUlT_SK_SL_SM_E_clISE_PiSF_SF_EESJ_SZ_SK_SL_SM_EUlSZ_E_NS1_11comp_targetILNS1_3genE4ELNS1_11target_archE910ELNS1_3gpuE8ELNS1_3repE0EEENS1_48merge_mergepath_partition_config_static_selectorELNS0_4arch9wavefront6targetE0EEEvSL_ ; -- Begin function _ZN7rocprim17ROCPRIM_400000_NS6detail17trampoline_kernelINS0_14default_configENS1_38merge_sort_block_merge_config_selectorIiNS0_10empty_typeEEEZZNS1_27merge_sort_block_merge_implIS3_N6thrust23THRUST_200600_302600_NS6detail15normal_iteratorINS9_10device_ptrIiEEEEPS5_jNS1_19radix_merge_compareILb0ELb1EiNS0_19identity_decomposerEEEEE10hipError_tT0_T1_T2_jT3_P12ihipStream_tbPNSt15iterator_traitsISK_E10value_typeEPNSQ_ISL_E10value_typeEPSM_NS1_7vsmem_tEENKUlT_SK_SL_SM_E_clISE_PiSF_SF_EESJ_SZ_SK_SL_SM_EUlSZ_E_NS1_11comp_targetILNS1_3genE4ELNS1_11target_archE910ELNS1_3gpuE8ELNS1_3repE0EEENS1_48merge_mergepath_partition_config_static_selectorELNS0_4arch9wavefront6targetE0EEEvSL_
	.globl	_ZN7rocprim17ROCPRIM_400000_NS6detail17trampoline_kernelINS0_14default_configENS1_38merge_sort_block_merge_config_selectorIiNS0_10empty_typeEEEZZNS1_27merge_sort_block_merge_implIS3_N6thrust23THRUST_200600_302600_NS6detail15normal_iteratorINS9_10device_ptrIiEEEEPS5_jNS1_19radix_merge_compareILb0ELb1EiNS0_19identity_decomposerEEEEE10hipError_tT0_T1_T2_jT3_P12ihipStream_tbPNSt15iterator_traitsISK_E10value_typeEPNSQ_ISL_E10value_typeEPSM_NS1_7vsmem_tEENKUlT_SK_SL_SM_E_clISE_PiSF_SF_EESJ_SZ_SK_SL_SM_EUlSZ_E_NS1_11comp_targetILNS1_3genE4ELNS1_11target_archE910ELNS1_3gpuE8ELNS1_3repE0EEENS1_48merge_mergepath_partition_config_static_selectorELNS0_4arch9wavefront6targetE0EEEvSL_
	.p2align	8
	.type	_ZN7rocprim17ROCPRIM_400000_NS6detail17trampoline_kernelINS0_14default_configENS1_38merge_sort_block_merge_config_selectorIiNS0_10empty_typeEEEZZNS1_27merge_sort_block_merge_implIS3_N6thrust23THRUST_200600_302600_NS6detail15normal_iteratorINS9_10device_ptrIiEEEEPS5_jNS1_19radix_merge_compareILb0ELb1EiNS0_19identity_decomposerEEEEE10hipError_tT0_T1_T2_jT3_P12ihipStream_tbPNSt15iterator_traitsISK_E10value_typeEPNSQ_ISL_E10value_typeEPSM_NS1_7vsmem_tEENKUlT_SK_SL_SM_E_clISE_PiSF_SF_EESJ_SZ_SK_SL_SM_EUlSZ_E_NS1_11comp_targetILNS1_3genE4ELNS1_11target_archE910ELNS1_3gpuE8ELNS1_3repE0EEENS1_48merge_mergepath_partition_config_static_selectorELNS0_4arch9wavefront6targetE0EEEvSL_,@function
_ZN7rocprim17ROCPRIM_400000_NS6detail17trampoline_kernelINS0_14default_configENS1_38merge_sort_block_merge_config_selectorIiNS0_10empty_typeEEEZZNS1_27merge_sort_block_merge_implIS3_N6thrust23THRUST_200600_302600_NS6detail15normal_iteratorINS9_10device_ptrIiEEEEPS5_jNS1_19radix_merge_compareILb0ELb1EiNS0_19identity_decomposerEEEEE10hipError_tT0_T1_T2_jT3_P12ihipStream_tbPNSt15iterator_traitsISK_E10value_typeEPNSQ_ISL_E10value_typeEPSM_NS1_7vsmem_tEENKUlT_SK_SL_SM_E_clISE_PiSF_SF_EESJ_SZ_SK_SL_SM_EUlSZ_E_NS1_11comp_targetILNS1_3genE4ELNS1_11target_archE910ELNS1_3gpuE8ELNS1_3repE0EEENS1_48merge_mergepath_partition_config_static_selectorELNS0_4arch9wavefront6targetE0EEEvSL_: ; @_ZN7rocprim17ROCPRIM_400000_NS6detail17trampoline_kernelINS0_14default_configENS1_38merge_sort_block_merge_config_selectorIiNS0_10empty_typeEEEZZNS1_27merge_sort_block_merge_implIS3_N6thrust23THRUST_200600_302600_NS6detail15normal_iteratorINS9_10device_ptrIiEEEEPS5_jNS1_19radix_merge_compareILb0ELb1EiNS0_19identity_decomposerEEEEE10hipError_tT0_T1_T2_jT3_P12ihipStream_tbPNSt15iterator_traitsISK_E10value_typeEPNSQ_ISL_E10value_typeEPSM_NS1_7vsmem_tEENKUlT_SK_SL_SM_E_clISE_PiSF_SF_EESJ_SZ_SK_SL_SM_EUlSZ_E_NS1_11comp_targetILNS1_3genE4ELNS1_11target_archE910ELNS1_3gpuE8ELNS1_3repE0EEENS1_48merge_mergepath_partition_config_static_selectorELNS0_4arch9wavefront6targetE0EEEvSL_
; %bb.0:
	.section	.rodata,"a",@progbits
	.p2align	6, 0x0
	.amdhsa_kernel _ZN7rocprim17ROCPRIM_400000_NS6detail17trampoline_kernelINS0_14default_configENS1_38merge_sort_block_merge_config_selectorIiNS0_10empty_typeEEEZZNS1_27merge_sort_block_merge_implIS3_N6thrust23THRUST_200600_302600_NS6detail15normal_iteratorINS9_10device_ptrIiEEEEPS5_jNS1_19radix_merge_compareILb0ELb1EiNS0_19identity_decomposerEEEEE10hipError_tT0_T1_T2_jT3_P12ihipStream_tbPNSt15iterator_traitsISK_E10value_typeEPNSQ_ISL_E10value_typeEPSM_NS1_7vsmem_tEENKUlT_SK_SL_SM_E_clISE_PiSF_SF_EESJ_SZ_SK_SL_SM_EUlSZ_E_NS1_11comp_targetILNS1_3genE4ELNS1_11target_archE910ELNS1_3gpuE8ELNS1_3repE0EEENS1_48merge_mergepath_partition_config_static_selectorELNS0_4arch9wavefront6targetE0EEEvSL_
		.amdhsa_group_segment_fixed_size 0
		.amdhsa_private_segment_fixed_size 0
		.amdhsa_kernarg_size 40
		.amdhsa_user_sgpr_count 6
		.amdhsa_user_sgpr_private_segment_buffer 1
		.amdhsa_user_sgpr_dispatch_ptr 0
		.amdhsa_user_sgpr_queue_ptr 0
		.amdhsa_user_sgpr_kernarg_segment_ptr 1
		.amdhsa_user_sgpr_dispatch_id 0
		.amdhsa_user_sgpr_flat_scratch_init 0
		.amdhsa_user_sgpr_private_segment_size 0
		.amdhsa_wavefront_size32 1
		.amdhsa_uses_dynamic_stack 0
		.amdhsa_system_sgpr_private_segment_wavefront_offset 0
		.amdhsa_system_sgpr_workgroup_id_x 1
		.amdhsa_system_sgpr_workgroup_id_y 0
		.amdhsa_system_sgpr_workgroup_id_z 0
		.amdhsa_system_sgpr_workgroup_info 0
		.amdhsa_system_vgpr_workitem_id 0
		.amdhsa_next_free_vgpr 1
		.amdhsa_next_free_sgpr 1
		.amdhsa_reserve_vcc 0
		.amdhsa_reserve_flat_scratch 0
		.amdhsa_float_round_mode_32 0
		.amdhsa_float_round_mode_16_64 0
		.amdhsa_float_denorm_mode_32 3
		.amdhsa_float_denorm_mode_16_64 3
		.amdhsa_dx10_clamp 1
		.amdhsa_ieee_mode 1
		.amdhsa_fp16_overflow 0
		.amdhsa_workgroup_processor_mode 1
		.amdhsa_memory_ordered 1
		.amdhsa_forward_progress 1
		.amdhsa_shared_vgpr_count 0
		.amdhsa_exception_fp_ieee_invalid_op 0
		.amdhsa_exception_fp_denorm_src 0
		.amdhsa_exception_fp_ieee_div_zero 0
		.amdhsa_exception_fp_ieee_overflow 0
		.amdhsa_exception_fp_ieee_underflow 0
		.amdhsa_exception_fp_ieee_inexact 0
		.amdhsa_exception_int_div_zero 0
	.end_amdhsa_kernel
	.section	.text._ZN7rocprim17ROCPRIM_400000_NS6detail17trampoline_kernelINS0_14default_configENS1_38merge_sort_block_merge_config_selectorIiNS0_10empty_typeEEEZZNS1_27merge_sort_block_merge_implIS3_N6thrust23THRUST_200600_302600_NS6detail15normal_iteratorINS9_10device_ptrIiEEEEPS5_jNS1_19radix_merge_compareILb0ELb1EiNS0_19identity_decomposerEEEEE10hipError_tT0_T1_T2_jT3_P12ihipStream_tbPNSt15iterator_traitsISK_E10value_typeEPNSQ_ISL_E10value_typeEPSM_NS1_7vsmem_tEENKUlT_SK_SL_SM_E_clISE_PiSF_SF_EESJ_SZ_SK_SL_SM_EUlSZ_E_NS1_11comp_targetILNS1_3genE4ELNS1_11target_archE910ELNS1_3gpuE8ELNS1_3repE0EEENS1_48merge_mergepath_partition_config_static_selectorELNS0_4arch9wavefront6targetE0EEEvSL_,"axG",@progbits,_ZN7rocprim17ROCPRIM_400000_NS6detail17trampoline_kernelINS0_14default_configENS1_38merge_sort_block_merge_config_selectorIiNS0_10empty_typeEEEZZNS1_27merge_sort_block_merge_implIS3_N6thrust23THRUST_200600_302600_NS6detail15normal_iteratorINS9_10device_ptrIiEEEEPS5_jNS1_19radix_merge_compareILb0ELb1EiNS0_19identity_decomposerEEEEE10hipError_tT0_T1_T2_jT3_P12ihipStream_tbPNSt15iterator_traitsISK_E10value_typeEPNSQ_ISL_E10value_typeEPSM_NS1_7vsmem_tEENKUlT_SK_SL_SM_E_clISE_PiSF_SF_EESJ_SZ_SK_SL_SM_EUlSZ_E_NS1_11comp_targetILNS1_3genE4ELNS1_11target_archE910ELNS1_3gpuE8ELNS1_3repE0EEENS1_48merge_mergepath_partition_config_static_selectorELNS0_4arch9wavefront6targetE0EEEvSL_,comdat
.Lfunc_end111:
	.size	_ZN7rocprim17ROCPRIM_400000_NS6detail17trampoline_kernelINS0_14default_configENS1_38merge_sort_block_merge_config_selectorIiNS0_10empty_typeEEEZZNS1_27merge_sort_block_merge_implIS3_N6thrust23THRUST_200600_302600_NS6detail15normal_iteratorINS9_10device_ptrIiEEEEPS5_jNS1_19radix_merge_compareILb0ELb1EiNS0_19identity_decomposerEEEEE10hipError_tT0_T1_T2_jT3_P12ihipStream_tbPNSt15iterator_traitsISK_E10value_typeEPNSQ_ISL_E10value_typeEPSM_NS1_7vsmem_tEENKUlT_SK_SL_SM_E_clISE_PiSF_SF_EESJ_SZ_SK_SL_SM_EUlSZ_E_NS1_11comp_targetILNS1_3genE4ELNS1_11target_archE910ELNS1_3gpuE8ELNS1_3repE0EEENS1_48merge_mergepath_partition_config_static_selectorELNS0_4arch9wavefront6targetE0EEEvSL_, .Lfunc_end111-_ZN7rocprim17ROCPRIM_400000_NS6detail17trampoline_kernelINS0_14default_configENS1_38merge_sort_block_merge_config_selectorIiNS0_10empty_typeEEEZZNS1_27merge_sort_block_merge_implIS3_N6thrust23THRUST_200600_302600_NS6detail15normal_iteratorINS9_10device_ptrIiEEEEPS5_jNS1_19radix_merge_compareILb0ELb1EiNS0_19identity_decomposerEEEEE10hipError_tT0_T1_T2_jT3_P12ihipStream_tbPNSt15iterator_traitsISK_E10value_typeEPNSQ_ISL_E10value_typeEPSM_NS1_7vsmem_tEENKUlT_SK_SL_SM_E_clISE_PiSF_SF_EESJ_SZ_SK_SL_SM_EUlSZ_E_NS1_11comp_targetILNS1_3genE4ELNS1_11target_archE910ELNS1_3gpuE8ELNS1_3repE0EEENS1_48merge_mergepath_partition_config_static_selectorELNS0_4arch9wavefront6targetE0EEEvSL_
                                        ; -- End function
	.set _ZN7rocprim17ROCPRIM_400000_NS6detail17trampoline_kernelINS0_14default_configENS1_38merge_sort_block_merge_config_selectorIiNS0_10empty_typeEEEZZNS1_27merge_sort_block_merge_implIS3_N6thrust23THRUST_200600_302600_NS6detail15normal_iteratorINS9_10device_ptrIiEEEEPS5_jNS1_19radix_merge_compareILb0ELb1EiNS0_19identity_decomposerEEEEE10hipError_tT0_T1_T2_jT3_P12ihipStream_tbPNSt15iterator_traitsISK_E10value_typeEPNSQ_ISL_E10value_typeEPSM_NS1_7vsmem_tEENKUlT_SK_SL_SM_E_clISE_PiSF_SF_EESJ_SZ_SK_SL_SM_EUlSZ_E_NS1_11comp_targetILNS1_3genE4ELNS1_11target_archE910ELNS1_3gpuE8ELNS1_3repE0EEENS1_48merge_mergepath_partition_config_static_selectorELNS0_4arch9wavefront6targetE0EEEvSL_.num_vgpr, 0
	.set _ZN7rocprim17ROCPRIM_400000_NS6detail17trampoline_kernelINS0_14default_configENS1_38merge_sort_block_merge_config_selectorIiNS0_10empty_typeEEEZZNS1_27merge_sort_block_merge_implIS3_N6thrust23THRUST_200600_302600_NS6detail15normal_iteratorINS9_10device_ptrIiEEEEPS5_jNS1_19radix_merge_compareILb0ELb1EiNS0_19identity_decomposerEEEEE10hipError_tT0_T1_T2_jT3_P12ihipStream_tbPNSt15iterator_traitsISK_E10value_typeEPNSQ_ISL_E10value_typeEPSM_NS1_7vsmem_tEENKUlT_SK_SL_SM_E_clISE_PiSF_SF_EESJ_SZ_SK_SL_SM_EUlSZ_E_NS1_11comp_targetILNS1_3genE4ELNS1_11target_archE910ELNS1_3gpuE8ELNS1_3repE0EEENS1_48merge_mergepath_partition_config_static_selectorELNS0_4arch9wavefront6targetE0EEEvSL_.num_agpr, 0
	.set _ZN7rocprim17ROCPRIM_400000_NS6detail17trampoline_kernelINS0_14default_configENS1_38merge_sort_block_merge_config_selectorIiNS0_10empty_typeEEEZZNS1_27merge_sort_block_merge_implIS3_N6thrust23THRUST_200600_302600_NS6detail15normal_iteratorINS9_10device_ptrIiEEEEPS5_jNS1_19radix_merge_compareILb0ELb1EiNS0_19identity_decomposerEEEEE10hipError_tT0_T1_T2_jT3_P12ihipStream_tbPNSt15iterator_traitsISK_E10value_typeEPNSQ_ISL_E10value_typeEPSM_NS1_7vsmem_tEENKUlT_SK_SL_SM_E_clISE_PiSF_SF_EESJ_SZ_SK_SL_SM_EUlSZ_E_NS1_11comp_targetILNS1_3genE4ELNS1_11target_archE910ELNS1_3gpuE8ELNS1_3repE0EEENS1_48merge_mergepath_partition_config_static_selectorELNS0_4arch9wavefront6targetE0EEEvSL_.numbered_sgpr, 0
	.set _ZN7rocprim17ROCPRIM_400000_NS6detail17trampoline_kernelINS0_14default_configENS1_38merge_sort_block_merge_config_selectorIiNS0_10empty_typeEEEZZNS1_27merge_sort_block_merge_implIS3_N6thrust23THRUST_200600_302600_NS6detail15normal_iteratorINS9_10device_ptrIiEEEEPS5_jNS1_19radix_merge_compareILb0ELb1EiNS0_19identity_decomposerEEEEE10hipError_tT0_T1_T2_jT3_P12ihipStream_tbPNSt15iterator_traitsISK_E10value_typeEPNSQ_ISL_E10value_typeEPSM_NS1_7vsmem_tEENKUlT_SK_SL_SM_E_clISE_PiSF_SF_EESJ_SZ_SK_SL_SM_EUlSZ_E_NS1_11comp_targetILNS1_3genE4ELNS1_11target_archE910ELNS1_3gpuE8ELNS1_3repE0EEENS1_48merge_mergepath_partition_config_static_selectorELNS0_4arch9wavefront6targetE0EEEvSL_.num_named_barrier, 0
	.set _ZN7rocprim17ROCPRIM_400000_NS6detail17trampoline_kernelINS0_14default_configENS1_38merge_sort_block_merge_config_selectorIiNS0_10empty_typeEEEZZNS1_27merge_sort_block_merge_implIS3_N6thrust23THRUST_200600_302600_NS6detail15normal_iteratorINS9_10device_ptrIiEEEEPS5_jNS1_19radix_merge_compareILb0ELb1EiNS0_19identity_decomposerEEEEE10hipError_tT0_T1_T2_jT3_P12ihipStream_tbPNSt15iterator_traitsISK_E10value_typeEPNSQ_ISL_E10value_typeEPSM_NS1_7vsmem_tEENKUlT_SK_SL_SM_E_clISE_PiSF_SF_EESJ_SZ_SK_SL_SM_EUlSZ_E_NS1_11comp_targetILNS1_3genE4ELNS1_11target_archE910ELNS1_3gpuE8ELNS1_3repE0EEENS1_48merge_mergepath_partition_config_static_selectorELNS0_4arch9wavefront6targetE0EEEvSL_.private_seg_size, 0
	.set _ZN7rocprim17ROCPRIM_400000_NS6detail17trampoline_kernelINS0_14default_configENS1_38merge_sort_block_merge_config_selectorIiNS0_10empty_typeEEEZZNS1_27merge_sort_block_merge_implIS3_N6thrust23THRUST_200600_302600_NS6detail15normal_iteratorINS9_10device_ptrIiEEEEPS5_jNS1_19radix_merge_compareILb0ELb1EiNS0_19identity_decomposerEEEEE10hipError_tT0_T1_T2_jT3_P12ihipStream_tbPNSt15iterator_traitsISK_E10value_typeEPNSQ_ISL_E10value_typeEPSM_NS1_7vsmem_tEENKUlT_SK_SL_SM_E_clISE_PiSF_SF_EESJ_SZ_SK_SL_SM_EUlSZ_E_NS1_11comp_targetILNS1_3genE4ELNS1_11target_archE910ELNS1_3gpuE8ELNS1_3repE0EEENS1_48merge_mergepath_partition_config_static_selectorELNS0_4arch9wavefront6targetE0EEEvSL_.uses_vcc, 0
	.set _ZN7rocprim17ROCPRIM_400000_NS6detail17trampoline_kernelINS0_14default_configENS1_38merge_sort_block_merge_config_selectorIiNS0_10empty_typeEEEZZNS1_27merge_sort_block_merge_implIS3_N6thrust23THRUST_200600_302600_NS6detail15normal_iteratorINS9_10device_ptrIiEEEEPS5_jNS1_19radix_merge_compareILb0ELb1EiNS0_19identity_decomposerEEEEE10hipError_tT0_T1_T2_jT3_P12ihipStream_tbPNSt15iterator_traitsISK_E10value_typeEPNSQ_ISL_E10value_typeEPSM_NS1_7vsmem_tEENKUlT_SK_SL_SM_E_clISE_PiSF_SF_EESJ_SZ_SK_SL_SM_EUlSZ_E_NS1_11comp_targetILNS1_3genE4ELNS1_11target_archE910ELNS1_3gpuE8ELNS1_3repE0EEENS1_48merge_mergepath_partition_config_static_selectorELNS0_4arch9wavefront6targetE0EEEvSL_.uses_flat_scratch, 0
	.set _ZN7rocprim17ROCPRIM_400000_NS6detail17trampoline_kernelINS0_14default_configENS1_38merge_sort_block_merge_config_selectorIiNS0_10empty_typeEEEZZNS1_27merge_sort_block_merge_implIS3_N6thrust23THRUST_200600_302600_NS6detail15normal_iteratorINS9_10device_ptrIiEEEEPS5_jNS1_19radix_merge_compareILb0ELb1EiNS0_19identity_decomposerEEEEE10hipError_tT0_T1_T2_jT3_P12ihipStream_tbPNSt15iterator_traitsISK_E10value_typeEPNSQ_ISL_E10value_typeEPSM_NS1_7vsmem_tEENKUlT_SK_SL_SM_E_clISE_PiSF_SF_EESJ_SZ_SK_SL_SM_EUlSZ_E_NS1_11comp_targetILNS1_3genE4ELNS1_11target_archE910ELNS1_3gpuE8ELNS1_3repE0EEENS1_48merge_mergepath_partition_config_static_selectorELNS0_4arch9wavefront6targetE0EEEvSL_.has_dyn_sized_stack, 0
	.set _ZN7rocprim17ROCPRIM_400000_NS6detail17trampoline_kernelINS0_14default_configENS1_38merge_sort_block_merge_config_selectorIiNS0_10empty_typeEEEZZNS1_27merge_sort_block_merge_implIS3_N6thrust23THRUST_200600_302600_NS6detail15normal_iteratorINS9_10device_ptrIiEEEEPS5_jNS1_19radix_merge_compareILb0ELb1EiNS0_19identity_decomposerEEEEE10hipError_tT0_T1_T2_jT3_P12ihipStream_tbPNSt15iterator_traitsISK_E10value_typeEPNSQ_ISL_E10value_typeEPSM_NS1_7vsmem_tEENKUlT_SK_SL_SM_E_clISE_PiSF_SF_EESJ_SZ_SK_SL_SM_EUlSZ_E_NS1_11comp_targetILNS1_3genE4ELNS1_11target_archE910ELNS1_3gpuE8ELNS1_3repE0EEENS1_48merge_mergepath_partition_config_static_selectorELNS0_4arch9wavefront6targetE0EEEvSL_.has_recursion, 0
	.set _ZN7rocprim17ROCPRIM_400000_NS6detail17trampoline_kernelINS0_14default_configENS1_38merge_sort_block_merge_config_selectorIiNS0_10empty_typeEEEZZNS1_27merge_sort_block_merge_implIS3_N6thrust23THRUST_200600_302600_NS6detail15normal_iteratorINS9_10device_ptrIiEEEEPS5_jNS1_19radix_merge_compareILb0ELb1EiNS0_19identity_decomposerEEEEE10hipError_tT0_T1_T2_jT3_P12ihipStream_tbPNSt15iterator_traitsISK_E10value_typeEPNSQ_ISL_E10value_typeEPSM_NS1_7vsmem_tEENKUlT_SK_SL_SM_E_clISE_PiSF_SF_EESJ_SZ_SK_SL_SM_EUlSZ_E_NS1_11comp_targetILNS1_3genE4ELNS1_11target_archE910ELNS1_3gpuE8ELNS1_3repE0EEENS1_48merge_mergepath_partition_config_static_selectorELNS0_4arch9wavefront6targetE0EEEvSL_.has_indirect_call, 0
	.section	.AMDGPU.csdata,"",@progbits
; Kernel info:
; codeLenInByte = 0
; TotalNumSgprs: 0
; NumVgprs: 0
; ScratchSize: 0
; MemoryBound: 0
; FloatMode: 240
; IeeeMode: 1
; LDSByteSize: 0 bytes/workgroup (compile time only)
; SGPRBlocks: 0
; VGPRBlocks: 0
; NumSGPRsForWavesPerEU: 1
; NumVGPRsForWavesPerEU: 1
; Occupancy: 16
; WaveLimiterHint : 0
; COMPUTE_PGM_RSRC2:SCRATCH_EN: 0
; COMPUTE_PGM_RSRC2:USER_SGPR: 6
; COMPUTE_PGM_RSRC2:TRAP_HANDLER: 0
; COMPUTE_PGM_RSRC2:TGID_X_EN: 1
; COMPUTE_PGM_RSRC2:TGID_Y_EN: 0
; COMPUTE_PGM_RSRC2:TGID_Z_EN: 0
; COMPUTE_PGM_RSRC2:TIDIG_COMP_CNT: 0
	.section	.text._ZN7rocprim17ROCPRIM_400000_NS6detail17trampoline_kernelINS0_14default_configENS1_38merge_sort_block_merge_config_selectorIiNS0_10empty_typeEEEZZNS1_27merge_sort_block_merge_implIS3_N6thrust23THRUST_200600_302600_NS6detail15normal_iteratorINS9_10device_ptrIiEEEEPS5_jNS1_19radix_merge_compareILb0ELb1EiNS0_19identity_decomposerEEEEE10hipError_tT0_T1_T2_jT3_P12ihipStream_tbPNSt15iterator_traitsISK_E10value_typeEPNSQ_ISL_E10value_typeEPSM_NS1_7vsmem_tEENKUlT_SK_SL_SM_E_clISE_PiSF_SF_EESJ_SZ_SK_SL_SM_EUlSZ_E_NS1_11comp_targetILNS1_3genE3ELNS1_11target_archE908ELNS1_3gpuE7ELNS1_3repE0EEENS1_48merge_mergepath_partition_config_static_selectorELNS0_4arch9wavefront6targetE0EEEvSL_,"axG",@progbits,_ZN7rocprim17ROCPRIM_400000_NS6detail17trampoline_kernelINS0_14default_configENS1_38merge_sort_block_merge_config_selectorIiNS0_10empty_typeEEEZZNS1_27merge_sort_block_merge_implIS3_N6thrust23THRUST_200600_302600_NS6detail15normal_iteratorINS9_10device_ptrIiEEEEPS5_jNS1_19radix_merge_compareILb0ELb1EiNS0_19identity_decomposerEEEEE10hipError_tT0_T1_T2_jT3_P12ihipStream_tbPNSt15iterator_traitsISK_E10value_typeEPNSQ_ISL_E10value_typeEPSM_NS1_7vsmem_tEENKUlT_SK_SL_SM_E_clISE_PiSF_SF_EESJ_SZ_SK_SL_SM_EUlSZ_E_NS1_11comp_targetILNS1_3genE3ELNS1_11target_archE908ELNS1_3gpuE7ELNS1_3repE0EEENS1_48merge_mergepath_partition_config_static_selectorELNS0_4arch9wavefront6targetE0EEEvSL_,comdat
	.protected	_ZN7rocprim17ROCPRIM_400000_NS6detail17trampoline_kernelINS0_14default_configENS1_38merge_sort_block_merge_config_selectorIiNS0_10empty_typeEEEZZNS1_27merge_sort_block_merge_implIS3_N6thrust23THRUST_200600_302600_NS6detail15normal_iteratorINS9_10device_ptrIiEEEEPS5_jNS1_19radix_merge_compareILb0ELb1EiNS0_19identity_decomposerEEEEE10hipError_tT0_T1_T2_jT3_P12ihipStream_tbPNSt15iterator_traitsISK_E10value_typeEPNSQ_ISL_E10value_typeEPSM_NS1_7vsmem_tEENKUlT_SK_SL_SM_E_clISE_PiSF_SF_EESJ_SZ_SK_SL_SM_EUlSZ_E_NS1_11comp_targetILNS1_3genE3ELNS1_11target_archE908ELNS1_3gpuE7ELNS1_3repE0EEENS1_48merge_mergepath_partition_config_static_selectorELNS0_4arch9wavefront6targetE0EEEvSL_ ; -- Begin function _ZN7rocprim17ROCPRIM_400000_NS6detail17trampoline_kernelINS0_14default_configENS1_38merge_sort_block_merge_config_selectorIiNS0_10empty_typeEEEZZNS1_27merge_sort_block_merge_implIS3_N6thrust23THRUST_200600_302600_NS6detail15normal_iteratorINS9_10device_ptrIiEEEEPS5_jNS1_19radix_merge_compareILb0ELb1EiNS0_19identity_decomposerEEEEE10hipError_tT0_T1_T2_jT3_P12ihipStream_tbPNSt15iterator_traitsISK_E10value_typeEPNSQ_ISL_E10value_typeEPSM_NS1_7vsmem_tEENKUlT_SK_SL_SM_E_clISE_PiSF_SF_EESJ_SZ_SK_SL_SM_EUlSZ_E_NS1_11comp_targetILNS1_3genE3ELNS1_11target_archE908ELNS1_3gpuE7ELNS1_3repE0EEENS1_48merge_mergepath_partition_config_static_selectorELNS0_4arch9wavefront6targetE0EEEvSL_
	.globl	_ZN7rocprim17ROCPRIM_400000_NS6detail17trampoline_kernelINS0_14default_configENS1_38merge_sort_block_merge_config_selectorIiNS0_10empty_typeEEEZZNS1_27merge_sort_block_merge_implIS3_N6thrust23THRUST_200600_302600_NS6detail15normal_iteratorINS9_10device_ptrIiEEEEPS5_jNS1_19radix_merge_compareILb0ELb1EiNS0_19identity_decomposerEEEEE10hipError_tT0_T1_T2_jT3_P12ihipStream_tbPNSt15iterator_traitsISK_E10value_typeEPNSQ_ISL_E10value_typeEPSM_NS1_7vsmem_tEENKUlT_SK_SL_SM_E_clISE_PiSF_SF_EESJ_SZ_SK_SL_SM_EUlSZ_E_NS1_11comp_targetILNS1_3genE3ELNS1_11target_archE908ELNS1_3gpuE7ELNS1_3repE0EEENS1_48merge_mergepath_partition_config_static_selectorELNS0_4arch9wavefront6targetE0EEEvSL_
	.p2align	8
	.type	_ZN7rocprim17ROCPRIM_400000_NS6detail17trampoline_kernelINS0_14default_configENS1_38merge_sort_block_merge_config_selectorIiNS0_10empty_typeEEEZZNS1_27merge_sort_block_merge_implIS3_N6thrust23THRUST_200600_302600_NS6detail15normal_iteratorINS9_10device_ptrIiEEEEPS5_jNS1_19radix_merge_compareILb0ELb1EiNS0_19identity_decomposerEEEEE10hipError_tT0_T1_T2_jT3_P12ihipStream_tbPNSt15iterator_traitsISK_E10value_typeEPNSQ_ISL_E10value_typeEPSM_NS1_7vsmem_tEENKUlT_SK_SL_SM_E_clISE_PiSF_SF_EESJ_SZ_SK_SL_SM_EUlSZ_E_NS1_11comp_targetILNS1_3genE3ELNS1_11target_archE908ELNS1_3gpuE7ELNS1_3repE0EEENS1_48merge_mergepath_partition_config_static_selectorELNS0_4arch9wavefront6targetE0EEEvSL_,@function
_ZN7rocprim17ROCPRIM_400000_NS6detail17trampoline_kernelINS0_14default_configENS1_38merge_sort_block_merge_config_selectorIiNS0_10empty_typeEEEZZNS1_27merge_sort_block_merge_implIS3_N6thrust23THRUST_200600_302600_NS6detail15normal_iteratorINS9_10device_ptrIiEEEEPS5_jNS1_19radix_merge_compareILb0ELb1EiNS0_19identity_decomposerEEEEE10hipError_tT0_T1_T2_jT3_P12ihipStream_tbPNSt15iterator_traitsISK_E10value_typeEPNSQ_ISL_E10value_typeEPSM_NS1_7vsmem_tEENKUlT_SK_SL_SM_E_clISE_PiSF_SF_EESJ_SZ_SK_SL_SM_EUlSZ_E_NS1_11comp_targetILNS1_3genE3ELNS1_11target_archE908ELNS1_3gpuE7ELNS1_3repE0EEENS1_48merge_mergepath_partition_config_static_selectorELNS0_4arch9wavefront6targetE0EEEvSL_: ; @_ZN7rocprim17ROCPRIM_400000_NS6detail17trampoline_kernelINS0_14default_configENS1_38merge_sort_block_merge_config_selectorIiNS0_10empty_typeEEEZZNS1_27merge_sort_block_merge_implIS3_N6thrust23THRUST_200600_302600_NS6detail15normal_iteratorINS9_10device_ptrIiEEEEPS5_jNS1_19radix_merge_compareILb0ELb1EiNS0_19identity_decomposerEEEEE10hipError_tT0_T1_T2_jT3_P12ihipStream_tbPNSt15iterator_traitsISK_E10value_typeEPNSQ_ISL_E10value_typeEPSM_NS1_7vsmem_tEENKUlT_SK_SL_SM_E_clISE_PiSF_SF_EESJ_SZ_SK_SL_SM_EUlSZ_E_NS1_11comp_targetILNS1_3genE3ELNS1_11target_archE908ELNS1_3gpuE7ELNS1_3repE0EEENS1_48merge_mergepath_partition_config_static_selectorELNS0_4arch9wavefront6targetE0EEEvSL_
; %bb.0:
	.section	.rodata,"a",@progbits
	.p2align	6, 0x0
	.amdhsa_kernel _ZN7rocprim17ROCPRIM_400000_NS6detail17trampoline_kernelINS0_14default_configENS1_38merge_sort_block_merge_config_selectorIiNS0_10empty_typeEEEZZNS1_27merge_sort_block_merge_implIS3_N6thrust23THRUST_200600_302600_NS6detail15normal_iteratorINS9_10device_ptrIiEEEEPS5_jNS1_19radix_merge_compareILb0ELb1EiNS0_19identity_decomposerEEEEE10hipError_tT0_T1_T2_jT3_P12ihipStream_tbPNSt15iterator_traitsISK_E10value_typeEPNSQ_ISL_E10value_typeEPSM_NS1_7vsmem_tEENKUlT_SK_SL_SM_E_clISE_PiSF_SF_EESJ_SZ_SK_SL_SM_EUlSZ_E_NS1_11comp_targetILNS1_3genE3ELNS1_11target_archE908ELNS1_3gpuE7ELNS1_3repE0EEENS1_48merge_mergepath_partition_config_static_selectorELNS0_4arch9wavefront6targetE0EEEvSL_
		.amdhsa_group_segment_fixed_size 0
		.amdhsa_private_segment_fixed_size 0
		.amdhsa_kernarg_size 40
		.amdhsa_user_sgpr_count 6
		.amdhsa_user_sgpr_private_segment_buffer 1
		.amdhsa_user_sgpr_dispatch_ptr 0
		.amdhsa_user_sgpr_queue_ptr 0
		.amdhsa_user_sgpr_kernarg_segment_ptr 1
		.amdhsa_user_sgpr_dispatch_id 0
		.amdhsa_user_sgpr_flat_scratch_init 0
		.amdhsa_user_sgpr_private_segment_size 0
		.amdhsa_wavefront_size32 1
		.amdhsa_uses_dynamic_stack 0
		.amdhsa_system_sgpr_private_segment_wavefront_offset 0
		.amdhsa_system_sgpr_workgroup_id_x 1
		.amdhsa_system_sgpr_workgroup_id_y 0
		.amdhsa_system_sgpr_workgroup_id_z 0
		.amdhsa_system_sgpr_workgroup_info 0
		.amdhsa_system_vgpr_workitem_id 0
		.amdhsa_next_free_vgpr 1
		.amdhsa_next_free_sgpr 1
		.amdhsa_reserve_vcc 0
		.amdhsa_reserve_flat_scratch 0
		.amdhsa_float_round_mode_32 0
		.amdhsa_float_round_mode_16_64 0
		.amdhsa_float_denorm_mode_32 3
		.amdhsa_float_denorm_mode_16_64 3
		.amdhsa_dx10_clamp 1
		.amdhsa_ieee_mode 1
		.amdhsa_fp16_overflow 0
		.amdhsa_workgroup_processor_mode 1
		.amdhsa_memory_ordered 1
		.amdhsa_forward_progress 1
		.amdhsa_shared_vgpr_count 0
		.amdhsa_exception_fp_ieee_invalid_op 0
		.amdhsa_exception_fp_denorm_src 0
		.amdhsa_exception_fp_ieee_div_zero 0
		.amdhsa_exception_fp_ieee_overflow 0
		.amdhsa_exception_fp_ieee_underflow 0
		.amdhsa_exception_fp_ieee_inexact 0
		.amdhsa_exception_int_div_zero 0
	.end_amdhsa_kernel
	.section	.text._ZN7rocprim17ROCPRIM_400000_NS6detail17trampoline_kernelINS0_14default_configENS1_38merge_sort_block_merge_config_selectorIiNS0_10empty_typeEEEZZNS1_27merge_sort_block_merge_implIS3_N6thrust23THRUST_200600_302600_NS6detail15normal_iteratorINS9_10device_ptrIiEEEEPS5_jNS1_19radix_merge_compareILb0ELb1EiNS0_19identity_decomposerEEEEE10hipError_tT0_T1_T2_jT3_P12ihipStream_tbPNSt15iterator_traitsISK_E10value_typeEPNSQ_ISL_E10value_typeEPSM_NS1_7vsmem_tEENKUlT_SK_SL_SM_E_clISE_PiSF_SF_EESJ_SZ_SK_SL_SM_EUlSZ_E_NS1_11comp_targetILNS1_3genE3ELNS1_11target_archE908ELNS1_3gpuE7ELNS1_3repE0EEENS1_48merge_mergepath_partition_config_static_selectorELNS0_4arch9wavefront6targetE0EEEvSL_,"axG",@progbits,_ZN7rocprim17ROCPRIM_400000_NS6detail17trampoline_kernelINS0_14default_configENS1_38merge_sort_block_merge_config_selectorIiNS0_10empty_typeEEEZZNS1_27merge_sort_block_merge_implIS3_N6thrust23THRUST_200600_302600_NS6detail15normal_iteratorINS9_10device_ptrIiEEEEPS5_jNS1_19radix_merge_compareILb0ELb1EiNS0_19identity_decomposerEEEEE10hipError_tT0_T1_T2_jT3_P12ihipStream_tbPNSt15iterator_traitsISK_E10value_typeEPNSQ_ISL_E10value_typeEPSM_NS1_7vsmem_tEENKUlT_SK_SL_SM_E_clISE_PiSF_SF_EESJ_SZ_SK_SL_SM_EUlSZ_E_NS1_11comp_targetILNS1_3genE3ELNS1_11target_archE908ELNS1_3gpuE7ELNS1_3repE0EEENS1_48merge_mergepath_partition_config_static_selectorELNS0_4arch9wavefront6targetE0EEEvSL_,comdat
.Lfunc_end112:
	.size	_ZN7rocprim17ROCPRIM_400000_NS6detail17trampoline_kernelINS0_14default_configENS1_38merge_sort_block_merge_config_selectorIiNS0_10empty_typeEEEZZNS1_27merge_sort_block_merge_implIS3_N6thrust23THRUST_200600_302600_NS6detail15normal_iteratorINS9_10device_ptrIiEEEEPS5_jNS1_19radix_merge_compareILb0ELb1EiNS0_19identity_decomposerEEEEE10hipError_tT0_T1_T2_jT3_P12ihipStream_tbPNSt15iterator_traitsISK_E10value_typeEPNSQ_ISL_E10value_typeEPSM_NS1_7vsmem_tEENKUlT_SK_SL_SM_E_clISE_PiSF_SF_EESJ_SZ_SK_SL_SM_EUlSZ_E_NS1_11comp_targetILNS1_3genE3ELNS1_11target_archE908ELNS1_3gpuE7ELNS1_3repE0EEENS1_48merge_mergepath_partition_config_static_selectorELNS0_4arch9wavefront6targetE0EEEvSL_, .Lfunc_end112-_ZN7rocprim17ROCPRIM_400000_NS6detail17trampoline_kernelINS0_14default_configENS1_38merge_sort_block_merge_config_selectorIiNS0_10empty_typeEEEZZNS1_27merge_sort_block_merge_implIS3_N6thrust23THRUST_200600_302600_NS6detail15normal_iteratorINS9_10device_ptrIiEEEEPS5_jNS1_19radix_merge_compareILb0ELb1EiNS0_19identity_decomposerEEEEE10hipError_tT0_T1_T2_jT3_P12ihipStream_tbPNSt15iterator_traitsISK_E10value_typeEPNSQ_ISL_E10value_typeEPSM_NS1_7vsmem_tEENKUlT_SK_SL_SM_E_clISE_PiSF_SF_EESJ_SZ_SK_SL_SM_EUlSZ_E_NS1_11comp_targetILNS1_3genE3ELNS1_11target_archE908ELNS1_3gpuE7ELNS1_3repE0EEENS1_48merge_mergepath_partition_config_static_selectorELNS0_4arch9wavefront6targetE0EEEvSL_
                                        ; -- End function
	.set _ZN7rocprim17ROCPRIM_400000_NS6detail17trampoline_kernelINS0_14default_configENS1_38merge_sort_block_merge_config_selectorIiNS0_10empty_typeEEEZZNS1_27merge_sort_block_merge_implIS3_N6thrust23THRUST_200600_302600_NS6detail15normal_iteratorINS9_10device_ptrIiEEEEPS5_jNS1_19radix_merge_compareILb0ELb1EiNS0_19identity_decomposerEEEEE10hipError_tT0_T1_T2_jT3_P12ihipStream_tbPNSt15iterator_traitsISK_E10value_typeEPNSQ_ISL_E10value_typeEPSM_NS1_7vsmem_tEENKUlT_SK_SL_SM_E_clISE_PiSF_SF_EESJ_SZ_SK_SL_SM_EUlSZ_E_NS1_11comp_targetILNS1_3genE3ELNS1_11target_archE908ELNS1_3gpuE7ELNS1_3repE0EEENS1_48merge_mergepath_partition_config_static_selectorELNS0_4arch9wavefront6targetE0EEEvSL_.num_vgpr, 0
	.set _ZN7rocprim17ROCPRIM_400000_NS6detail17trampoline_kernelINS0_14default_configENS1_38merge_sort_block_merge_config_selectorIiNS0_10empty_typeEEEZZNS1_27merge_sort_block_merge_implIS3_N6thrust23THRUST_200600_302600_NS6detail15normal_iteratorINS9_10device_ptrIiEEEEPS5_jNS1_19radix_merge_compareILb0ELb1EiNS0_19identity_decomposerEEEEE10hipError_tT0_T1_T2_jT3_P12ihipStream_tbPNSt15iterator_traitsISK_E10value_typeEPNSQ_ISL_E10value_typeEPSM_NS1_7vsmem_tEENKUlT_SK_SL_SM_E_clISE_PiSF_SF_EESJ_SZ_SK_SL_SM_EUlSZ_E_NS1_11comp_targetILNS1_3genE3ELNS1_11target_archE908ELNS1_3gpuE7ELNS1_3repE0EEENS1_48merge_mergepath_partition_config_static_selectorELNS0_4arch9wavefront6targetE0EEEvSL_.num_agpr, 0
	.set _ZN7rocprim17ROCPRIM_400000_NS6detail17trampoline_kernelINS0_14default_configENS1_38merge_sort_block_merge_config_selectorIiNS0_10empty_typeEEEZZNS1_27merge_sort_block_merge_implIS3_N6thrust23THRUST_200600_302600_NS6detail15normal_iteratorINS9_10device_ptrIiEEEEPS5_jNS1_19radix_merge_compareILb0ELb1EiNS0_19identity_decomposerEEEEE10hipError_tT0_T1_T2_jT3_P12ihipStream_tbPNSt15iterator_traitsISK_E10value_typeEPNSQ_ISL_E10value_typeEPSM_NS1_7vsmem_tEENKUlT_SK_SL_SM_E_clISE_PiSF_SF_EESJ_SZ_SK_SL_SM_EUlSZ_E_NS1_11comp_targetILNS1_3genE3ELNS1_11target_archE908ELNS1_3gpuE7ELNS1_3repE0EEENS1_48merge_mergepath_partition_config_static_selectorELNS0_4arch9wavefront6targetE0EEEvSL_.numbered_sgpr, 0
	.set _ZN7rocprim17ROCPRIM_400000_NS6detail17trampoline_kernelINS0_14default_configENS1_38merge_sort_block_merge_config_selectorIiNS0_10empty_typeEEEZZNS1_27merge_sort_block_merge_implIS3_N6thrust23THRUST_200600_302600_NS6detail15normal_iteratorINS9_10device_ptrIiEEEEPS5_jNS1_19radix_merge_compareILb0ELb1EiNS0_19identity_decomposerEEEEE10hipError_tT0_T1_T2_jT3_P12ihipStream_tbPNSt15iterator_traitsISK_E10value_typeEPNSQ_ISL_E10value_typeEPSM_NS1_7vsmem_tEENKUlT_SK_SL_SM_E_clISE_PiSF_SF_EESJ_SZ_SK_SL_SM_EUlSZ_E_NS1_11comp_targetILNS1_3genE3ELNS1_11target_archE908ELNS1_3gpuE7ELNS1_3repE0EEENS1_48merge_mergepath_partition_config_static_selectorELNS0_4arch9wavefront6targetE0EEEvSL_.num_named_barrier, 0
	.set _ZN7rocprim17ROCPRIM_400000_NS6detail17trampoline_kernelINS0_14default_configENS1_38merge_sort_block_merge_config_selectorIiNS0_10empty_typeEEEZZNS1_27merge_sort_block_merge_implIS3_N6thrust23THRUST_200600_302600_NS6detail15normal_iteratorINS9_10device_ptrIiEEEEPS5_jNS1_19radix_merge_compareILb0ELb1EiNS0_19identity_decomposerEEEEE10hipError_tT0_T1_T2_jT3_P12ihipStream_tbPNSt15iterator_traitsISK_E10value_typeEPNSQ_ISL_E10value_typeEPSM_NS1_7vsmem_tEENKUlT_SK_SL_SM_E_clISE_PiSF_SF_EESJ_SZ_SK_SL_SM_EUlSZ_E_NS1_11comp_targetILNS1_3genE3ELNS1_11target_archE908ELNS1_3gpuE7ELNS1_3repE0EEENS1_48merge_mergepath_partition_config_static_selectorELNS0_4arch9wavefront6targetE0EEEvSL_.private_seg_size, 0
	.set _ZN7rocprim17ROCPRIM_400000_NS6detail17trampoline_kernelINS0_14default_configENS1_38merge_sort_block_merge_config_selectorIiNS0_10empty_typeEEEZZNS1_27merge_sort_block_merge_implIS3_N6thrust23THRUST_200600_302600_NS6detail15normal_iteratorINS9_10device_ptrIiEEEEPS5_jNS1_19radix_merge_compareILb0ELb1EiNS0_19identity_decomposerEEEEE10hipError_tT0_T1_T2_jT3_P12ihipStream_tbPNSt15iterator_traitsISK_E10value_typeEPNSQ_ISL_E10value_typeEPSM_NS1_7vsmem_tEENKUlT_SK_SL_SM_E_clISE_PiSF_SF_EESJ_SZ_SK_SL_SM_EUlSZ_E_NS1_11comp_targetILNS1_3genE3ELNS1_11target_archE908ELNS1_3gpuE7ELNS1_3repE0EEENS1_48merge_mergepath_partition_config_static_selectorELNS0_4arch9wavefront6targetE0EEEvSL_.uses_vcc, 0
	.set _ZN7rocprim17ROCPRIM_400000_NS6detail17trampoline_kernelINS0_14default_configENS1_38merge_sort_block_merge_config_selectorIiNS0_10empty_typeEEEZZNS1_27merge_sort_block_merge_implIS3_N6thrust23THRUST_200600_302600_NS6detail15normal_iteratorINS9_10device_ptrIiEEEEPS5_jNS1_19radix_merge_compareILb0ELb1EiNS0_19identity_decomposerEEEEE10hipError_tT0_T1_T2_jT3_P12ihipStream_tbPNSt15iterator_traitsISK_E10value_typeEPNSQ_ISL_E10value_typeEPSM_NS1_7vsmem_tEENKUlT_SK_SL_SM_E_clISE_PiSF_SF_EESJ_SZ_SK_SL_SM_EUlSZ_E_NS1_11comp_targetILNS1_3genE3ELNS1_11target_archE908ELNS1_3gpuE7ELNS1_3repE0EEENS1_48merge_mergepath_partition_config_static_selectorELNS0_4arch9wavefront6targetE0EEEvSL_.uses_flat_scratch, 0
	.set _ZN7rocprim17ROCPRIM_400000_NS6detail17trampoline_kernelINS0_14default_configENS1_38merge_sort_block_merge_config_selectorIiNS0_10empty_typeEEEZZNS1_27merge_sort_block_merge_implIS3_N6thrust23THRUST_200600_302600_NS6detail15normal_iteratorINS9_10device_ptrIiEEEEPS5_jNS1_19radix_merge_compareILb0ELb1EiNS0_19identity_decomposerEEEEE10hipError_tT0_T1_T2_jT3_P12ihipStream_tbPNSt15iterator_traitsISK_E10value_typeEPNSQ_ISL_E10value_typeEPSM_NS1_7vsmem_tEENKUlT_SK_SL_SM_E_clISE_PiSF_SF_EESJ_SZ_SK_SL_SM_EUlSZ_E_NS1_11comp_targetILNS1_3genE3ELNS1_11target_archE908ELNS1_3gpuE7ELNS1_3repE0EEENS1_48merge_mergepath_partition_config_static_selectorELNS0_4arch9wavefront6targetE0EEEvSL_.has_dyn_sized_stack, 0
	.set _ZN7rocprim17ROCPRIM_400000_NS6detail17trampoline_kernelINS0_14default_configENS1_38merge_sort_block_merge_config_selectorIiNS0_10empty_typeEEEZZNS1_27merge_sort_block_merge_implIS3_N6thrust23THRUST_200600_302600_NS6detail15normal_iteratorINS9_10device_ptrIiEEEEPS5_jNS1_19radix_merge_compareILb0ELb1EiNS0_19identity_decomposerEEEEE10hipError_tT0_T1_T2_jT3_P12ihipStream_tbPNSt15iterator_traitsISK_E10value_typeEPNSQ_ISL_E10value_typeEPSM_NS1_7vsmem_tEENKUlT_SK_SL_SM_E_clISE_PiSF_SF_EESJ_SZ_SK_SL_SM_EUlSZ_E_NS1_11comp_targetILNS1_3genE3ELNS1_11target_archE908ELNS1_3gpuE7ELNS1_3repE0EEENS1_48merge_mergepath_partition_config_static_selectorELNS0_4arch9wavefront6targetE0EEEvSL_.has_recursion, 0
	.set _ZN7rocprim17ROCPRIM_400000_NS6detail17trampoline_kernelINS0_14default_configENS1_38merge_sort_block_merge_config_selectorIiNS0_10empty_typeEEEZZNS1_27merge_sort_block_merge_implIS3_N6thrust23THRUST_200600_302600_NS6detail15normal_iteratorINS9_10device_ptrIiEEEEPS5_jNS1_19radix_merge_compareILb0ELb1EiNS0_19identity_decomposerEEEEE10hipError_tT0_T1_T2_jT3_P12ihipStream_tbPNSt15iterator_traitsISK_E10value_typeEPNSQ_ISL_E10value_typeEPSM_NS1_7vsmem_tEENKUlT_SK_SL_SM_E_clISE_PiSF_SF_EESJ_SZ_SK_SL_SM_EUlSZ_E_NS1_11comp_targetILNS1_3genE3ELNS1_11target_archE908ELNS1_3gpuE7ELNS1_3repE0EEENS1_48merge_mergepath_partition_config_static_selectorELNS0_4arch9wavefront6targetE0EEEvSL_.has_indirect_call, 0
	.section	.AMDGPU.csdata,"",@progbits
; Kernel info:
; codeLenInByte = 0
; TotalNumSgprs: 0
; NumVgprs: 0
; ScratchSize: 0
; MemoryBound: 0
; FloatMode: 240
; IeeeMode: 1
; LDSByteSize: 0 bytes/workgroup (compile time only)
; SGPRBlocks: 0
; VGPRBlocks: 0
; NumSGPRsForWavesPerEU: 1
; NumVGPRsForWavesPerEU: 1
; Occupancy: 16
; WaveLimiterHint : 0
; COMPUTE_PGM_RSRC2:SCRATCH_EN: 0
; COMPUTE_PGM_RSRC2:USER_SGPR: 6
; COMPUTE_PGM_RSRC2:TRAP_HANDLER: 0
; COMPUTE_PGM_RSRC2:TGID_X_EN: 1
; COMPUTE_PGM_RSRC2:TGID_Y_EN: 0
; COMPUTE_PGM_RSRC2:TGID_Z_EN: 0
; COMPUTE_PGM_RSRC2:TIDIG_COMP_CNT: 0
	.section	.text._ZN7rocprim17ROCPRIM_400000_NS6detail17trampoline_kernelINS0_14default_configENS1_38merge_sort_block_merge_config_selectorIiNS0_10empty_typeEEEZZNS1_27merge_sort_block_merge_implIS3_N6thrust23THRUST_200600_302600_NS6detail15normal_iteratorINS9_10device_ptrIiEEEEPS5_jNS1_19radix_merge_compareILb0ELb1EiNS0_19identity_decomposerEEEEE10hipError_tT0_T1_T2_jT3_P12ihipStream_tbPNSt15iterator_traitsISK_E10value_typeEPNSQ_ISL_E10value_typeEPSM_NS1_7vsmem_tEENKUlT_SK_SL_SM_E_clISE_PiSF_SF_EESJ_SZ_SK_SL_SM_EUlSZ_E_NS1_11comp_targetILNS1_3genE2ELNS1_11target_archE906ELNS1_3gpuE6ELNS1_3repE0EEENS1_48merge_mergepath_partition_config_static_selectorELNS0_4arch9wavefront6targetE0EEEvSL_,"axG",@progbits,_ZN7rocprim17ROCPRIM_400000_NS6detail17trampoline_kernelINS0_14default_configENS1_38merge_sort_block_merge_config_selectorIiNS0_10empty_typeEEEZZNS1_27merge_sort_block_merge_implIS3_N6thrust23THRUST_200600_302600_NS6detail15normal_iteratorINS9_10device_ptrIiEEEEPS5_jNS1_19radix_merge_compareILb0ELb1EiNS0_19identity_decomposerEEEEE10hipError_tT0_T1_T2_jT3_P12ihipStream_tbPNSt15iterator_traitsISK_E10value_typeEPNSQ_ISL_E10value_typeEPSM_NS1_7vsmem_tEENKUlT_SK_SL_SM_E_clISE_PiSF_SF_EESJ_SZ_SK_SL_SM_EUlSZ_E_NS1_11comp_targetILNS1_3genE2ELNS1_11target_archE906ELNS1_3gpuE6ELNS1_3repE0EEENS1_48merge_mergepath_partition_config_static_selectorELNS0_4arch9wavefront6targetE0EEEvSL_,comdat
	.protected	_ZN7rocprim17ROCPRIM_400000_NS6detail17trampoline_kernelINS0_14default_configENS1_38merge_sort_block_merge_config_selectorIiNS0_10empty_typeEEEZZNS1_27merge_sort_block_merge_implIS3_N6thrust23THRUST_200600_302600_NS6detail15normal_iteratorINS9_10device_ptrIiEEEEPS5_jNS1_19radix_merge_compareILb0ELb1EiNS0_19identity_decomposerEEEEE10hipError_tT0_T1_T2_jT3_P12ihipStream_tbPNSt15iterator_traitsISK_E10value_typeEPNSQ_ISL_E10value_typeEPSM_NS1_7vsmem_tEENKUlT_SK_SL_SM_E_clISE_PiSF_SF_EESJ_SZ_SK_SL_SM_EUlSZ_E_NS1_11comp_targetILNS1_3genE2ELNS1_11target_archE906ELNS1_3gpuE6ELNS1_3repE0EEENS1_48merge_mergepath_partition_config_static_selectorELNS0_4arch9wavefront6targetE0EEEvSL_ ; -- Begin function _ZN7rocprim17ROCPRIM_400000_NS6detail17trampoline_kernelINS0_14default_configENS1_38merge_sort_block_merge_config_selectorIiNS0_10empty_typeEEEZZNS1_27merge_sort_block_merge_implIS3_N6thrust23THRUST_200600_302600_NS6detail15normal_iteratorINS9_10device_ptrIiEEEEPS5_jNS1_19radix_merge_compareILb0ELb1EiNS0_19identity_decomposerEEEEE10hipError_tT0_T1_T2_jT3_P12ihipStream_tbPNSt15iterator_traitsISK_E10value_typeEPNSQ_ISL_E10value_typeEPSM_NS1_7vsmem_tEENKUlT_SK_SL_SM_E_clISE_PiSF_SF_EESJ_SZ_SK_SL_SM_EUlSZ_E_NS1_11comp_targetILNS1_3genE2ELNS1_11target_archE906ELNS1_3gpuE6ELNS1_3repE0EEENS1_48merge_mergepath_partition_config_static_selectorELNS0_4arch9wavefront6targetE0EEEvSL_
	.globl	_ZN7rocprim17ROCPRIM_400000_NS6detail17trampoline_kernelINS0_14default_configENS1_38merge_sort_block_merge_config_selectorIiNS0_10empty_typeEEEZZNS1_27merge_sort_block_merge_implIS3_N6thrust23THRUST_200600_302600_NS6detail15normal_iteratorINS9_10device_ptrIiEEEEPS5_jNS1_19radix_merge_compareILb0ELb1EiNS0_19identity_decomposerEEEEE10hipError_tT0_T1_T2_jT3_P12ihipStream_tbPNSt15iterator_traitsISK_E10value_typeEPNSQ_ISL_E10value_typeEPSM_NS1_7vsmem_tEENKUlT_SK_SL_SM_E_clISE_PiSF_SF_EESJ_SZ_SK_SL_SM_EUlSZ_E_NS1_11comp_targetILNS1_3genE2ELNS1_11target_archE906ELNS1_3gpuE6ELNS1_3repE0EEENS1_48merge_mergepath_partition_config_static_selectorELNS0_4arch9wavefront6targetE0EEEvSL_
	.p2align	8
	.type	_ZN7rocprim17ROCPRIM_400000_NS6detail17trampoline_kernelINS0_14default_configENS1_38merge_sort_block_merge_config_selectorIiNS0_10empty_typeEEEZZNS1_27merge_sort_block_merge_implIS3_N6thrust23THRUST_200600_302600_NS6detail15normal_iteratorINS9_10device_ptrIiEEEEPS5_jNS1_19radix_merge_compareILb0ELb1EiNS0_19identity_decomposerEEEEE10hipError_tT0_T1_T2_jT3_P12ihipStream_tbPNSt15iterator_traitsISK_E10value_typeEPNSQ_ISL_E10value_typeEPSM_NS1_7vsmem_tEENKUlT_SK_SL_SM_E_clISE_PiSF_SF_EESJ_SZ_SK_SL_SM_EUlSZ_E_NS1_11comp_targetILNS1_3genE2ELNS1_11target_archE906ELNS1_3gpuE6ELNS1_3repE0EEENS1_48merge_mergepath_partition_config_static_selectorELNS0_4arch9wavefront6targetE0EEEvSL_,@function
_ZN7rocprim17ROCPRIM_400000_NS6detail17trampoline_kernelINS0_14default_configENS1_38merge_sort_block_merge_config_selectorIiNS0_10empty_typeEEEZZNS1_27merge_sort_block_merge_implIS3_N6thrust23THRUST_200600_302600_NS6detail15normal_iteratorINS9_10device_ptrIiEEEEPS5_jNS1_19radix_merge_compareILb0ELb1EiNS0_19identity_decomposerEEEEE10hipError_tT0_T1_T2_jT3_P12ihipStream_tbPNSt15iterator_traitsISK_E10value_typeEPNSQ_ISL_E10value_typeEPSM_NS1_7vsmem_tEENKUlT_SK_SL_SM_E_clISE_PiSF_SF_EESJ_SZ_SK_SL_SM_EUlSZ_E_NS1_11comp_targetILNS1_3genE2ELNS1_11target_archE906ELNS1_3gpuE6ELNS1_3repE0EEENS1_48merge_mergepath_partition_config_static_selectorELNS0_4arch9wavefront6targetE0EEEvSL_: ; @_ZN7rocprim17ROCPRIM_400000_NS6detail17trampoline_kernelINS0_14default_configENS1_38merge_sort_block_merge_config_selectorIiNS0_10empty_typeEEEZZNS1_27merge_sort_block_merge_implIS3_N6thrust23THRUST_200600_302600_NS6detail15normal_iteratorINS9_10device_ptrIiEEEEPS5_jNS1_19radix_merge_compareILb0ELb1EiNS0_19identity_decomposerEEEEE10hipError_tT0_T1_T2_jT3_P12ihipStream_tbPNSt15iterator_traitsISK_E10value_typeEPNSQ_ISL_E10value_typeEPSM_NS1_7vsmem_tEENKUlT_SK_SL_SM_E_clISE_PiSF_SF_EESJ_SZ_SK_SL_SM_EUlSZ_E_NS1_11comp_targetILNS1_3genE2ELNS1_11target_archE906ELNS1_3gpuE6ELNS1_3repE0EEENS1_48merge_mergepath_partition_config_static_selectorELNS0_4arch9wavefront6targetE0EEEvSL_
; %bb.0:
	.section	.rodata,"a",@progbits
	.p2align	6, 0x0
	.amdhsa_kernel _ZN7rocprim17ROCPRIM_400000_NS6detail17trampoline_kernelINS0_14default_configENS1_38merge_sort_block_merge_config_selectorIiNS0_10empty_typeEEEZZNS1_27merge_sort_block_merge_implIS3_N6thrust23THRUST_200600_302600_NS6detail15normal_iteratorINS9_10device_ptrIiEEEEPS5_jNS1_19radix_merge_compareILb0ELb1EiNS0_19identity_decomposerEEEEE10hipError_tT0_T1_T2_jT3_P12ihipStream_tbPNSt15iterator_traitsISK_E10value_typeEPNSQ_ISL_E10value_typeEPSM_NS1_7vsmem_tEENKUlT_SK_SL_SM_E_clISE_PiSF_SF_EESJ_SZ_SK_SL_SM_EUlSZ_E_NS1_11comp_targetILNS1_3genE2ELNS1_11target_archE906ELNS1_3gpuE6ELNS1_3repE0EEENS1_48merge_mergepath_partition_config_static_selectorELNS0_4arch9wavefront6targetE0EEEvSL_
		.amdhsa_group_segment_fixed_size 0
		.amdhsa_private_segment_fixed_size 0
		.amdhsa_kernarg_size 40
		.amdhsa_user_sgpr_count 6
		.amdhsa_user_sgpr_private_segment_buffer 1
		.amdhsa_user_sgpr_dispatch_ptr 0
		.amdhsa_user_sgpr_queue_ptr 0
		.amdhsa_user_sgpr_kernarg_segment_ptr 1
		.amdhsa_user_sgpr_dispatch_id 0
		.amdhsa_user_sgpr_flat_scratch_init 0
		.amdhsa_user_sgpr_private_segment_size 0
		.amdhsa_wavefront_size32 1
		.amdhsa_uses_dynamic_stack 0
		.amdhsa_system_sgpr_private_segment_wavefront_offset 0
		.amdhsa_system_sgpr_workgroup_id_x 1
		.amdhsa_system_sgpr_workgroup_id_y 0
		.amdhsa_system_sgpr_workgroup_id_z 0
		.amdhsa_system_sgpr_workgroup_info 0
		.amdhsa_system_vgpr_workitem_id 0
		.amdhsa_next_free_vgpr 1
		.amdhsa_next_free_sgpr 1
		.amdhsa_reserve_vcc 0
		.amdhsa_reserve_flat_scratch 0
		.amdhsa_float_round_mode_32 0
		.amdhsa_float_round_mode_16_64 0
		.amdhsa_float_denorm_mode_32 3
		.amdhsa_float_denorm_mode_16_64 3
		.amdhsa_dx10_clamp 1
		.amdhsa_ieee_mode 1
		.amdhsa_fp16_overflow 0
		.amdhsa_workgroup_processor_mode 1
		.amdhsa_memory_ordered 1
		.amdhsa_forward_progress 1
		.amdhsa_shared_vgpr_count 0
		.amdhsa_exception_fp_ieee_invalid_op 0
		.amdhsa_exception_fp_denorm_src 0
		.amdhsa_exception_fp_ieee_div_zero 0
		.amdhsa_exception_fp_ieee_overflow 0
		.amdhsa_exception_fp_ieee_underflow 0
		.amdhsa_exception_fp_ieee_inexact 0
		.amdhsa_exception_int_div_zero 0
	.end_amdhsa_kernel
	.section	.text._ZN7rocprim17ROCPRIM_400000_NS6detail17trampoline_kernelINS0_14default_configENS1_38merge_sort_block_merge_config_selectorIiNS0_10empty_typeEEEZZNS1_27merge_sort_block_merge_implIS3_N6thrust23THRUST_200600_302600_NS6detail15normal_iteratorINS9_10device_ptrIiEEEEPS5_jNS1_19radix_merge_compareILb0ELb1EiNS0_19identity_decomposerEEEEE10hipError_tT0_T1_T2_jT3_P12ihipStream_tbPNSt15iterator_traitsISK_E10value_typeEPNSQ_ISL_E10value_typeEPSM_NS1_7vsmem_tEENKUlT_SK_SL_SM_E_clISE_PiSF_SF_EESJ_SZ_SK_SL_SM_EUlSZ_E_NS1_11comp_targetILNS1_3genE2ELNS1_11target_archE906ELNS1_3gpuE6ELNS1_3repE0EEENS1_48merge_mergepath_partition_config_static_selectorELNS0_4arch9wavefront6targetE0EEEvSL_,"axG",@progbits,_ZN7rocprim17ROCPRIM_400000_NS6detail17trampoline_kernelINS0_14default_configENS1_38merge_sort_block_merge_config_selectorIiNS0_10empty_typeEEEZZNS1_27merge_sort_block_merge_implIS3_N6thrust23THRUST_200600_302600_NS6detail15normal_iteratorINS9_10device_ptrIiEEEEPS5_jNS1_19radix_merge_compareILb0ELb1EiNS0_19identity_decomposerEEEEE10hipError_tT0_T1_T2_jT3_P12ihipStream_tbPNSt15iterator_traitsISK_E10value_typeEPNSQ_ISL_E10value_typeEPSM_NS1_7vsmem_tEENKUlT_SK_SL_SM_E_clISE_PiSF_SF_EESJ_SZ_SK_SL_SM_EUlSZ_E_NS1_11comp_targetILNS1_3genE2ELNS1_11target_archE906ELNS1_3gpuE6ELNS1_3repE0EEENS1_48merge_mergepath_partition_config_static_selectorELNS0_4arch9wavefront6targetE0EEEvSL_,comdat
.Lfunc_end113:
	.size	_ZN7rocprim17ROCPRIM_400000_NS6detail17trampoline_kernelINS0_14default_configENS1_38merge_sort_block_merge_config_selectorIiNS0_10empty_typeEEEZZNS1_27merge_sort_block_merge_implIS3_N6thrust23THRUST_200600_302600_NS6detail15normal_iteratorINS9_10device_ptrIiEEEEPS5_jNS1_19radix_merge_compareILb0ELb1EiNS0_19identity_decomposerEEEEE10hipError_tT0_T1_T2_jT3_P12ihipStream_tbPNSt15iterator_traitsISK_E10value_typeEPNSQ_ISL_E10value_typeEPSM_NS1_7vsmem_tEENKUlT_SK_SL_SM_E_clISE_PiSF_SF_EESJ_SZ_SK_SL_SM_EUlSZ_E_NS1_11comp_targetILNS1_3genE2ELNS1_11target_archE906ELNS1_3gpuE6ELNS1_3repE0EEENS1_48merge_mergepath_partition_config_static_selectorELNS0_4arch9wavefront6targetE0EEEvSL_, .Lfunc_end113-_ZN7rocprim17ROCPRIM_400000_NS6detail17trampoline_kernelINS0_14default_configENS1_38merge_sort_block_merge_config_selectorIiNS0_10empty_typeEEEZZNS1_27merge_sort_block_merge_implIS3_N6thrust23THRUST_200600_302600_NS6detail15normal_iteratorINS9_10device_ptrIiEEEEPS5_jNS1_19radix_merge_compareILb0ELb1EiNS0_19identity_decomposerEEEEE10hipError_tT0_T1_T2_jT3_P12ihipStream_tbPNSt15iterator_traitsISK_E10value_typeEPNSQ_ISL_E10value_typeEPSM_NS1_7vsmem_tEENKUlT_SK_SL_SM_E_clISE_PiSF_SF_EESJ_SZ_SK_SL_SM_EUlSZ_E_NS1_11comp_targetILNS1_3genE2ELNS1_11target_archE906ELNS1_3gpuE6ELNS1_3repE0EEENS1_48merge_mergepath_partition_config_static_selectorELNS0_4arch9wavefront6targetE0EEEvSL_
                                        ; -- End function
	.set _ZN7rocprim17ROCPRIM_400000_NS6detail17trampoline_kernelINS0_14default_configENS1_38merge_sort_block_merge_config_selectorIiNS0_10empty_typeEEEZZNS1_27merge_sort_block_merge_implIS3_N6thrust23THRUST_200600_302600_NS6detail15normal_iteratorINS9_10device_ptrIiEEEEPS5_jNS1_19radix_merge_compareILb0ELb1EiNS0_19identity_decomposerEEEEE10hipError_tT0_T1_T2_jT3_P12ihipStream_tbPNSt15iterator_traitsISK_E10value_typeEPNSQ_ISL_E10value_typeEPSM_NS1_7vsmem_tEENKUlT_SK_SL_SM_E_clISE_PiSF_SF_EESJ_SZ_SK_SL_SM_EUlSZ_E_NS1_11comp_targetILNS1_3genE2ELNS1_11target_archE906ELNS1_3gpuE6ELNS1_3repE0EEENS1_48merge_mergepath_partition_config_static_selectorELNS0_4arch9wavefront6targetE0EEEvSL_.num_vgpr, 0
	.set _ZN7rocprim17ROCPRIM_400000_NS6detail17trampoline_kernelINS0_14default_configENS1_38merge_sort_block_merge_config_selectorIiNS0_10empty_typeEEEZZNS1_27merge_sort_block_merge_implIS3_N6thrust23THRUST_200600_302600_NS6detail15normal_iteratorINS9_10device_ptrIiEEEEPS5_jNS1_19radix_merge_compareILb0ELb1EiNS0_19identity_decomposerEEEEE10hipError_tT0_T1_T2_jT3_P12ihipStream_tbPNSt15iterator_traitsISK_E10value_typeEPNSQ_ISL_E10value_typeEPSM_NS1_7vsmem_tEENKUlT_SK_SL_SM_E_clISE_PiSF_SF_EESJ_SZ_SK_SL_SM_EUlSZ_E_NS1_11comp_targetILNS1_3genE2ELNS1_11target_archE906ELNS1_3gpuE6ELNS1_3repE0EEENS1_48merge_mergepath_partition_config_static_selectorELNS0_4arch9wavefront6targetE0EEEvSL_.num_agpr, 0
	.set _ZN7rocprim17ROCPRIM_400000_NS6detail17trampoline_kernelINS0_14default_configENS1_38merge_sort_block_merge_config_selectorIiNS0_10empty_typeEEEZZNS1_27merge_sort_block_merge_implIS3_N6thrust23THRUST_200600_302600_NS6detail15normal_iteratorINS9_10device_ptrIiEEEEPS5_jNS1_19radix_merge_compareILb0ELb1EiNS0_19identity_decomposerEEEEE10hipError_tT0_T1_T2_jT3_P12ihipStream_tbPNSt15iterator_traitsISK_E10value_typeEPNSQ_ISL_E10value_typeEPSM_NS1_7vsmem_tEENKUlT_SK_SL_SM_E_clISE_PiSF_SF_EESJ_SZ_SK_SL_SM_EUlSZ_E_NS1_11comp_targetILNS1_3genE2ELNS1_11target_archE906ELNS1_3gpuE6ELNS1_3repE0EEENS1_48merge_mergepath_partition_config_static_selectorELNS0_4arch9wavefront6targetE0EEEvSL_.numbered_sgpr, 0
	.set _ZN7rocprim17ROCPRIM_400000_NS6detail17trampoline_kernelINS0_14default_configENS1_38merge_sort_block_merge_config_selectorIiNS0_10empty_typeEEEZZNS1_27merge_sort_block_merge_implIS3_N6thrust23THRUST_200600_302600_NS6detail15normal_iteratorINS9_10device_ptrIiEEEEPS5_jNS1_19radix_merge_compareILb0ELb1EiNS0_19identity_decomposerEEEEE10hipError_tT0_T1_T2_jT3_P12ihipStream_tbPNSt15iterator_traitsISK_E10value_typeEPNSQ_ISL_E10value_typeEPSM_NS1_7vsmem_tEENKUlT_SK_SL_SM_E_clISE_PiSF_SF_EESJ_SZ_SK_SL_SM_EUlSZ_E_NS1_11comp_targetILNS1_3genE2ELNS1_11target_archE906ELNS1_3gpuE6ELNS1_3repE0EEENS1_48merge_mergepath_partition_config_static_selectorELNS0_4arch9wavefront6targetE0EEEvSL_.num_named_barrier, 0
	.set _ZN7rocprim17ROCPRIM_400000_NS6detail17trampoline_kernelINS0_14default_configENS1_38merge_sort_block_merge_config_selectorIiNS0_10empty_typeEEEZZNS1_27merge_sort_block_merge_implIS3_N6thrust23THRUST_200600_302600_NS6detail15normal_iteratorINS9_10device_ptrIiEEEEPS5_jNS1_19radix_merge_compareILb0ELb1EiNS0_19identity_decomposerEEEEE10hipError_tT0_T1_T2_jT3_P12ihipStream_tbPNSt15iterator_traitsISK_E10value_typeEPNSQ_ISL_E10value_typeEPSM_NS1_7vsmem_tEENKUlT_SK_SL_SM_E_clISE_PiSF_SF_EESJ_SZ_SK_SL_SM_EUlSZ_E_NS1_11comp_targetILNS1_3genE2ELNS1_11target_archE906ELNS1_3gpuE6ELNS1_3repE0EEENS1_48merge_mergepath_partition_config_static_selectorELNS0_4arch9wavefront6targetE0EEEvSL_.private_seg_size, 0
	.set _ZN7rocprim17ROCPRIM_400000_NS6detail17trampoline_kernelINS0_14default_configENS1_38merge_sort_block_merge_config_selectorIiNS0_10empty_typeEEEZZNS1_27merge_sort_block_merge_implIS3_N6thrust23THRUST_200600_302600_NS6detail15normal_iteratorINS9_10device_ptrIiEEEEPS5_jNS1_19radix_merge_compareILb0ELb1EiNS0_19identity_decomposerEEEEE10hipError_tT0_T1_T2_jT3_P12ihipStream_tbPNSt15iterator_traitsISK_E10value_typeEPNSQ_ISL_E10value_typeEPSM_NS1_7vsmem_tEENKUlT_SK_SL_SM_E_clISE_PiSF_SF_EESJ_SZ_SK_SL_SM_EUlSZ_E_NS1_11comp_targetILNS1_3genE2ELNS1_11target_archE906ELNS1_3gpuE6ELNS1_3repE0EEENS1_48merge_mergepath_partition_config_static_selectorELNS0_4arch9wavefront6targetE0EEEvSL_.uses_vcc, 0
	.set _ZN7rocprim17ROCPRIM_400000_NS6detail17trampoline_kernelINS0_14default_configENS1_38merge_sort_block_merge_config_selectorIiNS0_10empty_typeEEEZZNS1_27merge_sort_block_merge_implIS3_N6thrust23THRUST_200600_302600_NS6detail15normal_iteratorINS9_10device_ptrIiEEEEPS5_jNS1_19radix_merge_compareILb0ELb1EiNS0_19identity_decomposerEEEEE10hipError_tT0_T1_T2_jT3_P12ihipStream_tbPNSt15iterator_traitsISK_E10value_typeEPNSQ_ISL_E10value_typeEPSM_NS1_7vsmem_tEENKUlT_SK_SL_SM_E_clISE_PiSF_SF_EESJ_SZ_SK_SL_SM_EUlSZ_E_NS1_11comp_targetILNS1_3genE2ELNS1_11target_archE906ELNS1_3gpuE6ELNS1_3repE0EEENS1_48merge_mergepath_partition_config_static_selectorELNS0_4arch9wavefront6targetE0EEEvSL_.uses_flat_scratch, 0
	.set _ZN7rocprim17ROCPRIM_400000_NS6detail17trampoline_kernelINS0_14default_configENS1_38merge_sort_block_merge_config_selectorIiNS0_10empty_typeEEEZZNS1_27merge_sort_block_merge_implIS3_N6thrust23THRUST_200600_302600_NS6detail15normal_iteratorINS9_10device_ptrIiEEEEPS5_jNS1_19radix_merge_compareILb0ELb1EiNS0_19identity_decomposerEEEEE10hipError_tT0_T1_T2_jT3_P12ihipStream_tbPNSt15iterator_traitsISK_E10value_typeEPNSQ_ISL_E10value_typeEPSM_NS1_7vsmem_tEENKUlT_SK_SL_SM_E_clISE_PiSF_SF_EESJ_SZ_SK_SL_SM_EUlSZ_E_NS1_11comp_targetILNS1_3genE2ELNS1_11target_archE906ELNS1_3gpuE6ELNS1_3repE0EEENS1_48merge_mergepath_partition_config_static_selectorELNS0_4arch9wavefront6targetE0EEEvSL_.has_dyn_sized_stack, 0
	.set _ZN7rocprim17ROCPRIM_400000_NS6detail17trampoline_kernelINS0_14default_configENS1_38merge_sort_block_merge_config_selectorIiNS0_10empty_typeEEEZZNS1_27merge_sort_block_merge_implIS3_N6thrust23THRUST_200600_302600_NS6detail15normal_iteratorINS9_10device_ptrIiEEEEPS5_jNS1_19radix_merge_compareILb0ELb1EiNS0_19identity_decomposerEEEEE10hipError_tT0_T1_T2_jT3_P12ihipStream_tbPNSt15iterator_traitsISK_E10value_typeEPNSQ_ISL_E10value_typeEPSM_NS1_7vsmem_tEENKUlT_SK_SL_SM_E_clISE_PiSF_SF_EESJ_SZ_SK_SL_SM_EUlSZ_E_NS1_11comp_targetILNS1_3genE2ELNS1_11target_archE906ELNS1_3gpuE6ELNS1_3repE0EEENS1_48merge_mergepath_partition_config_static_selectorELNS0_4arch9wavefront6targetE0EEEvSL_.has_recursion, 0
	.set _ZN7rocprim17ROCPRIM_400000_NS6detail17trampoline_kernelINS0_14default_configENS1_38merge_sort_block_merge_config_selectorIiNS0_10empty_typeEEEZZNS1_27merge_sort_block_merge_implIS3_N6thrust23THRUST_200600_302600_NS6detail15normal_iteratorINS9_10device_ptrIiEEEEPS5_jNS1_19radix_merge_compareILb0ELb1EiNS0_19identity_decomposerEEEEE10hipError_tT0_T1_T2_jT3_P12ihipStream_tbPNSt15iterator_traitsISK_E10value_typeEPNSQ_ISL_E10value_typeEPSM_NS1_7vsmem_tEENKUlT_SK_SL_SM_E_clISE_PiSF_SF_EESJ_SZ_SK_SL_SM_EUlSZ_E_NS1_11comp_targetILNS1_3genE2ELNS1_11target_archE906ELNS1_3gpuE6ELNS1_3repE0EEENS1_48merge_mergepath_partition_config_static_selectorELNS0_4arch9wavefront6targetE0EEEvSL_.has_indirect_call, 0
	.section	.AMDGPU.csdata,"",@progbits
; Kernel info:
; codeLenInByte = 0
; TotalNumSgprs: 0
; NumVgprs: 0
; ScratchSize: 0
; MemoryBound: 0
; FloatMode: 240
; IeeeMode: 1
; LDSByteSize: 0 bytes/workgroup (compile time only)
; SGPRBlocks: 0
; VGPRBlocks: 0
; NumSGPRsForWavesPerEU: 1
; NumVGPRsForWavesPerEU: 1
; Occupancy: 16
; WaveLimiterHint : 0
; COMPUTE_PGM_RSRC2:SCRATCH_EN: 0
; COMPUTE_PGM_RSRC2:USER_SGPR: 6
; COMPUTE_PGM_RSRC2:TRAP_HANDLER: 0
; COMPUTE_PGM_RSRC2:TGID_X_EN: 1
; COMPUTE_PGM_RSRC2:TGID_Y_EN: 0
; COMPUTE_PGM_RSRC2:TGID_Z_EN: 0
; COMPUTE_PGM_RSRC2:TIDIG_COMP_CNT: 0
	.section	.text._ZN7rocprim17ROCPRIM_400000_NS6detail17trampoline_kernelINS0_14default_configENS1_38merge_sort_block_merge_config_selectorIiNS0_10empty_typeEEEZZNS1_27merge_sort_block_merge_implIS3_N6thrust23THRUST_200600_302600_NS6detail15normal_iteratorINS9_10device_ptrIiEEEEPS5_jNS1_19radix_merge_compareILb0ELb1EiNS0_19identity_decomposerEEEEE10hipError_tT0_T1_T2_jT3_P12ihipStream_tbPNSt15iterator_traitsISK_E10value_typeEPNSQ_ISL_E10value_typeEPSM_NS1_7vsmem_tEENKUlT_SK_SL_SM_E_clISE_PiSF_SF_EESJ_SZ_SK_SL_SM_EUlSZ_E_NS1_11comp_targetILNS1_3genE9ELNS1_11target_archE1100ELNS1_3gpuE3ELNS1_3repE0EEENS1_48merge_mergepath_partition_config_static_selectorELNS0_4arch9wavefront6targetE0EEEvSL_,"axG",@progbits,_ZN7rocprim17ROCPRIM_400000_NS6detail17trampoline_kernelINS0_14default_configENS1_38merge_sort_block_merge_config_selectorIiNS0_10empty_typeEEEZZNS1_27merge_sort_block_merge_implIS3_N6thrust23THRUST_200600_302600_NS6detail15normal_iteratorINS9_10device_ptrIiEEEEPS5_jNS1_19radix_merge_compareILb0ELb1EiNS0_19identity_decomposerEEEEE10hipError_tT0_T1_T2_jT3_P12ihipStream_tbPNSt15iterator_traitsISK_E10value_typeEPNSQ_ISL_E10value_typeEPSM_NS1_7vsmem_tEENKUlT_SK_SL_SM_E_clISE_PiSF_SF_EESJ_SZ_SK_SL_SM_EUlSZ_E_NS1_11comp_targetILNS1_3genE9ELNS1_11target_archE1100ELNS1_3gpuE3ELNS1_3repE0EEENS1_48merge_mergepath_partition_config_static_selectorELNS0_4arch9wavefront6targetE0EEEvSL_,comdat
	.protected	_ZN7rocprim17ROCPRIM_400000_NS6detail17trampoline_kernelINS0_14default_configENS1_38merge_sort_block_merge_config_selectorIiNS0_10empty_typeEEEZZNS1_27merge_sort_block_merge_implIS3_N6thrust23THRUST_200600_302600_NS6detail15normal_iteratorINS9_10device_ptrIiEEEEPS5_jNS1_19radix_merge_compareILb0ELb1EiNS0_19identity_decomposerEEEEE10hipError_tT0_T1_T2_jT3_P12ihipStream_tbPNSt15iterator_traitsISK_E10value_typeEPNSQ_ISL_E10value_typeEPSM_NS1_7vsmem_tEENKUlT_SK_SL_SM_E_clISE_PiSF_SF_EESJ_SZ_SK_SL_SM_EUlSZ_E_NS1_11comp_targetILNS1_3genE9ELNS1_11target_archE1100ELNS1_3gpuE3ELNS1_3repE0EEENS1_48merge_mergepath_partition_config_static_selectorELNS0_4arch9wavefront6targetE0EEEvSL_ ; -- Begin function _ZN7rocprim17ROCPRIM_400000_NS6detail17trampoline_kernelINS0_14default_configENS1_38merge_sort_block_merge_config_selectorIiNS0_10empty_typeEEEZZNS1_27merge_sort_block_merge_implIS3_N6thrust23THRUST_200600_302600_NS6detail15normal_iteratorINS9_10device_ptrIiEEEEPS5_jNS1_19radix_merge_compareILb0ELb1EiNS0_19identity_decomposerEEEEE10hipError_tT0_T1_T2_jT3_P12ihipStream_tbPNSt15iterator_traitsISK_E10value_typeEPNSQ_ISL_E10value_typeEPSM_NS1_7vsmem_tEENKUlT_SK_SL_SM_E_clISE_PiSF_SF_EESJ_SZ_SK_SL_SM_EUlSZ_E_NS1_11comp_targetILNS1_3genE9ELNS1_11target_archE1100ELNS1_3gpuE3ELNS1_3repE0EEENS1_48merge_mergepath_partition_config_static_selectorELNS0_4arch9wavefront6targetE0EEEvSL_
	.globl	_ZN7rocprim17ROCPRIM_400000_NS6detail17trampoline_kernelINS0_14default_configENS1_38merge_sort_block_merge_config_selectorIiNS0_10empty_typeEEEZZNS1_27merge_sort_block_merge_implIS3_N6thrust23THRUST_200600_302600_NS6detail15normal_iteratorINS9_10device_ptrIiEEEEPS5_jNS1_19radix_merge_compareILb0ELb1EiNS0_19identity_decomposerEEEEE10hipError_tT0_T1_T2_jT3_P12ihipStream_tbPNSt15iterator_traitsISK_E10value_typeEPNSQ_ISL_E10value_typeEPSM_NS1_7vsmem_tEENKUlT_SK_SL_SM_E_clISE_PiSF_SF_EESJ_SZ_SK_SL_SM_EUlSZ_E_NS1_11comp_targetILNS1_3genE9ELNS1_11target_archE1100ELNS1_3gpuE3ELNS1_3repE0EEENS1_48merge_mergepath_partition_config_static_selectorELNS0_4arch9wavefront6targetE0EEEvSL_
	.p2align	8
	.type	_ZN7rocprim17ROCPRIM_400000_NS6detail17trampoline_kernelINS0_14default_configENS1_38merge_sort_block_merge_config_selectorIiNS0_10empty_typeEEEZZNS1_27merge_sort_block_merge_implIS3_N6thrust23THRUST_200600_302600_NS6detail15normal_iteratorINS9_10device_ptrIiEEEEPS5_jNS1_19radix_merge_compareILb0ELb1EiNS0_19identity_decomposerEEEEE10hipError_tT0_T1_T2_jT3_P12ihipStream_tbPNSt15iterator_traitsISK_E10value_typeEPNSQ_ISL_E10value_typeEPSM_NS1_7vsmem_tEENKUlT_SK_SL_SM_E_clISE_PiSF_SF_EESJ_SZ_SK_SL_SM_EUlSZ_E_NS1_11comp_targetILNS1_3genE9ELNS1_11target_archE1100ELNS1_3gpuE3ELNS1_3repE0EEENS1_48merge_mergepath_partition_config_static_selectorELNS0_4arch9wavefront6targetE0EEEvSL_,@function
_ZN7rocprim17ROCPRIM_400000_NS6detail17trampoline_kernelINS0_14default_configENS1_38merge_sort_block_merge_config_selectorIiNS0_10empty_typeEEEZZNS1_27merge_sort_block_merge_implIS3_N6thrust23THRUST_200600_302600_NS6detail15normal_iteratorINS9_10device_ptrIiEEEEPS5_jNS1_19radix_merge_compareILb0ELb1EiNS0_19identity_decomposerEEEEE10hipError_tT0_T1_T2_jT3_P12ihipStream_tbPNSt15iterator_traitsISK_E10value_typeEPNSQ_ISL_E10value_typeEPSM_NS1_7vsmem_tEENKUlT_SK_SL_SM_E_clISE_PiSF_SF_EESJ_SZ_SK_SL_SM_EUlSZ_E_NS1_11comp_targetILNS1_3genE9ELNS1_11target_archE1100ELNS1_3gpuE3ELNS1_3repE0EEENS1_48merge_mergepath_partition_config_static_selectorELNS0_4arch9wavefront6targetE0EEEvSL_: ; @_ZN7rocprim17ROCPRIM_400000_NS6detail17trampoline_kernelINS0_14default_configENS1_38merge_sort_block_merge_config_selectorIiNS0_10empty_typeEEEZZNS1_27merge_sort_block_merge_implIS3_N6thrust23THRUST_200600_302600_NS6detail15normal_iteratorINS9_10device_ptrIiEEEEPS5_jNS1_19radix_merge_compareILb0ELb1EiNS0_19identity_decomposerEEEEE10hipError_tT0_T1_T2_jT3_P12ihipStream_tbPNSt15iterator_traitsISK_E10value_typeEPNSQ_ISL_E10value_typeEPSM_NS1_7vsmem_tEENKUlT_SK_SL_SM_E_clISE_PiSF_SF_EESJ_SZ_SK_SL_SM_EUlSZ_E_NS1_11comp_targetILNS1_3genE9ELNS1_11target_archE1100ELNS1_3gpuE3ELNS1_3repE0EEENS1_48merge_mergepath_partition_config_static_selectorELNS0_4arch9wavefront6targetE0EEEvSL_
; %bb.0:
	.section	.rodata,"a",@progbits
	.p2align	6, 0x0
	.amdhsa_kernel _ZN7rocprim17ROCPRIM_400000_NS6detail17trampoline_kernelINS0_14default_configENS1_38merge_sort_block_merge_config_selectorIiNS0_10empty_typeEEEZZNS1_27merge_sort_block_merge_implIS3_N6thrust23THRUST_200600_302600_NS6detail15normal_iteratorINS9_10device_ptrIiEEEEPS5_jNS1_19radix_merge_compareILb0ELb1EiNS0_19identity_decomposerEEEEE10hipError_tT0_T1_T2_jT3_P12ihipStream_tbPNSt15iterator_traitsISK_E10value_typeEPNSQ_ISL_E10value_typeEPSM_NS1_7vsmem_tEENKUlT_SK_SL_SM_E_clISE_PiSF_SF_EESJ_SZ_SK_SL_SM_EUlSZ_E_NS1_11comp_targetILNS1_3genE9ELNS1_11target_archE1100ELNS1_3gpuE3ELNS1_3repE0EEENS1_48merge_mergepath_partition_config_static_selectorELNS0_4arch9wavefront6targetE0EEEvSL_
		.amdhsa_group_segment_fixed_size 0
		.amdhsa_private_segment_fixed_size 0
		.amdhsa_kernarg_size 40
		.amdhsa_user_sgpr_count 6
		.amdhsa_user_sgpr_private_segment_buffer 1
		.amdhsa_user_sgpr_dispatch_ptr 0
		.amdhsa_user_sgpr_queue_ptr 0
		.amdhsa_user_sgpr_kernarg_segment_ptr 1
		.amdhsa_user_sgpr_dispatch_id 0
		.amdhsa_user_sgpr_flat_scratch_init 0
		.amdhsa_user_sgpr_private_segment_size 0
		.amdhsa_wavefront_size32 1
		.amdhsa_uses_dynamic_stack 0
		.amdhsa_system_sgpr_private_segment_wavefront_offset 0
		.amdhsa_system_sgpr_workgroup_id_x 1
		.amdhsa_system_sgpr_workgroup_id_y 0
		.amdhsa_system_sgpr_workgroup_id_z 0
		.amdhsa_system_sgpr_workgroup_info 0
		.amdhsa_system_vgpr_workitem_id 0
		.amdhsa_next_free_vgpr 1
		.amdhsa_next_free_sgpr 1
		.amdhsa_reserve_vcc 0
		.amdhsa_reserve_flat_scratch 0
		.amdhsa_float_round_mode_32 0
		.amdhsa_float_round_mode_16_64 0
		.amdhsa_float_denorm_mode_32 3
		.amdhsa_float_denorm_mode_16_64 3
		.amdhsa_dx10_clamp 1
		.amdhsa_ieee_mode 1
		.amdhsa_fp16_overflow 0
		.amdhsa_workgroup_processor_mode 1
		.amdhsa_memory_ordered 1
		.amdhsa_forward_progress 1
		.amdhsa_shared_vgpr_count 0
		.amdhsa_exception_fp_ieee_invalid_op 0
		.amdhsa_exception_fp_denorm_src 0
		.amdhsa_exception_fp_ieee_div_zero 0
		.amdhsa_exception_fp_ieee_overflow 0
		.amdhsa_exception_fp_ieee_underflow 0
		.amdhsa_exception_fp_ieee_inexact 0
		.amdhsa_exception_int_div_zero 0
	.end_amdhsa_kernel
	.section	.text._ZN7rocprim17ROCPRIM_400000_NS6detail17trampoline_kernelINS0_14default_configENS1_38merge_sort_block_merge_config_selectorIiNS0_10empty_typeEEEZZNS1_27merge_sort_block_merge_implIS3_N6thrust23THRUST_200600_302600_NS6detail15normal_iteratorINS9_10device_ptrIiEEEEPS5_jNS1_19radix_merge_compareILb0ELb1EiNS0_19identity_decomposerEEEEE10hipError_tT0_T1_T2_jT3_P12ihipStream_tbPNSt15iterator_traitsISK_E10value_typeEPNSQ_ISL_E10value_typeEPSM_NS1_7vsmem_tEENKUlT_SK_SL_SM_E_clISE_PiSF_SF_EESJ_SZ_SK_SL_SM_EUlSZ_E_NS1_11comp_targetILNS1_3genE9ELNS1_11target_archE1100ELNS1_3gpuE3ELNS1_3repE0EEENS1_48merge_mergepath_partition_config_static_selectorELNS0_4arch9wavefront6targetE0EEEvSL_,"axG",@progbits,_ZN7rocprim17ROCPRIM_400000_NS6detail17trampoline_kernelINS0_14default_configENS1_38merge_sort_block_merge_config_selectorIiNS0_10empty_typeEEEZZNS1_27merge_sort_block_merge_implIS3_N6thrust23THRUST_200600_302600_NS6detail15normal_iteratorINS9_10device_ptrIiEEEEPS5_jNS1_19radix_merge_compareILb0ELb1EiNS0_19identity_decomposerEEEEE10hipError_tT0_T1_T2_jT3_P12ihipStream_tbPNSt15iterator_traitsISK_E10value_typeEPNSQ_ISL_E10value_typeEPSM_NS1_7vsmem_tEENKUlT_SK_SL_SM_E_clISE_PiSF_SF_EESJ_SZ_SK_SL_SM_EUlSZ_E_NS1_11comp_targetILNS1_3genE9ELNS1_11target_archE1100ELNS1_3gpuE3ELNS1_3repE0EEENS1_48merge_mergepath_partition_config_static_selectorELNS0_4arch9wavefront6targetE0EEEvSL_,comdat
.Lfunc_end114:
	.size	_ZN7rocprim17ROCPRIM_400000_NS6detail17trampoline_kernelINS0_14default_configENS1_38merge_sort_block_merge_config_selectorIiNS0_10empty_typeEEEZZNS1_27merge_sort_block_merge_implIS3_N6thrust23THRUST_200600_302600_NS6detail15normal_iteratorINS9_10device_ptrIiEEEEPS5_jNS1_19radix_merge_compareILb0ELb1EiNS0_19identity_decomposerEEEEE10hipError_tT0_T1_T2_jT3_P12ihipStream_tbPNSt15iterator_traitsISK_E10value_typeEPNSQ_ISL_E10value_typeEPSM_NS1_7vsmem_tEENKUlT_SK_SL_SM_E_clISE_PiSF_SF_EESJ_SZ_SK_SL_SM_EUlSZ_E_NS1_11comp_targetILNS1_3genE9ELNS1_11target_archE1100ELNS1_3gpuE3ELNS1_3repE0EEENS1_48merge_mergepath_partition_config_static_selectorELNS0_4arch9wavefront6targetE0EEEvSL_, .Lfunc_end114-_ZN7rocprim17ROCPRIM_400000_NS6detail17trampoline_kernelINS0_14default_configENS1_38merge_sort_block_merge_config_selectorIiNS0_10empty_typeEEEZZNS1_27merge_sort_block_merge_implIS3_N6thrust23THRUST_200600_302600_NS6detail15normal_iteratorINS9_10device_ptrIiEEEEPS5_jNS1_19radix_merge_compareILb0ELb1EiNS0_19identity_decomposerEEEEE10hipError_tT0_T1_T2_jT3_P12ihipStream_tbPNSt15iterator_traitsISK_E10value_typeEPNSQ_ISL_E10value_typeEPSM_NS1_7vsmem_tEENKUlT_SK_SL_SM_E_clISE_PiSF_SF_EESJ_SZ_SK_SL_SM_EUlSZ_E_NS1_11comp_targetILNS1_3genE9ELNS1_11target_archE1100ELNS1_3gpuE3ELNS1_3repE0EEENS1_48merge_mergepath_partition_config_static_selectorELNS0_4arch9wavefront6targetE0EEEvSL_
                                        ; -- End function
	.set _ZN7rocprim17ROCPRIM_400000_NS6detail17trampoline_kernelINS0_14default_configENS1_38merge_sort_block_merge_config_selectorIiNS0_10empty_typeEEEZZNS1_27merge_sort_block_merge_implIS3_N6thrust23THRUST_200600_302600_NS6detail15normal_iteratorINS9_10device_ptrIiEEEEPS5_jNS1_19radix_merge_compareILb0ELb1EiNS0_19identity_decomposerEEEEE10hipError_tT0_T1_T2_jT3_P12ihipStream_tbPNSt15iterator_traitsISK_E10value_typeEPNSQ_ISL_E10value_typeEPSM_NS1_7vsmem_tEENKUlT_SK_SL_SM_E_clISE_PiSF_SF_EESJ_SZ_SK_SL_SM_EUlSZ_E_NS1_11comp_targetILNS1_3genE9ELNS1_11target_archE1100ELNS1_3gpuE3ELNS1_3repE0EEENS1_48merge_mergepath_partition_config_static_selectorELNS0_4arch9wavefront6targetE0EEEvSL_.num_vgpr, 0
	.set _ZN7rocprim17ROCPRIM_400000_NS6detail17trampoline_kernelINS0_14default_configENS1_38merge_sort_block_merge_config_selectorIiNS0_10empty_typeEEEZZNS1_27merge_sort_block_merge_implIS3_N6thrust23THRUST_200600_302600_NS6detail15normal_iteratorINS9_10device_ptrIiEEEEPS5_jNS1_19radix_merge_compareILb0ELb1EiNS0_19identity_decomposerEEEEE10hipError_tT0_T1_T2_jT3_P12ihipStream_tbPNSt15iterator_traitsISK_E10value_typeEPNSQ_ISL_E10value_typeEPSM_NS1_7vsmem_tEENKUlT_SK_SL_SM_E_clISE_PiSF_SF_EESJ_SZ_SK_SL_SM_EUlSZ_E_NS1_11comp_targetILNS1_3genE9ELNS1_11target_archE1100ELNS1_3gpuE3ELNS1_3repE0EEENS1_48merge_mergepath_partition_config_static_selectorELNS0_4arch9wavefront6targetE0EEEvSL_.num_agpr, 0
	.set _ZN7rocprim17ROCPRIM_400000_NS6detail17trampoline_kernelINS0_14default_configENS1_38merge_sort_block_merge_config_selectorIiNS0_10empty_typeEEEZZNS1_27merge_sort_block_merge_implIS3_N6thrust23THRUST_200600_302600_NS6detail15normal_iteratorINS9_10device_ptrIiEEEEPS5_jNS1_19radix_merge_compareILb0ELb1EiNS0_19identity_decomposerEEEEE10hipError_tT0_T1_T2_jT3_P12ihipStream_tbPNSt15iterator_traitsISK_E10value_typeEPNSQ_ISL_E10value_typeEPSM_NS1_7vsmem_tEENKUlT_SK_SL_SM_E_clISE_PiSF_SF_EESJ_SZ_SK_SL_SM_EUlSZ_E_NS1_11comp_targetILNS1_3genE9ELNS1_11target_archE1100ELNS1_3gpuE3ELNS1_3repE0EEENS1_48merge_mergepath_partition_config_static_selectorELNS0_4arch9wavefront6targetE0EEEvSL_.numbered_sgpr, 0
	.set _ZN7rocprim17ROCPRIM_400000_NS6detail17trampoline_kernelINS0_14default_configENS1_38merge_sort_block_merge_config_selectorIiNS0_10empty_typeEEEZZNS1_27merge_sort_block_merge_implIS3_N6thrust23THRUST_200600_302600_NS6detail15normal_iteratorINS9_10device_ptrIiEEEEPS5_jNS1_19radix_merge_compareILb0ELb1EiNS0_19identity_decomposerEEEEE10hipError_tT0_T1_T2_jT3_P12ihipStream_tbPNSt15iterator_traitsISK_E10value_typeEPNSQ_ISL_E10value_typeEPSM_NS1_7vsmem_tEENKUlT_SK_SL_SM_E_clISE_PiSF_SF_EESJ_SZ_SK_SL_SM_EUlSZ_E_NS1_11comp_targetILNS1_3genE9ELNS1_11target_archE1100ELNS1_3gpuE3ELNS1_3repE0EEENS1_48merge_mergepath_partition_config_static_selectorELNS0_4arch9wavefront6targetE0EEEvSL_.num_named_barrier, 0
	.set _ZN7rocprim17ROCPRIM_400000_NS6detail17trampoline_kernelINS0_14default_configENS1_38merge_sort_block_merge_config_selectorIiNS0_10empty_typeEEEZZNS1_27merge_sort_block_merge_implIS3_N6thrust23THRUST_200600_302600_NS6detail15normal_iteratorINS9_10device_ptrIiEEEEPS5_jNS1_19radix_merge_compareILb0ELb1EiNS0_19identity_decomposerEEEEE10hipError_tT0_T1_T2_jT3_P12ihipStream_tbPNSt15iterator_traitsISK_E10value_typeEPNSQ_ISL_E10value_typeEPSM_NS1_7vsmem_tEENKUlT_SK_SL_SM_E_clISE_PiSF_SF_EESJ_SZ_SK_SL_SM_EUlSZ_E_NS1_11comp_targetILNS1_3genE9ELNS1_11target_archE1100ELNS1_3gpuE3ELNS1_3repE0EEENS1_48merge_mergepath_partition_config_static_selectorELNS0_4arch9wavefront6targetE0EEEvSL_.private_seg_size, 0
	.set _ZN7rocprim17ROCPRIM_400000_NS6detail17trampoline_kernelINS0_14default_configENS1_38merge_sort_block_merge_config_selectorIiNS0_10empty_typeEEEZZNS1_27merge_sort_block_merge_implIS3_N6thrust23THRUST_200600_302600_NS6detail15normal_iteratorINS9_10device_ptrIiEEEEPS5_jNS1_19radix_merge_compareILb0ELb1EiNS0_19identity_decomposerEEEEE10hipError_tT0_T1_T2_jT3_P12ihipStream_tbPNSt15iterator_traitsISK_E10value_typeEPNSQ_ISL_E10value_typeEPSM_NS1_7vsmem_tEENKUlT_SK_SL_SM_E_clISE_PiSF_SF_EESJ_SZ_SK_SL_SM_EUlSZ_E_NS1_11comp_targetILNS1_3genE9ELNS1_11target_archE1100ELNS1_3gpuE3ELNS1_3repE0EEENS1_48merge_mergepath_partition_config_static_selectorELNS0_4arch9wavefront6targetE0EEEvSL_.uses_vcc, 0
	.set _ZN7rocprim17ROCPRIM_400000_NS6detail17trampoline_kernelINS0_14default_configENS1_38merge_sort_block_merge_config_selectorIiNS0_10empty_typeEEEZZNS1_27merge_sort_block_merge_implIS3_N6thrust23THRUST_200600_302600_NS6detail15normal_iteratorINS9_10device_ptrIiEEEEPS5_jNS1_19radix_merge_compareILb0ELb1EiNS0_19identity_decomposerEEEEE10hipError_tT0_T1_T2_jT3_P12ihipStream_tbPNSt15iterator_traitsISK_E10value_typeEPNSQ_ISL_E10value_typeEPSM_NS1_7vsmem_tEENKUlT_SK_SL_SM_E_clISE_PiSF_SF_EESJ_SZ_SK_SL_SM_EUlSZ_E_NS1_11comp_targetILNS1_3genE9ELNS1_11target_archE1100ELNS1_3gpuE3ELNS1_3repE0EEENS1_48merge_mergepath_partition_config_static_selectorELNS0_4arch9wavefront6targetE0EEEvSL_.uses_flat_scratch, 0
	.set _ZN7rocprim17ROCPRIM_400000_NS6detail17trampoline_kernelINS0_14default_configENS1_38merge_sort_block_merge_config_selectorIiNS0_10empty_typeEEEZZNS1_27merge_sort_block_merge_implIS3_N6thrust23THRUST_200600_302600_NS6detail15normal_iteratorINS9_10device_ptrIiEEEEPS5_jNS1_19radix_merge_compareILb0ELb1EiNS0_19identity_decomposerEEEEE10hipError_tT0_T1_T2_jT3_P12ihipStream_tbPNSt15iterator_traitsISK_E10value_typeEPNSQ_ISL_E10value_typeEPSM_NS1_7vsmem_tEENKUlT_SK_SL_SM_E_clISE_PiSF_SF_EESJ_SZ_SK_SL_SM_EUlSZ_E_NS1_11comp_targetILNS1_3genE9ELNS1_11target_archE1100ELNS1_3gpuE3ELNS1_3repE0EEENS1_48merge_mergepath_partition_config_static_selectorELNS0_4arch9wavefront6targetE0EEEvSL_.has_dyn_sized_stack, 0
	.set _ZN7rocprim17ROCPRIM_400000_NS6detail17trampoline_kernelINS0_14default_configENS1_38merge_sort_block_merge_config_selectorIiNS0_10empty_typeEEEZZNS1_27merge_sort_block_merge_implIS3_N6thrust23THRUST_200600_302600_NS6detail15normal_iteratorINS9_10device_ptrIiEEEEPS5_jNS1_19radix_merge_compareILb0ELb1EiNS0_19identity_decomposerEEEEE10hipError_tT0_T1_T2_jT3_P12ihipStream_tbPNSt15iterator_traitsISK_E10value_typeEPNSQ_ISL_E10value_typeEPSM_NS1_7vsmem_tEENKUlT_SK_SL_SM_E_clISE_PiSF_SF_EESJ_SZ_SK_SL_SM_EUlSZ_E_NS1_11comp_targetILNS1_3genE9ELNS1_11target_archE1100ELNS1_3gpuE3ELNS1_3repE0EEENS1_48merge_mergepath_partition_config_static_selectorELNS0_4arch9wavefront6targetE0EEEvSL_.has_recursion, 0
	.set _ZN7rocprim17ROCPRIM_400000_NS6detail17trampoline_kernelINS0_14default_configENS1_38merge_sort_block_merge_config_selectorIiNS0_10empty_typeEEEZZNS1_27merge_sort_block_merge_implIS3_N6thrust23THRUST_200600_302600_NS6detail15normal_iteratorINS9_10device_ptrIiEEEEPS5_jNS1_19radix_merge_compareILb0ELb1EiNS0_19identity_decomposerEEEEE10hipError_tT0_T1_T2_jT3_P12ihipStream_tbPNSt15iterator_traitsISK_E10value_typeEPNSQ_ISL_E10value_typeEPSM_NS1_7vsmem_tEENKUlT_SK_SL_SM_E_clISE_PiSF_SF_EESJ_SZ_SK_SL_SM_EUlSZ_E_NS1_11comp_targetILNS1_3genE9ELNS1_11target_archE1100ELNS1_3gpuE3ELNS1_3repE0EEENS1_48merge_mergepath_partition_config_static_selectorELNS0_4arch9wavefront6targetE0EEEvSL_.has_indirect_call, 0
	.section	.AMDGPU.csdata,"",@progbits
; Kernel info:
; codeLenInByte = 0
; TotalNumSgprs: 0
; NumVgprs: 0
; ScratchSize: 0
; MemoryBound: 0
; FloatMode: 240
; IeeeMode: 1
; LDSByteSize: 0 bytes/workgroup (compile time only)
; SGPRBlocks: 0
; VGPRBlocks: 0
; NumSGPRsForWavesPerEU: 1
; NumVGPRsForWavesPerEU: 1
; Occupancy: 16
; WaveLimiterHint : 0
; COMPUTE_PGM_RSRC2:SCRATCH_EN: 0
; COMPUTE_PGM_RSRC2:USER_SGPR: 6
; COMPUTE_PGM_RSRC2:TRAP_HANDLER: 0
; COMPUTE_PGM_RSRC2:TGID_X_EN: 1
; COMPUTE_PGM_RSRC2:TGID_Y_EN: 0
; COMPUTE_PGM_RSRC2:TGID_Z_EN: 0
; COMPUTE_PGM_RSRC2:TIDIG_COMP_CNT: 0
	.section	.text._ZN7rocprim17ROCPRIM_400000_NS6detail17trampoline_kernelINS0_14default_configENS1_38merge_sort_block_merge_config_selectorIiNS0_10empty_typeEEEZZNS1_27merge_sort_block_merge_implIS3_N6thrust23THRUST_200600_302600_NS6detail15normal_iteratorINS9_10device_ptrIiEEEEPS5_jNS1_19radix_merge_compareILb0ELb1EiNS0_19identity_decomposerEEEEE10hipError_tT0_T1_T2_jT3_P12ihipStream_tbPNSt15iterator_traitsISK_E10value_typeEPNSQ_ISL_E10value_typeEPSM_NS1_7vsmem_tEENKUlT_SK_SL_SM_E_clISE_PiSF_SF_EESJ_SZ_SK_SL_SM_EUlSZ_E_NS1_11comp_targetILNS1_3genE8ELNS1_11target_archE1030ELNS1_3gpuE2ELNS1_3repE0EEENS1_48merge_mergepath_partition_config_static_selectorELNS0_4arch9wavefront6targetE0EEEvSL_,"axG",@progbits,_ZN7rocprim17ROCPRIM_400000_NS6detail17trampoline_kernelINS0_14default_configENS1_38merge_sort_block_merge_config_selectorIiNS0_10empty_typeEEEZZNS1_27merge_sort_block_merge_implIS3_N6thrust23THRUST_200600_302600_NS6detail15normal_iteratorINS9_10device_ptrIiEEEEPS5_jNS1_19radix_merge_compareILb0ELb1EiNS0_19identity_decomposerEEEEE10hipError_tT0_T1_T2_jT3_P12ihipStream_tbPNSt15iterator_traitsISK_E10value_typeEPNSQ_ISL_E10value_typeEPSM_NS1_7vsmem_tEENKUlT_SK_SL_SM_E_clISE_PiSF_SF_EESJ_SZ_SK_SL_SM_EUlSZ_E_NS1_11comp_targetILNS1_3genE8ELNS1_11target_archE1030ELNS1_3gpuE2ELNS1_3repE0EEENS1_48merge_mergepath_partition_config_static_selectorELNS0_4arch9wavefront6targetE0EEEvSL_,comdat
	.protected	_ZN7rocprim17ROCPRIM_400000_NS6detail17trampoline_kernelINS0_14default_configENS1_38merge_sort_block_merge_config_selectorIiNS0_10empty_typeEEEZZNS1_27merge_sort_block_merge_implIS3_N6thrust23THRUST_200600_302600_NS6detail15normal_iteratorINS9_10device_ptrIiEEEEPS5_jNS1_19radix_merge_compareILb0ELb1EiNS0_19identity_decomposerEEEEE10hipError_tT0_T1_T2_jT3_P12ihipStream_tbPNSt15iterator_traitsISK_E10value_typeEPNSQ_ISL_E10value_typeEPSM_NS1_7vsmem_tEENKUlT_SK_SL_SM_E_clISE_PiSF_SF_EESJ_SZ_SK_SL_SM_EUlSZ_E_NS1_11comp_targetILNS1_3genE8ELNS1_11target_archE1030ELNS1_3gpuE2ELNS1_3repE0EEENS1_48merge_mergepath_partition_config_static_selectorELNS0_4arch9wavefront6targetE0EEEvSL_ ; -- Begin function _ZN7rocprim17ROCPRIM_400000_NS6detail17trampoline_kernelINS0_14default_configENS1_38merge_sort_block_merge_config_selectorIiNS0_10empty_typeEEEZZNS1_27merge_sort_block_merge_implIS3_N6thrust23THRUST_200600_302600_NS6detail15normal_iteratorINS9_10device_ptrIiEEEEPS5_jNS1_19radix_merge_compareILb0ELb1EiNS0_19identity_decomposerEEEEE10hipError_tT0_T1_T2_jT3_P12ihipStream_tbPNSt15iterator_traitsISK_E10value_typeEPNSQ_ISL_E10value_typeEPSM_NS1_7vsmem_tEENKUlT_SK_SL_SM_E_clISE_PiSF_SF_EESJ_SZ_SK_SL_SM_EUlSZ_E_NS1_11comp_targetILNS1_3genE8ELNS1_11target_archE1030ELNS1_3gpuE2ELNS1_3repE0EEENS1_48merge_mergepath_partition_config_static_selectorELNS0_4arch9wavefront6targetE0EEEvSL_
	.globl	_ZN7rocprim17ROCPRIM_400000_NS6detail17trampoline_kernelINS0_14default_configENS1_38merge_sort_block_merge_config_selectorIiNS0_10empty_typeEEEZZNS1_27merge_sort_block_merge_implIS3_N6thrust23THRUST_200600_302600_NS6detail15normal_iteratorINS9_10device_ptrIiEEEEPS5_jNS1_19radix_merge_compareILb0ELb1EiNS0_19identity_decomposerEEEEE10hipError_tT0_T1_T2_jT3_P12ihipStream_tbPNSt15iterator_traitsISK_E10value_typeEPNSQ_ISL_E10value_typeEPSM_NS1_7vsmem_tEENKUlT_SK_SL_SM_E_clISE_PiSF_SF_EESJ_SZ_SK_SL_SM_EUlSZ_E_NS1_11comp_targetILNS1_3genE8ELNS1_11target_archE1030ELNS1_3gpuE2ELNS1_3repE0EEENS1_48merge_mergepath_partition_config_static_selectorELNS0_4arch9wavefront6targetE0EEEvSL_
	.p2align	8
	.type	_ZN7rocprim17ROCPRIM_400000_NS6detail17trampoline_kernelINS0_14default_configENS1_38merge_sort_block_merge_config_selectorIiNS0_10empty_typeEEEZZNS1_27merge_sort_block_merge_implIS3_N6thrust23THRUST_200600_302600_NS6detail15normal_iteratorINS9_10device_ptrIiEEEEPS5_jNS1_19radix_merge_compareILb0ELb1EiNS0_19identity_decomposerEEEEE10hipError_tT0_T1_T2_jT3_P12ihipStream_tbPNSt15iterator_traitsISK_E10value_typeEPNSQ_ISL_E10value_typeEPSM_NS1_7vsmem_tEENKUlT_SK_SL_SM_E_clISE_PiSF_SF_EESJ_SZ_SK_SL_SM_EUlSZ_E_NS1_11comp_targetILNS1_3genE8ELNS1_11target_archE1030ELNS1_3gpuE2ELNS1_3repE0EEENS1_48merge_mergepath_partition_config_static_selectorELNS0_4arch9wavefront6targetE0EEEvSL_,@function
_ZN7rocprim17ROCPRIM_400000_NS6detail17trampoline_kernelINS0_14default_configENS1_38merge_sort_block_merge_config_selectorIiNS0_10empty_typeEEEZZNS1_27merge_sort_block_merge_implIS3_N6thrust23THRUST_200600_302600_NS6detail15normal_iteratorINS9_10device_ptrIiEEEEPS5_jNS1_19radix_merge_compareILb0ELb1EiNS0_19identity_decomposerEEEEE10hipError_tT0_T1_T2_jT3_P12ihipStream_tbPNSt15iterator_traitsISK_E10value_typeEPNSQ_ISL_E10value_typeEPSM_NS1_7vsmem_tEENKUlT_SK_SL_SM_E_clISE_PiSF_SF_EESJ_SZ_SK_SL_SM_EUlSZ_E_NS1_11comp_targetILNS1_3genE8ELNS1_11target_archE1030ELNS1_3gpuE2ELNS1_3repE0EEENS1_48merge_mergepath_partition_config_static_selectorELNS0_4arch9wavefront6targetE0EEEvSL_: ; @_ZN7rocprim17ROCPRIM_400000_NS6detail17trampoline_kernelINS0_14default_configENS1_38merge_sort_block_merge_config_selectorIiNS0_10empty_typeEEEZZNS1_27merge_sort_block_merge_implIS3_N6thrust23THRUST_200600_302600_NS6detail15normal_iteratorINS9_10device_ptrIiEEEEPS5_jNS1_19radix_merge_compareILb0ELb1EiNS0_19identity_decomposerEEEEE10hipError_tT0_T1_T2_jT3_P12ihipStream_tbPNSt15iterator_traitsISK_E10value_typeEPNSQ_ISL_E10value_typeEPSM_NS1_7vsmem_tEENKUlT_SK_SL_SM_E_clISE_PiSF_SF_EESJ_SZ_SK_SL_SM_EUlSZ_E_NS1_11comp_targetILNS1_3genE8ELNS1_11target_archE1030ELNS1_3gpuE2ELNS1_3repE0EEENS1_48merge_mergepath_partition_config_static_selectorELNS0_4arch9wavefront6targetE0EEEvSL_
; %bb.0:
	s_load_dword s0, s[4:5], 0x0
	v_lshl_or_b32 v0, s6, 7, v0
	s_waitcnt lgkmcnt(0)
	v_cmp_gt_u32_e32 vcc_lo, s0, v0
	s_and_saveexec_b32 s0, vcc_lo
	s_cbranch_execz .LBB115_6
; %bb.1:
	s_load_dwordx2 s[0:1], s[4:5], 0x4
	s_waitcnt lgkmcnt(0)
	s_lshr_b32 s2, s0, 9
	s_and_b32 s2, s2, 0x7ffffe
	s_sub_i32 s3, 0, s2
	s_add_i32 s2, s2, -1
	v_and_b32_e32 v1, s3, v0
	v_and_b32_e32 v5, s2, v0
	s_mov_b32 s3, 0
	s_mov_b32 s2, exec_lo
	v_lshlrev_b32_e32 v1, 10, v1
	v_add_nc_u32_e32 v2, s0, v1
	v_min_u32_e32 v4, s1, v2
	v_min_u32_e32 v2, s1, v1
	v_add_nc_u32_e32 v3, s0, v4
	v_min_u32_e32 v1, s1, v3
	s_load_dwordx2 s[0:1], s[4:5], 0x20
	v_lshlrev_b32_e32 v3, 10, v5
	v_sub_nc_u32_e32 v5, v1, v2
	v_sub_nc_u32_e32 v6, v1, v4
	v_min_u32_e32 v1, v5, v3
	v_sub_nc_u32_e32 v3, v4, v2
	v_sub_nc_u32_e64 v6, v1, v6 clamp
	v_min_u32_e32 v7, v1, v3
	v_cmpx_lt_u32_e64 v6, v7
	s_cbranch_execz .LBB115_5
; %bb.2:
	s_load_dwordx2 s[6:7], s[4:5], 0x10
	v_mov_b32_e32 v5, 0
	s_load_dword s4, s[4:5], 0x18
	v_mov_b32_e32 v3, v5
	v_lshlrev_b64 v[10:11], 2, v[4:5]
	v_lshlrev_b64 v[8:9], 2, v[2:3]
	s_waitcnt lgkmcnt(0)
	v_add_co_u32 v3, vcc_lo, s6, v8
	v_add_co_ci_u32_e64 v8, null, s7, v9, vcc_lo
	v_add_co_u32 v9, vcc_lo, s6, v10
	v_add_co_ci_u32_e64 v10, null, s7, v11, vcc_lo
	.p2align	6
.LBB115_3:                              ; =>This Inner Loop Header: Depth=1
	v_add_nc_u32_e32 v4, v7, v6
	v_mov_b32_e32 v12, v5
	v_lshrrev_b32_e32 v4, 1, v4
	v_xad_u32 v11, v4, -1, v1
	v_lshlrev_b64 v[13:14], 2, v[4:5]
	v_lshlrev_b64 v[11:12], 2, v[11:12]
	v_add_co_u32 v13, vcc_lo, v3, v13
	v_add_co_ci_u32_e64 v14, null, v8, v14, vcc_lo
	v_add_co_u32 v11, vcc_lo, v9, v11
	v_add_co_ci_u32_e64 v12, null, v10, v12, vcc_lo
	s_clause 0x1
	flat_load_dword v13, v[13:14]
	flat_load_dword v11, v[11:12]
	s_waitcnt vmcnt(1) lgkmcnt(1)
	v_and_b32_e32 v12, s4, v13
	s_waitcnt vmcnt(0) lgkmcnt(0)
	v_and_b32_e32 v11, s4, v11
	v_add_nc_u32_e32 v13, 1, v4
	v_cmp_gt_i32_e32 vcc_lo, v12, v11
	v_cndmask_b32_e32 v7, v7, v4, vcc_lo
	v_cndmask_b32_e32 v6, v13, v6, vcc_lo
	v_cmp_ge_u32_e32 vcc_lo, v6, v7
	s_or_b32 s3, vcc_lo, s3
	s_andn2_b32 exec_lo, exec_lo, s3
	s_cbranch_execnz .LBB115_3
; %bb.4:
	s_or_b32 exec_lo, exec_lo, s3
.LBB115_5:
	s_or_b32 exec_lo, exec_lo, s2
	v_mov_b32_e32 v1, 0
	v_add_nc_u32_e32 v2, v6, v2
	v_lshlrev_b64 v[0:1], 2, v[0:1]
	s_waitcnt lgkmcnt(0)
	v_add_co_u32 v0, vcc_lo, s0, v0
	v_add_co_ci_u32_e64 v1, null, s1, v1, vcc_lo
	global_store_dword v[0:1], v2, off
.LBB115_6:
	s_endpgm
	.section	.rodata,"a",@progbits
	.p2align	6, 0x0
	.amdhsa_kernel _ZN7rocprim17ROCPRIM_400000_NS6detail17trampoline_kernelINS0_14default_configENS1_38merge_sort_block_merge_config_selectorIiNS0_10empty_typeEEEZZNS1_27merge_sort_block_merge_implIS3_N6thrust23THRUST_200600_302600_NS6detail15normal_iteratorINS9_10device_ptrIiEEEEPS5_jNS1_19radix_merge_compareILb0ELb1EiNS0_19identity_decomposerEEEEE10hipError_tT0_T1_T2_jT3_P12ihipStream_tbPNSt15iterator_traitsISK_E10value_typeEPNSQ_ISL_E10value_typeEPSM_NS1_7vsmem_tEENKUlT_SK_SL_SM_E_clISE_PiSF_SF_EESJ_SZ_SK_SL_SM_EUlSZ_E_NS1_11comp_targetILNS1_3genE8ELNS1_11target_archE1030ELNS1_3gpuE2ELNS1_3repE0EEENS1_48merge_mergepath_partition_config_static_selectorELNS0_4arch9wavefront6targetE0EEEvSL_
		.amdhsa_group_segment_fixed_size 0
		.amdhsa_private_segment_fixed_size 0
		.amdhsa_kernarg_size 40
		.amdhsa_user_sgpr_count 6
		.amdhsa_user_sgpr_private_segment_buffer 1
		.amdhsa_user_sgpr_dispatch_ptr 0
		.amdhsa_user_sgpr_queue_ptr 0
		.amdhsa_user_sgpr_kernarg_segment_ptr 1
		.amdhsa_user_sgpr_dispatch_id 0
		.amdhsa_user_sgpr_flat_scratch_init 0
		.amdhsa_user_sgpr_private_segment_size 0
		.amdhsa_wavefront_size32 1
		.amdhsa_uses_dynamic_stack 0
		.amdhsa_system_sgpr_private_segment_wavefront_offset 0
		.amdhsa_system_sgpr_workgroup_id_x 1
		.amdhsa_system_sgpr_workgroup_id_y 0
		.amdhsa_system_sgpr_workgroup_id_z 0
		.amdhsa_system_sgpr_workgroup_info 0
		.amdhsa_system_vgpr_workitem_id 0
		.amdhsa_next_free_vgpr 15
		.amdhsa_next_free_sgpr 8
		.amdhsa_reserve_vcc 1
		.amdhsa_reserve_flat_scratch 1
		.amdhsa_float_round_mode_32 0
		.amdhsa_float_round_mode_16_64 0
		.amdhsa_float_denorm_mode_32 3
		.amdhsa_float_denorm_mode_16_64 3
		.amdhsa_dx10_clamp 1
		.amdhsa_ieee_mode 1
		.amdhsa_fp16_overflow 0
		.amdhsa_workgroup_processor_mode 1
		.amdhsa_memory_ordered 1
		.amdhsa_forward_progress 1
		.amdhsa_shared_vgpr_count 0
		.amdhsa_exception_fp_ieee_invalid_op 0
		.amdhsa_exception_fp_denorm_src 0
		.amdhsa_exception_fp_ieee_div_zero 0
		.amdhsa_exception_fp_ieee_overflow 0
		.amdhsa_exception_fp_ieee_underflow 0
		.amdhsa_exception_fp_ieee_inexact 0
		.amdhsa_exception_int_div_zero 0
	.end_amdhsa_kernel
	.section	.text._ZN7rocprim17ROCPRIM_400000_NS6detail17trampoline_kernelINS0_14default_configENS1_38merge_sort_block_merge_config_selectorIiNS0_10empty_typeEEEZZNS1_27merge_sort_block_merge_implIS3_N6thrust23THRUST_200600_302600_NS6detail15normal_iteratorINS9_10device_ptrIiEEEEPS5_jNS1_19radix_merge_compareILb0ELb1EiNS0_19identity_decomposerEEEEE10hipError_tT0_T1_T2_jT3_P12ihipStream_tbPNSt15iterator_traitsISK_E10value_typeEPNSQ_ISL_E10value_typeEPSM_NS1_7vsmem_tEENKUlT_SK_SL_SM_E_clISE_PiSF_SF_EESJ_SZ_SK_SL_SM_EUlSZ_E_NS1_11comp_targetILNS1_3genE8ELNS1_11target_archE1030ELNS1_3gpuE2ELNS1_3repE0EEENS1_48merge_mergepath_partition_config_static_selectorELNS0_4arch9wavefront6targetE0EEEvSL_,"axG",@progbits,_ZN7rocprim17ROCPRIM_400000_NS6detail17trampoline_kernelINS0_14default_configENS1_38merge_sort_block_merge_config_selectorIiNS0_10empty_typeEEEZZNS1_27merge_sort_block_merge_implIS3_N6thrust23THRUST_200600_302600_NS6detail15normal_iteratorINS9_10device_ptrIiEEEEPS5_jNS1_19radix_merge_compareILb0ELb1EiNS0_19identity_decomposerEEEEE10hipError_tT0_T1_T2_jT3_P12ihipStream_tbPNSt15iterator_traitsISK_E10value_typeEPNSQ_ISL_E10value_typeEPSM_NS1_7vsmem_tEENKUlT_SK_SL_SM_E_clISE_PiSF_SF_EESJ_SZ_SK_SL_SM_EUlSZ_E_NS1_11comp_targetILNS1_3genE8ELNS1_11target_archE1030ELNS1_3gpuE2ELNS1_3repE0EEENS1_48merge_mergepath_partition_config_static_selectorELNS0_4arch9wavefront6targetE0EEEvSL_,comdat
.Lfunc_end115:
	.size	_ZN7rocprim17ROCPRIM_400000_NS6detail17trampoline_kernelINS0_14default_configENS1_38merge_sort_block_merge_config_selectorIiNS0_10empty_typeEEEZZNS1_27merge_sort_block_merge_implIS3_N6thrust23THRUST_200600_302600_NS6detail15normal_iteratorINS9_10device_ptrIiEEEEPS5_jNS1_19radix_merge_compareILb0ELb1EiNS0_19identity_decomposerEEEEE10hipError_tT0_T1_T2_jT3_P12ihipStream_tbPNSt15iterator_traitsISK_E10value_typeEPNSQ_ISL_E10value_typeEPSM_NS1_7vsmem_tEENKUlT_SK_SL_SM_E_clISE_PiSF_SF_EESJ_SZ_SK_SL_SM_EUlSZ_E_NS1_11comp_targetILNS1_3genE8ELNS1_11target_archE1030ELNS1_3gpuE2ELNS1_3repE0EEENS1_48merge_mergepath_partition_config_static_selectorELNS0_4arch9wavefront6targetE0EEEvSL_, .Lfunc_end115-_ZN7rocprim17ROCPRIM_400000_NS6detail17trampoline_kernelINS0_14default_configENS1_38merge_sort_block_merge_config_selectorIiNS0_10empty_typeEEEZZNS1_27merge_sort_block_merge_implIS3_N6thrust23THRUST_200600_302600_NS6detail15normal_iteratorINS9_10device_ptrIiEEEEPS5_jNS1_19radix_merge_compareILb0ELb1EiNS0_19identity_decomposerEEEEE10hipError_tT0_T1_T2_jT3_P12ihipStream_tbPNSt15iterator_traitsISK_E10value_typeEPNSQ_ISL_E10value_typeEPSM_NS1_7vsmem_tEENKUlT_SK_SL_SM_E_clISE_PiSF_SF_EESJ_SZ_SK_SL_SM_EUlSZ_E_NS1_11comp_targetILNS1_3genE8ELNS1_11target_archE1030ELNS1_3gpuE2ELNS1_3repE0EEENS1_48merge_mergepath_partition_config_static_selectorELNS0_4arch9wavefront6targetE0EEEvSL_
                                        ; -- End function
	.set _ZN7rocprim17ROCPRIM_400000_NS6detail17trampoline_kernelINS0_14default_configENS1_38merge_sort_block_merge_config_selectorIiNS0_10empty_typeEEEZZNS1_27merge_sort_block_merge_implIS3_N6thrust23THRUST_200600_302600_NS6detail15normal_iteratorINS9_10device_ptrIiEEEEPS5_jNS1_19radix_merge_compareILb0ELb1EiNS0_19identity_decomposerEEEEE10hipError_tT0_T1_T2_jT3_P12ihipStream_tbPNSt15iterator_traitsISK_E10value_typeEPNSQ_ISL_E10value_typeEPSM_NS1_7vsmem_tEENKUlT_SK_SL_SM_E_clISE_PiSF_SF_EESJ_SZ_SK_SL_SM_EUlSZ_E_NS1_11comp_targetILNS1_3genE8ELNS1_11target_archE1030ELNS1_3gpuE2ELNS1_3repE0EEENS1_48merge_mergepath_partition_config_static_selectorELNS0_4arch9wavefront6targetE0EEEvSL_.num_vgpr, 15
	.set _ZN7rocprim17ROCPRIM_400000_NS6detail17trampoline_kernelINS0_14default_configENS1_38merge_sort_block_merge_config_selectorIiNS0_10empty_typeEEEZZNS1_27merge_sort_block_merge_implIS3_N6thrust23THRUST_200600_302600_NS6detail15normal_iteratorINS9_10device_ptrIiEEEEPS5_jNS1_19radix_merge_compareILb0ELb1EiNS0_19identity_decomposerEEEEE10hipError_tT0_T1_T2_jT3_P12ihipStream_tbPNSt15iterator_traitsISK_E10value_typeEPNSQ_ISL_E10value_typeEPSM_NS1_7vsmem_tEENKUlT_SK_SL_SM_E_clISE_PiSF_SF_EESJ_SZ_SK_SL_SM_EUlSZ_E_NS1_11comp_targetILNS1_3genE8ELNS1_11target_archE1030ELNS1_3gpuE2ELNS1_3repE0EEENS1_48merge_mergepath_partition_config_static_selectorELNS0_4arch9wavefront6targetE0EEEvSL_.num_agpr, 0
	.set _ZN7rocprim17ROCPRIM_400000_NS6detail17trampoline_kernelINS0_14default_configENS1_38merge_sort_block_merge_config_selectorIiNS0_10empty_typeEEEZZNS1_27merge_sort_block_merge_implIS3_N6thrust23THRUST_200600_302600_NS6detail15normal_iteratorINS9_10device_ptrIiEEEEPS5_jNS1_19radix_merge_compareILb0ELb1EiNS0_19identity_decomposerEEEEE10hipError_tT0_T1_T2_jT3_P12ihipStream_tbPNSt15iterator_traitsISK_E10value_typeEPNSQ_ISL_E10value_typeEPSM_NS1_7vsmem_tEENKUlT_SK_SL_SM_E_clISE_PiSF_SF_EESJ_SZ_SK_SL_SM_EUlSZ_E_NS1_11comp_targetILNS1_3genE8ELNS1_11target_archE1030ELNS1_3gpuE2ELNS1_3repE0EEENS1_48merge_mergepath_partition_config_static_selectorELNS0_4arch9wavefront6targetE0EEEvSL_.numbered_sgpr, 8
	.set _ZN7rocprim17ROCPRIM_400000_NS6detail17trampoline_kernelINS0_14default_configENS1_38merge_sort_block_merge_config_selectorIiNS0_10empty_typeEEEZZNS1_27merge_sort_block_merge_implIS3_N6thrust23THRUST_200600_302600_NS6detail15normal_iteratorINS9_10device_ptrIiEEEEPS5_jNS1_19radix_merge_compareILb0ELb1EiNS0_19identity_decomposerEEEEE10hipError_tT0_T1_T2_jT3_P12ihipStream_tbPNSt15iterator_traitsISK_E10value_typeEPNSQ_ISL_E10value_typeEPSM_NS1_7vsmem_tEENKUlT_SK_SL_SM_E_clISE_PiSF_SF_EESJ_SZ_SK_SL_SM_EUlSZ_E_NS1_11comp_targetILNS1_3genE8ELNS1_11target_archE1030ELNS1_3gpuE2ELNS1_3repE0EEENS1_48merge_mergepath_partition_config_static_selectorELNS0_4arch9wavefront6targetE0EEEvSL_.num_named_barrier, 0
	.set _ZN7rocprim17ROCPRIM_400000_NS6detail17trampoline_kernelINS0_14default_configENS1_38merge_sort_block_merge_config_selectorIiNS0_10empty_typeEEEZZNS1_27merge_sort_block_merge_implIS3_N6thrust23THRUST_200600_302600_NS6detail15normal_iteratorINS9_10device_ptrIiEEEEPS5_jNS1_19radix_merge_compareILb0ELb1EiNS0_19identity_decomposerEEEEE10hipError_tT0_T1_T2_jT3_P12ihipStream_tbPNSt15iterator_traitsISK_E10value_typeEPNSQ_ISL_E10value_typeEPSM_NS1_7vsmem_tEENKUlT_SK_SL_SM_E_clISE_PiSF_SF_EESJ_SZ_SK_SL_SM_EUlSZ_E_NS1_11comp_targetILNS1_3genE8ELNS1_11target_archE1030ELNS1_3gpuE2ELNS1_3repE0EEENS1_48merge_mergepath_partition_config_static_selectorELNS0_4arch9wavefront6targetE0EEEvSL_.private_seg_size, 0
	.set _ZN7rocprim17ROCPRIM_400000_NS6detail17trampoline_kernelINS0_14default_configENS1_38merge_sort_block_merge_config_selectorIiNS0_10empty_typeEEEZZNS1_27merge_sort_block_merge_implIS3_N6thrust23THRUST_200600_302600_NS6detail15normal_iteratorINS9_10device_ptrIiEEEEPS5_jNS1_19radix_merge_compareILb0ELb1EiNS0_19identity_decomposerEEEEE10hipError_tT0_T1_T2_jT3_P12ihipStream_tbPNSt15iterator_traitsISK_E10value_typeEPNSQ_ISL_E10value_typeEPSM_NS1_7vsmem_tEENKUlT_SK_SL_SM_E_clISE_PiSF_SF_EESJ_SZ_SK_SL_SM_EUlSZ_E_NS1_11comp_targetILNS1_3genE8ELNS1_11target_archE1030ELNS1_3gpuE2ELNS1_3repE0EEENS1_48merge_mergepath_partition_config_static_selectorELNS0_4arch9wavefront6targetE0EEEvSL_.uses_vcc, 1
	.set _ZN7rocprim17ROCPRIM_400000_NS6detail17trampoline_kernelINS0_14default_configENS1_38merge_sort_block_merge_config_selectorIiNS0_10empty_typeEEEZZNS1_27merge_sort_block_merge_implIS3_N6thrust23THRUST_200600_302600_NS6detail15normal_iteratorINS9_10device_ptrIiEEEEPS5_jNS1_19radix_merge_compareILb0ELb1EiNS0_19identity_decomposerEEEEE10hipError_tT0_T1_T2_jT3_P12ihipStream_tbPNSt15iterator_traitsISK_E10value_typeEPNSQ_ISL_E10value_typeEPSM_NS1_7vsmem_tEENKUlT_SK_SL_SM_E_clISE_PiSF_SF_EESJ_SZ_SK_SL_SM_EUlSZ_E_NS1_11comp_targetILNS1_3genE8ELNS1_11target_archE1030ELNS1_3gpuE2ELNS1_3repE0EEENS1_48merge_mergepath_partition_config_static_selectorELNS0_4arch9wavefront6targetE0EEEvSL_.uses_flat_scratch, 1
	.set _ZN7rocprim17ROCPRIM_400000_NS6detail17trampoline_kernelINS0_14default_configENS1_38merge_sort_block_merge_config_selectorIiNS0_10empty_typeEEEZZNS1_27merge_sort_block_merge_implIS3_N6thrust23THRUST_200600_302600_NS6detail15normal_iteratorINS9_10device_ptrIiEEEEPS5_jNS1_19radix_merge_compareILb0ELb1EiNS0_19identity_decomposerEEEEE10hipError_tT0_T1_T2_jT3_P12ihipStream_tbPNSt15iterator_traitsISK_E10value_typeEPNSQ_ISL_E10value_typeEPSM_NS1_7vsmem_tEENKUlT_SK_SL_SM_E_clISE_PiSF_SF_EESJ_SZ_SK_SL_SM_EUlSZ_E_NS1_11comp_targetILNS1_3genE8ELNS1_11target_archE1030ELNS1_3gpuE2ELNS1_3repE0EEENS1_48merge_mergepath_partition_config_static_selectorELNS0_4arch9wavefront6targetE0EEEvSL_.has_dyn_sized_stack, 0
	.set _ZN7rocprim17ROCPRIM_400000_NS6detail17trampoline_kernelINS0_14default_configENS1_38merge_sort_block_merge_config_selectorIiNS0_10empty_typeEEEZZNS1_27merge_sort_block_merge_implIS3_N6thrust23THRUST_200600_302600_NS6detail15normal_iteratorINS9_10device_ptrIiEEEEPS5_jNS1_19radix_merge_compareILb0ELb1EiNS0_19identity_decomposerEEEEE10hipError_tT0_T1_T2_jT3_P12ihipStream_tbPNSt15iterator_traitsISK_E10value_typeEPNSQ_ISL_E10value_typeEPSM_NS1_7vsmem_tEENKUlT_SK_SL_SM_E_clISE_PiSF_SF_EESJ_SZ_SK_SL_SM_EUlSZ_E_NS1_11comp_targetILNS1_3genE8ELNS1_11target_archE1030ELNS1_3gpuE2ELNS1_3repE0EEENS1_48merge_mergepath_partition_config_static_selectorELNS0_4arch9wavefront6targetE0EEEvSL_.has_recursion, 0
	.set _ZN7rocprim17ROCPRIM_400000_NS6detail17trampoline_kernelINS0_14default_configENS1_38merge_sort_block_merge_config_selectorIiNS0_10empty_typeEEEZZNS1_27merge_sort_block_merge_implIS3_N6thrust23THRUST_200600_302600_NS6detail15normal_iteratorINS9_10device_ptrIiEEEEPS5_jNS1_19radix_merge_compareILb0ELb1EiNS0_19identity_decomposerEEEEE10hipError_tT0_T1_T2_jT3_P12ihipStream_tbPNSt15iterator_traitsISK_E10value_typeEPNSQ_ISL_E10value_typeEPSM_NS1_7vsmem_tEENKUlT_SK_SL_SM_E_clISE_PiSF_SF_EESJ_SZ_SK_SL_SM_EUlSZ_E_NS1_11comp_targetILNS1_3genE8ELNS1_11target_archE1030ELNS1_3gpuE2ELNS1_3repE0EEENS1_48merge_mergepath_partition_config_static_selectorELNS0_4arch9wavefront6targetE0EEEvSL_.has_indirect_call, 0
	.section	.AMDGPU.csdata,"",@progbits
; Kernel info:
; codeLenInByte = 448
; TotalNumSgprs: 10
; NumVgprs: 15
; ScratchSize: 0
; MemoryBound: 0
; FloatMode: 240
; IeeeMode: 1
; LDSByteSize: 0 bytes/workgroup (compile time only)
; SGPRBlocks: 0
; VGPRBlocks: 1
; NumSGPRsForWavesPerEU: 10
; NumVGPRsForWavesPerEU: 15
; Occupancy: 16
; WaveLimiterHint : 0
; COMPUTE_PGM_RSRC2:SCRATCH_EN: 0
; COMPUTE_PGM_RSRC2:USER_SGPR: 6
; COMPUTE_PGM_RSRC2:TRAP_HANDLER: 0
; COMPUTE_PGM_RSRC2:TGID_X_EN: 1
; COMPUTE_PGM_RSRC2:TGID_Y_EN: 0
; COMPUTE_PGM_RSRC2:TGID_Z_EN: 0
; COMPUTE_PGM_RSRC2:TIDIG_COMP_CNT: 0
	.section	.text._ZN7rocprim17ROCPRIM_400000_NS6detail17trampoline_kernelINS0_14default_configENS1_38merge_sort_block_merge_config_selectorIiNS0_10empty_typeEEEZZNS1_27merge_sort_block_merge_implIS3_N6thrust23THRUST_200600_302600_NS6detail15normal_iteratorINS9_10device_ptrIiEEEEPS5_jNS1_19radix_merge_compareILb0ELb1EiNS0_19identity_decomposerEEEEE10hipError_tT0_T1_T2_jT3_P12ihipStream_tbPNSt15iterator_traitsISK_E10value_typeEPNSQ_ISL_E10value_typeEPSM_NS1_7vsmem_tEENKUlT_SK_SL_SM_E_clISE_PiSF_SF_EESJ_SZ_SK_SL_SM_EUlSZ_E0_NS1_11comp_targetILNS1_3genE0ELNS1_11target_archE4294967295ELNS1_3gpuE0ELNS1_3repE0EEENS1_38merge_mergepath_config_static_selectorELNS0_4arch9wavefront6targetE0EEEvSL_,"axG",@progbits,_ZN7rocprim17ROCPRIM_400000_NS6detail17trampoline_kernelINS0_14default_configENS1_38merge_sort_block_merge_config_selectorIiNS0_10empty_typeEEEZZNS1_27merge_sort_block_merge_implIS3_N6thrust23THRUST_200600_302600_NS6detail15normal_iteratorINS9_10device_ptrIiEEEEPS5_jNS1_19radix_merge_compareILb0ELb1EiNS0_19identity_decomposerEEEEE10hipError_tT0_T1_T2_jT3_P12ihipStream_tbPNSt15iterator_traitsISK_E10value_typeEPNSQ_ISL_E10value_typeEPSM_NS1_7vsmem_tEENKUlT_SK_SL_SM_E_clISE_PiSF_SF_EESJ_SZ_SK_SL_SM_EUlSZ_E0_NS1_11comp_targetILNS1_3genE0ELNS1_11target_archE4294967295ELNS1_3gpuE0ELNS1_3repE0EEENS1_38merge_mergepath_config_static_selectorELNS0_4arch9wavefront6targetE0EEEvSL_,comdat
	.protected	_ZN7rocprim17ROCPRIM_400000_NS6detail17trampoline_kernelINS0_14default_configENS1_38merge_sort_block_merge_config_selectorIiNS0_10empty_typeEEEZZNS1_27merge_sort_block_merge_implIS3_N6thrust23THRUST_200600_302600_NS6detail15normal_iteratorINS9_10device_ptrIiEEEEPS5_jNS1_19radix_merge_compareILb0ELb1EiNS0_19identity_decomposerEEEEE10hipError_tT0_T1_T2_jT3_P12ihipStream_tbPNSt15iterator_traitsISK_E10value_typeEPNSQ_ISL_E10value_typeEPSM_NS1_7vsmem_tEENKUlT_SK_SL_SM_E_clISE_PiSF_SF_EESJ_SZ_SK_SL_SM_EUlSZ_E0_NS1_11comp_targetILNS1_3genE0ELNS1_11target_archE4294967295ELNS1_3gpuE0ELNS1_3repE0EEENS1_38merge_mergepath_config_static_selectorELNS0_4arch9wavefront6targetE0EEEvSL_ ; -- Begin function _ZN7rocprim17ROCPRIM_400000_NS6detail17trampoline_kernelINS0_14default_configENS1_38merge_sort_block_merge_config_selectorIiNS0_10empty_typeEEEZZNS1_27merge_sort_block_merge_implIS3_N6thrust23THRUST_200600_302600_NS6detail15normal_iteratorINS9_10device_ptrIiEEEEPS5_jNS1_19radix_merge_compareILb0ELb1EiNS0_19identity_decomposerEEEEE10hipError_tT0_T1_T2_jT3_P12ihipStream_tbPNSt15iterator_traitsISK_E10value_typeEPNSQ_ISL_E10value_typeEPSM_NS1_7vsmem_tEENKUlT_SK_SL_SM_E_clISE_PiSF_SF_EESJ_SZ_SK_SL_SM_EUlSZ_E0_NS1_11comp_targetILNS1_3genE0ELNS1_11target_archE4294967295ELNS1_3gpuE0ELNS1_3repE0EEENS1_38merge_mergepath_config_static_selectorELNS0_4arch9wavefront6targetE0EEEvSL_
	.globl	_ZN7rocprim17ROCPRIM_400000_NS6detail17trampoline_kernelINS0_14default_configENS1_38merge_sort_block_merge_config_selectorIiNS0_10empty_typeEEEZZNS1_27merge_sort_block_merge_implIS3_N6thrust23THRUST_200600_302600_NS6detail15normal_iteratorINS9_10device_ptrIiEEEEPS5_jNS1_19radix_merge_compareILb0ELb1EiNS0_19identity_decomposerEEEEE10hipError_tT0_T1_T2_jT3_P12ihipStream_tbPNSt15iterator_traitsISK_E10value_typeEPNSQ_ISL_E10value_typeEPSM_NS1_7vsmem_tEENKUlT_SK_SL_SM_E_clISE_PiSF_SF_EESJ_SZ_SK_SL_SM_EUlSZ_E0_NS1_11comp_targetILNS1_3genE0ELNS1_11target_archE4294967295ELNS1_3gpuE0ELNS1_3repE0EEENS1_38merge_mergepath_config_static_selectorELNS0_4arch9wavefront6targetE0EEEvSL_
	.p2align	8
	.type	_ZN7rocprim17ROCPRIM_400000_NS6detail17trampoline_kernelINS0_14default_configENS1_38merge_sort_block_merge_config_selectorIiNS0_10empty_typeEEEZZNS1_27merge_sort_block_merge_implIS3_N6thrust23THRUST_200600_302600_NS6detail15normal_iteratorINS9_10device_ptrIiEEEEPS5_jNS1_19radix_merge_compareILb0ELb1EiNS0_19identity_decomposerEEEEE10hipError_tT0_T1_T2_jT3_P12ihipStream_tbPNSt15iterator_traitsISK_E10value_typeEPNSQ_ISL_E10value_typeEPSM_NS1_7vsmem_tEENKUlT_SK_SL_SM_E_clISE_PiSF_SF_EESJ_SZ_SK_SL_SM_EUlSZ_E0_NS1_11comp_targetILNS1_3genE0ELNS1_11target_archE4294967295ELNS1_3gpuE0ELNS1_3repE0EEENS1_38merge_mergepath_config_static_selectorELNS0_4arch9wavefront6targetE0EEEvSL_,@function
_ZN7rocprim17ROCPRIM_400000_NS6detail17trampoline_kernelINS0_14default_configENS1_38merge_sort_block_merge_config_selectorIiNS0_10empty_typeEEEZZNS1_27merge_sort_block_merge_implIS3_N6thrust23THRUST_200600_302600_NS6detail15normal_iteratorINS9_10device_ptrIiEEEEPS5_jNS1_19radix_merge_compareILb0ELb1EiNS0_19identity_decomposerEEEEE10hipError_tT0_T1_T2_jT3_P12ihipStream_tbPNSt15iterator_traitsISK_E10value_typeEPNSQ_ISL_E10value_typeEPSM_NS1_7vsmem_tEENKUlT_SK_SL_SM_E_clISE_PiSF_SF_EESJ_SZ_SK_SL_SM_EUlSZ_E0_NS1_11comp_targetILNS1_3genE0ELNS1_11target_archE4294967295ELNS1_3gpuE0ELNS1_3repE0EEENS1_38merge_mergepath_config_static_selectorELNS0_4arch9wavefront6targetE0EEEvSL_: ; @_ZN7rocprim17ROCPRIM_400000_NS6detail17trampoline_kernelINS0_14default_configENS1_38merge_sort_block_merge_config_selectorIiNS0_10empty_typeEEEZZNS1_27merge_sort_block_merge_implIS3_N6thrust23THRUST_200600_302600_NS6detail15normal_iteratorINS9_10device_ptrIiEEEEPS5_jNS1_19radix_merge_compareILb0ELb1EiNS0_19identity_decomposerEEEEE10hipError_tT0_T1_T2_jT3_P12ihipStream_tbPNSt15iterator_traitsISK_E10value_typeEPNSQ_ISL_E10value_typeEPSM_NS1_7vsmem_tEENKUlT_SK_SL_SM_E_clISE_PiSF_SF_EESJ_SZ_SK_SL_SM_EUlSZ_E0_NS1_11comp_targetILNS1_3genE0ELNS1_11target_archE4294967295ELNS1_3gpuE0ELNS1_3repE0EEENS1_38merge_mergepath_config_static_selectorELNS0_4arch9wavefront6targetE0EEEvSL_
; %bb.0:
	.section	.rodata,"a",@progbits
	.p2align	6, 0x0
	.amdhsa_kernel _ZN7rocprim17ROCPRIM_400000_NS6detail17trampoline_kernelINS0_14default_configENS1_38merge_sort_block_merge_config_selectorIiNS0_10empty_typeEEEZZNS1_27merge_sort_block_merge_implIS3_N6thrust23THRUST_200600_302600_NS6detail15normal_iteratorINS9_10device_ptrIiEEEEPS5_jNS1_19radix_merge_compareILb0ELb1EiNS0_19identity_decomposerEEEEE10hipError_tT0_T1_T2_jT3_P12ihipStream_tbPNSt15iterator_traitsISK_E10value_typeEPNSQ_ISL_E10value_typeEPSM_NS1_7vsmem_tEENKUlT_SK_SL_SM_E_clISE_PiSF_SF_EESJ_SZ_SK_SL_SM_EUlSZ_E0_NS1_11comp_targetILNS1_3genE0ELNS1_11target_archE4294967295ELNS1_3gpuE0ELNS1_3repE0EEENS1_38merge_mergepath_config_static_selectorELNS0_4arch9wavefront6targetE0EEEvSL_
		.amdhsa_group_segment_fixed_size 0
		.amdhsa_private_segment_fixed_size 0
		.amdhsa_kernarg_size 64
		.amdhsa_user_sgpr_count 6
		.amdhsa_user_sgpr_private_segment_buffer 1
		.amdhsa_user_sgpr_dispatch_ptr 0
		.amdhsa_user_sgpr_queue_ptr 0
		.amdhsa_user_sgpr_kernarg_segment_ptr 1
		.amdhsa_user_sgpr_dispatch_id 0
		.amdhsa_user_sgpr_flat_scratch_init 0
		.amdhsa_user_sgpr_private_segment_size 0
		.amdhsa_wavefront_size32 1
		.amdhsa_uses_dynamic_stack 0
		.amdhsa_system_sgpr_private_segment_wavefront_offset 0
		.amdhsa_system_sgpr_workgroup_id_x 1
		.amdhsa_system_sgpr_workgroup_id_y 0
		.amdhsa_system_sgpr_workgroup_id_z 0
		.amdhsa_system_sgpr_workgroup_info 0
		.amdhsa_system_vgpr_workitem_id 0
		.amdhsa_next_free_vgpr 1
		.amdhsa_next_free_sgpr 1
		.amdhsa_reserve_vcc 0
		.amdhsa_reserve_flat_scratch 0
		.amdhsa_float_round_mode_32 0
		.amdhsa_float_round_mode_16_64 0
		.amdhsa_float_denorm_mode_32 3
		.amdhsa_float_denorm_mode_16_64 3
		.amdhsa_dx10_clamp 1
		.amdhsa_ieee_mode 1
		.amdhsa_fp16_overflow 0
		.amdhsa_workgroup_processor_mode 1
		.amdhsa_memory_ordered 1
		.amdhsa_forward_progress 1
		.amdhsa_shared_vgpr_count 0
		.amdhsa_exception_fp_ieee_invalid_op 0
		.amdhsa_exception_fp_denorm_src 0
		.amdhsa_exception_fp_ieee_div_zero 0
		.amdhsa_exception_fp_ieee_overflow 0
		.amdhsa_exception_fp_ieee_underflow 0
		.amdhsa_exception_fp_ieee_inexact 0
		.amdhsa_exception_int_div_zero 0
	.end_amdhsa_kernel
	.section	.text._ZN7rocprim17ROCPRIM_400000_NS6detail17trampoline_kernelINS0_14default_configENS1_38merge_sort_block_merge_config_selectorIiNS0_10empty_typeEEEZZNS1_27merge_sort_block_merge_implIS3_N6thrust23THRUST_200600_302600_NS6detail15normal_iteratorINS9_10device_ptrIiEEEEPS5_jNS1_19radix_merge_compareILb0ELb1EiNS0_19identity_decomposerEEEEE10hipError_tT0_T1_T2_jT3_P12ihipStream_tbPNSt15iterator_traitsISK_E10value_typeEPNSQ_ISL_E10value_typeEPSM_NS1_7vsmem_tEENKUlT_SK_SL_SM_E_clISE_PiSF_SF_EESJ_SZ_SK_SL_SM_EUlSZ_E0_NS1_11comp_targetILNS1_3genE0ELNS1_11target_archE4294967295ELNS1_3gpuE0ELNS1_3repE0EEENS1_38merge_mergepath_config_static_selectorELNS0_4arch9wavefront6targetE0EEEvSL_,"axG",@progbits,_ZN7rocprim17ROCPRIM_400000_NS6detail17trampoline_kernelINS0_14default_configENS1_38merge_sort_block_merge_config_selectorIiNS0_10empty_typeEEEZZNS1_27merge_sort_block_merge_implIS3_N6thrust23THRUST_200600_302600_NS6detail15normal_iteratorINS9_10device_ptrIiEEEEPS5_jNS1_19radix_merge_compareILb0ELb1EiNS0_19identity_decomposerEEEEE10hipError_tT0_T1_T2_jT3_P12ihipStream_tbPNSt15iterator_traitsISK_E10value_typeEPNSQ_ISL_E10value_typeEPSM_NS1_7vsmem_tEENKUlT_SK_SL_SM_E_clISE_PiSF_SF_EESJ_SZ_SK_SL_SM_EUlSZ_E0_NS1_11comp_targetILNS1_3genE0ELNS1_11target_archE4294967295ELNS1_3gpuE0ELNS1_3repE0EEENS1_38merge_mergepath_config_static_selectorELNS0_4arch9wavefront6targetE0EEEvSL_,comdat
.Lfunc_end116:
	.size	_ZN7rocprim17ROCPRIM_400000_NS6detail17trampoline_kernelINS0_14default_configENS1_38merge_sort_block_merge_config_selectorIiNS0_10empty_typeEEEZZNS1_27merge_sort_block_merge_implIS3_N6thrust23THRUST_200600_302600_NS6detail15normal_iteratorINS9_10device_ptrIiEEEEPS5_jNS1_19radix_merge_compareILb0ELb1EiNS0_19identity_decomposerEEEEE10hipError_tT0_T1_T2_jT3_P12ihipStream_tbPNSt15iterator_traitsISK_E10value_typeEPNSQ_ISL_E10value_typeEPSM_NS1_7vsmem_tEENKUlT_SK_SL_SM_E_clISE_PiSF_SF_EESJ_SZ_SK_SL_SM_EUlSZ_E0_NS1_11comp_targetILNS1_3genE0ELNS1_11target_archE4294967295ELNS1_3gpuE0ELNS1_3repE0EEENS1_38merge_mergepath_config_static_selectorELNS0_4arch9wavefront6targetE0EEEvSL_, .Lfunc_end116-_ZN7rocprim17ROCPRIM_400000_NS6detail17trampoline_kernelINS0_14default_configENS1_38merge_sort_block_merge_config_selectorIiNS0_10empty_typeEEEZZNS1_27merge_sort_block_merge_implIS3_N6thrust23THRUST_200600_302600_NS6detail15normal_iteratorINS9_10device_ptrIiEEEEPS5_jNS1_19radix_merge_compareILb0ELb1EiNS0_19identity_decomposerEEEEE10hipError_tT0_T1_T2_jT3_P12ihipStream_tbPNSt15iterator_traitsISK_E10value_typeEPNSQ_ISL_E10value_typeEPSM_NS1_7vsmem_tEENKUlT_SK_SL_SM_E_clISE_PiSF_SF_EESJ_SZ_SK_SL_SM_EUlSZ_E0_NS1_11comp_targetILNS1_3genE0ELNS1_11target_archE4294967295ELNS1_3gpuE0ELNS1_3repE0EEENS1_38merge_mergepath_config_static_selectorELNS0_4arch9wavefront6targetE0EEEvSL_
                                        ; -- End function
	.set _ZN7rocprim17ROCPRIM_400000_NS6detail17trampoline_kernelINS0_14default_configENS1_38merge_sort_block_merge_config_selectorIiNS0_10empty_typeEEEZZNS1_27merge_sort_block_merge_implIS3_N6thrust23THRUST_200600_302600_NS6detail15normal_iteratorINS9_10device_ptrIiEEEEPS5_jNS1_19radix_merge_compareILb0ELb1EiNS0_19identity_decomposerEEEEE10hipError_tT0_T1_T2_jT3_P12ihipStream_tbPNSt15iterator_traitsISK_E10value_typeEPNSQ_ISL_E10value_typeEPSM_NS1_7vsmem_tEENKUlT_SK_SL_SM_E_clISE_PiSF_SF_EESJ_SZ_SK_SL_SM_EUlSZ_E0_NS1_11comp_targetILNS1_3genE0ELNS1_11target_archE4294967295ELNS1_3gpuE0ELNS1_3repE0EEENS1_38merge_mergepath_config_static_selectorELNS0_4arch9wavefront6targetE0EEEvSL_.num_vgpr, 0
	.set _ZN7rocprim17ROCPRIM_400000_NS6detail17trampoline_kernelINS0_14default_configENS1_38merge_sort_block_merge_config_selectorIiNS0_10empty_typeEEEZZNS1_27merge_sort_block_merge_implIS3_N6thrust23THRUST_200600_302600_NS6detail15normal_iteratorINS9_10device_ptrIiEEEEPS5_jNS1_19radix_merge_compareILb0ELb1EiNS0_19identity_decomposerEEEEE10hipError_tT0_T1_T2_jT3_P12ihipStream_tbPNSt15iterator_traitsISK_E10value_typeEPNSQ_ISL_E10value_typeEPSM_NS1_7vsmem_tEENKUlT_SK_SL_SM_E_clISE_PiSF_SF_EESJ_SZ_SK_SL_SM_EUlSZ_E0_NS1_11comp_targetILNS1_3genE0ELNS1_11target_archE4294967295ELNS1_3gpuE0ELNS1_3repE0EEENS1_38merge_mergepath_config_static_selectorELNS0_4arch9wavefront6targetE0EEEvSL_.num_agpr, 0
	.set _ZN7rocprim17ROCPRIM_400000_NS6detail17trampoline_kernelINS0_14default_configENS1_38merge_sort_block_merge_config_selectorIiNS0_10empty_typeEEEZZNS1_27merge_sort_block_merge_implIS3_N6thrust23THRUST_200600_302600_NS6detail15normal_iteratorINS9_10device_ptrIiEEEEPS5_jNS1_19radix_merge_compareILb0ELb1EiNS0_19identity_decomposerEEEEE10hipError_tT0_T1_T2_jT3_P12ihipStream_tbPNSt15iterator_traitsISK_E10value_typeEPNSQ_ISL_E10value_typeEPSM_NS1_7vsmem_tEENKUlT_SK_SL_SM_E_clISE_PiSF_SF_EESJ_SZ_SK_SL_SM_EUlSZ_E0_NS1_11comp_targetILNS1_3genE0ELNS1_11target_archE4294967295ELNS1_3gpuE0ELNS1_3repE0EEENS1_38merge_mergepath_config_static_selectorELNS0_4arch9wavefront6targetE0EEEvSL_.numbered_sgpr, 0
	.set _ZN7rocprim17ROCPRIM_400000_NS6detail17trampoline_kernelINS0_14default_configENS1_38merge_sort_block_merge_config_selectorIiNS0_10empty_typeEEEZZNS1_27merge_sort_block_merge_implIS3_N6thrust23THRUST_200600_302600_NS6detail15normal_iteratorINS9_10device_ptrIiEEEEPS5_jNS1_19radix_merge_compareILb0ELb1EiNS0_19identity_decomposerEEEEE10hipError_tT0_T1_T2_jT3_P12ihipStream_tbPNSt15iterator_traitsISK_E10value_typeEPNSQ_ISL_E10value_typeEPSM_NS1_7vsmem_tEENKUlT_SK_SL_SM_E_clISE_PiSF_SF_EESJ_SZ_SK_SL_SM_EUlSZ_E0_NS1_11comp_targetILNS1_3genE0ELNS1_11target_archE4294967295ELNS1_3gpuE0ELNS1_3repE0EEENS1_38merge_mergepath_config_static_selectorELNS0_4arch9wavefront6targetE0EEEvSL_.num_named_barrier, 0
	.set _ZN7rocprim17ROCPRIM_400000_NS6detail17trampoline_kernelINS0_14default_configENS1_38merge_sort_block_merge_config_selectorIiNS0_10empty_typeEEEZZNS1_27merge_sort_block_merge_implIS3_N6thrust23THRUST_200600_302600_NS6detail15normal_iteratorINS9_10device_ptrIiEEEEPS5_jNS1_19radix_merge_compareILb0ELb1EiNS0_19identity_decomposerEEEEE10hipError_tT0_T1_T2_jT3_P12ihipStream_tbPNSt15iterator_traitsISK_E10value_typeEPNSQ_ISL_E10value_typeEPSM_NS1_7vsmem_tEENKUlT_SK_SL_SM_E_clISE_PiSF_SF_EESJ_SZ_SK_SL_SM_EUlSZ_E0_NS1_11comp_targetILNS1_3genE0ELNS1_11target_archE4294967295ELNS1_3gpuE0ELNS1_3repE0EEENS1_38merge_mergepath_config_static_selectorELNS0_4arch9wavefront6targetE0EEEvSL_.private_seg_size, 0
	.set _ZN7rocprim17ROCPRIM_400000_NS6detail17trampoline_kernelINS0_14default_configENS1_38merge_sort_block_merge_config_selectorIiNS0_10empty_typeEEEZZNS1_27merge_sort_block_merge_implIS3_N6thrust23THRUST_200600_302600_NS6detail15normal_iteratorINS9_10device_ptrIiEEEEPS5_jNS1_19radix_merge_compareILb0ELb1EiNS0_19identity_decomposerEEEEE10hipError_tT0_T1_T2_jT3_P12ihipStream_tbPNSt15iterator_traitsISK_E10value_typeEPNSQ_ISL_E10value_typeEPSM_NS1_7vsmem_tEENKUlT_SK_SL_SM_E_clISE_PiSF_SF_EESJ_SZ_SK_SL_SM_EUlSZ_E0_NS1_11comp_targetILNS1_3genE0ELNS1_11target_archE4294967295ELNS1_3gpuE0ELNS1_3repE0EEENS1_38merge_mergepath_config_static_selectorELNS0_4arch9wavefront6targetE0EEEvSL_.uses_vcc, 0
	.set _ZN7rocprim17ROCPRIM_400000_NS6detail17trampoline_kernelINS0_14default_configENS1_38merge_sort_block_merge_config_selectorIiNS0_10empty_typeEEEZZNS1_27merge_sort_block_merge_implIS3_N6thrust23THRUST_200600_302600_NS6detail15normal_iteratorINS9_10device_ptrIiEEEEPS5_jNS1_19radix_merge_compareILb0ELb1EiNS0_19identity_decomposerEEEEE10hipError_tT0_T1_T2_jT3_P12ihipStream_tbPNSt15iterator_traitsISK_E10value_typeEPNSQ_ISL_E10value_typeEPSM_NS1_7vsmem_tEENKUlT_SK_SL_SM_E_clISE_PiSF_SF_EESJ_SZ_SK_SL_SM_EUlSZ_E0_NS1_11comp_targetILNS1_3genE0ELNS1_11target_archE4294967295ELNS1_3gpuE0ELNS1_3repE0EEENS1_38merge_mergepath_config_static_selectorELNS0_4arch9wavefront6targetE0EEEvSL_.uses_flat_scratch, 0
	.set _ZN7rocprim17ROCPRIM_400000_NS6detail17trampoline_kernelINS0_14default_configENS1_38merge_sort_block_merge_config_selectorIiNS0_10empty_typeEEEZZNS1_27merge_sort_block_merge_implIS3_N6thrust23THRUST_200600_302600_NS6detail15normal_iteratorINS9_10device_ptrIiEEEEPS5_jNS1_19radix_merge_compareILb0ELb1EiNS0_19identity_decomposerEEEEE10hipError_tT0_T1_T2_jT3_P12ihipStream_tbPNSt15iterator_traitsISK_E10value_typeEPNSQ_ISL_E10value_typeEPSM_NS1_7vsmem_tEENKUlT_SK_SL_SM_E_clISE_PiSF_SF_EESJ_SZ_SK_SL_SM_EUlSZ_E0_NS1_11comp_targetILNS1_3genE0ELNS1_11target_archE4294967295ELNS1_3gpuE0ELNS1_3repE0EEENS1_38merge_mergepath_config_static_selectorELNS0_4arch9wavefront6targetE0EEEvSL_.has_dyn_sized_stack, 0
	.set _ZN7rocprim17ROCPRIM_400000_NS6detail17trampoline_kernelINS0_14default_configENS1_38merge_sort_block_merge_config_selectorIiNS0_10empty_typeEEEZZNS1_27merge_sort_block_merge_implIS3_N6thrust23THRUST_200600_302600_NS6detail15normal_iteratorINS9_10device_ptrIiEEEEPS5_jNS1_19radix_merge_compareILb0ELb1EiNS0_19identity_decomposerEEEEE10hipError_tT0_T1_T2_jT3_P12ihipStream_tbPNSt15iterator_traitsISK_E10value_typeEPNSQ_ISL_E10value_typeEPSM_NS1_7vsmem_tEENKUlT_SK_SL_SM_E_clISE_PiSF_SF_EESJ_SZ_SK_SL_SM_EUlSZ_E0_NS1_11comp_targetILNS1_3genE0ELNS1_11target_archE4294967295ELNS1_3gpuE0ELNS1_3repE0EEENS1_38merge_mergepath_config_static_selectorELNS0_4arch9wavefront6targetE0EEEvSL_.has_recursion, 0
	.set _ZN7rocprim17ROCPRIM_400000_NS6detail17trampoline_kernelINS0_14default_configENS1_38merge_sort_block_merge_config_selectorIiNS0_10empty_typeEEEZZNS1_27merge_sort_block_merge_implIS3_N6thrust23THRUST_200600_302600_NS6detail15normal_iteratorINS9_10device_ptrIiEEEEPS5_jNS1_19radix_merge_compareILb0ELb1EiNS0_19identity_decomposerEEEEE10hipError_tT0_T1_T2_jT3_P12ihipStream_tbPNSt15iterator_traitsISK_E10value_typeEPNSQ_ISL_E10value_typeEPSM_NS1_7vsmem_tEENKUlT_SK_SL_SM_E_clISE_PiSF_SF_EESJ_SZ_SK_SL_SM_EUlSZ_E0_NS1_11comp_targetILNS1_3genE0ELNS1_11target_archE4294967295ELNS1_3gpuE0ELNS1_3repE0EEENS1_38merge_mergepath_config_static_selectorELNS0_4arch9wavefront6targetE0EEEvSL_.has_indirect_call, 0
	.section	.AMDGPU.csdata,"",@progbits
; Kernel info:
; codeLenInByte = 0
; TotalNumSgprs: 0
; NumVgprs: 0
; ScratchSize: 0
; MemoryBound: 0
; FloatMode: 240
; IeeeMode: 1
; LDSByteSize: 0 bytes/workgroup (compile time only)
; SGPRBlocks: 0
; VGPRBlocks: 0
; NumSGPRsForWavesPerEU: 1
; NumVGPRsForWavesPerEU: 1
; Occupancy: 16
; WaveLimiterHint : 0
; COMPUTE_PGM_RSRC2:SCRATCH_EN: 0
; COMPUTE_PGM_RSRC2:USER_SGPR: 6
; COMPUTE_PGM_RSRC2:TRAP_HANDLER: 0
; COMPUTE_PGM_RSRC2:TGID_X_EN: 1
; COMPUTE_PGM_RSRC2:TGID_Y_EN: 0
; COMPUTE_PGM_RSRC2:TGID_Z_EN: 0
; COMPUTE_PGM_RSRC2:TIDIG_COMP_CNT: 0
	.section	.text._ZN7rocprim17ROCPRIM_400000_NS6detail17trampoline_kernelINS0_14default_configENS1_38merge_sort_block_merge_config_selectorIiNS0_10empty_typeEEEZZNS1_27merge_sort_block_merge_implIS3_N6thrust23THRUST_200600_302600_NS6detail15normal_iteratorINS9_10device_ptrIiEEEEPS5_jNS1_19radix_merge_compareILb0ELb1EiNS0_19identity_decomposerEEEEE10hipError_tT0_T1_T2_jT3_P12ihipStream_tbPNSt15iterator_traitsISK_E10value_typeEPNSQ_ISL_E10value_typeEPSM_NS1_7vsmem_tEENKUlT_SK_SL_SM_E_clISE_PiSF_SF_EESJ_SZ_SK_SL_SM_EUlSZ_E0_NS1_11comp_targetILNS1_3genE10ELNS1_11target_archE1201ELNS1_3gpuE5ELNS1_3repE0EEENS1_38merge_mergepath_config_static_selectorELNS0_4arch9wavefront6targetE0EEEvSL_,"axG",@progbits,_ZN7rocprim17ROCPRIM_400000_NS6detail17trampoline_kernelINS0_14default_configENS1_38merge_sort_block_merge_config_selectorIiNS0_10empty_typeEEEZZNS1_27merge_sort_block_merge_implIS3_N6thrust23THRUST_200600_302600_NS6detail15normal_iteratorINS9_10device_ptrIiEEEEPS5_jNS1_19radix_merge_compareILb0ELb1EiNS0_19identity_decomposerEEEEE10hipError_tT0_T1_T2_jT3_P12ihipStream_tbPNSt15iterator_traitsISK_E10value_typeEPNSQ_ISL_E10value_typeEPSM_NS1_7vsmem_tEENKUlT_SK_SL_SM_E_clISE_PiSF_SF_EESJ_SZ_SK_SL_SM_EUlSZ_E0_NS1_11comp_targetILNS1_3genE10ELNS1_11target_archE1201ELNS1_3gpuE5ELNS1_3repE0EEENS1_38merge_mergepath_config_static_selectorELNS0_4arch9wavefront6targetE0EEEvSL_,comdat
	.protected	_ZN7rocprim17ROCPRIM_400000_NS6detail17trampoline_kernelINS0_14default_configENS1_38merge_sort_block_merge_config_selectorIiNS0_10empty_typeEEEZZNS1_27merge_sort_block_merge_implIS3_N6thrust23THRUST_200600_302600_NS6detail15normal_iteratorINS9_10device_ptrIiEEEEPS5_jNS1_19radix_merge_compareILb0ELb1EiNS0_19identity_decomposerEEEEE10hipError_tT0_T1_T2_jT3_P12ihipStream_tbPNSt15iterator_traitsISK_E10value_typeEPNSQ_ISL_E10value_typeEPSM_NS1_7vsmem_tEENKUlT_SK_SL_SM_E_clISE_PiSF_SF_EESJ_SZ_SK_SL_SM_EUlSZ_E0_NS1_11comp_targetILNS1_3genE10ELNS1_11target_archE1201ELNS1_3gpuE5ELNS1_3repE0EEENS1_38merge_mergepath_config_static_selectorELNS0_4arch9wavefront6targetE0EEEvSL_ ; -- Begin function _ZN7rocprim17ROCPRIM_400000_NS6detail17trampoline_kernelINS0_14default_configENS1_38merge_sort_block_merge_config_selectorIiNS0_10empty_typeEEEZZNS1_27merge_sort_block_merge_implIS3_N6thrust23THRUST_200600_302600_NS6detail15normal_iteratorINS9_10device_ptrIiEEEEPS5_jNS1_19radix_merge_compareILb0ELb1EiNS0_19identity_decomposerEEEEE10hipError_tT0_T1_T2_jT3_P12ihipStream_tbPNSt15iterator_traitsISK_E10value_typeEPNSQ_ISL_E10value_typeEPSM_NS1_7vsmem_tEENKUlT_SK_SL_SM_E_clISE_PiSF_SF_EESJ_SZ_SK_SL_SM_EUlSZ_E0_NS1_11comp_targetILNS1_3genE10ELNS1_11target_archE1201ELNS1_3gpuE5ELNS1_3repE0EEENS1_38merge_mergepath_config_static_selectorELNS0_4arch9wavefront6targetE0EEEvSL_
	.globl	_ZN7rocprim17ROCPRIM_400000_NS6detail17trampoline_kernelINS0_14default_configENS1_38merge_sort_block_merge_config_selectorIiNS0_10empty_typeEEEZZNS1_27merge_sort_block_merge_implIS3_N6thrust23THRUST_200600_302600_NS6detail15normal_iteratorINS9_10device_ptrIiEEEEPS5_jNS1_19radix_merge_compareILb0ELb1EiNS0_19identity_decomposerEEEEE10hipError_tT0_T1_T2_jT3_P12ihipStream_tbPNSt15iterator_traitsISK_E10value_typeEPNSQ_ISL_E10value_typeEPSM_NS1_7vsmem_tEENKUlT_SK_SL_SM_E_clISE_PiSF_SF_EESJ_SZ_SK_SL_SM_EUlSZ_E0_NS1_11comp_targetILNS1_3genE10ELNS1_11target_archE1201ELNS1_3gpuE5ELNS1_3repE0EEENS1_38merge_mergepath_config_static_selectorELNS0_4arch9wavefront6targetE0EEEvSL_
	.p2align	8
	.type	_ZN7rocprim17ROCPRIM_400000_NS6detail17trampoline_kernelINS0_14default_configENS1_38merge_sort_block_merge_config_selectorIiNS0_10empty_typeEEEZZNS1_27merge_sort_block_merge_implIS3_N6thrust23THRUST_200600_302600_NS6detail15normal_iteratorINS9_10device_ptrIiEEEEPS5_jNS1_19radix_merge_compareILb0ELb1EiNS0_19identity_decomposerEEEEE10hipError_tT0_T1_T2_jT3_P12ihipStream_tbPNSt15iterator_traitsISK_E10value_typeEPNSQ_ISL_E10value_typeEPSM_NS1_7vsmem_tEENKUlT_SK_SL_SM_E_clISE_PiSF_SF_EESJ_SZ_SK_SL_SM_EUlSZ_E0_NS1_11comp_targetILNS1_3genE10ELNS1_11target_archE1201ELNS1_3gpuE5ELNS1_3repE0EEENS1_38merge_mergepath_config_static_selectorELNS0_4arch9wavefront6targetE0EEEvSL_,@function
_ZN7rocprim17ROCPRIM_400000_NS6detail17trampoline_kernelINS0_14default_configENS1_38merge_sort_block_merge_config_selectorIiNS0_10empty_typeEEEZZNS1_27merge_sort_block_merge_implIS3_N6thrust23THRUST_200600_302600_NS6detail15normal_iteratorINS9_10device_ptrIiEEEEPS5_jNS1_19radix_merge_compareILb0ELb1EiNS0_19identity_decomposerEEEEE10hipError_tT0_T1_T2_jT3_P12ihipStream_tbPNSt15iterator_traitsISK_E10value_typeEPNSQ_ISL_E10value_typeEPSM_NS1_7vsmem_tEENKUlT_SK_SL_SM_E_clISE_PiSF_SF_EESJ_SZ_SK_SL_SM_EUlSZ_E0_NS1_11comp_targetILNS1_3genE10ELNS1_11target_archE1201ELNS1_3gpuE5ELNS1_3repE0EEENS1_38merge_mergepath_config_static_selectorELNS0_4arch9wavefront6targetE0EEEvSL_: ; @_ZN7rocprim17ROCPRIM_400000_NS6detail17trampoline_kernelINS0_14default_configENS1_38merge_sort_block_merge_config_selectorIiNS0_10empty_typeEEEZZNS1_27merge_sort_block_merge_implIS3_N6thrust23THRUST_200600_302600_NS6detail15normal_iteratorINS9_10device_ptrIiEEEEPS5_jNS1_19radix_merge_compareILb0ELb1EiNS0_19identity_decomposerEEEEE10hipError_tT0_T1_T2_jT3_P12ihipStream_tbPNSt15iterator_traitsISK_E10value_typeEPNSQ_ISL_E10value_typeEPSM_NS1_7vsmem_tEENKUlT_SK_SL_SM_E_clISE_PiSF_SF_EESJ_SZ_SK_SL_SM_EUlSZ_E0_NS1_11comp_targetILNS1_3genE10ELNS1_11target_archE1201ELNS1_3gpuE5ELNS1_3repE0EEENS1_38merge_mergepath_config_static_selectorELNS0_4arch9wavefront6targetE0EEEvSL_
; %bb.0:
	.section	.rodata,"a",@progbits
	.p2align	6, 0x0
	.amdhsa_kernel _ZN7rocprim17ROCPRIM_400000_NS6detail17trampoline_kernelINS0_14default_configENS1_38merge_sort_block_merge_config_selectorIiNS0_10empty_typeEEEZZNS1_27merge_sort_block_merge_implIS3_N6thrust23THRUST_200600_302600_NS6detail15normal_iteratorINS9_10device_ptrIiEEEEPS5_jNS1_19radix_merge_compareILb0ELb1EiNS0_19identity_decomposerEEEEE10hipError_tT0_T1_T2_jT3_P12ihipStream_tbPNSt15iterator_traitsISK_E10value_typeEPNSQ_ISL_E10value_typeEPSM_NS1_7vsmem_tEENKUlT_SK_SL_SM_E_clISE_PiSF_SF_EESJ_SZ_SK_SL_SM_EUlSZ_E0_NS1_11comp_targetILNS1_3genE10ELNS1_11target_archE1201ELNS1_3gpuE5ELNS1_3repE0EEENS1_38merge_mergepath_config_static_selectorELNS0_4arch9wavefront6targetE0EEEvSL_
		.amdhsa_group_segment_fixed_size 0
		.amdhsa_private_segment_fixed_size 0
		.amdhsa_kernarg_size 64
		.amdhsa_user_sgpr_count 6
		.amdhsa_user_sgpr_private_segment_buffer 1
		.amdhsa_user_sgpr_dispatch_ptr 0
		.amdhsa_user_sgpr_queue_ptr 0
		.amdhsa_user_sgpr_kernarg_segment_ptr 1
		.amdhsa_user_sgpr_dispatch_id 0
		.amdhsa_user_sgpr_flat_scratch_init 0
		.amdhsa_user_sgpr_private_segment_size 0
		.amdhsa_wavefront_size32 1
		.amdhsa_uses_dynamic_stack 0
		.amdhsa_system_sgpr_private_segment_wavefront_offset 0
		.amdhsa_system_sgpr_workgroup_id_x 1
		.amdhsa_system_sgpr_workgroup_id_y 0
		.amdhsa_system_sgpr_workgroup_id_z 0
		.amdhsa_system_sgpr_workgroup_info 0
		.amdhsa_system_vgpr_workitem_id 0
		.amdhsa_next_free_vgpr 1
		.amdhsa_next_free_sgpr 1
		.amdhsa_reserve_vcc 0
		.amdhsa_reserve_flat_scratch 0
		.amdhsa_float_round_mode_32 0
		.amdhsa_float_round_mode_16_64 0
		.amdhsa_float_denorm_mode_32 3
		.amdhsa_float_denorm_mode_16_64 3
		.amdhsa_dx10_clamp 1
		.amdhsa_ieee_mode 1
		.amdhsa_fp16_overflow 0
		.amdhsa_workgroup_processor_mode 1
		.amdhsa_memory_ordered 1
		.amdhsa_forward_progress 1
		.amdhsa_shared_vgpr_count 0
		.amdhsa_exception_fp_ieee_invalid_op 0
		.amdhsa_exception_fp_denorm_src 0
		.amdhsa_exception_fp_ieee_div_zero 0
		.amdhsa_exception_fp_ieee_overflow 0
		.amdhsa_exception_fp_ieee_underflow 0
		.amdhsa_exception_fp_ieee_inexact 0
		.amdhsa_exception_int_div_zero 0
	.end_amdhsa_kernel
	.section	.text._ZN7rocprim17ROCPRIM_400000_NS6detail17trampoline_kernelINS0_14default_configENS1_38merge_sort_block_merge_config_selectorIiNS0_10empty_typeEEEZZNS1_27merge_sort_block_merge_implIS3_N6thrust23THRUST_200600_302600_NS6detail15normal_iteratorINS9_10device_ptrIiEEEEPS5_jNS1_19radix_merge_compareILb0ELb1EiNS0_19identity_decomposerEEEEE10hipError_tT0_T1_T2_jT3_P12ihipStream_tbPNSt15iterator_traitsISK_E10value_typeEPNSQ_ISL_E10value_typeEPSM_NS1_7vsmem_tEENKUlT_SK_SL_SM_E_clISE_PiSF_SF_EESJ_SZ_SK_SL_SM_EUlSZ_E0_NS1_11comp_targetILNS1_3genE10ELNS1_11target_archE1201ELNS1_3gpuE5ELNS1_3repE0EEENS1_38merge_mergepath_config_static_selectorELNS0_4arch9wavefront6targetE0EEEvSL_,"axG",@progbits,_ZN7rocprim17ROCPRIM_400000_NS6detail17trampoline_kernelINS0_14default_configENS1_38merge_sort_block_merge_config_selectorIiNS0_10empty_typeEEEZZNS1_27merge_sort_block_merge_implIS3_N6thrust23THRUST_200600_302600_NS6detail15normal_iteratorINS9_10device_ptrIiEEEEPS5_jNS1_19radix_merge_compareILb0ELb1EiNS0_19identity_decomposerEEEEE10hipError_tT0_T1_T2_jT3_P12ihipStream_tbPNSt15iterator_traitsISK_E10value_typeEPNSQ_ISL_E10value_typeEPSM_NS1_7vsmem_tEENKUlT_SK_SL_SM_E_clISE_PiSF_SF_EESJ_SZ_SK_SL_SM_EUlSZ_E0_NS1_11comp_targetILNS1_3genE10ELNS1_11target_archE1201ELNS1_3gpuE5ELNS1_3repE0EEENS1_38merge_mergepath_config_static_selectorELNS0_4arch9wavefront6targetE0EEEvSL_,comdat
.Lfunc_end117:
	.size	_ZN7rocprim17ROCPRIM_400000_NS6detail17trampoline_kernelINS0_14default_configENS1_38merge_sort_block_merge_config_selectorIiNS0_10empty_typeEEEZZNS1_27merge_sort_block_merge_implIS3_N6thrust23THRUST_200600_302600_NS6detail15normal_iteratorINS9_10device_ptrIiEEEEPS5_jNS1_19radix_merge_compareILb0ELb1EiNS0_19identity_decomposerEEEEE10hipError_tT0_T1_T2_jT3_P12ihipStream_tbPNSt15iterator_traitsISK_E10value_typeEPNSQ_ISL_E10value_typeEPSM_NS1_7vsmem_tEENKUlT_SK_SL_SM_E_clISE_PiSF_SF_EESJ_SZ_SK_SL_SM_EUlSZ_E0_NS1_11comp_targetILNS1_3genE10ELNS1_11target_archE1201ELNS1_3gpuE5ELNS1_3repE0EEENS1_38merge_mergepath_config_static_selectorELNS0_4arch9wavefront6targetE0EEEvSL_, .Lfunc_end117-_ZN7rocprim17ROCPRIM_400000_NS6detail17trampoline_kernelINS0_14default_configENS1_38merge_sort_block_merge_config_selectorIiNS0_10empty_typeEEEZZNS1_27merge_sort_block_merge_implIS3_N6thrust23THRUST_200600_302600_NS6detail15normal_iteratorINS9_10device_ptrIiEEEEPS5_jNS1_19radix_merge_compareILb0ELb1EiNS0_19identity_decomposerEEEEE10hipError_tT0_T1_T2_jT3_P12ihipStream_tbPNSt15iterator_traitsISK_E10value_typeEPNSQ_ISL_E10value_typeEPSM_NS1_7vsmem_tEENKUlT_SK_SL_SM_E_clISE_PiSF_SF_EESJ_SZ_SK_SL_SM_EUlSZ_E0_NS1_11comp_targetILNS1_3genE10ELNS1_11target_archE1201ELNS1_3gpuE5ELNS1_3repE0EEENS1_38merge_mergepath_config_static_selectorELNS0_4arch9wavefront6targetE0EEEvSL_
                                        ; -- End function
	.set _ZN7rocprim17ROCPRIM_400000_NS6detail17trampoline_kernelINS0_14default_configENS1_38merge_sort_block_merge_config_selectorIiNS0_10empty_typeEEEZZNS1_27merge_sort_block_merge_implIS3_N6thrust23THRUST_200600_302600_NS6detail15normal_iteratorINS9_10device_ptrIiEEEEPS5_jNS1_19radix_merge_compareILb0ELb1EiNS0_19identity_decomposerEEEEE10hipError_tT0_T1_T2_jT3_P12ihipStream_tbPNSt15iterator_traitsISK_E10value_typeEPNSQ_ISL_E10value_typeEPSM_NS1_7vsmem_tEENKUlT_SK_SL_SM_E_clISE_PiSF_SF_EESJ_SZ_SK_SL_SM_EUlSZ_E0_NS1_11comp_targetILNS1_3genE10ELNS1_11target_archE1201ELNS1_3gpuE5ELNS1_3repE0EEENS1_38merge_mergepath_config_static_selectorELNS0_4arch9wavefront6targetE0EEEvSL_.num_vgpr, 0
	.set _ZN7rocprim17ROCPRIM_400000_NS6detail17trampoline_kernelINS0_14default_configENS1_38merge_sort_block_merge_config_selectorIiNS0_10empty_typeEEEZZNS1_27merge_sort_block_merge_implIS3_N6thrust23THRUST_200600_302600_NS6detail15normal_iteratorINS9_10device_ptrIiEEEEPS5_jNS1_19radix_merge_compareILb0ELb1EiNS0_19identity_decomposerEEEEE10hipError_tT0_T1_T2_jT3_P12ihipStream_tbPNSt15iterator_traitsISK_E10value_typeEPNSQ_ISL_E10value_typeEPSM_NS1_7vsmem_tEENKUlT_SK_SL_SM_E_clISE_PiSF_SF_EESJ_SZ_SK_SL_SM_EUlSZ_E0_NS1_11comp_targetILNS1_3genE10ELNS1_11target_archE1201ELNS1_3gpuE5ELNS1_3repE0EEENS1_38merge_mergepath_config_static_selectorELNS0_4arch9wavefront6targetE0EEEvSL_.num_agpr, 0
	.set _ZN7rocprim17ROCPRIM_400000_NS6detail17trampoline_kernelINS0_14default_configENS1_38merge_sort_block_merge_config_selectorIiNS0_10empty_typeEEEZZNS1_27merge_sort_block_merge_implIS3_N6thrust23THRUST_200600_302600_NS6detail15normal_iteratorINS9_10device_ptrIiEEEEPS5_jNS1_19radix_merge_compareILb0ELb1EiNS0_19identity_decomposerEEEEE10hipError_tT0_T1_T2_jT3_P12ihipStream_tbPNSt15iterator_traitsISK_E10value_typeEPNSQ_ISL_E10value_typeEPSM_NS1_7vsmem_tEENKUlT_SK_SL_SM_E_clISE_PiSF_SF_EESJ_SZ_SK_SL_SM_EUlSZ_E0_NS1_11comp_targetILNS1_3genE10ELNS1_11target_archE1201ELNS1_3gpuE5ELNS1_3repE0EEENS1_38merge_mergepath_config_static_selectorELNS0_4arch9wavefront6targetE0EEEvSL_.numbered_sgpr, 0
	.set _ZN7rocprim17ROCPRIM_400000_NS6detail17trampoline_kernelINS0_14default_configENS1_38merge_sort_block_merge_config_selectorIiNS0_10empty_typeEEEZZNS1_27merge_sort_block_merge_implIS3_N6thrust23THRUST_200600_302600_NS6detail15normal_iteratorINS9_10device_ptrIiEEEEPS5_jNS1_19radix_merge_compareILb0ELb1EiNS0_19identity_decomposerEEEEE10hipError_tT0_T1_T2_jT3_P12ihipStream_tbPNSt15iterator_traitsISK_E10value_typeEPNSQ_ISL_E10value_typeEPSM_NS1_7vsmem_tEENKUlT_SK_SL_SM_E_clISE_PiSF_SF_EESJ_SZ_SK_SL_SM_EUlSZ_E0_NS1_11comp_targetILNS1_3genE10ELNS1_11target_archE1201ELNS1_3gpuE5ELNS1_3repE0EEENS1_38merge_mergepath_config_static_selectorELNS0_4arch9wavefront6targetE0EEEvSL_.num_named_barrier, 0
	.set _ZN7rocprim17ROCPRIM_400000_NS6detail17trampoline_kernelINS0_14default_configENS1_38merge_sort_block_merge_config_selectorIiNS0_10empty_typeEEEZZNS1_27merge_sort_block_merge_implIS3_N6thrust23THRUST_200600_302600_NS6detail15normal_iteratorINS9_10device_ptrIiEEEEPS5_jNS1_19radix_merge_compareILb0ELb1EiNS0_19identity_decomposerEEEEE10hipError_tT0_T1_T2_jT3_P12ihipStream_tbPNSt15iterator_traitsISK_E10value_typeEPNSQ_ISL_E10value_typeEPSM_NS1_7vsmem_tEENKUlT_SK_SL_SM_E_clISE_PiSF_SF_EESJ_SZ_SK_SL_SM_EUlSZ_E0_NS1_11comp_targetILNS1_3genE10ELNS1_11target_archE1201ELNS1_3gpuE5ELNS1_3repE0EEENS1_38merge_mergepath_config_static_selectorELNS0_4arch9wavefront6targetE0EEEvSL_.private_seg_size, 0
	.set _ZN7rocprim17ROCPRIM_400000_NS6detail17trampoline_kernelINS0_14default_configENS1_38merge_sort_block_merge_config_selectorIiNS0_10empty_typeEEEZZNS1_27merge_sort_block_merge_implIS3_N6thrust23THRUST_200600_302600_NS6detail15normal_iteratorINS9_10device_ptrIiEEEEPS5_jNS1_19radix_merge_compareILb0ELb1EiNS0_19identity_decomposerEEEEE10hipError_tT0_T1_T2_jT3_P12ihipStream_tbPNSt15iterator_traitsISK_E10value_typeEPNSQ_ISL_E10value_typeEPSM_NS1_7vsmem_tEENKUlT_SK_SL_SM_E_clISE_PiSF_SF_EESJ_SZ_SK_SL_SM_EUlSZ_E0_NS1_11comp_targetILNS1_3genE10ELNS1_11target_archE1201ELNS1_3gpuE5ELNS1_3repE0EEENS1_38merge_mergepath_config_static_selectorELNS0_4arch9wavefront6targetE0EEEvSL_.uses_vcc, 0
	.set _ZN7rocprim17ROCPRIM_400000_NS6detail17trampoline_kernelINS0_14default_configENS1_38merge_sort_block_merge_config_selectorIiNS0_10empty_typeEEEZZNS1_27merge_sort_block_merge_implIS3_N6thrust23THRUST_200600_302600_NS6detail15normal_iteratorINS9_10device_ptrIiEEEEPS5_jNS1_19radix_merge_compareILb0ELb1EiNS0_19identity_decomposerEEEEE10hipError_tT0_T1_T2_jT3_P12ihipStream_tbPNSt15iterator_traitsISK_E10value_typeEPNSQ_ISL_E10value_typeEPSM_NS1_7vsmem_tEENKUlT_SK_SL_SM_E_clISE_PiSF_SF_EESJ_SZ_SK_SL_SM_EUlSZ_E0_NS1_11comp_targetILNS1_3genE10ELNS1_11target_archE1201ELNS1_3gpuE5ELNS1_3repE0EEENS1_38merge_mergepath_config_static_selectorELNS0_4arch9wavefront6targetE0EEEvSL_.uses_flat_scratch, 0
	.set _ZN7rocprim17ROCPRIM_400000_NS6detail17trampoline_kernelINS0_14default_configENS1_38merge_sort_block_merge_config_selectorIiNS0_10empty_typeEEEZZNS1_27merge_sort_block_merge_implIS3_N6thrust23THRUST_200600_302600_NS6detail15normal_iteratorINS9_10device_ptrIiEEEEPS5_jNS1_19radix_merge_compareILb0ELb1EiNS0_19identity_decomposerEEEEE10hipError_tT0_T1_T2_jT3_P12ihipStream_tbPNSt15iterator_traitsISK_E10value_typeEPNSQ_ISL_E10value_typeEPSM_NS1_7vsmem_tEENKUlT_SK_SL_SM_E_clISE_PiSF_SF_EESJ_SZ_SK_SL_SM_EUlSZ_E0_NS1_11comp_targetILNS1_3genE10ELNS1_11target_archE1201ELNS1_3gpuE5ELNS1_3repE0EEENS1_38merge_mergepath_config_static_selectorELNS0_4arch9wavefront6targetE0EEEvSL_.has_dyn_sized_stack, 0
	.set _ZN7rocprim17ROCPRIM_400000_NS6detail17trampoline_kernelINS0_14default_configENS1_38merge_sort_block_merge_config_selectorIiNS0_10empty_typeEEEZZNS1_27merge_sort_block_merge_implIS3_N6thrust23THRUST_200600_302600_NS6detail15normal_iteratorINS9_10device_ptrIiEEEEPS5_jNS1_19radix_merge_compareILb0ELb1EiNS0_19identity_decomposerEEEEE10hipError_tT0_T1_T2_jT3_P12ihipStream_tbPNSt15iterator_traitsISK_E10value_typeEPNSQ_ISL_E10value_typeEPSM_NS1_7vsmem_tEENKUlT_SK_SL_SM_E_clISE_PiSF_SF_EESJ_SZ_SK_SL_SM_EUlSZ_E0_NS1_11comp_targetILNS1_3genE10ELNS1_11target_archE1201ELNS1_3gpuE5ELNS1_3repE0EEENS1_38merge_mergepath_config_static_selectorELNS0_4arch9wavefront6targetE0EEEvSL_.has_recursion, 0
	.set _ZN7rocprim17ROCPRIM_400000_NS6detail17trampoline_kernelINS0_14default_configENS1_38merge_sort_block_merge_config_selectorIiNS0_10empty_typeEEEZZNS1_27merge_sort_block_merge_implIS3_N6thrust23THRUST_200600_302600_NS6detail15normal_iteratorINS9_10device_ptrIiEEEEPS5_jNS1_19radix_merge_compareILb0ELb1EiNS0_19identity_decomposerEEEEE10hipError_tT0_T1_T2_jT3_P12ihipStream_tbPNSt15iterator_traitsISK_E10value_typeEPNSQ_ISL_E10value_typeEPSM_NS1_7vsmem_tEENKUlT_SK_SL_SM_E_clISE_PiSF_SF_EESJ_SZ_SK_SL_SM_EUlSZ_E0_NS1_11comp_targetILNS1_3genE10ELNS1_11target_archE1201ELNS1_3gpuE5ELNS1_3repE0EEENS1_38merge_mergepath_config_static_selectorELNS0_4arch9wavefront6targetE0EEEvSL_.has_indirect_call, 0
	.section	.AMDGPU.csdata,"",@progbits
; Kernel info:
; codeLenInByte = 0
; TotalNumSgprs: 0
; NumVgprs: 0
; ScratchSize: 0
; MemoryBound: 0
; FloatMode: 240
; IeeeMode: 1
; LDSByteSize: 0 bytes/workgroup (compile time only)
; SGPRBlocks: 0
; VGPRBlocks: 0
; NumSGPRsForWavesPerEU: 1
; NumVGPRsForWavesPerEU: 1
; Occupancy: 16
; WaveLimiterHint : 0
; COMPUTE_PGM_RSRC2:SCRATCH_EN: 0
; COMPUTE_PGM_RSRC2:USER_SGPR: 6
; COMPUTE_PGM_RSRC2:TRAP_HANDLER: 0
; COMPUTE_PGM_RSRC2:TGID_X_EN: 1
; COMPUTE_PGM_RSRC2:TGID_Y_EN: 0
; COMPUTE_PGM_RSRC2:TGID_Z_EN: 0
; COMPUTE_PGM_RSRC2:TIDIG_COMP_CNT: 0
	.section	.text._ZN7rocprim17ROCPRIM_400000_NS6detail17trampoline_kernelINS0_14default_configENS1_38merge_sort_block_merge_config_selectorIiNS0_10empty_typeEEEZZNS1_27merge_sort_block_merge_implIS3_N6thrust23THRUST_200600_302600_NS6detail15normal_iteratorINS9_10device_ptrIiEEEEPS5_jNS1_19radix_merge_compareILb0ELb1EiNS0_19identity_decomposerEEEEE10hipError_tT0_T1_T2_jT3_P12ihipStream_tbPNSt15iterator_traitsISK_E10value_typeEPNSQ_ISL_E10value_typeEPSM_NS1_7vsmem_tEENKUlT_SK_SL_SM_E_clISE_PiSF_SF_EESJ_SZ_SK_SL_SM_EUlSZ_E0_NS1_11comp_targetILNS1_3genE5ELNS1_11target_archE942ELNS1_3gpuE9ELNS1_3repE0EEENS1_38merge_mergepath_config_static_selectorELNS0_4arch9wavefront6targetE0EEEvSL_,"axG",@progbits,_ZN7rocprim17ROCPRIM_400000_NS6detail17trampoline_kernelINS0_14default_configENS1_38merge_sort_block_merge_config_selectorIiNS0_10empty_typeEEEZZNS1_27merge_sort_block_merge_implIS3_N6thrust23THRUST_200600_302600_NS6detail15normal_iteratorINS9_10device_ptrIiEEEEPS5_jNS1_19radix_merge_compareILb0ELb1EiNS0_19identity_decomposerEEEEE10hipError_tT0_T1_T2_jT3_P12ihipStream_tbPNSt15iterator_traitsISK_E10value_typeEPNSQ_ISL_E10value_typeEPSM_NS1_7vsmem_tEENKUlT_SK_SL_SM_E_clISE_PiSF_SF_EESJ_SZ_SK_SL_SM_EUlSZ_E0_NS1_11comp_targetILNS1_3genE5ELNS1_11target_archE942ELNS1_3gpuE9ELNS1_3repE0EEENS1_38merge_mergepath_config_static_selectorELNS0_4arch9wavefront6targetE0EEEvSL_,comdat
	.protected	_ZN7rocprim17ROCPRIM_400000_NS6detail17trampoline_kernelINS0_14default_configENS1_38merge_sort_block_merge_config_selectorIiNS0_10empty_typeEEEZZNS1_27merge_sort_block_merge_implIS3_N6thrust23THRUST_200600_302600_NS6detail15normal_iteratorINS9_10device_ptrIiEEEEPS5_jNS1_19radix_merge_compareILb0ELb1EiNS0_19identity_decomposerEEEEE10hipError_tT0_T1_T2_jT3_P12ihipStream_tbPNSt15iterator_traitsISK_E10value_typeEPNSQ_ISL_E10value_typeEPSM_NS1_7vsmem_tEENKUlT_SK_SL_SM_E_clISE_PiSF_SF_EESJ_SZ_SK_SL_SM_EUlSZ_E0_NS1_11comp_targetILNS1_3genE5ELNS1_11target_archE942ELNS1_3gpuE9ELNS1_3repE0EEENS1_38merge_mergepath_config_static_selectorELNS0_4arch9wavefront6targetE0EEEvSL_ ; -- Begin function _ZN7rocprim17ROCPRIM_400000_NS6detail17trampoline_kernelINS0_14default_configENS1_38merge_sort_block_merge_config_selectorIiNS0_10empty_typeEEEZZNS1_27merge_sort_block_merge_implIS3_N6thrust23THRUST_200600_302600_NS6detail15normal_iteratorINS9_10device_ptrIiEEEEPS5_jNS1_19radix_merge_compareILb0ELb1EiNS0_19identity_decomposerEEEEE10hipError_tT0_T1_T2_jT3_P12ihipStream_tbPNSt15iterator_traitsISK_E10value_typeEPNSQ_ISL_E10value_typeEPSM_NS1_7vsmem_tEENKUlT_SK_SL_SM_E_clISE_PiSF_SF_EESJ_SZ_SK_SL_SM_EUlSZ_E0_NS1_11comp_targetILNS1_3genE5ELNS1_11target_archE942ELNS1_3gpuE9ELNS1_3repE0EEENS1_38merge_mergepath_config_static_selectorELNS0_4arch9wavefront6targetE0EEEvSL_
	.globl	_ZN7rocprim17ROCPRIM_400000_NS6detail17trampoline_kernelINS0_14default_configENS1_38merge_sort_block_merge_config_selectorIiNS0_10empty_typeEEEZZNS1_27merge_sort_block_merge_implIS3_N6thrust23THRUST_200600_302600_NS6detail15normal_iteratorINS9_10device_ptrIiEEEEPS5_jNS1_19radix_merge_compareILb0ELb1EiNS0_19identity_decomposerEEEEE10hipError_tT0_T1_T2_jT3_P12ihipStream_tbPNSt15iterator_traitsISK_E10value_typeEPNSQ_ISL_E10value_typeEPSM_NS1_7vsmem_tEENKUlT_SK_SL_SM_E_clISE_PiSF_SF_EESJ_SZ_SK_SL_SM_EUlSZ_E0_NS1_11comp_targetILNS1_3genE5ELNS1_11target_archE942ELNS1_3gpuE9ELNS1_3repE0EEENS1_38merge_mergepath_config_static_selectorELNS0_4arch9wavefront6targetE0EEEvSL_
	.p2align	8
	.type	_ZN7rocprim17ROCPRIM_400000_NS6detail17trampoline_kernelINS0_14default_configENS1_38merge_sort_block_merge_config_selectorIiNS0_10empty_typeEEEZZNS1_27merge_sort_block_merge_implIS3_N6thrust23THRUST_200600_302600_NS6detail15normal_iteratorINS9_10device_ptrIiEEEEPS5_jNS1_19radix_merge_compareILb0ELb1EiNS0_19identity_decomposerEEEEE10hipError_tT0_T1_T2_jT3_P12ihipStream_tbPNSt15iterator_traitsISK_E10value_typeEPNSQ_ISL_E10value_typeEPSM_NS1_7vsmem_tEENKUlT_SK_SL_SM_E_clISE_PiSF_SF_EESJ_SZ_SK_SL_SM_EUlSZ_E0_NS1_11comp_targetILNS1_3genE5ELNS1_11target_archE942ELNS1_3gpuE9ELNS1_3repE0EEENS1_38merge_mergepath_config_static_selectorELNS0_4arch9wavefront6targetE0EEEvSL_,@function
_ZN7rocprim17ROCPRIM_400000_NS6detail17trampoline_kernelINS0_14default_configENS1_38merge_sort_block_merge_config_selectorIiNS0_10empty_typeEEEZZNS1_27merge_sort_block_merge_implIS3_N6thrust23THRUST_200600_302600_NS6detail15normal_iteratorINS9_10device_ptrIiEEEEPS5_jNS1_19radix_merge_compareILb0ELb1EiNS0_19identity_decomposerEEEEE10hipError_tT0_T1_T2_jT3_P12ihipStream_tbPNSt15iterator_traitsISK_E10value_typeEPNSQ_ISL_E10value_typeEPSM_NS1_7vsmem_tEENKUlT_SK_SL_SM_E_clISE_PiSF_SF_EESJ_SZ_SK_SL_SM_EUlSZ_E0_NS1_11comp_targetILNS1_3genE5ELNS1_11target_archE942ELNS1_3gpuE9ELNS1_3repE0EEENS1_38merge_mergepath_config_static_selectorELNS0_4arch9wavefront6targetE0EEEvSL_: ; @_ZN7rocprim17ROCPRIM_400000_NS6detail17trampoline_kernelINS0_14default_configENS1_38merge_sort_block_merge_config_selectorIiNS0_10empty_typeEEEZZNS1_27merge_sort_block_merge_implIS3_N6thrust23THRUST_200600_302600_NS6detail15normal_iteratorINS9_10device_ptrIiEEEEPS5_jNS1_19radix_merge_compareILb0ELb1EiNS0_19identity_decomposerEEEEE10hipError_tT0_T1_T2_jT3_P12ihipStream_tbPNSt15iterator_traitsISK_E10value_typeEPNSQ_ISL_E10value_typeEPSM_NS1_7vsmem_tEENKUlT_SK_SL_SM_E_clISE_PiSF_SF_EESJ_SZ_SK_SL_SM_EUlSZ_E0_NS1_11comp_targetILNS1_3genE5ELNS1_11target_archE942ELNS1_3gpuE9ELNS1_3repE0EEENS1_38merge_mergepath_config_static_selectorELNS0_4arch9wavefront6targetE0EEEvSL_
; %bb.0:
	.section	.rodata,"a",@progbits
	.p2align	6, 0x0
	.amdhsa_kernel _ZN7rocprim17ROCPRIM_400000_NS6detail17trampoline_kernelINS0_14default_configENS1_38merge_sort_block_merge_config_selectorIiNS0_10empty_typeEEEZZNS1_27merge_sort_block_merge_implIS3_N6thrust23THRUST_200600_302600_NS6detail15normal_iteratorINS9_10device_ptrIiEEEEPS5_jNS1_19radix_merge_compareILb0ELb1EiNS0_19identity_decomposerEEEEE10hipError_tT0_T1_T2_jT3_P12ihipStream_tbPNSt15iterator_traitsISK_E10value_typeEPNSQ_ISL_E10value_typeEPSM_NS1_7vsmem_tEENKUlT_SK_SL_SM_E_clISE_PiSF_SF_EESJ_SZ_SK_SL_SM_EUlSZ_E0_NS1_11comp_targetILNS1_3genE5ELNS1_11target_archE942ELNS1_3gpuE9ELNS1_3repE0EEENS1_38merge_mergepath_config_static_selectorELNS0_4arch9wavefront6targetE0EEEvSL_
		.amdhsa_group_segment_fixed_size 0
		.amdhsa_private_segment_fixed_size 0
		.amdhsa_kernarg_size 64
		.amdhsa_user_sgpr_count 6
		.amdhsa_user_sgpr_private_segment_buffer 1
		.amdhsa_user_sgpr_dispatch_ptr 0
		.amdhsa_user_sgpr_queue_ptr 0
		.amdhsa_user_sgpr_kernarg_segment_ptr 1
		.amdhsa_user_sgpr_dispatch_id 0
		.amdhsa_user_sgpr_flat_scratch_init 0
		.amdhsa_user_sgpr_private_segment_size 0
		.amdhsa_wavefront_size32 1
		.amdhsa_uses_dynamic_stack 0
		.amdhsa_system_sgpr_private_segment_wavefront_offset 0
		.amdhsa_system_sgpr_workgroup_id_x 1
		.amdhsa_system_sgpr_workgroup_id_y 0
		.amdhsa_system_sgpr_workgroup_id_z 0
		.amdhsa_system_sgpr_workgroup_info 0
		.amdhsa_system_vgpr_workitem_id 0
		.amdhsa_next_free_vgpr 1
		.amdhsa_next_free_sgpr 1
		.amdhsa_reserve_vcc 0
		.amdhsa_reserve_flat_scratch 0
		.amdhsa_float_round_mode_32 0
		.amdhsa_float_round_mode_16_64 0
		.amdhsa_float_denorm_mode_32 3
		.amdhsa_float_denorm_mode_16_64 3
		.amdhsa_dx10_clamp 1
		.amdhsa_ieee_mode 1
		.amdhsa_fp16_overflow 0
		.amdhsa_workgroup_processor_mode 1
		.amdhsa_memory_ordered 1
		.amdhsa_forward_progress 1
		.amdhsa_shared_vgpr_count 0
		.amdhsa_exception_fp_ieee_invalid_op 0
		.amdhsa_exception_fp_denorm_src 0
		.amdhsa_exception_fp_ieee_div_zero 0
		.amdhsa_exception_fp_ieee_overflow 0
		.amdhsa_exception_fp_ieee_underflow 0
		.amdhsa_exception_fp_ieee_inexact 0
		.amdhsa_exception_int_div_zero 0
	.end_amdhsa_kernel
	.section	.text._ZN7rocprim17ROCPRIM_400000_NS6detail17trampoline_kernelINS0_14default_configENS1_38merge_sort_block_merge_config_selectorIiNS0_10empty_typeEEEZZNS1_27merge_sort_block_merge_implIS3_N6thrust23THRUST_200600_302600_NS6detail15normal_iteratorINS9_10device_ptrIiEEEEPS5_jNS1_19radix_merge_compareILb0ELb1EiNS0_19identity_decomposerEEEEE10hipError_tT0_T1_T2_jT3_P12ihipStream_tbPNSt15iterator_traitsISK_E10value_typeEPNSQ_ISL_E10value_typeEPSM_NS1_7vsmem_tEENKUlT_SK_SL_SM_E_clISE_PiSF_SF_EESJ_SZ_SK_SL_SM_EUlSZ_E0_NS1_11comp_targetILNS1_3genE5ELNS1_11target_archE942ELNS1_3gpuE9ELNS1_3repE0EEENS1_38merge_mergepath_config_static_selectorELNS0_4arch9wavefront6targetE0EEEvSL_,"axG",@progbits,_ZN7rocprim17ROCPRIM_400000_NS6detail17trampoline_kernelINS0_14default_configENS1_38merge_sort_block_merge_config_selectorIiNS0_10empty_typeEEEZZNS1_27merge_sort_block_merge_implIS3_N6thrust23THRUST_200600_302600_NS6detail15normal_iteratorINS9_10device_ptrIiEEEEPS5_jNS1_19radix_merge_compareILb0ELb1EiNS0_19identity_decomposerEEEEE10hipError_tT0_T1_T2_jT3_P12ihipStream_tbPNSt15iterator_traitsISK_E10value_typeEPNSQ_ISL_E10value_typeEPSM_NS1_7vsmem_tEENKUlT_SK_SL_SM_E_clISE_PiSF_SF_EESJ_SZ_SK_SL_SM_EUlSZ_E0_NS1_11comp_targetILNS1_3genE5ELNS1_11target_archE942ELNS1_3gpuE9ELNS1_3repE0EEENS1_38merge_mergepath_config_static_selectorELNS0_4arch9wavefront6targetE0EEEvSL_,comdat
.Lfunc_end118:
	.size	_ZN7rocprim17ROCPRIM_400000_NS6detail17trampoline_kernelINS0_14default_configENS1_38merge_sort_block_merge_config_selectorIiNS0_10empty_typeEEEZZNS1_27merge_sort_block_merge_implIS3_N6thrust23THRUST_200600_302600_NS6detail15normal_iteratorINS9_10device_ptrIiEEEEPS5_jNS1_19radix_merge_compareILb0ELb1EiNS0_19identity_decomposerEEEEE10hipError_tT0_T1_T2_jT3_P12ihipStream_tbPNSt15iterator_traitsISK_E10value_typeEPNSQ_ISL_E10value_typeEPSM_NS1_7vsmem_tEENKUlT_SK_SL_SM_E_clISE_PiSF_SF_EESJ_SZ_SK_SL_SM_EUlSZ_E0_NS1_11comp_targetILNS1_3genE5ELNS1_11target_archE942ELNS1_3gpuE9ELNS1_3repE0EEENS1_38merge_mergepath_config_static_selectorELNS0_4arch9wavefront6targetE0EEEvSL_, .Lfunc_end118-_ZN7rocprim17ROCPRIM_400000_NS6detail17trampoline_kernelINS0_14default_configENS1_38merge_sort_block_merge_config_selectorIiNS0_10empty_typeEEEZZNS1_27merge_sort_block_merge_implIS3_N6thrust23THRUST_200600_302600_NS6detail15normal_iteratorINS9_10device_ptrIiEEEEPS5_jNS1_19radix_merge_compareILb0ELb1EiNS0_19identity_decomposerEEEEE10hipError_tT0_T1_T2_jT3_P12ihipStream_tbPNSt15iterator_traitsISK_E10value_typeEPNSQ_ISL_E10value_typeEPSM_NS1_7vsmem_tEENKUlT_SK_SL_SM_E_clISE_PiSF_SF_EESJ_SZ_SK_SL_SM_EUlSZ_E0_NS1_11comp_targetILNS1_3genE5ELNS1_11target_archE942ELNS1_3gpuE9ELNS1_3repE0EEENS1_38merge_mergepath_config_static_selectorELNS0_4arch9wavefront6targetE0EEEvSL_
                                        ; -- End function
	.set _ZN7rocprim17ROCPRIM_400000_NS6detail17trampoline_kernelINS0_14default_configENS1_38merge_sort_block_merge_config_selectorIiNS0_10empty_typeEEEZZNS1_27merge_sort_block_merge_implIS3_N6thrust23THRUST_200600_302600_NS6detail15normal_iteratorINS9_10device_ptrIiEEEEPS5_jNS1_19radix_merge_compareILb0ELb1EiNS0_19identity_decomposerEEEEE10hipError_tT0_T1_T2_jT3_P12ihipStream_tbPNSt15iterator_traitsISK_E10value_typeEPNSQ_ISL_E10value_typeEPSM_NS1_7vsmem_tEENKUlT_SK_SL_SM_E_clISE_PiSF_SF_EESJ_SZ_SK_SL_SM_EUlSZ_E0_NS1_11comp_targetILNS1_3genE5ELNS1_11target_archE942ELNS1_3gpuE9ELNS1_3repE0EEENS1_38merge_mergepath_config_static_selectorELNS0_4arch9wavefront6targetE0EEEvSL_.num_vgpr, 0
	.set _ZN7rocprim17ROCPRIM_400000_NS6detail17trampoline_kernelINS0_14default_configENS1_38merge_sort_block_merge_config_selectorIiNS0_10empty_typeEEEZZNS1_27merge_sort_block_merge_implIS3_N6thrust23THRUST_200600_302600_NS6detail15normal_iteratorINS9_10device_ptrIiEEEEPS5_jNS1_19radix_merge_compareILb0ELb1EiNS0_19identity_decomposerEEEEE10hipError_tT0_T1_T2_jT3_P12ihipStream_tbPNSt15iterator_traitsISK_E10value_typeEPNSQ_ISL_E10value_typeEPSM_NS1_7vsmem_tEENKUlT_SK_SL_SM_E_clISE_PiSF_SF_EESJ_SZ_SK_SL_SM_EUlSZ_E0_NS1_11comp_targetILNS1_3genE5ELNS1_11target_archE942ELNS1_3gpuE9ELNS1_3repE0EEENS1_38merge_mergepath_config_static_selectorELNS0_4arch9wavefront6targetE0EEEvSL_.num_agpr, 0
	.set _ZN7rocprim17ROCPRIM_400000_NS6detail17trampoline_kernelINS0_14default_configENS1_38merge_sort_block_merge_config_selectorIiNS0_10empty_typeEEEZZNS1_27merge_sort_block_merge_implIS3_N6thrust23THRUST_200600_302600_NS6detail15normal_iteratorINS9_10device_ptrIiEEEEPS5_jNS1_19radix_merge_compareILb0ELb1EiNS0_19identity_decomposerEEEEE10hipError_tT0_T1_T2_jT3_P12ihipStream_tbPNSt15iterator_traitsISK_E10value_typeEPNSQ_ISL_E10value_typeEPSM_NS1_7vsmem_tEENKUlT_SK_SL_SM_E_clISE_PiSF_SF_EESJ_SZ_SK_SL_SM_EUlSZ_E0_NS1_11comp_targetILNS1_3genE5ELNS1_11target_archE942ELNS1_3gpuE9ELNS1_3repE0EEENS1_38merge_mergepath_config_static_selectorELNS0_4arch9wavefront6targetE0EEEvSL_.numbered_sgpr, 0
	.set _ZN7rocprim17ROCPRIM_400000_NS6detail17trampoline_kernelINS0_14default_configENS1_38merge_sort_block_merge_config_selectorIiNS0_10empty_typeEEEZZNS1_27merge_sort_block_merge_implIS3_N6thrust23THRUST_200600_302600_NS6detail15normal_iteratorINS9_10device_ptrIiEEEEPS5_jNS1_19radix_merge_compareILb0ELb1EiNS0_19identity_decomposerEEEEE10hipError_tT0_T1_T2_jT3_P12ihipStream_tbPNSt15iterator_traitsISK_E10value_typeEPNSQ_ISL_E10value_typeEPSM_NS1_7vsmem_tEENKUlT_SK_SL_SM_E_clISE_PiSF_SF_EESJ_SZ_SK_SL_SM_EUlSZ_E0_NS1_11comp_targetILNS1_3genE5ELNS1_11target_archE942ELNS1_3gpuE9ELNS1_3repE0EEENS1_38merge_mergepath_config_static_selectorELNS0_4arch9wavefront6targetE0EEEvSL_.num_named_barrier, 0
	.set _ZN7rocprim17ROCPRIM_400000_NS6detail17trampoline_kernelINS0_14default_configENS1_38merge_sort_block_merge_config_selectorIiNS0_10empty_typeEEEZZNS1_27merge_sort_block_merge_implIS3_N6thrust23THRUST_200600_302600_NS6detail15normal_iteratorINS9_10device_ptrIiEEEEPS5_jNS1_19radix_merge_compareILb0ELb1EiNS0_19identity_decomposerEEEEE10hipError_tT0_T1_T2_jT3_P12ihipStream_tbPNSt15iterator_traitsISK_E10value_typeEPNSQ_ISL_E10value_typeEPSM_NS1_7vsmem_tEENKUlT_SK_SL_SM_E_clISE_PiSF_SF_EESJ_SZ_SK_SL_SM_EUlSZ_E0_NS1_11comp_targetILNS1_3genE5ELNS1_11target_archE942ELNS1_3gpuE9ELNS1_3repE0EEENS1_38merge_mergepath_config_static_selectorELNS0_4arch9wavefront6targetE0EEEvSL_.private_seg_size, 0
	.set _ZN7rocprim17ROCPRIM_400000_NS6detail17trampoline_kernelINS0_14default_configENS1_38merge_sort_block_merge_config_selectorIiNS0_10empty_typeEEEZZNS1_27merge_sort_block_merge_implIS3_N6thrust23THRUST_200600_302600_NS6detail15normal_iteratorINS9_10device_ptrIiEEEEPS5_jNS1_19radix_merge_compareILb0ELb1EiNS0_19identity_decomposerEEEEE10hipError_tT0_T1_T2_jT3_P12ihipStream_tbPNSt15iterator_traitsISK_E10value_typeEPNSQ_ISL_E10value_typeEPSM_NS1_7vsmem_tEENKUlT_SK_SL_SM_E_clISE_PiSF_SF_EESJ_SZ_SK_SL_SM_EUlSZ_E0_NS1_11comp_targetILNS1_3genE5ELNS1_11target_archE942ELNS1_3gpuE9ELNS1_3repE0EEENS1_38merge_mergepath_config_static_selectorELNS0_4arch9wavefront6targetE0EEEvSL_.uses_vcc, 0
	.set _ZN7rocprim17ROCPRIM_400000_NS6detail17trampoline_kernelINS0_14default_configENS1_38merge_sort_block_merge_config_selectorIiNS0_10empty_typeEEEZZNS1_27merge_sort_block_merge_implIS3_N6thrust23THRUST_200600_302600_NS6detail15normal_iteratorINS9_10device_ptrIiEEEEPS5_jNS1_19radix_merge_compareILb0ELb1EiNS0_19identity_decomposerEEEEE10hipError_tT0_T1_T2_jT3_P12ihipStream_tbPNSt15iterator_traitsISK_E10value_typeEPNSQ_ISL_E10value_typeEPSM_NS1_7vsmem_tEENKUlT_SK_SL_SM_E_clISE_PiSF_SF_EESJ_SZ_SK_SL_SM_EUlSZ_E0_NS1_11comp_targetILNS1_3genE5ELNS1_11target_archE942ELNS1_3gpuE9ELNS1_3repE0EEENS1_38merge_mergepath_config_static_selectorELNS0_4arch9wavefront6targetE0EEEvSL_.uses_flat_scratch, 0
	.set _ZN7rocprim17ROCPRIM_400000_NS6detail17trampoline_kernelINS0_14default_configENS1_38merge_sort_block_merge_config_selectorIiNS0_10empty_typeEEEZZNS1_27merge_sort_block_merge_implIS3_N6thrust23THRUST_200600_302600_NS6detail15normal_iteratorINS9_10device_ptrIiEEEEPS5_jNS1_19radix_merge_compareILb0ELb1EiNS0_19identity_decomposerEEEEE10hipError_tT0_T1_T2_jT3_P12ihipStream_tbPNSt15iterator_traitsISK_E10value_typeEPNSQ_ISL_E10value_typeEPSM_NS1_7vsmem_tEENKUlT_SK_SL_SM_E_clISE_PiSF_SF_EESJ_SZ_SK_SL_SM_EUlSZ_E0_NS1_11comp_targetILNS1_3genE5ELNS1_11target_archE942ELNS1_3gpuE9ELNS1_3repE0EEENS1_38merge_mergepath_config_static_selectorELNS0_4arch9wavefront6targetE0EEEvSL_.has_dyn_sized_stack, 0
	.set _ZN7rocprim17ROCPRIM_400000_NS6detail17trampoline_kernelINS0_14default_configENS1_38merge_sort_block_merge_config_selectorIiNS0_10empty_typeEEEZZNS1_27merge_sort_block_merge_implIS3_N6thrust23THRUST_200600_302600_NS6detail15normal_iteratorINS9_10device_ptrIiEEEEPS5_jNS1_19radix_merge_compareILb0ELb1EiNS0_19identity_decomposerEEEEE10hipError_tT0_T1_T2_jT3_P12ihipStream_tbPNSt15iterator_traitsISK_E10value_typeEPNSQ_ISL_E10value_typeEPSM_NS1_7vsmem_tEENKUlT_SK_SL_SM_E_clISE_PiSF_SF_EESJ_SZ_SK_SL_SM_EUlSZ_E0_NS1_11comp_targetILNS1_3genE5ELNS1_11target_archE942ELNS1_3gpuE9ELNS1_3repE0EEENS1_38merge_mergepath_config_static_selectorELNS0_4arch9wavefront6targetE0EEEvSL_.has_recursion, 0
	.set _ZN7rocprim17ROCPRIM_400000_NS6detail17trampoline_kernelINS0_14default_configENS1_38merge_sort_block_merge_config_selectorIiNS0_10empty_typeEEEZZNS1_27merge_sort_block_merge_implIS3_N6thrust23THRUST_200600_302600_NS6detail15normal_iteratorINS9_10device_ptrIiEEEEPS5_jNS1_19radix_merge_compareILb0ELb1EiNS0_19identity_decomposerEEEEE10hipError_tT0_T1_T2_jT3_P12ihipStream_tbPNSt15iterator_traitsISK_E10value_typeEPNSQ_ISL_E10value_typeEPSM_NS1_7vsmem_tEENKUlT_SK_SL_SM_E_clISE_PiSF_SF_EESJ_SZ_SK_SL_SM_EUlSZ_E0_NS1_11comp_targetILNS1_3genE5ELNS1_11target_archE942ELNS1_3gpuE9ELNS1_3repE0EEENS1_38merge_mergepath_config_static_selectorELNS0_4arch9wavefront6targetE0EEEvSL_.has_indirect_call, 0
	.section	.AMDGPU.csdata,"",@progbits
; Kernel info:
; codeLenInByte = 0
; TotalNumSgprs: 0
; NumVgprs: 0
; ScratchSize: 0
; MemoryBound: 0
; FloatMode: 240
; IeeeMode: 1
; LDSByteSize: 0 bytes/workgroup (compile time only)
; SGPRBlocks: 0
; VGPRBlocks: 0
; NumSGPRsForWavesPerEU: 1
; NumVGPRsForWavesPerEU: 1
; Occupancy: 16
; WaveLimiterHint : 0
; COMPUTE_PGM_RSRC2:SCRATCH_EN: 0
; COMPUTE_PGM_RSRC2:USER_SGPR: 6
; COMPUTE_PGM_RSRC2:TRAP_HANDLER: 0
; COMPUTE_PGM_RSRC2:TGID_X_EN: 1
; COMPUTE_PGM_RSRC2:TGID_Y_EN: 0
; COMPUTE_PGM_RSRC2:TGID_Z_EN: 0
; COMPUTE_PGM_RSRC2:TIDIG_COMP_CNT: 0
	.section	.text._ZN7rocprim17ROCPRIM_400000_NS6detail17trampoline_kernelINS0_14default_configENS1_38merge_sort_block_merge_config_selectorIiNS0_10empty_typeEEEZZNS1_27merge_sort_block_merge_implIS3_N6thrust23THRUST_200600_302600_NS6detail15normal_iteratorINS9_10device_ptrIiEEEEPS5_jNS1_19radix_merge_compareILb0ELb1EiNS0_19identity_decomposerEEEEE10hipError_tT0_T1_T2_jT3_P12ihipStream_tbPNSt15iterator_traitsISK_E10value_typeEPNSQ_ISL_E10value_typeEPSM_NS1_7vsmem_tEENKUlT_SK_SL_SM_E_clISE_PiSF_SF_EESJ_SZ_SK_SL_SM_EUlSZ_E0_NS1_11comp_targetILNS1_3genE4ELNS1_11target_archE910ELNS1_3gpuE8ELNS1_3repE0EEENS1_38merge_mergepath_config_static_selectorELNS0_4arch9wavefront6targetE0EEEvSL_,"axG",@progbits,_ZN7rocprim17ROCPRIM_400000_NS6detail17trampoline_kernelINS0_14default_configENS1_38merge_sort_block_merge_config_selectorIiNS0_10empty_typeEEEZZNS1_27merge_sort_block_merge_implIS3_N6thrust23THRUST_200600_302600_NS6detail15normal_iteratorINS9_10device_ptrIiEEEEPS5_jNS1_19radix_merge_compareILb0ELb1EiNS0_19identity_decomposerEEEEE10hipError_tT0_T1_T2_jT3_P12ihipStream_tbPNSt15iterator_traitsISK_E10value_typeEPNSQ_ISL_E10value_typeEPSM_NS1_7vsmem_tEENKUlT_SK_SL_SM_E_clISE_PiSF_SF_EESJ_SZ_SK_SL_SM_EUlSZ_E0_NS1_11comp_targetILNS1_3genE4ELNS1_11target_archE910ELNS1_3gpuE8ELNS1_3repE0EEENS1_38merge_mergepath_config_static_selectorELNS0_4arch9wavefront6targetE0EEEvSL_,comdat
	.protected	_ZN7rocprim17ROCPRIM_400000_NS6detail17trampoline_kernelINS0_14default_configENS1_38merge_sort_block_merge_config_selectorIiNS0_10empty_typeEEEZZNS1_27merge_sort_block_merge_implIS3_N6thrust23THRUST_200600_302600_NS6detail15normal_iteratorINS9_10device_ptrIiEEEEPS5_jNS1_19radix_merge_compareILb0ELb1EiNS0_19identity_decomposerEEEEE10hipError_tT0_T1_T2_jT3_P12ihipStream_tbPNSt15iterator_traitsISK_E10value_typeEPNSQ_ISL_E10value_typeEPSM_NS1_7vsmem_tEENKUlT_SK_SL_SM_E_clISE_PiSF_SF_EESJ_SZ_SK_SL_SM_EUlSZ_E0_NS1_11comp_targetILNS1_3genE4ELNS1_11target_archE910ELNS1_3gpuE8ELNS1_3repE0EEENS1_38merge_mergepath_config_static_selectorELNS0_4arch9wavefront6targetE0EEEvSL_ ; -- Begin function _ZN7rocprim17ROCPRIM_400000_NS6detail17trampoline_kernelINS0_14default_configENS1_38merge_sort_block_merge_config_selectorIiNS0_10empty_typeEEEZZNS1_27merge_sort_block_merge_implIS3_N6thrust23THRUST_200600_302600_NS6detail15normal_iteratorINS9_10device_ptrIiEEEEPS5_jNS1_19radix_merge_compareILb0ELb1EiNS0_19identity_decomposerEEEEE10hipError_tT0_T1_T2_jT3_P12ihipStream_tbPNSt15iterator_traitsISK_E10value_typeEPNSQ_ISL_E10value_typeEPSM_NS1_7vsmem_tEENKUlT_SK_SL_SM_E_clISE_PiSF_SF_EESJ_SZ_SK_SL_SM_EUlSZ_E0_NS1_11comp_targetILNS1_3genE4ELNS1_11target_archE910ELNS1_3gpuE8ELNS1_3repE0EEENS1_38merge_mergepath_config_static_selectorELNS0_4arch9wavefront6targetE0EEEvSL_
	.globl	_ZN7rocprim17ROCPRIM_400000_NS6detail17trampoline_kernelINS0_14default_configENS1_38merge_sort_block_merge_config_selectorIiNS0_10empty_typeEEEZZNS1_27merge_sort_block_merge_implIS3_N6thrust23THRUST_200600_302600_NS6detail15normal_iteratorINS9_10device_ptrIiEEEEPS5_jNS1_19radix_merge_compareILb0ELb1EiNS0_19identity_decomposerEEEEE10hipError_tT0_T1_T2_jT3_P12ihipStream_tbPNSt15iterator_traitsISK_E10value_typeEPNSQ_ISL_E10value_typeEPSM_NS1_7vsmem_tEENKUlT_SK_SL_SM_E_clISE_PiSF_SF_EESJ_SZ_SK_SL_SM_EUlSZ_E0_NS1_11comp_targetILNS1_3genE4ELNS1_11target_archE910ELNS1_3gpuE8ELNS1_3repE0EEENS1_38merge_mergepath_config_static_selectorELNS0_4arch9wavefront6targetE0EEEvSL_
	.p2align	8
	.type	_ZN7rocprim17ROCPRIM_400000_NS6detail17trampoline_kernelINS0_14default_configENS1_38merge_sort_block_merge_config_selectorIiNS0_10empty_typeEEEZZNS1_27merge_sort_block_merge_implIS3_N6thrust23THRUST_200600_302600_NS6detail15normal_iteratorINS9_10device_ptrIiEEEEPS5_jNS1_19radix_merge_compareILb0ELb1EiNS0_19identity_decomposerEEEEE10hipError_tT0_T1_T2_jT3_P12ihipStream_tbPNSt15iterator_traitsISK_E10value_typeEPNSQ_ISL_E10value_typeEPSM_NS1_7vsmem_tEENKUlT_SK_SL_SM_E_clISE_PiSF_SF_EESJ_SZ_SK_SL_SM_EUlSZ_E0_NS1_11comp_targetILNS1_3genE4ELNS1_11target_archE910ELNS1_3gpuE8ELNS1_3repE0EEENS1_38merge_mergepath_config_static_selectorELNS0_4arch9wavefront6targetE0EEEvSL_,@function
_ZN7rocprim17ROCPRIM_400000_NS6detail17trampoline_kernelINS0_14default_configENS1_38merge_sort_block_merge_config_selectorIiNS0_10empty_typeEEEZZNS1_27merge_sort_block_merge_implIS3_N6thrust23THRUST_200600_302600_NS6detail15normal_iteratorINS9_10device_ptrIiEEEEPS5_jNS1_19radix_merge_compareILb0ELb1EiNS0_19identity_decomposerEEEEE10hipError_tT0_T1_T2_jT3_P12ihipStream_tbPNSt15iterator_traitsISK_E10value_typeEPNSQ_ISL_E10value_typeEPSM_NS1_7vsmem_tEENKUlT_SK_SL_SM_E_clISE_PiSF_SF_EESJ_SZ_SK_SL_SM_EUlSZ_E0_NS1_11comp_targetILNS1_3genE4ELNS1_11target_archE910ELNS1_3gpuE8ELNS1_3repE0EEENS1_38merge_mergepath_config_static_selectorELNS0_4arch9wavefront6targetE0EEEvSL_: ; @_ZN7rocprim17ROCPRIM_400000_NS6detail17trampoline_kernelINS0_14default_configENS1_38merge_sort_block_merge_config_selectorIiNS0_10empty_typeEEEZZNS1_27merge_sort_block_merge_implIS3_N6thrust23THRUST_200600_302600_NS6detail15normal_iteratorINS9_10device_ptrIiEEEEPS5_jNS1_19radix_merge_compareILb0ELb1EiNS0_19identity_decomposerEEEEE10hipError_tT0_T1_T2_jT3_P12ihipStream_tbPNSt15iterator_traitsISK_E10value_typeEPNSQ_ISL_E10value_typeEPSM_NS1_7vsmem_tEENKUlT_SK_SL_SM_E_clISE_PiSF_SF_EESJ_SZ_SK_SL_SM_EUlSZ_E0_NS1_11comp_targetILNS1_3genE4ELNS1_11target_archE910ELNS1_3gpuE8ELNS1_3repE0EEENS1_38merge_mergepath_config_static_selectorELNS0_4arch9wavefront6targetE0EEEvSL_
; %bb.0:
	.section	.rodata,"a",@progbits
	.p2align	6, 0x0
	.amdhsa_kernel _ZN7rocprim17ROCPRIM_400000_NS6detail17trampoline_kernelINS0_14default_configENS1_38merge_sort_block_merge_config_selectorIiNS0_10empty_typeEEEZZNS1_27merge_sort_block_merge_implIS3_N6thrust23THRUST_200600_302600_NS6detail15normal_iteratorINS9_10device_ptrIiEEEEPS5_jNS1_19radix_merge_compareILb0ELb1EiNS0_19identity_decomposerEEEEE10hipError_tT0_T1_T2_jT3_P12ihipStream_tbPNSt15iterator_traitsISK_E10value_typeEPNSQ_ISL_E10value_typeEPSM_NS1_7vsmem_tEENKUlT_SK_SL_SM_E_clISE_PiSF_SF_EESJ_SZ_SK_SL_SM_EUlSZ_E0_NS1_11comp_targetILNS1_3genE4ELNS1_11target_archE910ELNS1_3gpuE8ELNS1_3repE0EEENS1_38merge_mergepath_config_static_selectorELNS0_4arch9wavefront6targetE0EEEvSL_
		.amdhsa_group_segment_fixed_size 0
		.amdhsa_private_segment_fixed_size 0
		.amdhsa_kernarg_size 64
		.amdhsa_user_sgpr_count 6
		.amdhsa_user_sgpr_private_segment_buffer 1
		.amdhsa_user_sgpr_dispatch_ptr 0
		.amdhsa_user_sgpr_queue_ptr 0
		.amdhsa_user_sgpr_kernarg_segment_ptr 1
		.amdhsa_user_sgpr_dispatch_id 0
		.amdhsa_user_sgpr_flat_scratch_init 0
		.amdhsa_user_sgpr_private_segment_size 0
		.amdhsa_wavefront_size32 1
		.amdhsa_uses_dynamic_stack 0
		.amdhsa_system_sgpr_private_segment_wavefront_offset 0
		.amdhsa_system_sgpr_workgroup_id_x 1
		.amdhsa_system_sgpr_workgroup_id_y 0
		.amdhsa_system_sgpr_workgroup_id_z 0
		.amdhsa_system_sgpr_workgroup_info 0
		.amdhsa_system_vgpr_workitem_id 0
		.amdhsa_next_free_vgpr 1
		.amdhsa_next_free_sgpr 1
		.amdhsa_reserve_vcc 0
		.amdhsa_reserve_flat_scratch 0
		.amdhsa_float_round_mode_32 0
		.amdhsa_float_round_mode_16_64 0
		.amdhsa_float_denorm_mode_32 3
		.amdhsa_float_denorm_mode_16_64 3
		.amdhsa_dx10_clamp 1
		.amdhsa_ieee_mode 1
		.amdhsa_fp16_overflow 0
		.amdhsa_workgroup_processor_mode 1
		.amdhsa_memory_ordered 1
		.amdhsa_forward_progress 1
		.amdhsa_shared_vgpr_count 0
		.amdhsa_exception_fp_ieee_invalid_op 0
		.amdhsa_exception_fp_denorm_src 0
		.amdhsa_exception_fp_ieee_div_zero 0
		.amdhsa_exception_fp_ieee_overflow 0
		.amdhsa_exception_fp_ieee_underflow 0
		.amdhsa_exception_fp_ieee_inexact 0
		.amdhsa_exception_int_div_zero 0
	.end_amdhsa_kernel
	.section	.text._ZN7rocprim17ROCPRIM_400000_NS6detail17trampoline_kernelINS0_14default_configENS1_38merge_sort_block_merge_config_selectorIiNS0_10empty_typeEEEZZNS1_27merge_sort_block_merge_implIS3_N6thrust23THRUST_200600_302600_NS6detail15normal_iteratorINS9_10device_ptrIiEEEEPS5_jNS1_19radix_merge_compareILb0ELb1EiNS0_19identity_decomposerEEEEE10hipError_tT0_T1_T2_jT3_P12ihipStream_tbPNSt15iterator_traitsISK_E10value_typeEPNSQ_ISL_E10value_typeEPSM_NS1_7vsmem_tEENKUlT_SK_SL_SM_E_clISE_PiSF_SF_EESJ_SZ_SK_SL_SM_EUlSZ_E0_NS1_11comp_targetILNS1_3genE4ELNS1_11target_archE910ELNS1_3gpuE8ELNS1_3repE0EEENS1_38merge_mergepath_config_static_selectorELNS0_4arch9wavefront6targetE0EEEvSL_,"axG",@progbits,_ZN7rocprim17ROCPRIM_400000_NS6detail17trampoline_kernelINS0_14default_configENS1_38merge_sort_block_merge_config_selectorIiNS0_10empty_typeEEEZZNS1_27merge_sort_block_merge_implIS3_N6thrust23THRUST_200600_302600_NS6detail15normal_iteratorINS9_10device_ptrIiEEEEPS5_jNS1_19radix_merge_compareILb0ELb1EiNS0_19identity_decomposerEEEEE10hipError_tT0_T1_T2_jT3_P12ihipStream_tbPNSt15iterator_traitsISK_E10value_typeEPNSQ_ISL_E10value_typeEPSM_NS1_7vsmem_tEENKUlT_SK_SL_SM_E_clISE_PiSF_SF_EESJ_SZ_SK_SL_SM_EUlSZ_E0_NS1_11comp_targetILNS1_3genE4ELNS1_11target_archE910ELNS1_3gpuE8ELNS1_3repE0EEENS1_38merge_mergepath_config_static_selectorELNS0_4arch9wavefront6targetE0EEEvSL_,comdat
.Lfunc_end119:
	.size	_ZN7rocprim17ROCPRIM_400000_NS6detail17trampoline_kernelINS0_14default_configENS1_38merge_sort_block_merge_config_selectorIiNS0_10empty_typeEEEZZNS1_27merge_sort_block_merge_implIS3_N6thrust23THRUST_200600_302600_NS6detail15normal_iteratorINS9_10device_ptrIiEEEEPS5_jNS1_19radix_merge_compareILb0ELb1EiNS0_19identity_decomposerEEEEE10hipError_tT0_T1_T2_jT3_P12ihipStream_tbPNSt15iterator_traitsISK_E10value_typeEPNSQ_ISL_E10value_typeEPSM_NS1_7vsmem_tEENKUlT_SK_SL_SM_E_clISE_PiSF_SF_EESJ_SZ_SK_SL_SM_EUlSZ_E0_NS1_11comp_targetILNS1_3genE4ELNS1_11target_archE910ELNS1_3gpuE8ELNS1_3repE0EEENS1_38merge_mergepath_config_static_selectorELNS0_4arch9wavefront6targetE0EEEvSL_, .Lfunc_end119-_ZN7rocprim17ROCPRIM_400000_NS6detail17trampoline_kernelINS0_14default_configENS1_38merge_sort_block_merge_config_selectorIiNS0_10empty_typeEEEZZNS1_27merge_sort_block_merge_implIS3_N6thrust23THRUST_200600_302600_NS6detail15normal_iteratorINS9_10device_ptrIiEEEEPS5_jNS1_19radix_merge_compareILb0ELb1EiNS0_19identity_decomposerEEEEE10hipError_tT0_T1_T2_jT3_P12ihipStream_tbPNSt15iterator_traitsISK_E10value_typeEPNSQ_ISL_E10value_typeEPSM_NS1_7vsmem_tEENKUlT_SK_SL_SM_E_clISE_PiSF_SF_EESJ_SZ_SK_SL_SM_EUlSZ_E0_NS1_11comp_targetILNS1_3genE4ELNS1_11target_archE910ELNS1_3gpuE8ELNS1_3repE0EEENS1_38merge_mergepath_config_static_selectorELNS0_4arch9wavefront6targetE0EEEvSL_
                                        ; -- End function
	.set _ZN7rocprim17ROCPRIM_400000_NS6detail17trampoline_kernelINS0_14default_configENS1_38merge_sort_block_merge_config_selectorIiNS0_10empty_typeEEEZZNS1_27merge_sort_block_merge_implIS3_N6thrust23THRUST_200600_302600_NS6detail15normal_iteratorINS9_10device_ptrIiEEEEPS5_jNS1_19radix_merge_compareILb0ELb1EiNS0_19identity_decomposerEEEEE10hipError_tT0_T1_T2_jT3_P12ihipStream_tbPNSt15iterator_traitsISK_E10value_typeEPNSQ_ISL_E10value_typeEPSM_NS1_7vsmem_tEENKUlT_SK_SL_SM_E_clISE_PiSF_SF_EESJ_SZ_SK_SL_SM_EUlSZ_E0_NS1_11comp_targetILNS1_3genE4ELNS1_11target_archE910ELNS1_3gpuE8ELNS1_3repE0EEENS1_38merge_mergepath_config_static_selectorELNS0_4arch9wavefront6targetE0EEEvSL_.num_vgpr, 0
	.set _ZN7rocprim17ROCPRIM_400000_NS6detail17trampoline_kernelINS0_14default_configENS1_38merge_sort_block_merge_config_selectorIiNS0_10empty_typeEEEZZNS1_27merge_sort_block_merge_implIS3_N6thrust23THRUST_200600_302600_NS6detail15normal_iteratorINS9_10device_ptrIiEEEEPS5_jNS1_19radix_merge_compareILb0ELb1EiNS0_19identity_decomposerEEEEE10hipError_tT0_T1_T2_jT3_P12ihipStream_tbPNSt15iterator_traitsISK_E10value_typeEPNSQ_ISL_E10value_typeEPSM_NS1_7vsmem_tEENKUlT_SK_SL_SM_E_clISE_PiSF_SF_EESJ_SZ_SK_SL_SM_EUlSZ_E0_NS1_11comp_targetILNS1_3genE4ELNS1_11target_archE910ELNS1_3gpuE8ELNS1_3repE0EEENS1_38merge_mergepath_config_static_selectorELNS0_4arch9wavefront6targetE0EEEvSL_.num_agpr, 0
	.set _ZN7rocprim17ROCPRIM_400000_NS6detail17trampoline_kernelINS0_14default_configENS1_38merge_sort_block_merge_config_selectorIiNS0_10empty_typeEEEZZNS1_27merge_sort_block_merge_implIS3_N6thrust23THRUST_200600_302600_NS6detail15normal_iteratorINS9_10device_ptrIiEEEEPS5_jNS1_19radix_merge_compareILb0ELb1EiNS0_19identity_decomposerEEEEE10hipError_tT0_T1_T2_jT3_P12ihipStream_tbPNSt15iterator_traitsISK_E10value_typeEPNSQ_ISL_E10value_typeEPSM_NS1_7vsmem_tEENKUlT_SK_SL_SM_E_clISE_PiSF_SF_EESJ_SZ_SK_SL_SM_EUlSZ_E0_NS1_11comp_targetILNS1_3genE4ELNS1_11target_archE910ELNS1_3gpuE8ELNS1_3repE0EEENS1_38merge_mergepath_config_static_selectorELNS0_4arch9wavefront6targetE0EEEvSL_.numbered_sgpr, 0
	.set _ZN7rocprim17ROCPRIM_400000_NS6detail17trampoline_kernelINS0_14default_configENS1_38merge_sort_block_merge_config_selectorIiNS0_10empty_typeEEEZZNS1_27merge_sort_block_merge_implIS3_N6thrust23THRUST_200600_302600_NS6detail15normal_iteratorINS9_10device_ptrIiEEEEPS5_jNS1_19radix_merge_compareILb0ELb1EiNS0_19identity_decomposerEEEEE10hipError_tT0_T1_T2_jT3_P12ihipStream_tbPNSt15iterator_traitsISK_E10value_typeEPNSQ_ISL_E10value_typeEPSM_NS1_7vsmem_tEENKUlT_SK_SL_SM_E_clISE_PiSF_SF_EESJ_SZ_SK_SL_SM_EUlSZ_E0_NS1_11comp_targetILNS1_3genE4ELNS1_11target_archE910ELNS1_3gpuE8ELNS1_3repE0EEENS1_38merge_mergepath_config_static_selectorELNS0_4arch9wavefront6targetE0EEEvSL_.num_named_barrier, 0
	.set _ZN7rocprim17ROCPRIM_400000_NS6detail17trampoline_kernelINS0_14default_configENS1_38merge_sort_block_merge_config_selectorIiNS0_10empty_typeEEEZZNS1_27merge_sort_block_merge_implIS3_N6thrust23THRUST_200600_302600_NS6detail15normal_iteratorINS9_10device_ptrIiEEEEPS5_jNS1_19radix_merge_compareILb0ELb1EiNS0_19identity_decomposerEEEEE10hipError_tT0_T1_T2_jT3_P12ihipStream_tbPNSt15iterator_traitsISK_E10value_typeEPNSQ_ISL_E10value_typeEPSM_NS1_7vsmem_tEENKUlT_SK_SL_SM_E_clISE_PiSF_SF_EESJ_SZ_SK_SL_SM_EUlSZ_E0_NS1_11comp_targetILNS1_3genE4ELNS1_11target_archE910ELNS1_3gpuE8ELNS1_3repE0EEENS1_38merge_mergepath_config_static_selectorELNS0_4arch9wavefront6targetE0EEEvSL_.private_seg_size, 0
	.set _ZN7rocprim17ROCPRIM_400000_NS6detail17trampoline_kernelINS0_14default_configENS1_38merge_sort_block_merge_config_selectorIiNS0_10empty_typeEEEZZNS1_27merge_sort_block_merge_implIS3_N6thrust23THRUST_200600_302600_NS6detail15normal_iteratorINS9_10device_ptrIiEEEEPS5_jNS1_19radix_merge_compareILb0ELb1EiNS0_19identity_decomposerEEEEE10hipError_tT0_T1_T2_jT3_P12ihipStream_tbPNSt15iterator_traitsISK_E10value_typeEPNSQ_ISL_E10value_typeEPSM_NS1_7vsmem_tEENKUlT_SK_SL_SM_E_clISE_PiSF_SF_EESJ_SZ_SK_SL_SM_EUlSZ_E0_NS1_11comp_targetILNS1_3genE4ELNS1_11target_archE910ELNS1_3gpuE8ELNS1_3repE0EEENS1_38merge_mergepath_config_static_selectorELNS0_4arch9wavefront6targetE0EEEvSL_.uses_vcc, 0
	.set _ZN7rocprim17ROCPRIM_400000_NS6detail17trampoline_kernelINS0_14default_configENS1_38merge_sort_block_merge_config_selectorIiNS0_10empty_typeEEEZZNS1_27merge_sort_block_merge_implIS3_N6thrust23THRUST_200600_302600_NS6detail15normal_iteratorINS9_10device_ptrIiEEEEPS5_jNS1_19radix_merge_compareILb0ELb1EiNS0_19identity_decomposerEEEEE10hipError_tT0_T1_T2_jT3_P12ihipStream_tbPNSt15iterator_traitsISK_E10value_typeEPNSQ_ISL_E10value_typeEPSM_NS1_7vsmem_tEENKUlT_SK_SL_SM_E_clISE_PiSF_SF_EESJ_SZ_SK_SL_SM_EUlSZ_E0_NS1_11comp_targetILNS1_3genE4ELNS1_11target_archE910ELNS1_3gpuE8ELNS1_3repE0EEENS1_38merge_mergepath_config_static_selectorELNS0_4arch9wavefront6targetE0EEEvSL_.uses_flat_scratch, 0
	.set _ZN7rocprim17ROCPRIM_400000_NS6detail17trampoline_kernelINS0_14default_configENS1_38merge_sort_block_merge_config_selectorIiNS0_10empty_typeEEEZZNS1_27merge_sort_block_merge_implIS3_N6thrust23THRUST_200600_302600_NS6detail15normal_iteratorINS9_10device_ptrIiEEEEPS5_jNS1_19radix_merge_compareILb0ELb1EiNS0_19identity_decomposerEEEEE10hipError_tT0_T1_T2_jT3_P12ihipStream_tbPNSt15iterator_traitsISK_E10value_typeEPNSQ_ISL_E10value_typeEPSM_NS1_7vsmem_tEENKUlT_SK_SL_SM_E_clISE_PiSF_SF_EESJ_SZ_SK_SL_SM_EUlSZ_E0_NS1_11comp_targetILNS1_3genE4ELNS1_11target_archE910ELNS1_3gpuE8ELNS1_3repE0EEENS1_38merge_mergepath_config_static_selectorELNS0_4arch9wavefront6targetE0EEEvSL_.has_dyn_sized_stack, 0
	.set _ZN7rocprim17ROCPRIM_400000_NS6detail17trampoline_kernelINS0_14default_configENS1_38merge_sort_block_merge_config_selectorIiNS0_10empty_typeEEEZZNS1_27merge_sort_block_merge_implIS3_N6thrust23THRUST_200600_302600_NS6detail15normal_iteratorINS9_10device_ptrIiEEEEPS5_jNS1_19radix_merge_compareILb0ELb1EiNS0_19identity_decomposerEEEEE10hipError_tT0_T1_T2_jT3_P12ihipStream_tbPNSt15iterator_traitsISK_E10value_typeEPNSQ_ISL_E10value_typeEPSM_NS1_7vsmem_tEENKUlT_SK_SL_SM_E_clISE_PiSF_SF_EESJ_SZ_SK_SL_SM_EUlSZ_E0_NS1_11comp_targetILNS1_3genE4ELNS1_11target_archE910ELNS1_3gpuE8ELNS1_3repE0EEENS1_38merge_mergepath_config_static_selectorELNS0_4arch9wavefront6targetE0EEEvSL_.has_recursion, 0
	.set _ZN7rocprim17ROCPRIM_400000_NS6detail17trampoline_kernelINS0_14default_configENS1_38merge_sort_block_merge_config_selectorIiNS0_10empty_typeEEEZZNS1_27merge_sort_block_merge_implIS3_N6thrust23THRUST_200600_302600_NS6detail15normal_iteratorINS9_10device_ptrIiEEEEPS5_jNS1_19radix_merge_compareILb0ELb1EiNS0_19identity_decomposerEEEEE10hipError_tT0_T1_T2_jT3_P12ihipStream_tbPNSt15iterator_traitsISK_E10value_typeEPNSQ_ISL_E10value_typeEPSM_NS1_7vsmem_tEENKUlT_SK_SL_SM_E_clISE_PiSF_SF_EESJ_SZ_SK_SL_SM_EUlSZ_E0_NS1_11comp_targetILNS1_3genE4ELNS1_11target_archE910ELNS1_3gpuE8ELNS1_3repE0EEENS1_38merge_mergepath_config_static_selectorELNS0_4arch9wavefront6targetE0EEEvSL_.has_indirect_call, 0
	.section	.AMDGPU.csdata,"",@progbits
; Kernel info:
; codeLenInByte = 0
; TotalNumSgprs: 0
; NumVgprs: 0
; ScratchSize: 0
; MemoryBound: 0
; FloatMode: 240
; IeeeMode: 1
; LDSByteSize: 0 bytes/workgroup (compile time only)
; SGPRBlocks: 0
; VGPRBlocks: 0
; NumSGPRsForWavesPerEU: 1
; NumVGPRsForWavesPerEU: 1
; Occupancy: 16
; WaveLimiterHint : 0
; COMPUTE_PGM_RSRC2:SCRATCH_EN: 0
; COMPUTE_PGM_RSRC2:USER_SGPR: 6
; COMPUTE_PGM_RSRC2:TRAP_HANDLER: 0
; COMPUTE_PGM_RSRC2:TGID_X_EN: 1
; COMPUTE_PGM_RSRC2:TGID_Y_EN: 0
; COMPUTE_PGM_RSRC2:TGID_Z_EN: 0
; COMPUTE_PGM_RSRC2:TIDIG_COMP_CNT: 0
	.section	.text._ZN7rocprim17ROCPRIM_400000_NS6detail17trampoline_kernelINS0_14default_configENS1_38merge_sort_block_merge_config_selectorIiNS0_10empty_typeEEEZZNS1_27merge_sort_block_merge_implIS3_N6thrust23THRUST_200600_302600_NS6detail15normal_iteratorINS9_10device_ptrIiEEEEPS5_jNS1_19radix_merge_compareILb0ELb1EiNS0_19identity_decomposerEEEEE10hipError_tT0_T1_T2_jT3_P12ihipStream_tbPNSt15iterator_traitsISK_E10value_typeEPNSQ_ISL_E10value_typeEPSM_NS1_7vsmem_tEENKUlT_SK_SL_SM_E_clISE_PiSF_SF_EESJ_SZ_SK_SL_SM_EUlSZ_E0_NS1_11comp_targetILNS1_3genE3ELNS1_11target_archE908ELNS1_3gpuE7ELNS1_3repE0EEENS1_38merge_mergepath_config_static_selectorELNS0_4arch9wavefront6targetE0EEEvSL_,"axG",@progbits,_ZN7rocprim17ROCPRIM_400000_NS6detail17trampoline_kernelINS0_14default_configENS1_38merge_sort_block_merge_config_selectorIiNS0_10empty_typeEEEZZNS1_27merge_sort_block_merge_implIS3_N6thrust23THRUST_200600_302600_NS6detail15normal_iteratorINS9_10device_ptrIiEEEEPS5_jNS1_19radix_merge_compareILb0ELb1EiNS0_19identity_decomposerEEEEE10hipError_tT0_T1_T2_jT3_P12ihipStream_tbPNSt15iterator_traitsISK_E10value_typeEPNSQ_ISL_E10value_typeEPSM_NS1_7vsmem_tEENKUlT_SK_SL_SM_E_clISE_PiSF_SF_EESJ_SZ_SK_SL_SM_EUlSZ_E0_NS1_11comp_targetILNS1_3genE3ELNS1_11target_archE908ELNS1_3gpuE7ELNS1_3repE0EEENS1_38merge_mergepath_config_static_selectorELNS0_4arch9wavefront6targetE0EEEvSL_,comdat
	.protected	_ZN7rocprim17ROCPRIM_400000_NS6detail17trampoline_kernelINS0_14default_configENS1_38merge_sort_block_merge_config_selectorIiNS0_10empty_typeEEEZZNS1_27merge_sort_block_merge_implIS3_N6thrust23THRUST_200600_302600_NS6detail15normal_iteratorINS9_10device_ptrIiEEEEPS5_jNS1_19radix_merge_compareILb0ELb1EiNS0_19identity_decomposerEEEEE10hipError_tT0_T1_T2_jT3_P12ihipStream_tbPNSt15iterator_traitsISK_E10value_typeEPNSQ_ISL_E10value_typeEPSM_NS1_7vsmem_tEENKUlT_SK_SL_SM_E_clISE_PiSF_SF_EESJ_SZ_SK_SL_SM_EUlSZ_E0_NS1_11comp_targetILNS1_3genE3ELNS1_11target_archE908ELNS1_3gpuE7ELNS1_3repE0EEENS1_38merge_mergepath_config_static_selectorELNS0_4arch9wavefront6targetE0EEEvSL_ ; -- Begin function _ZN7rocprim17ROCPRIM_400000_NS6detail17trampoline_kernelINS0_14default_configENS1_38merge_sort_block_merge_config_selectorIiNS0_10empty_typeEEEZZNS1_27merge_sort_block_merge_implIS3_N6thrust23THRUST_200600_302600_NS6detail15normal_iteratorINS9_10device_ptrIiEEEEPS5_jNS1_19radix_merge_compareILb0ELb1EiNS0_19identity_decomposerEEEEE10hipError_tT0_T1_T2_jT3_P12ihipStream_tbPNSt15iterator_traitsISK_E10value_typeEPNSQ_ISL_E10value_typeEPSM_NS1_7vsmem_tEENKUlT_SK_SL_SM_E_clISE_PiSF_SF_EESJ_SZ_SK_SL_SM_EUlSZ_E0_NS1_11comp_targetILNS1_3genE3ELNS1_11target_archE908ELNS1_3gpuE7ELNS1_3repE0EEENS1_38merge_mergepath_config_static_selectorELNS0_4arch9wavefront6targetE0EEEvSL_
	.globl	_ZN7rocprim17ROCPRIM_400000_NS6detail17trampoline_kernelINS0_14default_configENS1_38merge_sort_block_merge_config_selectorIiNS0_10empty_typeEEEZZNS1_27merge_sort_block_merge_implIS3_N6thrust23THRUST_200600_302600_NS6detail15normal_iteratorINS9_10device_ptrIiEEEEPS5_jNS1_19radix_merge_compareILb0ELb1EiNS0_19identity_decomposerEEEEE10hipError_tT0_T1_T2_jT3_P12ihipStream_tbPNSt15iterator_traitsISK_E10value_typeEPNSQ_ISL_E10value_typeEPSM_NS1_7vsmem_tEENKUlT_SK_SL_SM_E_clISE_PiSF_SF_EESJ_SZ_SK_SL_SM_EUlSZ_E0_NS1_11comp_targetILNS1_3genE3ELNS1_11target_archE908ELNS1_3gpuE7ELNS1_3repE0EEENS1_38merge_mergepath_config_static_selectorELNS0_4arch9wavefront6targetE0EEEvSL_
	.p2align	8
	.type	_ZN7rocprim17ROCPRIM_400000_NS6detail17trampoline_kernelINS0_14default_configENS1_38merge_sort_block_merge_config_selectorIiNS0_10empty_typeEEEZZNS1_27merge_sort_block_merge_implIS3_N6thrust23THRUST_200600_302600_NS6detail15normal_iteratorINS9_10device_ptrIiEEEEPS5_jNS1_19radix_merge_compareILb0ELb1EiNS0_19identity_decomposerEEEEE10hipError_tT0_T1_T2_jT3_P12ihipStream_tbPNSt15iterator_traitsISK_E10value_typeEPNSQ_ISL_E10value_typeEPSM_NS1_7vsmem_tEENKUlT_SK_SL_SM_E_clISE_PiSF_SF_EESJ_SZ_SK_SL_SM_EUlSZ_E0_NS1_11comp_targetILNS1_3genE3ELNS1_11target_archE908ELNS1_3gpuE7ELNS1_3repE0EEENS1_38merge_mergepath_config_static_selectorELNS0_4arch9wavefront6targetE0EEEvSL_,@function
_ZN7rocprim17ROCPRIM_400000_NS6detail17trampoline_kernelINS0_14default_configENS1_38merge_sort_block_merge_config_selectorIiNS0_10empty_typeEEEZZNS1_27merge_sort_block_merge_implIS3_N6thrust23THRUST_200600_302600_NS6detail15normal_iteratorINS9_10device_ptrIiEEEEPS5_jNS1_19radix_merge_compareILb0ELb1EiNS0_19identity_decomposerEEEEE10hipError_tT0_T1_T2_jT3_P12ihipStream_tbPNSt15iterator_traitsISK_E10value_typeEPNSQ_ISL_E10value_typeEPSM_NS1_7vsmem_tEENKUlT_SK_SL_SM_E_clISE_PiSF_SF_EESJ_SZ_SK_SL_SM_EUlSZ_E0_NS1_11comp_targetILNS1_3genE3ELNS1_11target_archE908ELNS1_3gpuE7ELNS1_3repE0EEENS1_38merge_mergepath_config_static_selectorELNS0_4arch9wavefront6targetE0EEEvSL_: ; @_ZN7rocprim17ROCPRIM_400000_NS6detail17trampoline_kernelINS0_14default_configENS1_38merge_sort_block_merge_config_selectorIiNS0_10empty_typeEEEZZNS1_27merge_sort_block_merge_implIS3_N6thrust23THRUST_200600_302600_NS6detail15normal_iteratorINS9_10device_ptrIiEEEEPS5_jNS1_19radix_merge_compareILb0ELb1EiNS0_19identity_decomposerEEEEE10hipError_tT0_T1_T2_jT3_P12ihipStream_tbPNSt15iterator_traitsISK_E10value_typeEPNSQ_ISL_E10value_typeEPSM_NS1_7vsmem_tEENKUlT_SK_SL_SM_E_clISE_PiSF_SF_EESJ_SZ_SK_SL_SM_EUlSZ_E0_NS1_11comp_targetILNS1_3genE3ELNS1_11target_archE908ELNS1_3gpuE7ELNS1_3repE0EEENS1_38merge_mergepath_config_static_selectorELNS0_4arch9wavefront6targetE0EEEvSL_
; %bb.0:
	.section	.rodata,"a",@progbits
	.p2align	6, 0x0
	.amdhsa_kernel _ZN7rocprim17ROCPRIM_400000_NS6detail17trampoline_kernelINS0_14default_configENS1_38merge_sort_block_merge_config_selectorIiNS0_10empty_typeEEEZZNS1_27merge_sort_block_merge_implIS3_N6thrust23THRUST_200600_302600_NS6detail15normal_iteratorINS9_10device_ptrIiEEEEPS5_jNS1_19radix_merge_compareILb0ELb1EiNS0_19identity_decomposerEEEEE10hipError_tT0_T1_T2_jT3_P12ihipStream_tbPNSt15iterator_traitsISK_E10value_typeEPNSQ_ISL_E10value_typeEPSM_NS1_7vsmem_tEENKUlT_SK_SL_SM_E_clISE_PiSF_SF_EESJ_SZ_SK_SL_SM_EUlSZ_E0_NS1_11comp_targetILNS1_3genE3ELNS1_11target_archE908ELNS1_3gpuE7ELNS1_3repE0EEENS1_38merge_mergepath_config_static_selectorELNS0_4arch9wavefront6targetE0EEEvSL_
		.amdhsa_group_segment_fixed_size 0
		.amdhsa_private_segment_fixed_size 0
		.amdhsa_kernarg_size 64
		.amdhsa_user_sgpr_count 6
		.amdhsa_user_sgpr_private_segment_buffer 1
		.amdhsa_user_sgpr_dispatch_ptr 0
		.amdhsa_user_sgpr_queue_ptr 0
		.amdhsa_user_sgpr_kernarg_segment_ptr 1
		.amdhsa_user_sgpr_dispatch_id 0
		.amdhsa_user_sgpr_flat_scratch_init 0
		.amdhsa_user_sgpr_private_segment_size 0
		.amdhsa_wavefront_size32 1
		.amdhsa_uses_dynamic_stack 0
		.amdhsa_system_sgpr_private_segment_wavefront_offset 0
		.amdhsa_system_sgpr_workgroup_id_x 1
		.amdhsa_system_sgpr_workgroup_id_y 0
		.amdhsa_system_sgpr_workgroup_id_z 0
		.amdhsa_system_sgpr_workgroup_info 0
		.amdhsa_system_vgpr_workitem_id 0
		.amdhsa_next_free_vgpr 1
		.amdhsa_next_free_sgpr 1
		.amdhsa_reserve_vcc 0
		.amdhsa_reserve_flat_scratch 0
		.amdhsa_float_round_mode_32 0
		.amdhsa_float_round_mode_16_64 0
		.amdhsa_float_denorm_mode_32 3
		.amdhsa_float_denorm_mode_16_64 3
		.amdhsa_dx10_clamp 1
		.amdhsa_ieee_mode 1
		.amdhsa_fp16_overflow 0
		.amdhsa_workgroup_processor_mode 1
		.amdhsa_memory_ordered 1
		.amdhsa_forward_progress 1
		.amdhsa_shared_vgpr_count 0
		.amdhsa_exception_fp_ieee_invalid_op 0
		.amdhsa_exception_fp_denorm_src 0
		.amdhsa_exception_fp_ieee_div_zero 0
		.amdhsa_exception_fp_ieee_overflow 0
		.amdhsa_exception_fp_ieee_underflow 0
		.amdhsa_exception_fp_ieee_inexact 0
		.amdhsa_exception_int_div_zero 0
	.end_amdhsa_kernel
	.section	.text._ZN7rocprim17ROCPRIM_400000_NS6detail17trampoline_kernelINS0_14default_configENS1_38merge_sort_block_merge_config_selectorIiNS0_10empty_typeEEEZZNS1_27merge_sort_block_merge_implIS3_N6thrust23THRUST_200600_302600_NS6detail15normal_iteratorINS9_10device_ptrIiEEEEPS5_jNS1_19radix_merge_compareILb0ELb1EiNS0_19identity_decomposerEEEEE10hipError_tT0_T1_T2_jT3_P12ihipStream_tbPNSt15iterator_traitsISK_E10value_typeEPNSQ_ISL_E10value_typeEPSM_NS1_7vsmem_tEENKUlT_SK_SL_SM_E_clISE_PiSF_SF_EESJ_SZ_SK_SL_SM_EUlSZ_E0_NS1_11comp_targetILNS1_3genE3ELNS1_11target_archE908ELNS1_3gpuE7ELNS1_3repE0EEENS1_38merge_mergepath_config_static_selectorELNS0_4arch9wavefront6targetE0EEEvSL_,"axG",@progbits,_ZN7rocprim17ROCPRIM_400000_NS6detail17trampoline_kernelINS0_14default_configENS1_38merge_sort_block_merge_config_selectorIiNS0_10empty_typeEEEZZNS1_27merge_sort_block_merge_implIS3_N6thrust23THRUST_200600_302600_NS6detail15normal_iteratorINS9_10device_ptrIiEEEEPS5_jNS1_19radix_merge_compareILb0ELb1EiNS0_19identity_decomposerEEEEE10hipError_tT0_T1_T2_jT3_P12ihipStream_tbPNSt15iterator_traitsISK_E10value_typeEPNSQ_ISL_E10value_typeEPSM_NS1_7vsmem_tEENKUlT_SK_SL_SM_E_clISE_PiSF_SF_EESJ_SZ_SK_SL_SM_EUlSZ_E0_NS1_11comp_targetILNS1_3genE3ELNS1_11target_archE908ELNS1_3gpuE7ELNS1_3repE0EEENS1_38merge_mergepath_config_static_selectorELNS0_4arch9wavefront6targetE0EEEvSL_,comdat
.Lfunc_end120:
	.size	_ZN7rocprim17ROCPRIM_400000_NS6detail17trampoline_kernelINS0_14default_configENS1_38merge_sort_block_merge_config_selectorIiNS0_10empty_typeEEEZZNS1_27merge_sort_block_merge_implIS3_N6thrust23THRUST_200600_302600_NS6detail15normal_iteratorINS9_10device_ptrIiEEEEPS5_jNS1_19radix_merge_compareILb0ELb1EiNS0_19identity_decomposerEEEEE10hipError_tT0_T1_T2_jT3_P12ihipStream_tbPNSt15iterator_traitsISK_E10value_typeEPNSQ_ISL_E10value_typeEPSM_NS1_7vsmem_tEENKUlT_SK_SL_SM_E_clISE_PiSF_SF_EESJ_SZ_SK_SL_SM_EUlSZ_E0_NS1_11comp_targetILNS1_3genE3ELNS1_11target_archE908ELNS1_3gpuE7ELNS1_3repE0EEENS1_38merge_mergepath_config_static_selectorELNS0_4arch9wavefront6targetE0EEEvSL_, .Lfunc_end120-_ZN7rocprim17ROCPRIM_400000_NS6detail17trampoline_kernelINS0_14default_configENS1_38merge_sort_block_merge_config_selectorIiNS0_10empty_typeEEEZZNS1_27merge_sort_block_merge_implIS3_N6thrust23THRUST_200600_302600_NS6detail15normal_iteratorINS9_10device_ptrIiEEEEPS5_jNS1_19radix_merge_compareILb0ELb1EiNS0_19identity_decomposerEEEEE10hipError_tT0_T1_T2_jT3_P12ihipStream_tbPNSt15iterator_traitsISK_E10value_typeEPNSQ_ISL_E10value_typeEPSM_NS1_7vsmem_tEENKUlT_SK_SL_SM_E_clISE_PiSF_SF_EESJ_SZ_SK_SL_SM_EUlSZ_E0_NS1_11comp_targetILNS1_3genE3ELNS1_11target_archE908ELNS1_3gpuE7ELNS1_3repE0EEENS1_38merge_mergepath_config_static_selectorELNS0_4arch9wavefront6targetE0EEEvSL_
                                        ; -- End function
	.set _ZN7rocprim17ROCPRIM_400000_NS6detail17trampoline_kernelINS0_14default_configENS1_38merge_sort_block_merge_config_selectorIiNS0_10empty_typeEEEZZNS1_27merge_sort_block_merge_implIS3_N6thrust23THRUST_200600_302600_NS6detail15normal_iteratorINS9_10device_ptrIiEEEEPS5_jNS1_19radix_merge_compareILb0ELb1EiNS0_19identity_decomposerEEEEE10hipError_tT0_T1_T2_jT3_P12ihipStream_tbPNSt15iterator_traitsISK_E10value_typeEPNSQ_ISL_E10value_typeEPSM_NS1_7vsmem_tEENKUlT_SK_SL_SM_E_clISE_PiSF_SF_EESJ_SZ_SK_SL_SM_EUlSZ_E0_NS1_11comp_targetILNS1_3genE3ELNS1_11target_archE908ELNS1_3gpuE7ELNS1_3repE0EEENS1_38merge_mergepath_config_static_selectorELNS0_4arch9wavefront6targetE0EEEvSL_.num_vgpr, 0
	.set _ZN7rocprim17ROCPRIM_400000_NS6detail17trampoline_kernelINS0_14default_configENS1_38merge_sort_block_merge_config_selectorIiNS0_10empty_typeEEEZZNS1_27merge_sort_block_merge_implIS3_N6thrust23THRUST_200600_302600_NS6detail15normal_iteratorINS9_10device_ptrIiEEEEPS5_jNS1_19radix_merge_compareILb0ELb1EiNS0_19identity_decomposerEEEEE10hipError_tT0_T1_T2_jT3_P12ihipStream_tbPNSt15iterator_traitsISK_E10value_typeEPNSQ_ISL_E10value_typeEPSM_NS1_7vsmem_tEENKUlT_SK_SL_SM_E_clISE_PiSF_SF_EESJ_SZ_SK_SL_SM_EUlSZ_E0_NS1_11comp_targetILNS1_3genE3ELNS1_11target_archE908ELNS1_3gpuE7ELNS1_3repE0EEENS1_38merge_mergepath_config_static_selectorELNS0_4arch9wavefront6targetE0EEEvSL_.num_agpr, 0
	.set _ZN7rocprim17ROCPRIM_400000_NS6detail17trampoline_kernelINS0_14default_configENS1_38merge_sort_block_merge_config_selectorIiNS0_10empty_typeEEEZZNS1_27merge_sort_block_merge_implIS3_N6thrust23THRUST_200600_302600_NS6detail15normal_iteratorINS9_10device_ptrIiEEEEPS5_jNS1_19radix_merge_compareILb0ELb1EiNS0_19identity_decomposerEEEEE10hipError_tT0_T1_T2_jT3_P12ihipStream_tbPNSt15iterator_traitsISK_E10value_typeEPNSQ_ISL_E10value_typeEPSM_NS1_7vsmem_tEENKUlT_SK_SL_SM_E_clISE_PiSF_SF_EESJ_SZ_SK_SL_SM_EUlSZ_E0_NS1_11comp_targetILNS1_3genE3ELNS1_11target_archE908ELNS1_3gpuE7ELNS1_3repE0EEENS1_38merge_mergepath_config_static_selectorELNS0_4arch9wavefront6targetE0EEEvSL_.numbered_sgpr, 0
	.set _ZN7rocprim17ROCPRIM_400000_NS6detail17trampoline_kernelINS0_14default_configENS1_38merge_sort_block_merge_config_selectorIiNS0_10empty_typeEEEZZNS1_27merge_sort_block_merge_implIS3_N6thrust23THRUST_200600_302600_NS6detail15normal_iteratorINS9_10device_ptrIiEEEEPS5_jNS1_19radix_merge_compareILb0ELb1EiNS0_19identity_decomposerEEEEE10hipError_tT0_T1_T2_jT3_P12ihipStream_tbPNSt15iterator_traitsISK_E10value_typeEPNSQ_ISL_E10value_typeEPSM_NS1_7vsmem_tEENKUlT_SK_SL_SM_E_clISE_PiSF_SF_EESJ_SZ_SK_SL_SM_EUlSZ_E0_NS1_11comp_targetILNS1_3genE3ELNS1_11target_archE908ELNS1_3gpuE7ELNS1_3repE0EEENS1_38merge_mergepath_config_static_selectorELNS0_4arch9wavefront6targetE0EEEvSL_.num_named_barrier, 0
	.set _ZN7rocprim17ROCPRIM_400000_NS6detail17trampoline_kernelINS0_14default_configENS1_38merge_sort_block_merge_config_selectorIiNS0_10empty_typeEEEZZNS1_27merge_sort_block_merge_implIS3_N6thrust23THRUST_200600_302600_NS6detail15normal_iteratorINS9_10device_ptrIiEEEEPS5_jNS1_19radix_merge_compareILb0ELb1EiNS0_19identity_decomposerEEEEE10hipError_tT0_T1_T2_jT3_P12ihipStream_tbPNSt15iterator_traitsISK_E10value_typeEPNSQ_ISL_E10value_typeEPSM_NS1_7vsmem_tEENKUlT_SK_SL_SM_E_clISE_PiSF_SF_EESJ_SZ_SK_SL_SM_EUlSZ_E0_NS1_11comp_targetILNS1_3genE3ELNS1_11target_archE908ELNS1_3gpuE7ELNS1_3repE0EEENS1_38merge_mergepath_config_static_selectorELNS0_4arch9wavefront6targetE0EEEvSL_.private_seg_size, 0
	.set _ZN7rocprim17ROCPRIM_400000_NS6detail17trampoline_kernelINS0_14default_configENS1_38merge_sort_block_merge_config_selectorIiNS0_10empty_typeEEEZZNS1_27merge_sort_block_merge_implIS3_N6thrust23THRUST_200600_302600_NS6detail15normal_iteratorINS9_10device_ptrIiEEEEPS5_jNS1_19radix_merge_compareILb0ELb1EiNS0_19identity_decomposerEEEEE10hipError_tT0_T1_T2_jT3_P12ihipStream_tbPNSt15iterator_traitsISK_E10value_typeEPNSQ_ISL_E10value_typeEPSM_NS1_7vsmem_tEENKUlT_SK_SL_SM_E_clISE_PiSF_SF_EESJ_SZ_SK_SL_SM_EUlSZ_E0_NS1_11comp_targetILNS1_3genE3ELNS1_11target_archE908ELNS1_3gpuE7ELNS1_3repE0EEENS1_38merge_mergepath_config_static_selectorELNS0_4arch9wavefront6targetE0EEEvSL_.uses_vcc, 0
	.set _ZN7rocprim17ROCPRIM_400000_NS6detail17trampoline_kernelINS0_14default_configENS1_38merge_sort_block_merge_config_selectorIiNS0_10empty_typeEEEZZNS1_27merge_sort_block_merge_implIS3_N6thrust23THRUST_200600_302600_NS6detail15normal_iteratorINS9_10device_ptrIiEEEEPS5_jNS1_19radix_merge_compareILb0ELb1EiNS0_19identity_decomposerEEEEE10hipError_tT0_T1_T2_jT3_P12ihipStream_tbPNSt15iterator_traitsISK_E10value_typeEPNSQ_ISL_E10value_typeEPSM_NS1_7vsmem_tEENKUlT_SK_SL_SM_E_clISE_PiSF_SF_EESJ_SZ_SK_SL_SM_EUlSZ_E0_NS1_11comp_targetILNS1_3genE3ELNS1_11target_archE908ELNS1_3gpuE7ELNS1_3repE0EEENS1_38merge_mergepath_config_static_selectorELNS0_4arch9wavefront6targetE0EEEvSL_.uses_flat_scratch, 0
	.set _ZN7rocprim17ROCPRIM_400000_NS6detail17trampoline_kernelINS0_14default_configENS1_38merge_sort_block_merge_config_selectorIiNS0_10empty_typeEEEZZNS1_27merge_sort_block_merge_implIS3_N6thrust23THRUST_200600_302600_NS6detail15normal_iteratorINS9_10device_ptrIiEEEEPS5_jNS1_19radix_merge_compareILb0ELb1EiNS0_19identity_decomposerEEEEE10hipError_tT0_T1_T2_jT3_P12ihipStream_tbPNSt15iterator_traitsISK_E10value_typeEPNSQ_ISL_E10value_typeEPSM_NS1_7vsmem_tEENKUlT_SK_SL_SM_E_clISE_PiSF_SF_EESJ_SZ_SK_SL_SM_EUlSZ_E0_NS1_11comp_targetILNS1_3genE3ELNS1_11target_archE908ELNS1_3gpuE7ELNS1_3repE0EEENS1_38merge_mergepath_config_static_selectorELNS0_4arch9wavefront6targetE0EEEvSL_.has_dyn_sized_stack, 0
	.set _ZN7rocprim17ROCPRIM_400000_NS6detail17trampoline_kernelINS0_14default_configENS1_38merge_sort_block_merge_config_selectorIiNS0_10empty_typeEEEZZNS1_27merge_sort_block_merge_implIS3_N6thrust23THRUST_200600_302600_NS6detail15normal_iteratorINS9_10device_ptrIiEEEEPS5_jNS1_19radix_merge_compareILb0ELb1EiNS0_19identity_decomposerEEEEE10hipError_tT0_T1_T2_jT3_P12ihipStream_tbPNSt15iterator_traitsISK_E10value_typeEPNSQ_ISL_E10value_typeEPSM_NS1_7vsmem_tEENKUlT_SK_SL_SM_E_clISE_PiSF_SF_EESJ_SZ_SK_SL_SM_EUlSZ_E0_NS1_11comp_targetILNS1_3genE3ELNS1_11target_archE908ELNS1_3gpuE7ELNS1_3repE0EEENS1_38merge_mergepath_config_static_selectorELNS0_4arch9wavefront6targetE0EEEvSL_.has_recursion, 0
	.set _ZN7rocprim17ROCPRIM_400000_NS6detail17trampoline_kernelINS0_14default_configENS1_38merge_sort_block_merge_config_selectorIiNS0_10empty_typeEEEZZNS1_27merge_sort_block_merge_implIS3_N6thrust23THRUST_200600_302600_NS6detail15normal_iteratorINS9_10device_ptrIiEEEEPS5_jNS1_19radix_merge_compareILb0ELb1EiNS0_19identity_decomposerEEEEE10hipError_tT0_T1_T2_jT3_P12ihipStream_tbPNSt15iterator_traitsISK_E10value_typeEPNSQ_ISL_E10value_typeEPSM_NS1_7vsmem_tEENKUlT_SK_SL_SM_E_clISE_PiSF_SF_EESJ_SZ_SK_SL_SM_EUlSZ_E0_NS1_11comp_targetILNS1_3genE3ELNS1_11target_archE908ELNS1_3gpuE7ELNS1_3repE0EEENS1_38merge_mergepath_config_static_selectorELNS0_4arch9wavefront6targetE0EEEvSL_.has_indirect_call, 0
	.section	.AMDGPU.csdata,"",@progbits
; Kernel info:
; codeLenInByte = 0
; TotalNumSgprs: 0
; NumVgprs: 0
; ScratchSize: 0
; MemoryBound: 0
; FloatMode: 240
; IeeeMode: 1
; LDSByteSize: 0 bytes/workgroup (compile time only)
; SGPRBlocks: 0
; VGPRBlocks: 0
; NumSGPRsForWavesPerEU: 1
; NumVGPRsForWavesPerEU: 1
; Occupancy: 16
; WaveLimiterHint : 0
; COMPUTE_PGM_RSRC2:SCRATCH_EN: 0
; COMPUTE_PGM_RSRC2:USER_SGPR: 6
; COMPUTE_PGM_RSRC2:TRAP_HANDLER: 0
; COMPUTE_PGM_RSRC2:TGID_X_EN: 1
; COMPUTE_PGM_RSRC2:TGID_Y_EN: 0
; COMPUTE_PGM_RSRC2:TGID_Z_EN: 0
; COMPUTE_PGM_RSRC2:TIDIG_COMP_CNT: 0
	.section	.text._ZN7rocprim17ROCPRIM_400000_NS6detail17trampoline_kernelINS0_14default_configENS1_38merge_sort_block_merge_config_selectorIiNS0_10empty_typeEEEZZNS1_27merge_sort_block_merge_implIS3_N6thrust23THRUST_200600_302600_NS6detail15normal_iteratorINS9_10device_ptrIiEEEEPS5_jNS1_19radix_merge_compareILb0ELb1EiNS0_19identity_decomposerEEEEE10hipError_tT0_T1_T2_jT3_P12ihipStream_tbPNSt15iterator_traitsISK_E10value_typeEPNSQ_ISL_E10value_typeEPSM_NS1_7vsmem_tEENKUlT_SK_SL_SM_E_clISE_PiSF_SF_EESJ_SZ_SK_SL_SM_EUlSZ_E0_NS1_11comp_targetILNS1_3genE2ELNS1_11target_archE906ELNS1_3gpuE6ELNS1_3repE0EEENS1_38merge_mergepath_config_static_selectorELNS0_4arch9wavefront6targetE0EEEvSL_,"axG",@progbits,_ZN7rocprim17ROCPRIM_400000_NS6detail17trampoline_kernelINS0_14default_configENS1_38merge_sort_block_merge_config_selectorIiNS0_10empty_typeEEEZZNS1_27merge_sort_block_merge_implIS3_N6thrust23THRUST_200600_302600_NS6detail15normal_iteratorINS9_10device_ptrIiEEEEPS5_jNS1_19radix_merge_compareILb0ELb1EiNS0_19identity_decomposerEEEEE10hipError_tT0_T1_T2_jT3_P12ihipStream_tbPNSt15iterator_traitsISK_E10value_typeEPNSQ_ISL_E10value_typeEPSM_NS1_7vsmem_tEENKUlT_SK_SL_SM_E_clISE_PiSF_SF_EESJ_SZ_SK_SL_SM_EUlSZ_E0_NS1_11comp_targetILNS1_3genE2ELNS1_11target_archE906ELNS1_3gpuE6ELNS1_3repE0EEENS1_38merge_mergepath_config_static_selectorELNS0_4arch9wavefront6targetE0EEEvSL_,comdat
	.protected	_ZN7rocprim17ROCPRIM_400000_NS6detail17trampoline_kernelINS0_14default_configENS1_38merge_sort_block_merge_config_selectorIiNS0_10empty_typeEEEZZNS1_27merge_sort_block_merge_implIS3_N6thrust23THRUST_200600_302600_NS6detail15normal_iteratorINS9_10device_ptrIiEEEEPS5_jNS1_19radix_merge_compareILb0ELb1EiNS0_19identity_decomposerEEEEE10hipError_tT0_T1_T2_jT3_P12ihipStream_tbPNSt15iterator_traitsISK_E10value_typeEPNSQ_ISL_E10value_typeEPSM_NS1_7vsmem_tEENKUlT_SK_SL_SM_E_clISE_PiSF_SF_EESJ_SZ_SK_SL_SM_EUlSZ_E0_NS1_11comp_targetILNS1_3genE2ELNS1_11target_archE906ELNS1_3gpuE6ELNS1_3repE0EEENS1_38merge_mergepath_config_static_selectorELNS0_4arch9wavefront6targetE0EEEvSL_ ; -- Begin function _ZN7rocprim17ROCPRIM_400000_NS6detail17trampoline_kernelINS0_14default_configENS1_38merge_sort_block_merge_config_selectorIiNS0_10empty_typeEEEZZNS1_27merge_sort_block_merge_implIS3_N6thrust23THRUST_200600_302600_NS6detail15normal_iteratorINS9_10device_ptrIiEEEEPS5_jNS1_19radix_merge_compareILb0ELb1EiNS0_19identity_decomposerEEEEE10hipError_tT0_T1_T2_jT3_P12ihipStream_tbPNSt15iterator_traitsISK_E10value_typeEPNSQ_ISL_E10value_typeEPSM_NS1_7vsmem_tEENKUlT_SK_SL_SM_E_clISE_PiSF_SF_EESJ_SZ_SK_SL_SM_EUlSZ_E0_NS1_11comp_targetILNS1_3genE2ELNS1_11target_archE906ELNS1_3gpuE6ELNS1_3repE0EEENS1_38merge_mergepath_config_static_selectorELNS0_4arch9wavefront6targetE0EEEvSL_
	.globl	_ZN7rocprim17ROCPRIM_400000_NS6detail17trampoline_kernelINS0_14default_configENS1_38merge_sort_block_merge_config_selectorIiNS0_10empty_typeEEEZZNS1_27merge_sort_block_merge_implIS3_N6thrust23THRUST_200600_302600_NS6detail15normal_iteratorINS9_10device_ptrIiEEEEPS5_jNS1_19radix_merge_compareILb0ELb1EiNS0_19identity_decomposerEEEEE10hipError_tT0_T1_T2_jT3_P12ihipStream_tbPNSt15iterator_traitsISK_E10value_typeEPNSQ_ISL_E10value_typeEPSM_NS1_7vsmem_tEENKUlT_SK_SL_SM_E_clISE_PiSF_SF_EESJ_SZ_SK_SL_SM_EUlSZ_E0_NS1_11comp_targetILNS1_3genE2ELNS1_11target_archE906ELNS1_3gpuE6ELNS1_3repE0EEENS1_38merge_mergepath_config_static_selectorELNS0_4arch9wavefront6targetE0EEEvSL_
	.p2align	8
	.type	_ZN7rocprim17ROCPRIM_400000_NS6detail17trampoline_kernelINS0_14default_configENS1_38merge_sort_block_merge_config_selectorIiNS0_10empty_typeEEEZZNS1_27merge_sort_block_merge_implIS3_N6thrust23THRUST_200600_302600_NS6detail15normal_iteratorINS9_10device_ptrIiEEEEPS5_jNS1_19radix_merge_compareILb0ELb1EiNS0_19identity_decomposerEEEEE10hipError_tT0_T1_T2_jT3_P12ihipStream_tbPNSt15iterator_traitsISK_E10value_typeEPNSQ_ISL_E10value_typeEPSM_NS1_7vsmem_tEENKUlT_SK_SL_SM_E_clISE_PiSF_SF_EESJ_SZ_SK_SL_SM_EUlSZ_E0_NS1_11comp_targetILNS1_3genE2ELNS1_11target_archE906ELNS1_3gpuE6ELNS1_3repE0EEENS1_38merge_mergepath_config_static_selectorELNS0_4arch9wavefront6targetE0EEEvSL_,@function
_ZN7rocprim17ROCPRIM_400000_NS6detail17trampoline_kernelINS0_14default_configENS1_38merge_sort_block_merge_config_selectorIiNS0_10empty_typeEEEZZNS1_27merge_sort_block_merge_implIS3_N6thrust23THRUST_200600_302600_NS6detail15normal_iteratorINS9_10device_ptrIiEEEEPS5_jNS1_19radix_merge_compareILb0ELb1EiNS0_19identity_decomposerEEEEE10hipError_tT0_T1_T2_jT3_P12ihipStream_tbPNSt15iterator_traitsISK_E10value_typeEPNSQ_ISL_E10value_typeEPSM_NS1_7vsmem_tEENKUlT_SK_SL_SM_E_clISE_PiSF_SF_EESJ_SZ_SK_SL_SM_EUlSZ_E0_NS1_11comp_targetILNS1_3genE2ELNS1_11target_archE906ELNS1_3gpuE6ELNS1_3repE0EEENS1_38merge_mergepath_config_static_selectorELNS0_4arch9wavefront6targetE0EEEvSL_: ; @_ZN7rocprim17ROCPRIM_400000_NS6detail17trampoline_kernelINS0_14default_configENS1_38merge_sort_block_merge_config_selectorIiNS0_10empty_typeEEEZZNS1_27merge_sort_block_merge_implIS3_N6thrust23THRUST_200600_302600_NS6detail15normal_iteratorINS9_10device_ptrIiEEEEPS5_jNS1_19radix_merge_compareILb0ELb1EiNS0_19identity_decomposerEEEEE10hipError_tT0_T1_T2_jT3_P12ihipStream_tbPNSt15iterator_traitsISK_E10value_typeEPNSQ_ISL_E10value_typeEPSM_NS1_7vsmem_tEENKUlT_SK_SL_SM_E_clISE_PiSF_SF_EESJ_SZ_SK_SL_SM_EUlSZ_E0_NS1_11comp_targetILNS1_3genE2ELNS1_11target_archE906ELNS1_3gpuE6ELNS1_3repE0EEENS1_38merge_mergepath_config_static_selectorELNS0_4arch9wavefront6targetE0EEEvSL_
; %bb.0:
	.section	.rodata,"a",@progbits
	.p2align	6, 0x0
	.amdhsa_kernel _ZN7rocprim17ROCPRIM_400000_NS6detail17trampoline_kernelINS0_14default_configENS1_38merge_sort_block_merge_config_selectorIiNS0_10empty_typeEEEZZNS1_27merge_sort_block_merge_implIS3_N6thrust23THRUST_200600_302600_NS6detail15normal_iteratorINS9_10device_ptrIiEEEEPS5_jNS1_19radix_merge_compareILb0ELb1EiNS0_19identity_decomposerEEEEE10hipError_tT0_T1_T2_jT3_P12ihipStream_tbPNSt15iterator_traitsISK_E10value_typeEPNSQ_ISL_E10value_typeEPSM_NS1_7vsmem_tEENKUlT_SK_SL_SM_E_clISE_PiSF_SF_EESJ_SZ_SK_SL_SM_EUlSZ_E0_NS1_11comp_targetILNS1_3genE2ELNS1_11target_archE906ELNS1_3gpuE6ELNS1_3repE0EEENS1_38merge_mergepath_config_static_selectorELNS0_4arch9wavefront6targetE0EEEvSL_
		.amdhsa_group_segment_fixed_size 0
		.amdhsa_private_segment_fixed_size 0
		.amdhsa_kernarg_size 64
		.amdhsa_user_sgpr_count 6
		.amdhsa_user_sgpr_private_segment_buffer 1
		.amdhsa_user_sgpr_dispatch_ptr 0
		.amdhsa_user_sgpr_queue_ptr 0
		.amdhsa_user_sgpr_kernarg_segment_ptr 1
		.amdhsa_user_sgpr_dispatch_id 0
		.amdhsa_user_sgpr_flat_scratch_init 0
		.amdhsa_user_sgpr_private_segment_size 0
		.amdhsa_wavefront_size32 1
		.amdhsa_uses_dynamic_stack 0
		.amdhsa_system_sgpr_private_segment_wavefront_offset 0
		.amdhsa_system_sgpr_workgroup_id_x 1
		.amdhsa_system_sgpr_workgroup_id_y 0
		.amdhsa_system_sgpr_workgroup_id_z 0
		.amdhsa_system_sgpr_workgroup_info 0
		.amdhsa_system_vgpr_workitem_id 0
		.amdhsa_next_free_vgpr 1
		.amdhsa_next_free_sgpr 1
		.amdhsa_reserve_vcc 0
		.amdhsa_reserve_flat_scratch 0
		.amdhsa_float_round_mode_32 0
		.amdhsa_float_round_mode_16_64 0
		.amdhsa_float_denorm_mode_32 3
		.amdhsa_float_denorm_mode_16_64 3
		.amdhsa_dx10_clamp 1
		.amdhsa_ieee_mode 1
		.amdhsa_fp16_overflow 0
		.amdhsa_workgroup_processor_mode 1
		.amdhsa_memory_ordered 1
		.amdhsa_forward_progress 1
		.amdhsa_shared_vgpr_count 0
		.amdhsa_exception_fp_ieee_invalid_op 0
		.amdhsa_exception_fp_denorm_src 0
		.amdhsa_exception_fp_ieee_div_zero 0
		.amdhsa_exception_fp_ieee_overflow 0
		.amdhsa_exception_fp_ieee_underflow 0
		.amdhsa_exception_fp_ieee_inexact 0
		.amdhsa_exception_int_div_zero 0
	.end_amdhsa_kernel
	.section	.text._ZN7rocprim17ROCPRIM_400000_NS6detail17trampoline_kernelINS0_14default_configENS1_38merge_sort_block_merge_config_selectorIiNS0_10empty_typeEEEZZNS1_27merge_sort_block_merge_implIS3_N6thrust23THRUST_200600_302600_NS6detail15normal_iteratorINS9_10device_ptrIiEEEEPS5_jNS1_19radix_merge_compareILb0ELb1EiNS0_19identity_decomposerEEEEE10hipError_tT0_T1_T2_jT3_P12ihipStream_tbPNSt15iterator_traitsISK_E10value_typeEPNSQ_ISL_E10value_typeEPSM_NS1_7vsmem_tEENKUlT_SK_SL_SM_E_clISE_PiSF_SF_EESJ_SZ_SK_SL_SM_EUlSZ_E0_NS1_11comp_targetILNS1_3genE2ELNS1_11target_archE906ELNS1_3gpuE6ELNS1_3repE0EEENS1_38merge_mergepath_config_static_selectorELNS0_4arch9wavefront6targetE0EEEvSL_,"axG",@progbits,_ZN7rocprim17ROCPRIM_400000_NS6detail17trampoline_kernelINS0_14default_configENS1_38merge_sort_block_merge_config_selectorIiNS0_10empty_typeEEEZZNS1_27merge_sort_block_merge_implIS3_N6thrust23THRUST_200600_302600_NS6detail15normal_iteratorINS9_10device_ptrIiEEEEPS5_jNS1_19radix_merge_compareILb0ELb1EiNS0_19identity_decomposerEEEEE10hipError_tT0_T1_T2_jT3_P12ihipStream_tbPNSt15iterator_traitsISK_E10value_typeEPNSQ_ISL_E10value_typeEPSM_NS1_7vsmem_tEENKUlT_SK_SL_SM_E_clISE_PiSF_SF_EESJ_SZ_SK_SL_SM_EUlSZ_E0_NS1_11comp_targetILNS1_3genE2ELNS1_11target_archE906ELNS1_3gpuE6ELNS1_3repE0EEENS1_38merge_mergepath_config_static_selectorELNS0_4arch9wavefront6targetE0EEEvSL_,comdat
.Lfunc_end121:
	.size	_ZN7rocprim17ROCPRIM_400000_NS6detail17trampoline_kernelINS0_14default_configENS1_38merge_sort_block_merge_config_selectorIiNS0_10empty_typeEEEZZNS1_27merge_sort_block_merge_implIS3_N6thrust23THRUST_200600_302600_NS6detail15normal_iteratorINS9_10device_ptrIiEEEEPS5_jNS1_19radix_merge_compareILb0ELb1EiNS0_19identity_decomposerEEEEE10hipError_tT0_T1_T2_jT3_P12ihipStream_tbPNSt15iterator_traitsISK_E10value_typeEPNSQ_ISL_E10value_typeEPSM_NS1_7vsmem_tEENKUlT_SK_SL_SM_E_clISE_PiSF_SF_EESJ_SZ_SK_SL_SM_EUlSZ_E0_NS1_11comp_targetILNS1_3genE2ELNS1_11target_archE906ELNS1_3gpuE6ELNS1_3repE0EEENS1_38merge_mergepath_config_static_selectorELNS0_4arch9wavefront6targetE0EEEvSL_, .Lfunc_end121-_ZN7rocprim17ROCPRIM_400000_NS6detail17trampoline_kernelINS0_14default_configENS1_38merge_sort_block_merge_config_selectorIiNS0_10empty_typeEEEZZNS1_27merge_sort_block_merge_implIS3_N6thrust23THRUST_200600_302600_NS6detail15normal_iteratorINS9_10device_ptrIiEEEEPS5_jNS1_19radix_merge_compareILb0ELb1EiNS0_19identity_decomposerEEEEE10hipError_tT0_T1_T2_jT3_P12ihipStream_tbPNSt15iterator_traitsISK_E10value_typeEPNSQ_ISL_E10value_typeEPSM_NS1_7vsmem_tEENKUlT_SK_SL_SM_E_clISE_PiSF_SF_EESJ_SZ_SK_SL_SM_EUlSZ_E0_NS1_11comp_targetILNS1_3genE2ELNS1_11target_archE906ELNS1_3gpuE6ELNS1_3repE0EEENS1_38merge_mergepath_config_static_selectorELNS0_4arch9wavefront6targetE0EEEvSL_
                                        ; -- End function
	.set _ZN7rocprim17ROCPRIM_400000_NS6detail17trampoline_kernelINS0_14default_configENS1_38merge_sort_block_merge_config_selectorIiNS0_10empty_typeEEEZZNS1_27merge_sort_block_merge_implIS3_N6thrust23THRUST_200600_302600_NS6detail15normal_iteratorINS9_10device_ptrIiEEEEPS5_jNS1_19radix_merge_compareILb0ELb1EiNS0_19identity_decomposerEEEEE10hipError_tT0_T1_T2_jT3_P12ihipStream_tbPNSt15iterator_traitsISK_E10value_typeEPNSQ_ISL_E10value_typeEPSM_NS1_7vsmem_tEENKUlT_SK_SL_SM_E_clISE_PiSF_SF_EESJ_SZ_SK_SL_SM_EUlSZ_E0_NS1_11comp_targetILNS1_3genE2ELNS1_11target_archE906ELNS1_3gpuE6ELNS1_3repE0EEENS1_38merge_mergepath_config_static_selectorELNS0_4arch9wavefront6targetE0EEEvSL_.num_vgpr, 0
	.set _ZN7rocprim17ROCPRIM_400000_NS6detail17trampoline_kernelINS0_14default_configENS1_38merge_sort_block_merge_config_selectorIiNS0_10empty_typeEEEZZNS1_27merge_sort_block_merge_implIS3_N6thrust23THRUST_200600_302600_NS6detail15normal_iteratorINS9_10device_ptrIiEEEEPS5_jNS1_19radix_merge_compareILb0ELb1EiNS0_19identity_decomposerEEEEE10hipError_tT0_T1_T2_jT3_P12ihipStream_tbPNSt15iterator_traitsISK_E10value_typeEPNSQ_ISL_E10value_typeEPSM_NS1_7vsmem_tEENKUlT_SK_SL_SM_E_clISE_PiSF_SF_EESJ_SZ_SK_SL_SM_EUlSZ_E0_NS1_11comp_targetILNS1_3genE2ELNS1_11target_archE906ELNS1_3gpuE6ELNS1_3repE0EEENS1_38merge_mergepath_config_static_selectorELNS0_4arch9wavefront6targetE0EEEvSL_.num_agpr, 0
	.set _ZN7rocprim17ROCPRIM_400000_NS6detail17trampoline_kernelINS0_14default_configENS1_38merge_sort_block_merge_config_selectorIiNS0_10empty_typeEEEZZNS1_27merge_sort_block_merge_implIS3_N6thrust23THRUST_200600_302600_NS6detail15normal_iteratorINS9_10device_ptrIiEEEEPS5_jNS1_19radix_merge_compareILb0ELb1EiNS0_19identity_decomposerEEEEE10hipError_tT0_T1_T2_jT3_P12ihipStream_tbPNSt15iterator_traitsISK_E10value_typeEPNSQ_ISL_E10value_typeEPSM_NS1_7vsmem_tEENKUlT_SK_SL_SM_E_clISE_PiSF_SF_EESJ_SZ_SK_SL_SM_EUlSZ_E0_NS1_11comp_targetILNS1_3genE2ELNS1_11target_archE906ELNS1_3gpuE6ELNS1_3repE0EEENS1_38merge_mergepath_config_static_selectorELNS0_4arch9wavefront6targetE0EEEvSL_.numbered_sgpr, 0
	.set _ZN7rocprim17ROCPRIM_400000_NS6detail17trampoline_kernelINS0_14default_configENS1_38merge_sort_block_merge_config_selectorIiNS0_10empty_typeEEEZZNS1_27merge_sort_block_merge_implIS3_N6thrust23THRUST_200600_302600_NS6detail15normal_iteratorINS9_10device_ptrIiEEEEPS5_jNS1_19radix_merge_compareILb0ELb1EiNS0_19identity_decomposerEEEEE10hipError_tT0_T1_T2_jT3_P12ihipStream_tbPNSt15iterator_traitsISK_E10value_typeEPNSQ_ISL_E10value_typeEPSM_NS1_7vsmem_tEENKUlT_SK_SL_SM_E_clISE_PiSF_SF_EESJ_SZ_SK_SL_SM_EUlSZ_E0_NS1_11comp_targetILNS1_3genE2ELNS1_11target_archE906ELNS1_3gpuE6ELNS1_3repE0EEENS1_38merge_mergepath_config_static_selectorELNS0_4arch9wavefront6targetE0EEEvSL_.num_named_barrier, 0
	.set _ZN7rocprim17ROCPRIM_400000_NS6detail17trampoline_kernelINS0_14default_configENS1_38merge_sort_block_merge_config_selectorIiNS0_10empty_typeEEEZZNS1_27merge_sort_block_merge_implIS3_N6thrust23THRUST_200600_302600_NS6detail15normal_iteratorINS9_10device_ptrIiEEEEPS5_jNS1_19radix_merge_compareILb0ELb1EiNS0_19identity_decomposerEEEEE10hipError_tT0_T1_T2_jT3_P12ihipStream_tbPNSt15iterator_traitsISK_E10value_typeEPNSQ_ISL_E10value_typeEPSM_NS1_7vsmem_tEENKUlT_SK_SL_SM_E_clISE_PiSF_SF_EESJ_SZ_SK_SL_SM_EUlSZ_E0_NS1_11comp_targetILNS1_3genE2ELNS1_11target_archE906ELNS1_3gpuE6ELNS1_3repE0EEENS1_38merge_mergepath_config_static_selectorELNS0_4arch9wavefront6targetE0EEEvSL_.private_seg_size, 0
	.set _ZN7rocprim17ROCPRIM_400000_NS6detail17trampoline_kernelINS0_14default_configENS1_38merge_sort_block_merge_config_selectorIiNS0_10empty_typeEEEZZNS1_27merge_sort_block_merge_implIS3_N6thrust23THRUST_200600_302600_NS6detail15normal_iteratorINS9_10device_ptrIiEEEEPS5_jNS1_19radix_merge_compareILb0ELb1EiNS0_19identity_decomposerEEEEE10hipError_tT0_T1_T2_jT3_P12ihipStream_tbPNSt15iterator_traitsISK_E10value_typeEPNSQ_ISL_E10value_typeEPSM_NS1_7vsmem_tEENKUlT_SK_SL_SM_E_clISE_PiSF_SF_EESJ_SZ_SK_SL_SM_EUlSZ_E0_NS1_11comp_targetILNS1_3genE2ELNS1_11target_archE906ELNS1_3gpuE6ELNS1_3repE0EEENS1_38merge_mergepath_config_static_selectorELNS0_4arch9wavefront6targetE0EEEvSL_.uses_vcc, 0
	.set _ZN7rocprim17ROCPRIM_400000_NS6detail17trampoline_kernelINS0_14default_configENS1_38merge_sort_block_merge_config_selectorIiNS0_10empty_typeEEEZZNS1_27merge_sort_block_merge_implIS3_N6thrust23THRUST_200600_302600_NS6detail15normal_iteratorINS9_10device_ptrIiEEEEPS5_jNS1_19radix_merge_compareILb0ELb1EiNS0_19identity_decomposerEEEEE10hipError_tT0_T1_T2_jT3_P12ihipStream_tbPNSt15iterator_traitsISK_E10value_typeEPNSQ_ISL_E10value_typeEPSM_NS1_7vsmem_tEENKUlT_SK_SL_SM_E_clISE_PiSF_SF_EESJ_SZ_SK_SL_SM_EUlSZ_E0_NS1_11comp_targetILNS1_3genE2ELNS1_11target_archE906ELNS1_3gpuE6ELNS1_3repE0EEENS1_38merge_mergepath_config_static_selectorELNS0_4arch9wavefront6targetE0EEEvSL_.uses_flat_scratch, 0
	.set _ZN7rocprim17ROCPRIM_400000_NS6detail17trampoline_kernelINS0_14default_configENS1_38merge_sort_block_merge_config_selectorIiNS0_10empty_typeEEEZZNS1_27merge_sort_block_merge_implIS3_N6thrust23THRUST_200600_302600_NS6detail15normal_iteratorINS9_10device_ptrIiEEEEPS5_jNS1_19radix_merge_compareILb0ELb1EiNS0_19identity_decomposerEEEEE10hipError_tT0_T1_T2_jT3_P12ihipStream_tbPNSt15iterator_traitsISK_E10value_typeEPNSQ_ISL_E10value_typeEPSM_NS1_7vsmem_tEENKUlT_SK_SL_SM_E_clISE_PiSF_SF_EESJ_SZ_SK_SL_SM_EUlSZ_E0_NS1_11comp_targetILNS1_3genE2ELNS1_11target_archE906ELNS1_3gpuE6ELNS1_3repE0EEENS1_38merge_mergepath_config_static_selectorELNS0_4arch9wavefront6targetE0EEEvSL_.has_dyn_sized_stack, 0
	.set _ZN7rocprim17ROCPRIM_400000_NS6detail17trampoline_kernelINS0_14default_configENS1_38merge_sort_block_merge_config_selectorIiNS0_10empty_typeEEEZZNS1_27merge_sort_block_merge_implIS3_N6thrust23THRUST_200600_302600_NS6detail15normal_iteratorINS9_10device_ptrIiEEEEPS5_jNS1_19radix_merge_compareILb0ELb1EiNS0_19identity_decomposerEEEEE10hipError_tT0_T1_T2_jT3_P12ihipStream_tbPNSt15iterator_traitsISK_E10value_typeEPNSQ_ISL_E10value_typeEPSM_NS1_7vsmem_tEENKUlT_SK_SL_SM_E_clISE_PiSF_SF_EESJ_SZ_SK_SL_SM_EUlSZ_E0_NS1_11comp_targetILNS1_3genE2ELNS1_11target_archE906ELNS1_3gpuE6ELNS1_3repE0EEENS1_38merge_mergepath_config_static_selectorELNS0_4arch9wavefront6targetE0EEEvSL_.has_recursion, 0
	.set _ZN7rocprim17ROCPRIM_400000_NS6detail17trampoline_kernelINS0_14default_configENS1_38merge_sort_block_merge_config_selectorIiNS0_10empty_typeEEEZZNS1_27merge_sort_block_merge_implIS3_N6thrust23THRUST_200600_302600_NS6detail15normal_iteratorINS9_10device_ptrIiEEEEPS5_jNS1_19radix_merge_compareILb0ELb1EiNS0_19identity_decomposerEEEEE10hipError_tT0_T1_T2_jT3_P12ihipStream_tbPNSt15iterator_traitsISK_E10value_typeEPNSQ_ISL_E10value_typeEPSM_NS1_7vsmem_tEENKUlT_SK_SL_SM_E_clISE_PiSF_SF_EESJ_SZ_SK_SL_SM_EUlSZ_E0_NS1_11comp_targetILNS1_3genE2ELNS1_11target_archE906ELNS1_3gpuE6ELNS1_3repE0EEENS1_38merge_mergepath_config_static_selectorELNS0_4arch9wavefront6targetE0EEEvSL_.has_indirect_call, 0
	.section	.AMDGPU.csdata,"",@progbits
; Kernel info:
; codeLenInByte = 0
; TotalNumSgprs: 0
; NumVgprs: 0
; ScratchSize: 0
; MemoryBound: 0
; FloatMode: 240
; IeeeMode: 1
; LDSByteSize: 0 bytes/workgroup (compile time only)
; SGPRBlocks: 0
; VGPRBlocks: 0
; NumSGPRsForWavesPerEU: 1
; NumVGPRsForWavesPerEU: 1
; Occupancy: 16
; WaveLimiterHint : 0
; COMPUTE_PGM_RSRC2:SCRATCH_EN: 0
; COMPUTE_PGM_RSRC2:USER_SGPR: 6
; COMPUTE_PGM_RSRC2:TRAP_HANDLER: 0
; COMPUTE_PGM_RSRC2:TGID_X_EN: 1
; COMPUTE_PGM_RSRC2:TGID_Y_EN: 0
; COMPUTE_PGM_RSRC2:TGID_Z_EN: 0
; COMPUTE_PGM_RSRC2:TIDIG_COMP_CNT: 0
	.section	.text._ZN7rocprim17ROCPRIM_400000_NS6detail17trampoline_kernelINS0_14default_configENS1_38merge_sort_block_merge_config_selectorIiNS0_10empty_typeEEEZZNS1_27merge_sort_block_merge_implIS3_N6thrust23THRUST_200600_302600_NS6detail15normal_iteratorINS9_10device_ptrIiEEEEPS5_jNS1_19radix_merge_compareILb0ELb1EiNS0_19identity_decomposerEEEEE10hipError_tT0_T1_T2_jT3_P12ihipStream_tbPNSt15iterator_traitsISK_E10value_typeEPNSQ_ISL_E10value_typeEPSM_NS1_7vsmem_tEENKUlT_SK_SL_SM_E_clISE_PiSF_SF_EESJ_SZ_SK_SL_SM_EUlSZ_E0_NS1_11comp_targetILNS1_3genE9ELNS1_11target_archE1100ELNS1_3gpuE3ELNS1_3repE0EEENS1_38merge_mergepath_config_static_selectorELNS0_4arch9wavefront6targetE0EEEvSL_,"axG",@progbits,_ZN7rocprim17ROCPRIM_400000_NS6detail17trampoline_kernelINS0_14default_configENS1_38merge_sort_block_merge_config_selectorIiNS0_10empty_typeEEEZZNS1_27merge_sort_block_merge_implIS3_N6thrust23THRUST_200600_302600_NS6detail15normal_iteratorINS9_10device_ptrIiEEEEPS5_jNS1_19radix_merge_compareILb0ELb1EiNS0_19identity_decomposerEEEEE10hipError_tT0_T1_T2_jT3_P12ihipStream_tbPNSt15iterator_traitsISK_E10value_typeEPNSQ_ISL_E10value_typeEPSM_NS1_7vsmem_tEENKUlT_SK_SL_SM_E_clISE_PiSF_SF_EESJ_SZ_SK_SL_SM_EUlSZ_E0_NS1_11comp_targetILNS1_3genE9ELNS1_11target_archE1100ELNS1_3gpuE3ELNS1_3repE0EEENS1_38merge_mergepath_config_static_selectorELNS0_4arch9wavefront6targetE0EEEvSL_,comdat
	.protected	_ZN7rocprim17ROCPRIM_400000_NS6detail17trampoline_kernelINS0_14default_configENS1_38merge_sort_block_merge_config_selectorIiNS0_10empty_typeEEEZZNS1_27merge_sort_block_merge_implIS3_N6thrust23THRUST_200600_302600_NS6detail15normal_iteratorINS9_10device_ptrIiEEEEPS5_jNS1_19radix_merge_compareILb0ELb1EiNS0_19identity_decomposerEEEEE10hipError_tT0_T1_T2_jT3_P12ihipStream_tbPNSt15iterator_traitsISK_E10value_typeEPNSQ_ISL_E10value_typeEPSM_NS1_7vsmem_tEENKUlT_SK_SL_SM_E_clISE_PiSF_SF_EESJ_SZ_SK_SL_SM_EUlSZ_E0_NS1_11comp_targetILNS1_3genE9ELNS1_11target_archE1100ELNS1_3gpuE3ELNS1_3repE0EEENS1_38merge_mergepath_config_static_selectorELNS0_4arch9wavefront6targetE0EEEvSL_ ; -- Begin function _ZN7rocprim17ROCPRIM_400000_NS6detail17trampoline_kernelINS0_14default_configENS1_38merge_sort_block_merge_config_selectorIiNS0_10empty_typeEEEZZNS1_27merge_sort_block_merge_implIS3_N6thrust23THRUST_200600_302600_NS6detail15normal_iteratorINS9_10device_ptrIiEEEEPS5_jNS1_19radix_merge_compareILb0ELb1EiNS0_19identity_decomposerEEEEE10hipError_tT0_T1_T2_jT3_P12ihipStream_tbPNSt15iterator_traitsISK_E10value_typeEPNSQ_ISL_E10value_typeEPSM_NS1_7vsmem_tEENKUlT_SK_SL_SM_E_clISE_PiSF_SF_EESJ_SZ_SK_SL_SM_EUlSZ_E0_NS1_11comp_targetILNS1_3genE9ELNS1_11target_archE1100ELNS1_3gpuE3ELNS1_3repE0EEENS1_38merge_mergepath_config_static_selectorELNS0_4arch9wavefront6targetE0EEEvSL_
	.globl	_ZN7rocprim17ROCPRIM_400000_NS6detail17trampoline_kernelINS0_14default_configENS1_38merge_sort_block_merge_config_selectorIiNS0_10empty_typeEEEZZNS1_27merge_sort_block_merge_implIS3_N6thrust23THRUST_200600_302600_NS6detail15normal_iteratorINS9_10device_ptrIiEEEEPS5_jNS1_19radix_merge_compareILb0ELb1EiNS0_19identity_decomposerEEEEE10hipError_tT0_T1_T2_jT3_P12ihipStream_tbPNSt15iterator_traitsISK_E10value_typeEPNSQ_ISL_E10value_typeEPSM_NS1_7vsmem_tEENKUlT_SK_SL_SM_E_clISE_PiSF_SF_EESJ_SZ_SK_SL_SM_EUlSZ_E0_NS1_11comp_targetILNS1_3genE9ELNS1_11target_archE1100ELNS1_3gpuE3ELNS1_3repE0EEENS1_38merge_mergepath_config_static_selectorELNS0_4arch9wavefront6targetE0EEEvSL_
	.p2align	8
	.type	_ZN7rocprim17ROCPRIM_400000_NS6detail17trampoline_kernelINS0_14default_configENS1_38merge_sort_block_merge_config_selectorIiNS0_10empty_typeEEEZZNS1_27merge_sort_block_merge_implIS3_N6thrust23THRUST_200600_302600_NS6detail15normal_iteratorINS9_10device_ptrIiEEEEPS5_jNS1_19radix_merge_compareILb0ELb1EiNS0_19identity_decomposerEEEEE10hipError_tT0_T1_T2_jT3_P12ihipStream_tbPNSt15iterator_traitsISK_E10value_typeEPNSQ_ISL_E10value_typeEPSM_NS1_7vsmem_tEENKUlT_SK_SL_SM_E_clISE_PiSF_SF_EESJ_SZ_SK_SL_SM_EUlSZ_E0_NS1_11comp_targetILNS1_3genE9ELNS1_11target_archE1100ELNS1_3gpuE3ELNS1_3repE0EEENS1_38merge_mergepath_config_static_selectorELNS0_4arch9wavefront6targetE0EEEvSL_,@function
_ZN7rocprim17ROCPRIM_400000_NS6detail17trampoline_kernelINS0_14default_configENS1_38merge_sort_block_merge_config_selectorIiNS0_10empty_typeEEEZZNS1_27merge_sort_block_merge_implIS3_N6thrust23THRUST_200600_302600_NS6detail15normal_iteratorINS9_10device_ptrIiEEEEPS5_jNS1_19radix_merge_compareILb0ELb1EiNS0_19identity_decomposerEEEEE10hipError_tT0_T1_T2_jT3_P12ihipStream_tbPNSt15iterator_traitsISK_E10value_typeEPNSQ_ISL_E10value_typeEPSM_NS1_7vsmem_tEENKUlT_SK_SL_SM_E_clISE_PiSF_SF_EESJ_SZ_SK_SL_SM_EUlSZ_E0_NS1_11comp_targetILNS1_3genE9ELNS1_11target_archE1100ELNS1_3gpuE3ELNS1_3repE0EEENS1_38merge_mergepath_config_static_selectorELNS0_4arch9wavefront6targetE0EEEvSL_: ; @_ZN7rocprim17ROCPRIM_400000_NS6detail17trampoline_kernelINS0_14default_configENS1_38merge_sort_block_merge_config_selectorIiNS0_10empty_typeEEEZZNS1_27merge_sort_block_merge_implIS3_N6thrust23THRUST_200600_302600_NS6detail15normal_iteratorINS9_10device_ptrIiEEEEPS5_jNS1_19radix_merge_compareILb0ELb1EiNS0_19identity_decomposerEEEEE10hipError_tT0_T1_T2_jT3_P12ihipStream_tbPNSt15iterator_traitsISK_E10value_typeEPNSQ_ISL_E10value_typeEPSM_NS1_7vsmem_tEENKUlT_SK_SL_SM_E_clISE_PiSF_SF_EESJ_SZ_SK_SL_SM_EUlSZ_E0_NS1_11comp_targetILNS1_3genE9ELNS1_11target_archE1100ELNS1_3gpuE3ELNS1_3repE0EEENS1_38merge_mergepath_config_static_selectorELNS0_4arch9wavefront6targetE0EEEvSL_
; %bb.0:
	.section	.rodata,"a",@progbits
	.p2align	6, 0x0
	.amdhsa_kernel _ZN7rocprim17ROCPRIM_400000_NS6detail17trampoline_kernelINS0_14default_configENS1_38merge_sort_block_merge_config_selectorIiNS0_10empty_typeEEEZZNS1_27merge_sort_block_merge_implIS3_N6thrust23THRUST_200600_302600_NS6detail15normal_iteratorINS9_10device_ptrIiEEEEPS5_jNS1_19radix_merge_compareILb0ELb1EiNS0_19identity_decomposerEEEEE10hipError_tT0_T1_T2_jT3_P12ihipStream_tbPNSt15iterator_traitsISK_E10value_typeEPNSQ_ISL_E10value_typeEPSM_NS1_7vsmem_tEENKUlT_SK_SL_SM_E_clISE_PiSF_SF_EESJ_SZ_SK_SL_SM_EUlSZ_E0_NS1_11comp_targetILNS1_3genE9ELNS1_11target_archE1100ELNS1_3gpuE3ELNS1_3repE0EEENS1_38merge_mergepath_config_static_selectorELNS0_4arch9wavefront6targetE0EEEvSL_
		.amdhsa_group_segment_fixed_size 0
		.amdhsa_private_segment_fixed_size 0
		.amdhsa_kernarg_size 64
		.amdhsa_user_sgpr_count 6
		.amdhsa_user_sgpr_private_segment_buffer 1
		.amdhsa_user_sgpr_dispatch_ptr 0
		.amdhsa_user_sgpr_queue_ptr 0
		.amdhsa_user_sgpr_kernarg_segment_ptr 1
		.amdhsa_user_sgpr_dispatch_id 0
		.amdhsa_user_sgpr_flat_scratch_init 0
		.amdhsa_user_sgpr_private_segment_size 0
		.amdhsa_wavefront_size32 1
		.amdhsa_uses_dynamic_stack 0
		.amdhsa_system_sgpr_private_segment_wavefront_offset 0
		.amdhsa_system_sgpr_workgroup_id_x 1
		.amdhsa_system_sgpr_workgroup_id_y 0
		.amdhsa_system_sgpr_workgroup_id_z 0
		.amdhsa_system_sgpr_workgroup_info 0
		.amdhsa_system_vgpr_workitem_id 0
		.amdhsa_next_free_vgpr 1
		.amdhsa_next_free_sgpr 1
		.amdhsa_reserve_vcc 0
		.amdhsa_reserve_flat_scratch 0
		.amdhsa_float_round_mode_32 0
		.amdhsa_float_round_mode_16_64 0
		.amdhsa_float_denorm_mode_32 3
		.amdhsa_float_denorm_mode_16_64 3
		.amdhsa_dx10_clamp 1
		.amdhsa_ieee_mode 1
		.amdhsa_fp16_overflow 0
		.amdhsa_workgroup_processor_mode 1
		.amdhsa_memory_ordered 1
		.amdhsa_forward_progress 1
		.amdhsa_shared_vgpr_count 0
		.amdhsa_exception_fp_ieee_invalid_op 0
		.amdhsa_exception_fp_denorm_src 0
		.amdhsa_exception_fp_ieee_div_zero 0
		.amdhsa_exception_fp_ieee_overflow 0
		.amdhsa_exception_fp_ieee_underflow 0
		.amdhsa_exception_fp_ieee_inexact 0
		.amdhsa_exception_int_div_zero 0
	.end_amdhsa_kernel
	.section	.text._ZN7rocprim17ROCPRIM_400000_NS6detail17trampoline_kernelINS0_14default_configENS1_38merge_sort_block_merge_config_selectorIiNS0_10empty_typeEEEZZNS1_27merge_sort_block_merge_implIS3_N6thrust23THRUST_200600_302600_NS6detail15normal_iteratorINS9_10device_ptrIiEEEEPS5_jNS1_19radix_merge_compareILb0ELb1EiNS0_19identity_decomposerEEEEE10hipError_tT0_T1_T2_jT3_P12ihipStream_tbPNSt15iterator_traitsISK_E10value_typeEPNSQ_ISL_E10value_typeEPSM_NS1_7vsmem_tEENKUlT_SK_SL_SM_E_clISE_PiSF_SF_EESJ_SZ_SK_SL_SM_EUlSZ_E0_NS1_11comp_targetILNS1_3genE9ELNS1_11target_archE1100ELNS1_3gpuE3ELNS1_3repE0EEENS1_38merge_mergepath_config_static_selectorELNS0_4arch9wavefront6targetE0EEEvSL_,"axG",@progbits,_ZN7rocprim17ROCPRIM_400000_NS6detail17trampoline_kernelINS0_14default_configENS1_38merge_sort_block_merge_config_selectorIiNS0_10empty_typeEEEZZNS1_27merge_sort_block_merge_implIS3_N6thrust23THRUST_200600_302600_NS6detail15normal_iteratorINS9_10device_ptrIiEEEEPS5_jNS1_19radix_merge_compareILb0ELb1EiNS0_19identity_decomposerEEEEE10hipError_tT0_T1_T2_jT3_P12ihipStream_tbPNSt15iterator_traitsISK_E10value_typeEPNSQ_ISL_E10value_typeEPSM_NS1_7vsmem_tEENKUlT_SK_SL_SM_E_clISE_PiSF_SF_EESJ_SZ_SK_SL_SM_EUlSZ_E0_NS1_11comp_targetILNS1_3genE9ELNS1_11target_archE1100ELNS1_3gpuE3ELNS1_3repE0EEENS1_38merge_mergepath_config_static_selectorELNS0_4arch9wavefront6targetE0EEEvSL_,comdat
.Lfunc_end122:
	.size	_ZN7rocprim17ROCPRIM_400000_NS6detail17trampoline_kernelINS0_14default_configENS1_38merge_sort_block_merge_config_selectorIiNS0_10empty_typeEEEZZNS1_27merge_sort_block_merge_implIS3_N6thrust23THRUST_200600_302600_NS6detail15normal_iteratorINS9_10device_ptrIiEEEEPS5_jNS1_19radix_merge_compareILb0ELb1EiNS0_19identity_decomposerEEEEE10hipError_tT0_T1_T2_jT3_P12ihipStream_tbPNSt15iterator_traitsISK_E10value_typeEPNSQ_ISL_E10value_typeEPSM_NS1_7vsmem_tEENKUlT_SK_SL_SM_E_clISE_PiSF_SF_EESJ_SZ_SK_SL_SM_EUlSZ_E0_NS1_11comp_targetILNS1_3genE9ELNS1_11target_archE1100ELNS1_3gpuE3ELNS1_3repE0EEENS1_38merge_mergepath_config_static_selectorELNS0_4arch9wavefront6targetE0EEEvSL_, .Lfunc_end122-_ZN7rocprim17ROCPRIM_400000_NS6detail17trampoline_kernelINS0_14default_configENS1_38merge_sort_block_merge_config_selectorIiNS0_10empty_typeEEEZZNS1_27merge_sort_block_merge_implIS3_N6thrust23THRUST_200600_302600_NS6detail15normal_iteratorINS9_10device_ptrIiEEEEPS5_jNS1_19radix_merge_compareILb0ELb1EiNS0_19identity_decomposerEEEEE10hipError_tT0_T1_T2_jT3_P12ihipStream_tbPNSt15iterator_traitsISK_E10value_typeEPNSQ_ISL_E10value_typeEPSM_NS1_7vsmem_tEENKUlT_SK_SL_SM_E_clISE_PiSF_SF_EESJ_SZ_SK_SL_SM_EUlSZ_E0_NS1_11comp_targetILNS1_3genE9ELNS1_11target_archE1100ELNS1_3gpuE3ELNS1_3repE0EEENS1_38merge_mergepath_config_static_selectorELNS0_4arch9wavefront6targetE0EEEvSL_
                                        ; -- End function
	.set _ZN7rocprim17ROCPRIM_400000_NS6detail17trampoline_kernelINS0_14default_configENS1_38merge_sort_block_merge_config_selectorIiNS0_10empty_typeEEEZZNS1_27merge_sort_block_merge_implIS3_N6thrust23THRUST_200600_302600_NS6detail15normal_iteratorINS9_10device_ptrIiEEEEPS5_jNS1_19radix_merge_compareILb0ELb1EiNS0_19identity_decomposerEEEEE10hipError_tT0_T1_T2_jT3_P12ihipStream_tbPNSt15iterator_traitsISK_E10value_typeEPNSQ_ISL_E10value_typeEPSM_NS1_7vsmem_tEENKUlT_SK_SL_SM_E_clISE_PiSF_SF_EESJ_SZ_SK_SL_SM_EUlSZ_E0_NS1_11comp_targetILNS1_3genE9ELNS1_11target_archE1100ELNS1_3gpuE3ELNS1_3repE0EEENS1_38merge_mergepath_config_static_selectorELNS0_4arch9wavefront6targetE0EEEvSL_.num_vgpr, 0
	.set _ZN7rocprim17ROCPRIM_400000_NS6detail17trampoline_kernelINS0_14default_configENS1_38merge_sort_block_merge_config_selectorIiNS0_10empty_typeEEEZZNS1_27merge_sort_block_merge_implIS3_N6thrust23THRUST_200600_302600_NS6detail15normal_iteratorINS9_10device_ptrIiEEEEPS5_jNS1_19radix_merge_compareILb0ELb1EiNS0_19identity_decomposerEEEEE10hipError_tT0_T1_T2_jT3_P12ihipStream_tbPNSt15iterator_traitsISK_E10value_typeEPNSQ_ISL_E10value_typeEPSM_NS1_7vsmem_tEENKUlT_SK_SL_SM_E_clISE_PiSF_SF_EESJ_SZ_SK_SL_SM_EUlSZ_E0_NS1_11comp_targetILNS1_3genE9ELNS1_11target_archE1100ELNS1_3gpuE3ELNS1_3repE0EEENS1_38merge_mergepath_config_static_selectorELNS0_4arch9wavefront6targetE0EEEvSL_.num_agpr, 0
	.set _ZN7rocprim17ROCPRIM_400000_NS6detail17trampoline_kernelINS0_14default_configENS1_38merge_sort_block_merge_config_selectorIiNS0_10empty_typeEEEZZNS1_27merge_sort_block_merge_implIS3_N6thrust23THRUST_200600_302600_NS6detail15normal_iteratorINS9_10device_ptrIiEEEEPS5_jNS1_19radix_merge_compareILb0ELb1EiNS0_19identity_decomposerEEEEE10hipError_tT0_T1_T2_jT3_P12ihipStream_tbPNSt15iterator_traitsISK_E10value_typeEPNSQ_ISL_E10value_typeEPSM_NS1_7vsmem_tEENKUlT_SK_SL_SM_E_clISE_PiSF_SF_EESJ_SZ_SK_SL_SM_EUlSZ_E0_NS1_11comp_targetILNS1_3genE9ELNS1_11target_archE1100ELNS1_3gpuE3ELNS1_3repE0EEENS1_38merge_mergepath_config_static_selectorELNS0_4arch9wavefront6targetE0EEEvSL_.numbered_sgpr, 0
	.set _ZN7rocprim17ROCPRIM_400000_NS6detail17trampoline_kernelINS0_14default_configENS1_38merge_sort_block_merge_config_selectorIiNS0_10empty_typeEEEZZNS1_27merge_sort_block_merge_implIS3_N6thrust23THRUST_200600_302600_NS6detail15normal_iteratorINS9_10device_ptrIiEEEEPS5_jNS1_19radix_merge_compareILb0ELb1EiNS0_19identity_decomposerEEEEE10hipError_tT0_T1_T2_jT3_P12ihipStream_tbPNSt15iterator_traitsISK_E10value_typeEPNSQ_ISL_E10value_typeEPSM_NS1_7vsmem_tEENKUlT_SK_SL_SM_E_clISE_PiSF_SF_EESJ_SZ_SK_SL_SM_EUlSZ_E0_NS1_11comp_targetILNS1_3genE9ELNS1_11target_archE1100ELNS1_3gpuE3ELNS1_3repE0EEENS1_38merge_mergepath_config_static_selectorELNS0_4arch9wavefront6targetE0EEEvSL_.num_named_barrier, 0
	.set _ZN7rocprim17ROCPRIM_400000_NS6detail17trampoline_kernelINS0_14default_configENS1_38merge_sort_block_merge_config_selectorIiNS0_10empty_typeEEEZZNS1_27merge_sort_block_merge_implIS3_N6thrust23THRUST_200600_302600_NS6detail15normal_iteratorINS9_10device_ptrIiEEEEPS5_jNS1_19radix_merge_compareILb0ELb1EiNS0_19identity_decomposerEEEEE10hipError_tT0_T1_T2_jT3_P12ihipStream_tbPNSt15iterator_traitsISK_E10value_typeEPNSQ_ISL_E10value_typeEPSM_NS1_7vsmem_tEENKUlT_SK_SL_SM_E_clISE_PiSF_SF_EESJ_SZ_SK_SL_SM_EUlSZ_E0_NS1_11comp_targetILNS1_3genE9ELNS1_11target_archE1100ELNS1_3gpuE3ELNS1_3repE0EEENS1_38merge_mergepath_config_static_selectorELNS0_4arch9wavefront6targetE0EEEvSL_.private_seg_size, 0
	.set _ZN7rocprim17ROCPRIM_400000_NS6detail17trampoline_kernelINS0_14default_configENS1_38merge_sort_block_merge_config_selectorIiNS0_10empty_typeEEEZZNS1_27merge_sort_block_merge_implIS3_N6thrust23THRUST_200600_302600_NS6detail15normal_iteratorINS9_10device_ptrIiEEEEPS5_jNS1_19radix_merge_compareILb0ELb1EiNS0_19identity_decomposerEEEEE10hipError_tT0_T1_T2_jT3_P12ihipStream_tbPNSt15iterator_traitsISK_E10value_typeEPNSQ_ISL_E10value_typeEPSM_NS1_7vsmem_tEENKUlT_SK_SL_SM_E_clISE_PiSF_SF_EESJ_SZ_SK_SL_SM_EUlSZ_E0_NS1_11comp_targetILNS1_3genE9ELNS1_11target_archE1100ELNS1_3gpuE3ELNS1_3repE0EEENS1_38merge_mergepath_config_static_selectorELNS0_4arch9wavefront6targetE0EEEvSL_.uses_vcc, 0
	.set _ZN7rocprim17ROCPRIM_400000_NS6detail17trampoline_kernelINS0_14default_configENS1_38merge_sort_block_merge_config_selectorIiNS0_10empty_typeEEEZZNS1_27merge_sort_block_merge_implIS3_N6thrust23THRUST_200600_302600_NS6detail15normal_iteratorINS9_10device_ptrIiEEEEPS5_jNS1_19radix_merge_compareILb0ELb1EiNS0_19identity_decomposerEEEEE10hipError_tT0_T1_T2_jT3_P12ihipStream_tbPNSt15iterator_traitsISK_E10value_typeEPNSQ_ISL_E10value_typeEPSM_NS1_7vsmem_tEENKUlT_SK_SL_SM_E_clISE_PiSF_SF_EESJ_SZ_SK_SL_SM_EUlSZ_E0_NS1_11comp_targetILNS1_3genE9ELNS1_11target_archE1100ELNS1_3gpuE3ELNS1_3repE0EEENS1_38merge_mergepath_config_static_selectorELNS0_4arch9wavefront6targetE0EEEvSL_.uses_flat_scratch, 0
	.set _ZN7rocprim17ROCPRIM_400000_NS6detail17trampoline_kernelINS0_14default_configENS1_38merge_sort_block_merge_config_selectorIiNS0_10empty_typeEEEZZNS1_27merge_sort_block_merge_implIS3_N6thrust23THRUST_200600_302600_NS6detail15normal_iteratorINS9_10device_ptrIiEEEEPS5_jNS1_19radix_merge_compareILb0ELb1EiNS0_19identity_decomposerEEEEE10hipError_tT0_T1_T2_jT3_P12ihipStream_tbPNSt15iterator_traitsISK_E10value_typeEPNSQ_ISL_E10value_typeEPSM_NS1_7vsmem_tEENKUlT_SK_SL_SM_E_clISE_PiSF_SF_EESJ_SZ_SK_SL_SM_EUlSZ_E0_NS1_11comp_targetILNS1_3genE9ELNS1_11target_archE1100ELNS1_3gpuE3ELNS1_3repE0EEENS1_38merge_mergepath_config_static_selectorELNS0_4arch9wavefront6targetE0EEEvSL_.has_dyn_sized_stack, 0
	.set _ZN7rocprim17ROCPRIM_400000_NS6detail17trampoline_kernelINS0_14default_configENS1_38merge_sort_block_merge_config_selectorIiNS0_10empty_typeEEEZZNS1_27merge_sort_block_merge_implIS3_N6thrust23THRUST_200600_302600_NS6detail15normal_iteratorINS9_10device_ptrIiEEEEPS5_jNS1_19radix_merge_compareILb0ELb1EiNS0_19identity_decomposerEEEEE10hipError_tT0_T1_T2_jT3_P12ihipStream_tbPNSt15iterator_traitsISK_E10value_typeEPNSQ_ISL_E10value_typeEPSM_NS1_7vsmem_tEENKUlT_SK_SL_SM_E_clISE_PiSF_SF_EESJ_SZ_SK_SL_SM_EUlSZ_E0_NS1_11comp_targetILNS1_3genE9ELNS1_11target_archE1100ELNS1_3gpuE3ELNS1_3repE0EEENS1_38merge_mergepath_config_static_selectorELNS0_4arch9wavefront6targetE0EEEvSL_.has_recursion, 0
	.set _ZN7rocprim17ROCPRIM_400000_NS6detail17trampoline_kernelINS0_14default_configENS1_38merge_sort_block_merge_config_selectorIiNS0_10empty_typeEEEZZNS1_27merge_sort_block_merge_implIS3_N6thrust23THRUST_200600_302600_NS6detail15normal_iteratorINS9_10device_ptrIiEEEEPS5_jNS1_19radix_merge_compareILb0ELb1EiNS0_19identity_decomposerEEEEE10hipError_tT0_T1_T2_jT3_P12ihipStream_tbPNSt15iterator_traitsISK_E10value_typeEPNSQ_ISL_E10value_typeEPSM_NS1_7vsmem_tEENKUlT_SK_SL_SM_E_clISE_PiSF_SF_EESJ_SZ_SK_SL_SM_EUlSZ_E0_NS1_11comp_targetILNS1_3genE9ELNS1_11target_archE1100ELNS1_3gpuE3ELNS1_3repE0EEENS1_38merge_mergepath_config_static_selectorELNS0_4arch9wavefront6targetE0EEEvSL_.has_indirect_call, 0
	.section	.AMDGPU.csdata,"",@progbits
; Kernel info:
; codeLenInByte = 0
; TotalNumSgprs: 0
; NumVgprs: 0
; ScratchSize: 0
; MemoryBound: 0
; FloatMode: 240
; IeeeMode: 1
; LDSByteSize: 0 bytes/workgroup (compile time only)
; SGPRBlocks: 0
; VGPRBlocks: 0
; NumSGPRsForWavesPerEU: 1
; NumVGPRsForWavesPerEU: 1
; Occupancy: 16
; WaveLimiterHint : 0
; COMPUTE_PGM_RSRC2:SCRATCH_EN: 0
; COMPUTE_PGM_RSRC2:USER_SGPR: 6
; COMPUTE_PGM_RSRC2:TRAP_HANDLER: 0
; COMPUTE_PGM_RSRC2:TGID_X_EN: 1
; COMPUTE_PGM_RSRC2:TGID_Y_EN: 0
; COMPUTE_PGM_RSRC2:TGID_Z_EN: 0
; COMPUTE_PGM_RSRC2:TIDIG_COMP_CNT: 0
	.section	.text._ZN7rocprim17ROCPRIM_400000_NS6detail17trampoline_kernelINS0_14default_configENS1_38merge_sort_block_merge_config_selectorIiNS0_10empty_typeEEEZZNS1_27merge_sort_block_merge_implIS3_N6thrust23THRUST_200600_302600_NS6detail15normal_iteratorINS9_10device_ptrIiEEEEPS5_jNS1_19radix_merge_compareILb0ELb1EiNS0_19identity_decomposerEEEEE10hipError_tT0_T1_T2_jT3_P12ihipStream_tbPNSt15iterator_traitsISK_E10value_typeEPNSQ_ISL_E10value_typeEPSM_NS1_7vsmem_tEENKUlT_SK_SL_SM_E_clISE_PiSF_SF_EESJ_SZ_SK_SL_SM_EUlSZ_E0_NS1_11comp_targetILNS1_3genE8ELNS1_11target_archE1030ELNS1_3gpuE2ELNS1_3repE0EEENS1_38merge_mergepath_config_static_selectorELNS0_4arch9wavefront6targetE0EEEvSL_,"axG",@progbits,_ZN7rocprim17ROCPRIM_400000_NS6detail17trampoline_kernelINS0_14default_configENS1_38merge_sort_block_merge_config_selectorIiNS0_10empty_typeEEEZZNS1_27merge_sort_block_merge_implIS3_N6thrust23THRUST_200600_302600_NS6detail15normal_iteratorINS9_10device_ptrIiEEEEPS5_jNS1_19radix_merge_compareILb0ELb1EiNS0_19identity_decomposerEEEEE10hipError_tT0_T1_T2_jT3_P12ihipStream_tbPNSt15iterator_traitsISK_E10value_typeEPNSQ_ISL_E10value_typeEPSM_NS1_7vsmem_tEENKUlT_SK_SL_SM_E_clISE_PiSF_SF_EESJ_SZ_SK_SL_SM_EUlSZ_E0_NS1_11comp_targetILNS1_3genE8ELNS1_11target_archE1030ELNS1_3gpuE2ELNS1_3repE0EEENS1_38merge_mergepath_config_static_selectorELNS0_4arch9wavefront6targetE0EEEvSL_,comdat
	.protected	_ZN7rocprim17ROCPRIM_400000_NS6detail17trampoline_kernelINS0_14default_configENS1_38merge_sort_block_merge_config_selectorIiNS0_10empty_typeEEEZZNS1_27merge_sort_block_merge_implIS3_N6thrust23THRUST_200600_302600_NS6detail15normal_iteratorINS9_10device_ptrIiEEEEPS5_jNS1_19radix_merge_compareILb0ELb1EiNS0_19identity_decomposerEEEEE10hipError_tT0_T1_T2_jT3_P12ihipStream_tbPNSt15iterator_traitsISK_E10value_typeEPNSQ_ISL_E10value_typeEPSM_NS1_7vsmem_tEENKUlT_SK_SL_SM_E_clISE_PiSF_SF_EESJ_SZ_SK_SL_SM_EUlSZ_E0_NS1_11comp_targetILNS1_3genE8ELNS1_11target_archE1030ELNS1_3gpuE2ELNS1_3repE0EEENS1_38merge_mergepath_config_static_selectorELNS0_4arch9wavefront6targetE0EEEvSL_ ; -- Begin function _ZN7rocprim17ROCPRIM_400000_NS6detail17trampoline_kernelINS0_14default_configENS1_38merge_sort_block_merge_config_selectorIiNS0_10empty_typeEEEZZNS1_27merge_sort_block_merge_implIS3_N6thrust23THRUST_200600_302600_NS6detail15normal_iteratorINS9_10device_ptrIiEEEEPS5_jNS1_19radix_merge_compareILb0ELb1EiNS0_19identity_decomposerEEEEE10hipError_tT0_T1_T2_jT3_P12ihipStream_tbPNSt15iterator_traitsISK_E10value_typeEPNSQ_ISL_E10value_typeEPSM_NS1_7vsmem_tEENKUlT_SK_SL_SM_E_clISE_PiSF_SF_EESJ_SZ_SK_SL_SM_EUlSZ_E0_NS1_11comp_targetILNS1_3genE8ELNS1_11target_archE1030ELNS1_3gpuE2ELNS1_3repE0EEENS1_38merge_mergepath_config_static_selectorELNS0_4arch9wavefront6targetE0EEEvSL_
	.globl	_ZN7rocprim17ROCPRIM_400000_NS6detail17trampoline_kernelINS0_14default_configENS1_38merge_sort_block_merge_config_selectorIiNS0_10empty_typeEEEZZNS1_27merge_sort_block_merge_implIS3_N6thrust23THRUST_200600_302600_NS6detail15normal_iteratorINS9_10device_ptrIiEEEEPS5_jNS1_19radix_merge_compareILb0ELb1EiNS0_19identity_decomposerEEEEE10hipError_tT0_T1_T2_jT3_P12ihipStream_tbPNSt15iterator_traitsISK_E10value_typeEPNSQ_ISL_E10value_typeEPSM_NS1_7vsmem_tEENKUlT_SK_SL_SM_E_clISE_PiSF_SF_EESJ_SZ_SK_SL_SM_EUlSZ_E0_NS1_11comp_targetILNS1_3genE8ELNS1_11target_archE1030ELNS1_3gpuE2ELNS1_3repE0EEENS1_38merge_mergepath_config_static_selectorELNS0_4arch9wavefront6targetE0EEEvSL_
	.p2align	8
	.type	_ZN7rocprim17ROCPRIM_400000_NS6detail17trampoline_kernelINS0_14default_configENS1_38merge_sort_block_merge_config_selectorIiNS0_10empty_typeEEEZZNS1_27merge_sort_block_merge_implIS3_N6thrust23THRUST_200600_302600_NS6detail15normal_iteratorINS9_10device_ptrIiEEEEPS5_jNS1_19radix_merge_compareILb0ELb1EiNS0_19identity_decomposerEEEEE10hipError_tT0_T1_T2_jT3_P12ihipStream_tbPNSt15iterator_traitsISK_E10value_typeEPNSQ_ISL_E10value_typeEPSM_NS1_7vsmem_tEENKUlT_SK_SL_SM_E_clISE_PiSF_SF_EESJ_SZ_SK_SL_SM_EUlSZ_E0_NS1_11comp_targetILNS1_3genE8ELNS1_11target_archE1030ELNS1_3gpuE2ELNS1_3repE0EEENS1_38merge_mergepath_config_static_selectorELNS0_4arch9wavefront6targetE0EEEvSL_,@function
_ZN7rocprim17ROCPRIM_400000_NS6detail17trampoline_kernelINS0_14default_configENS1_38merge_sort_block_merge_config_selectorIiNS0_10empty_typeEEEZZNS1_27merge_sort_block_merge_implIS3_N6thrust23THRUST_200600_302600_NS6detail15normal_iteratorINS9_10device_ptrIiEEEEPS5_jNS1_19radix_merge_compareILb0ELb1EiNS0_19identity_decomposerEEEEE10hipError_tT0_T1_T2_jT3_P12ihipStream_tbPNSt15iterator_traitsISK_E10value_typeEPNSQ_ISL_E10value_typeEPSM_NS1_7vsmem_tEENKUlT_SK_SL_SM_E_clISE_PiSF_SF_EESJ_SZ_SK_SL_SM_EUlSZ_E0_NS1_11comp_targetILNS1_3genE8ELNS1_11target_archE1030ELNS1_3gpuE2ELNS1_3repE0EEENS1_38merge_mergepath_config_static_selectorELNS0_4arch9wavefront6targetE0EEEvSL_: ; @_ZN7rocprim17ROCPRIM_400000_NS6detail17trampoline_kernelINS0_14default_configENS1_38merge_sort_block_merge_config_selectorIiNS0_10empty_typeEEEZZNS1_27merge_sort_block_merge_implIS3_N6thrust23THRUST_200600_302600_NS6detail15normal_iteratorINS9_10device_ptrIiEEEEPS5_jNS1_19radix_merge_compareILb0ELb1EiNS0_19identity_decomposerEEEEE10hipError_tT0_T1_T2_jT3_P12ihipStream_tbPNSt15iterator_traitsISK_E10value_typeEPNSQ_ISL_E10value_typeEPSM_NS1_7vsmem_tEENKUlT_SK_SL_SM_E_clISE_PiSF_SF_EESJ_SZ_SK_SL_SM_EUlSZ_E0_NS1_11comp_targetILNS1_3genE8ELNS1_11target_archE1030ELNS1_3gpuE2ELNS1_3repE0EEENS1_38merge_mergepath_config_static_selectorELNS0_4arch9wavefront6targetE0EEEvSL_
; %bb.0:
	s_clause 0x1
	s_load_dwordx2 s[14:15], s[4:5], 0x40
	s_load_dwordx2 s[2:3], s[4:5], 0x30
	s_add_u32 s12, s4, 64
	s_addc_u32 s13, s5, 0
	s_waitcnt lgkmcnt(0)
	s_mul_i32 s0, s15, s8
	s_add_i32 s0, s0, s7
	s_mul_i32 s0, s0, s14
	s_add_i32 s0, s0, s6
	s_cmp_ge_u32 s0, s2
	s_cbranch_scc1 .LBB123_27
; %bb.1:
	s_clause 0x2
	s_load_dwordx2 s[8:9], s[4:5], 0x28
	s_load_dwordx2 s[10:11], s[4:5], 0x38
	;; [unrolled: 1-line block ×3, first 2 shown]
	s_mov_b32 s1, 0
	v_mov_b32_e32 v2, 0
	s_mov_b32 s21, s1
                                        ; implicit-def: $vgpr5
	global_load_dword v1, v2, s[12:13] offset:14
	s_waitcnt lgkmcnt(0)
	s_lshr_b32 s22, s8, 10
	s_cmp_lg_u32 s0, s22
	s_cselect_b32 s7, -1, 0
	s_lshl_b64 s[16:17], s[0:1], 2
	s_add_u32 s10, s10, s16
	s_addc_u32 s11, s11, s17
	s_lshr_b32 s2, s9, 9
	s_load_dwordx2 s[16:17], s[10:11], 0x0
	s_and_b32 s2, s2, 0x7ffffe
	s_lshl_b32 s10, s0, 10
	s_sub_i32 s2, 0, s2
	s_and_b32 s11, s0, s2
	s_or_b32 s2, s0, s2
	s_lshl_b32 s15, s11, 11
	s_lshl_b32 s11, s11, 10
	s_add_i32 s15, s15, s9
	s_sub_i32 s20, s10, s11
	s_sub_i32 s11, s15, s11
	s_add_i32 s15, s15, s20
	s_min_u32 s23, s8, s11
	s_add_i32 s11, s11, s9
	s_waitcnt lgkmcnt(0)
	s_sub_i32 s9, s15, s16
	s_sub_i32 s15, s15, s17
	s_min_u32 s20, s8, s9
	s_addk_i32 s15, 0x400
	s_cmp_eq_u32 s2, -1
	s_cselect_b32 s2, s11, s15
	s_cselect_b32 s9, s23, s17
	s_mov_b32 s17, s1
	s_min_u32 s11, s2, s8
	s_sub_i32 s2, s9, s16
	s_lshl_b64 s[16:17], s[16:17], 2
	s_sub_i32 s9, s11, s20
	s_add_u32 s16, s18, s16
	s_addc_u32 s17, s19, s17
	s_lshl_b64 s[20:21], s[20:21], 2
	s_add_u32 s11, s18, s20
	s_addc_u32 s15, s19, s21
	s_cmp_lt_u32 s6, s14
	s_cselect_b32 s6, 12, 18
	s_add_u32 s12, s12, s6
	s_addc_u32 s13, s13, 0
	s_cmp_eq_u32 s0, s22
	global_load_ushort v3, v2, s[12:13]
	s_mov_b32 s0, -1
	s_waitcnt vmcnt(1)
	v_lshrrev_b32_e32 v4, 16, v1
	v_and_b32_e32 v1, 0xffff, v1
	v_mul_lo_u32 v1, v1, v4
                                        ; implicit-def: $vgpr4
	s_waitcnt vmcnt(0)
	v_mul_lo_u32 v7, v1, v3
	v_lshlrev_b32_e32 v3, 2, v0
                                        ; implicit-def: $vgpr1
	v_add_nc_u32_e32 v6, v7, v0
	s_cbranch_scc0 .LBB123_17
; %bb.2:
	s_andn2_b32 vcc_lo, exec_lo, s0
	s_cbranch_vccz .LBB123_18
.LBB123_3:
	v_mov_b32_e32 v2, 0
	s_and_saveexec_b32 s6, s1
	s_cbranch_execz .LBB123_5
.LBB123_4:
	v_mov_b32_e32 v7, 0
	v_mov_b32_e32 v2, v7
	v_lshlrev_b64 v[8:9], 2, v[1:2]
	v_add_co_u32 v8, vcc_lo, s16, v8
	v_add_co_ci_u32_e64 v9, null, s17, v9, vcc_lo
	v_sub_co_u32 v6, vcc_lo, v1, s2
	v_lshlrev_b64 v[1:2], 2, v[6:7]
	v_add_co_u32 v1, s0, s11, v1
	v_add_co_ci_u32_e64 v2, null, s15, v2, s0
	v_cndmask_b32_e32 v1, v1, v8, vcc_lo
	v_cndmask_b32_e32 v2, v2, v9, vcc_lo
	global_load_dword v2, v[1:2], off
.LBB123_5:
	s_or_b32 exec_lo, exec_lo, s6
	s_load_dwordx2 s[4:5], s[4:5], 0x10
	v_lshlrev_b32_e32 v1, 1, v0
	s_mov_b32 s0, exec_lo
	s_waitcnt vmcnt(0)
	ds_write2st64_b32 v3, v4, v2 offset1:8
	s_waitcnt lgkmcnt(0)
	s_barrier
	v_min_u32_e32 v7, v5, v1
	buffer_gl0_inv
	v_sub_nc_u32_e64 v6, v7, s9 clamp
	v_min_u32_e32 v8, s2, v7
	v_cmpx_lt_u32_e64 v6, v8
	s_cbranch_execz .LBB123_9
; %bb.6:
	v_lshlrev_b32_e32 v9, 2, v7
	s_mov_b32 s1, 0
	v_lshl_add_u32 v9, s2, 2, v9
	.p2align	6
.LBB123_7:                              ; =>This Inner Loop Header: Depth=1
	v_add_nc_u32_e32 v10, v8, v6
	v_lshrrev_b32_e32 v10, 1, v10
	v_not_b32_e32 v11, v10
	v_lshlrev_b32_e32 v12, 2, v10
	v_add_nc_u32_e32 v13, 1, v10
	v_lshl_add_u32 v11, v11, 2, v9
	ds_read_b32 v12, v12
	ds_read_b32 v11, v11
	s_waitcnt lgkmcnt(1)
	v_and_b32_e32 v12, s3, v12
	s_waitcnt lgkmcnt(0)
	v_and_b32_e32 v11, s3, v11
	v_cmp_gt_i32_e32 vcc_lo, v12, v11
	v_cndmask_b32_e32 v8, v8, v10, vcc_lo
	v_cndmask_b32_e32 v6, v13, v6, vcc_lo
	v_cmp_ge_u32_e32 vcc_lo, v6, v8
	s_or_b32 s1, vcc_lo, s1
	s_andn2_b32 exec_lo, exec_lo, s1
	s_cbranch_execnz .LBB123_7
; %bb.8:
	s_or_b32 exec_lo, exec_lo, s1
.LBB123_9:
	s_or_b32 exec_lo, exec_lo, s0
	v_sub_nc_u32_e32 v7, v7, v6
	v_cmp_ge_u32_e32 vcc_lo, s2, v6
	v_add_nc_u32_e32 v7, s2, v7
	v_cmp_le_u32_e64 s0, v7, v5
	s_or_b32 s0, vcc_lo, s0
	s_and_saveexec_b32 s6, s0
	s_cbranch_execz .LBB123_15
; %bb.10:
	v_cmp_gt_u32_e32 vcc_lo, s2, v6
                                        ; implicit-def: $vgpr2
	s_and_saveexec_b32 s0, vcc_lo
; %bb.11:
	v_lshlrev_b32_e32 v2, 2, v6
	ds_read_b32 v2, v2
; %bb.12:
	s_or_b32 exec_lo, exec_lo, s0
	v_cmp_ge_u32_e64 s0, v7, v5
	s_mov_b32 s9, exec_lo
                                        ; implicit-def: $vgpr4
	v_cmpx_lt_u32_e64 v7, v5
; %bb.13:
	v_lshlrev_b32_e32 v4, 2, v7
	ds_read_b32 v4, v4
; %bb.14:
	s_or_b32 exec_lo, exec_lo, s9
	s_waitcnt lgkmcnt(0)
	v_and_b32_e32 v8, s3, v4
	v_and_b32_e32 v9, s3, v2
	v_cmp_le_i32_e64 s1, v9, v8
	s_and_b32 s1, vcc_lo, s1
	s_or_b32 vcc_lo, s0, s1
	v_cndmask_b32_e32 v8, v7, v6, vcc_lo
	v_cndmask_b32_e64 v9, v5, s2, vcc_lo
	v_add_nc_u32_e32 v8, 1, v8
	v_add_nc_u32_e32 v9, -1, v9
	v_cndmask_b32_e32 v6, v6, v8, vcc_lo
	v_min_u32_e32 v9, v8, v9
	v_cndmask_b32_e32 v7, v8, v7, vcc_lo
	v_cmp_gt_u32_e64 s0, s2, v6
	v_lshlrev_b32_e32 v9, 2, v9
	v_cmp_ge_u32_e64 s2, v7, v5
	ds_read_b32 v9, v9
	s_waitcnt lgkmcnt(0)
	v_cndmask_b32_e32 v10, v9, v4, vcc_lo
	v_cndmask_b32_e32 v9, v2, v9, vcc_lo
	;; [unrolled: 1-line block ×3, first 2 shown]
	v_and_b32_e32 v11, s3, v10
	v_and_b32_e32 v12, s3, v9
	v_cmp_le_i32_e64 s1, v12, v11
	s_and_b32 s0, s0, s1
	s_or_b32 vcc_lo, s2, s0
	v_cndmask_b32_e32 v2, v10, v9, vcc_lo
.LBB123_15:
	s_or_b32 exec_lo, exec_lo, s6
	v_lshrrev_b32_e32 v6, 2, v0
	v_or_b32_e32 v5, 0x200, v0
	v_lshrrev_b32_e32 v7, 3, v0
	s_mov_b32 s11, 0
	v_and_b32_e32 v6, 0x7c, v6
	v_lshrrev_b32_e32 v8, 3, v5
	s_lshl_b64 s[0:1], s[10:11], 2
	s_barrier
	s_add_u32 s0, s4, s0
	v_lshl_add_u32 v1, v1, 2, v6
	v_and_b32_e32 v6, 60, v7
	v_and_b32_e32 v7, 0x7c, v8
	buffer_gl0_inv
	s_barrier
	buffer_gl0_inv
	s_addc_u32 s1, s5, s1
	ds_write2_b32 v1, v4, v2 offset1:1
	v_add_co_u32 v1, s0, s0, v3
	v_add_nc_u32_e32 v4, v6, v3
	v_add_nc_u32_e32 v6, v7, v3
	v_add_co_ci_u32_e64 v2, null, s1, 0, s0
	s_and_b32 vcc_lo, exec_lo, s7
	s_waitcnt lgkmcnt(0)
	s_cbranch_vccz .LBB123_21
; %bb.16:
	s_barrier
	buffer_gl0_inv
	ds_read_b32 v7, v4
	ds_read_b32 v3, v6 offset:2048
	s_mov_b32 s11, -1
	s_waitcnt lgkmcnt(1)
	global_store_dword v[1:2], v7, off
	s_cbranch_execz .LBB123_22
	s_branch .LBB123_25
.LBB123_17:
	v_sub_co_u32 v1, vcc_lo, v0, s2
	v_add_co_u32 v4, s0, s16, v3
	v_add_co_ci_u32_e64 v5, null, s17, 0, s0
	v_lshlrev_b64 v[1:2], 2, v[1:2]
	s_mov_b32 s1, -1
	v_add_co_u32 v1, s0, s11, v1
	v_add_co_ci_u32_e64 v2, null, s15, v2, s0
	s_add_i32 s0, s9, s2
	v_cndmask_b32_e32 v1, v1, v4, vcc_lo
	v_cndmask_b32_e32 v2, v2, v5, vcc_lo
	v_mov_b32_e32 v5, s0
	global_load_dword v4, v[1:2], off
	v_add_nc_u32_e32 v1, v7, v0
	s_cbranch_execnz .LBB123_3
.LBB123_18:
	s_waitcnt vmcnt(0)
	v_mov_b32_e32 v4, 0
	s_add_i32 s6, s9, s2
	s_mov_b32 s1, exec_lo
	v_cmpx_gt_u32_e64 s6, v0
	s_cbranch_execz .LBB123_20
; %bb.19:
	v_sub_co_u32 v1, vcc_lo, v0, s2
	v_mov_b32_e32 v2, 0
	v_add_co_u32 v4, s0, s16, v3
	v_add_co_ci_u32_e64 v5, null, s17, 0, s0
	v_lshlrev_b64 v[1:2], 2, v[1:2]
	v_add_co_u32 v1, s0, s11, v1
	v_add_co_ci_u32_e64 v2, null, s15, v2, s0
	v_cndmask_b32_e32 v1, v1, v4, vcc_lo
	v_cndmask_b32_e32 v2, v2, v5, vcc_lo
	global_load_dword v4, v[1:2], off
.LBB123_20:
	s_or_b32 exec_lo, exec_lo, s1
	v_cmp_gt_u32_e64 s1, s6, v6
	v_mov_b32_e32 v5, s6
	v_mov_b32_e32 v1, v6
	;; [unrolled: 1-line block ×3, first 2 shown]
	s_and_saveexec_b32 s6, s1
	s_cbranch_execnz .LBB123_4
	s_branch .LBB123_5
.LBB123_21:
                                        ; implicit-def: $vgpr3
.LBB123_22:
	s_barrier
	s_waitcnt lgkmcnt(0)
	s_waitcnt_vscnt null, 0x0
	buffer_gl0_inv
	ds_read_b32 v3, v6 offset:2048
	s_sub_i32 s0, s8, s10
	s_mov_b32 s1, exec_lo
	v_cmpx_gt_u32_e64 s0, v0
	s_cbranch_execz .LBB123_24
; %bb.23:
	ds_read_b32 v0, v4
	s_waitcnt lgkmcnt(0)
	global_store_dword v[1:2], v0, off
.LBB123_24:
	s_or_b32 exec_lo, exec_lo, s1
	v_cmp_gt_u32_e64 s11, s0, v5
.LBB123_25:
	s_and_saveexec_b32 s0, s11
	s_cbranch_execz .LBB123_27
; %bb.26:
	v_add_co_u32 v0, vcc_lo, 0x800, v1
	v_add_co_ci_u32_e64 v1, null, 0, v2, vcc_lo
	s_waitcnt lgkmcnt(0)
	global_store_dword v[0:1], v3, off
.LBB123_27:
	s_endpgm
	.section	.rodata,"a",@progbits
	.p2align	6, 0x0
	.amdhsa_kernel _ZN7rocprim17ROCPRIM_400000_NS6detail17trampoline_kernelINS0_14default_configENS1_38merge_sort_block_merge_config_selectorIiNS0_10empty_typeEEEZZNS1_27merge_sort_block_merge_implIS3_N6thrust23THRUST_200600_302600_NS6detail15normal_iteratorINS9_10device_ptrIiEEEEPS5_jNS1_19radix_merge_compareILb0ELb1EiNS0_19identity_decomposerEEEEE10hipError_tT0_T1_T2_jT3_P12ihipStream_tbPNSt15iterator_traitsISK_E10value_typeEPNSQ_ISL_E10value_typeEPSM_NS1_7vsmem_tEENKUlT_SK_SL_SM_E_clISE_PiSF_SF_EESJ_SZ_SK_SL_SM_EUlSZ_E0_NS1_11comp_targetILNS1_3genE8ELNS1_11target_archE1030ELNS1_3gpuE2ELNS1_3repE0EEENS1_38merge_mergepath_config_static_selectorELNS0_4arch9wavefront6targetE0EEEvSL_
		.amdhsa_group_segment_fixed_size 4224
		.amdhsa_private_segment_fixed_size 0
		.amdhsa_kernarg_size 320
		.amdhsa_user_sgpr_count 6
		.amdhsa_user_sgpr_private_segment_buffer 1
		.amdhsa_user_sgpr_dispatch_ptr 0
		.amdhsa_user_sgpr_queue_ptr 0
		.amdhsa_user_sgpr_kernarg_segment_ptr 1
		.amdhsa_user_sgpr_dispatch_id 0
		.amdhsa_user_sgpr_flat_scratch_init 0
		.amdhsa_user_sgpr_private_segment_size 0
		.amdhsa_wavefront_size32 1
		.amdhsa_uses_dynamic_stack 0
		.amdhsa_system_sgpr_private_segment_wavefront_offset 0
		.amdhsa_system_sgpr_workgroup_id_x 1
		.amdhsa_system_sgpr_workgroup_id_y 1
		.amdhsa_system_sgpr_workgroup_id_z 1
		.amdhsa_system_sgpr_workgroup_info 0
		.amdhsa_system_vgpr_workitem_id 0
		.amdhsa_next_free_vgpr 14
		.amdhsa_next_free_sgpr 24
		.amdhsa_reserve_vcc 1
		.amdhsa_reserve_flat_scratch 0
		.amdhsa_float_round_mode_32 0
		.amdhsa_float_round_mode_16_64 0
		.amdhsa_float_denorm_mode_32 3
		.amdhsa_float_denorm_mode_16_64 3
		.amdhsa_dx10_clamp 1
		.amdhsa_ieee_mode 1
		.amdhsa_fp16_overflow 0
		.amdhsa_workgroup_processor_mode 1
		.amdhsa_memory_ordered 1
		.amdhsa_forward_progress 1
		.amdhsa_shared_vgpr_count 0
		.amdhsa_exception_fp_ieee_invalid_op 0
		.amdhsa_exception_fp_denorm_src 0
		.amdhsa_exception_fp_ieee_div_zero 0
		.amdhsa_exception_fp_ieee_overflow 0
		.amdhsa_exception_fp_ieee_underflow 0
		.amdhsa_exception_fp_ieee_inexact 0
		.amdhsa_exception_int_div_zero 0
	.end_amdhsa_kernel
	.section	.text._ZN7rocprim17ROCPRIM_400000_NS6detail17trampoline_kernelINS0_14default_configENS1_38merge_sort_block_merge_config_selectorIiNS0_10empty_typeEEEZZNS1_27merge_sort_block_merge_implIS3_N6thrust23THRUST_200600_302600_NS6detail15normal_iteratorINS9_10device_ptrIiEEEEPS5_jNS1_19radix_merge_compareILb0ELb1EiNS0_19identity_decomposerEEEEE10hipError_tT0_T1_T2_jT3_P12ihipStream_tbPNSt15iterator_traitsISK_E10value_typeEPNSQ_ISL_E10value_typeEPSM_NS1_7vsmem_tEENKUlT_SK_SL_SM_E_clISE_PiSF_SF_EESJ_SZ_SK_SL_SM_EUlSZ_E0_NS1_11comp_targetILNS1_3genE8ELNS1_11target_archE1030ELNS1_3gpuE2ELNS1_3repE0EEENS1_38merge_mergepath_config_static_selectorELNS0_4arch9wavefront6targetE0EEEvSL_,"axG",@progbits,_ZN7rocprim17ROCPRIM_400000_NS6detail17trampoline_kernelINS0_14default_configENS1_38merge_sort_block_merge_config_selectorIiNS0_10empty_typeEEEZZNS1_27merge_sort_block_merge_implIS3_N6thrust23THRUST_200600_302600_NS6detail15normal_iteratorINS9_10device_ptrIiEEEEPS5_jNS1_19radix_merge_compareILb0ELb1EiNS0_19identity_decomposerEEEEE10hipError_tT0_T1_T2_jT3_P12ihipStream_tbPNSt15iterator_traitsISK_E10value_typeEPNSQ_ISL_E10value_typeEPSM_NS1_7vsmem_tEENKUlT_SK_SL_SM_E_clISE_PiSF_SF_EESJ_SZ_SK_SL_SM_EUlSZ_E0_NS1_11comp_targetILNS1_3genE8ELNS1_11target_archE1030ELNS1_3gpuE2ELNS1_3repE0EEENS1_38merge_mergepath_config_static_selectorELNS0_4arch9wavefront6targetE0EEEvSL_,comdat
.Lfunc_end123:
	.size	_ZN7rocprim17ROCPRIM_400000_NS6detail17trampoline_kernelINS0_14default_configENS1_38merge_sort_block_merge_config_selectorIiNS0_10empty_typeEEEZZNS1_27merge_sort_block_merge_implIS3_N6thrust23THRUST_200600_302600_NS6detail15normal_iteratorINS9_10device_ptrIiEEEEPS5_jNS1_19radix_merge_compareILb0ELb1EiNS0_19identity_decomposerEEEEE10hipError_tT0_T1_T2_jT3_P12ihipStream_tbPNSt15iterator_traitsISK_E10value_typeEPNSQ_ISL_E10value_typeEPSM_NS1_7vsmem_tEENKUlT_SK_SL_SM_E_clISE_PiSF_SF_EESJ_SZ_SK_SL_SM_EUlSZ_E0_NS1_11comp_targetILNS1_3genE8ELNS1_11target_archE1030ELNS1_3gpuE2ELNS1_3repE0EEENS1_38merge_mergepath_config_static_selectorELNS0_4arch9wavefront6targetE0EEEvSL_, .Lfunc_end123-_ZN7rocprim17ROCPRIM_400000_NS6detail17trampoline_kernelINS0_14default_configENS1_38merge_sort_block_merge_config_selectorIiNS0_10empty_typeEEEZZNS1_27merge_sort_block_merge_implIS3_N6thrust23THRUST_200600_302600_NS6detail15normal_iteratorINS9_10device_ptrIiEEEEPS5_jNS1_19radix_merge_compareILb0ELb1EiNS0_19identity_decomposerEEEEE10hipError_tT0_T1_T2_jT3_P12ihipStream_tbPNSt15iterator_traitsISK_E10value_typeEPNSQ_ISL_E10value_typeEPSM_NS1_7vsmem_tEENKUlT_SK_SL_SM_E_clISE_PiSF_SF_EESJ_SZ_SK_SL_SM_EUlSZ_E0_NS1_11comp_targetILNS1_3genE8ELNS1_11target_archE1030ELNS1_3gpuE2ELNS1_3repE0EEENS1_38merge_mergepath_config_static_selectorELNS0_4arch9wavefront6targetE0EEEvSL_
                                        ; -- End function
	.set _ZN7rocprim17ROCPRIM_400000_NS6detail17trampoline_kernelINS0_14default_configENS1_38merge_sort_block_merge_config_selectorIiNS0_10empty_typeEEEZZNS1_27merge_sort_block_merge_implIS3_N6thrust23THRUST_200600_302600_NS6detail15normal_iteratorINS9_10device_ptrIiEEEEPS5_jNS1_19radix_merge_compareILb0ELb1EiNS0_19identity_decomposerEEEEE10hipError_tT0_T1_T2_jT3_P12ihipStream_tbPNSt15iterator_traitsISK_E10value_typeEPNSQ_ISL_E10value_typeEPSM_NS1_7vsmem_tEENKUlT_SK_SL_SM_E_clISE_PiSF_SF_EESJ_SZ_SK_SL_SM_EUlSZ_E0_NS1_11comp_targetILNS1_3genE8ELNS1_11target_archE1030ELNS1_3gpuE2ELNS1_3repE0EEENS1_38merge_mergepath_config_static_selectorELNS0_4arch9wavefront6targetE0EEEvSL_.num_vgpr, 14
	.set _ZN7rocprim17ROCPRIM_400000_NS6detail17trampoline_kernelINS0_14default_configENS1_38merge_sort_block_merge_config_selectorIiNS0_10empty_typeEEEZZNS1_27merge_sort_block_merge_implIS3_N6thrust23THRUST_200600_302600_NS6detail15normal_iteratorINS9_10device_ptrIiEEEEPS5_jNS1_19radix_merge_compareILb0ELb1EiNS0_19identity_decomposerEEEEE10hipError_tT0_T1_T2_jT3_P12ihipStream_tbPNSt15iterator_traitsISK_E10value_typeEPNSQ_ISL_E10value_typeEPSM_NS1_7vsmem_tEENKUlT_SK_SL_SM_E_clISE_PiSF_SF_EESJ_SZ_SK_SL_SM_EUlSZ_E0_NS1_11comp_targetILNS1_3genE8ELNS1_11target_archE1030ELNS1_3gpuE2ELNS1_3repE0EEENS1_38merge_mergepath_config_static_selectorELNS0_4arch9wavefront6targetE0EEEvSL_.num_agpr, 0
	.set _ZN7rocprim17ROCPRIM_400000_NS6detail17trampoline_kernelINS0_14default_configENS1_38merge_sort_block_merge_config_selectorIiNS0_10empty_typeEEEZZNS1_27merge_sort_block_merge_implIS3_N6thrust23THRUST_200600_302600_NS6detail15normal_iteratorINS9_10device_ptrIiEEEEPS5_jNS1_19radix_merge_compareILb0ELb1EiNS0_19identity_decomposerEEEEE10hipError_tT0_T1_T2_jT3_P12ihipStream_tbPNSt15iterator_traitsISK_E10value_typeEPNSQ_ISL_E10value_typeEPSM_NS1_7vsmem_tEENKUlT_SK_SL_SM_E_clISE_PiSF_SF_EESJ_SZ_SK_SL_SM_EUlSZ_E0_NS1_11comp_targetILNS1_3genE8ELNS1_11target_archE1030ELNS1_3gpuE2ELNS1_3repE0EEENS1_38merge_mergepath_config_static_selectorELNS0_4arch9wavefront6targetE0EEEvSL_.numbered_sgpr, 24
	.set _ZN7rocprim17ROCPRIM_400000_NS6detail17trampoline_kernelINS0_14default_configENS1_38merge_sort_block_merge_config_selectorIiNS0_10empty_typeEEEZZNS1_27merge_sort_block_merge_implIS3_N6thrust23THRUST_200600_302600_NS6detail15normal_iteratorINS9_10device_ptrIiEEEEPS5_jNS1_19radix_merge_compareILb0ELb1EiNS0_19identity_decomposerEEEEE10hipError_tT0_T1_T2_jT3_P12ihipStream_tbPNSt15iterator_traitsISK_E10value_typeEPNSQ_ISL_E10value_typeEPSM_NS1_7vsmem_tEENKUlT_SK_SL_SM_E_clISE_PiSF_SF_EESJ_SZ_SK_SL_SM_EUlSZ_E0_NS1_11comp_targetILNS1_3genE8ELNS1_11target_archE1030ELNS1_3gpuE2ELNS1_3repE0EEENS1_38merge_mergepath_config_static_selectorELNS0_4arch9wavefront6targetE0EEEvSL_.num_named_barrier, 0
	.set _ZN7rocprim17ROCPRIM_400000_NS6detail17trampoline_kernelINS0_14default_configENS1_38merge_sort_block_merge_config_selectorIiNS0_10empty_typeEEEZZNS1_27merge_sort_block_merge_implIS3_N6thrust23THRUST_200600_302600_NS6detail15normal_iteratorINS9_10device_ptrIiEEEEPS5_jNS1_19radix_merge_compareILb0ELb1EiNS0_19identity_decomposerEEEEE10hipError_tT0_T1_T2_jT3_P12ihipStream_tbPNSt15iterator_traitsISK_E10value_typeEPNSQ_ISL_E10value_typeEPSM_NS1_7vsmem_tEENKUlT_SK_SL_SM_E_clISE_PiSF_SF_EESJ_SZ_SK_SL_SM_EUlSZ_E0_NS1_11comp_targetILNS1_3genE8ELNS1_11target_archE1030ELNS1_3gpuE2ELNS1_3repE0EEENS1_38merge_mergepath_config_static_selectorELNS0_4arch9wavefront6targetE0EEEvSL_.private_seg_size, 0
	.set _ZN7rocprim17ROCPRIM_400000_NS6detail17trampoline_kernelINS0_14default_configENS1_38merge_sort_block_merge_config_selectorIiNS0_10empty_typeEEEZZNS1_27merge_sort_block_merge_implIS3_N6thrust23THRUST_200600_302600_NS6detail15normal_iteratorINS9_10device_ptrIiEEEEPS5_jNS1_19radix_merge_compareILb0ELb1EiNS0_19identity_decomposerEEEEE10hipError_tT0_T1_T2_jT3_P12ihipStream_tbPNSt15iterator_traitsISK_E10value_typeEPNSQ_ISL_E10value_typeEPSM_NS1_7vsmem_tEENKUlT_SK_SL_SM_E_clISE_PiSF_SF_EESJ_SZ_SK_SL_SM_EUlSZ_E0_NS1_11comp_targetILNS1_3genE8ELNS1_11target_archE1030ELNS1_3gpuE2ELNS1_3repE0EEENS1_38merge_mergepath_config_static_selectorELNS0_4arch9wavefront6targetE0EEEvSL_.uses_vcc, 1
	.set _ZN7rocprim17ROCPRIM_400000_NS6detail17trampoline_kernelINS0_14default_configENS1_38merge_sort_block_merge_config_selectorIiNS0_10empty_typeEEEZZNS1_27merge_sort_block_merge_implIS3_N6thrust23THRUST_200600_302600_NS6detail15normal_iteratorINS9_10device_ptrIiEEEEPS5_jNS1_19radix_merge_compareILb0ELb1EiNS0_19identity_decomposerEEEEE10hipError_tT0_T1_T2_jT3_P12ihipStream_tbPNSt15iterator_traitsISK_E10value_typeEPNSQ_ISL_E10value_typeEPSM_NS1_7vsmem_tEENKUlT_SK_SL_SM_E_clISE_PiSF_SF_EESJ_SZ_SK_SL_SM_EUlSZ_E0_NS1_11comp_targetILNS1_3genE8ELNS1_11target_archE1030ELNS1_3gpuE2ELNS1_3repE0EEENS1_38merge_mergepath_config_static_selectorELNS0_4arch9wavefront6targetE0EEEvSL_.uses_flat_scratch, 0
	.set _ZN7rocprim17ROCPRIM_400000_NS6detail17trampoline_kernelINS0_14default_configENS1_38merge_sort_block_merge_config_selectorIiNS0_10empty_typeEEEZZNS1_27merge_sort_block_merge_implIS3_N6thrust23THRUST_200600_302600_NS6detail15normal_iteratorINS9_10device_ptrIiEEEEPS5_jNS1_19radix_merge_compareILb0ELb1EiNS0_19identity_decomposerEEEEE10hipError_tT0_T1_T2_jT3_P12ihipStream_tbPNSt15iterator_traitsISK_E10value_typeEPNSQ_ISL_E10value_typeEPSM_NS1_7vsmem_tEENKUlT_SK_SL_SM_E_clISE_PiSF_SF_EESJ_SZ_SK_SL_SM_EUlSZ_E0_NS1_11comp_targetILNS1_3genE8ELNS1_11target_archE1030ELNS1_3gpuE2ELNS1_3repE0EEENS1_38merge_mergepath_config_static_selectorELNS0_4arch9wavefront6targetE0EEEvSL_.has_dyn_sized_stack, 0
	.set _ZN7rocprim17ROCPRIM_400000_NS6detail17trampoline_kernelINS0_14default_configENS1_38merge_sort_block_merge_config_selectorIiNS0_10empty_typeEEEZZNS1_27merge_sort_block_merge_implIS3_N6thrust23THRUST_200600_302600_NS6detail15normal_iteratorINS9_10device_ptrIiEEEEPS5_jNS1_19radix_merge_compareILb0ELb1EiNS0_19identity_decomposerEEEEE10hipError_tT0_T1_T2_jT3_P12ihipStream_tbPNSt15iterator_traitsISK_E10value_typeEPNSQ_ISL_E10value_typeEPSM_NS1_7vsmem_tEENKUlT_SK_SL_SM_E_clISE_PiSF_SF_EESJ_SZ_SK_SL_SM_EUlSZ_E0_NS1_11comp_targetILNS1_3genE8ELNS1_11target_archE1030ELNS1_3gpuE2ELNS1_3repE0EEENS1_38merge_mergepath_config_static_selectorELNS0_4arch9wavefront6targetE0EEEvSL_.has_recursion, 0
	.set _ZN7rocprim17ROCPRIM_400000_NS6detail17trampoline_kernelINS0_14default_configENS1_38merge_sort_block_merge_config_selectorIiNS0_10empty_typeEEEZZNS1_27merge_sort_block_merge_implIS3_N6thrust23THRUST_200600_302600_NS6detail15normal_iteratorINS9_10device_ptrIiEEEEPS5_jNS1_19radix_merge_compareILb0ELb1EiNS0_19identity_decomposerEEEEE10hipError_tT0_T1_T2_jT3_P12ihipStream_tbPNSt15iterator_traitsISK_E10value_typeEPNSQ_ISL_E10value_typeEPSM_NS1_7vsmem_tEENKUlT_SK_SL_SM_E_clISE_PiSF_SF_EESJ_SZ_SK_SL_SM_EUlSZ_E0_NS1_11comp_targetILNS1_3genE8ELNS1_11target_archE1030ELNS1_3gpuE2ELNS1_3repE0EEENS1_38merge_mergepath_config_static_selectorELNS0_4arch9wavefront6targetE0EEEvSL_.has_indirect_call, 0
	.section	.AMDGPU.csdata,"",@progbits
; Kernel info:
; codeLenInByte = 1424
; TotalNumSgprs: 26
; NumVgprs: 14
; ScratchSize: 0
; MemoryBound: 0
; FloatMode: 240
; IeeeMode: 1
; LDSByteSize: 4224 bytes/workgroup (compile time only)
; SGPRBlocks: 0
; VGPRBlocks: 1
; NumSGPRsForWavesPerEU: 26
; NumVGPRsForWavesPerEU: 14
; Occupancy: 16
; WaveLimiterHint : 1
; COMPUTE_PGM_RSRC2:SCRATCH_EN: 0
; COMPUTE_PGM_RSRC2:USER_SGPR: 6
; COMPUTE_PGM_RSRC2:TRAP_HANDLER: 0
; COMPUTE_PGM_RSRC2:TGID_X_EN: 1
; COMPUTE_PGM_RSRC2:TGID_Y_EN: 1
; COMPUTE_PGM_RSRC2:TGID_Z_EN: 1
; COMPUTE_PGM_RSRC2:TIDIG_COMP_CNT: 0
	.section	.text._ZN7rocprim17ROCPRIM_400000_NS6detail17trampoline_kernelINS0_14default_configENS1_38merge_sort_block_merge_config_selectorIiNS0_10empty_typeEEEZZNS1_27merge_sort_block_merge_implIS3_N6thrust23THRUST_200600_302600_NS6detail15normal_iteratorINS9_10device_ptrIiEEEEPS5_jNS1_19radix_merge_compareILb0ELb1EiNS0_19identity_decomposerEEEEE10hipError_tT0_T1_T2_jT3_P12ihipStream_tbPNSt15iterator_traitsISK_E10value_typeEPNSQ_ISL_E10value_typeEPSM_NS1_7vsmem_tEENKUlT_SK_SL_SM_E_clISE_PiSF_SF_EESJ_SZ_SK_SL_SM_EUlSZ_E1_NS1_11comp_targetILNS1_3genE0ELNS1_11target_archE4294967295ELNS1_3gpuE0ELNS1_3repE0EEENS1_36merge_oddeven_config_static_selectorELNS0_4arch9wavefront6targetE0EEEvSL_,"axG",@progbits,_ZN7rocprim17ROCPRIM_400000_NS6detail17trampoline_kernelINS0_14default_configENS1_38merge_sort_block_merge_config_selectorIiNS0_10empty_typeEEEZZNS1_27merge_sort_block_merge_implIS3_N6thrust23THRUST_200600_302600_NS6detail15normal_iteratorINS9_10device_ptrIiEEEEPS5_jNS1_19radix_merge_compareILb0ELb1EiNS0_19identity_decomposerEEEEE10hipError_tT0_T1_T2_jT3_P12ihipStream_tbPNSt15iterator_traitsISK_E10value_typeEPNSQ_ISL_E10value_typeEPSM_NS1_7vsmem_tEENKUlT_SK_SL_SM_E_clISE_PiSF_SF_EESJ_SZ_SK_SL_SM_EUlSZ_E1_NS1_11comp_targetILNS1_3genE0ELNS1_11target_archE4294967295ELNS1_3gpuE0ELNS1_3repE0EEENS1_36merge_oddeven_config_static_selectorELNS0_4arch9wavefront6targetE0EEEvSL_,comdat
	.protected	_ZN7rocprim17ROCPRIM_400000_NS6detail17trampoline_kernelINS0_14default_configENS1_38merge_sort_block_merge_config_selectorIiNS0_10empty_typeEEEZZNS1_27merge_sort_block_merge_implIS3_N6thrust23THRUST_200600_302600_NS6detail15normal_iteratorINS9_10device_ptrIiEEEEPS5_jNS1_19radix_merge_compareILb0ELb1EiNS0_19identity_decomposerEEEEE10hipError_tT0_T1_T2_jT3_P12ihipStream_tbPNSt15iterator_traitsISK_E10value_typeEPNSQ_ISL_E10value_typeEPSM_NS1_7vsmem_tEENKUlT_SK_SL_SM_E_clISE_PiSF_SF_EESJ_SZ_SK_SL_SM_EUlSZ_E1_NS1_11comp_targetILNS1_3genE0ELNS1_11target_archE4294967295ELNS1_3gpuE0ELNS1_3repE0EEENS1_36merge_oddeven_config_static_selectorELNS0_4arch9wavefront6targetE0EEEvSL_ ; -- Begin function _ZN7rocprim17ROCPRIM_400000_NS6detail17trampoline_kernelINS0_14default_configENS1_38merge_sort_block_merge_config_selectorIiNS0_10empty_typeEEEZZNS1_27merge_sort_block_merge_implIS3_N6thrust23THRUST_200600_302600_NS6detail15normal_iteratorINS9_10device_ptrIiEEEEPS5_jNS1_19radix_merge_compareILb0ELb1EiNS0_19identity_decomposerEEEEE10hipError_tT0_T1_T2_jT3_P12ihipStream_tbPNSt15iterator_traitsISK_E10value_typeEPNSQ_ISL_E10value_typeEPSM_NS1_7vsmem_tEENKUlT_SK_SL_SM_E_clISE_PiSF_SF_EESJ_SZ_SK_SL_SM_EUlSZ_E1_NS1_11comp_targetILNS1_3genE0ELNS1_11target_archE4294967295ELNS1_3gpuE0ELNS1_3repE0EEENS1_36merge_oddeven_config_static_selectorELNS0_4arch9wavefront6targetE0EEEvSL_
	.globl	_ZN7rocprim17ROCPRIM_400000_NS6detail17trampoline_kernelINS0_14default_configENS1_38merge_sort_block_merge_config_selectorIiNS0_10empty_typeEEEZZNS1_27merge_sort_block_merge_implIS3_N6thrust23THRUST_200600_302600_NS6detail15normal_iteratorINS9_10device_ptrIiEEEEPS5_jNS1_19radix_merge_compareILb0ELb1EiNS0_19identity_decomposerEEEEE10hipError_tT0_T1_T2_jT3_P12ihipStream_tbPNSt15iterator_traitsISK_E10value_typeEPNSQ_ISL_E10value_typeEPSM_NS1_7vsmem_tEENKUlT_SK_SL_SM_E_clISE_PiSF_SF_EESJ_SZ_SK_SL_SM_EUlSZ_E1_NS1_11comp_targetILNS1_3genE0ELNS1_11target_archE4294967295ELNS1_3gpuE0ELNS1_3repE0EEENS1_36merge_oddeven_config_static_selectorELNS0_4arch9wavefront6targetE0EEEvSL_
	.p2align	8
	.type	_ZN7rocprim17ROCPRIM_400000_NS6detail17trampoline_kernelINS0_14default_configENS1_38merge_sort_block_merge_config_selectorIiNS0_10empty_typeEEEZZNS1_27merge_sort_block_merge_implIS3_N6thrust23THRUST_200600_302600_NS6detail15normal_iteratorINS9_10device_ptrIiEEEEPS5_jNS1_19radix_merge_compareILb0ELb1EiNS0_19identity_decomposerEEEEE10hipError_tT0_T1_T2_jT3_P12ihipStream_tbPNSt15iterator_traitsISK_E10value_typeEPNSQ_ISL_E10value_typeEPSM_NS1_7vsmem_tEENKUlT_SK_SL_SM_E_clISE_PiSF_SF_EESJ_SZ_SK_SL_SM_EUlSZ_E1_NS1_11comp_targetILNS1_3genE0ELNS1_11target_archE4294967295ELNS1_3gpuE0ELNS1_3repE0EEENS1_36merge_oddeven_config_static_selectorELNS0_4arch9wavefront6targetE0EEEvSL_,@function
_ZN7rocprim17ROCPRIM_400000_NS6detail17trampoline_kernelINS0_14default_configENS1_38merge_sort_block_merge_config_selectorIiNS0_10empty_typeEEEZZNS1_27merge_sort_block_merge_implIS3_N6thrust23THRUST_200600_302600_NS6detail15normal_iteratorINS9_10device_ptrIiEEEEPS5_jNS1_19radix_merge_compareILb0ELb1EiNS0_19identity_decomposerEEEEE10hipError_tT0_T1_T2_jT3_P12ihipStream_tbPNSt15iterator_traitsISK_E10value_typeEPNSQ_ISL_E10value_typeEPSM_NS1_7vsmem_tEENKUlT_SK_SL_SM_E_clISE_PiSF_SF_EESJ_SZ_SK_SL_SM_EUlSZ_E1_NS1_11comp_targetILNS1_3genE0ELNS1_11target_archE4294967295ELNS1_3gpuE0ELNS1_3repE0EEENS1_36merge_oddeven_config_static_selectorELNS0_4arch9wavefront6targetE0EEEvSL_: ; @_ZN7rocprim17ROCPRIM_400000_NS6detail17trampoline_kernelINS0_14default_configENS1_38merge_sort_block_merge_config_selectorIiNS0_10empty_typeEEEZZNS1_27merge_sort_block_merge_implIS3_N6thrust23THRUST_200600_302600_NS6detail15normal_iteratorINS9_10device_ptrIiEEEEPS5_jNS1_19radix_merge_compareILb0ELb1EiNS0_19identity_decomposerEEEEE10hipError_tT0_T1_T2_jT3_P12ihipStream_tbPNSt15iterator_traitsISK_E10value_typeEPNSQ_ISL_E10value_typeEPSM_NS1_7vsmem_tEENKUlT_SK_SL_SM_E_clISE_PiSF_SF_EESJ_SZ_SK_SL_SM_EUlSZ_E1_NS1_11comp_targetILNS1_3genE0ELNS1_11target_archE4294967295ELNS1_3gpuE0ELNS1_3repE0EEENS1_36merge_oddeven_config_static_selectorELNS0_4arch9wavefront6targetE0EEEvSL_
; %bb.0:
	.section	.rodata,"a",@progbits
	.p2align	6, 0x0
	.amdhsa_kernel _ZN7rocprim17ROCPRIM_400000_NS6detail17trampoline_kernelINS0_14default_configENS1_38merge_sort_block_merge_config_selectorIiNS0_10empty_typeEEEZZNS1_27merge_sort_block_merge_implIS3_N6thrust23THRUST_200600_302600_NS6detail15normal_iteratorINS9_10device_ptrIiEEEEPS5_jNS1_19radix_merge_compareILb0ELb1EiNS0_19identity_decomposerEEEEE10hipError_tT0_T1_T2_jT3_P12ihipStream_tbPNSt15iterator_traitsISK_E10value_typeEPNSQ_ISL_E10value_typeEPSM_NS1_7vsmem_tEENKUlT_SK_SL_SM_E_clISE_PiSF_SF_EESJ_SZ_SK_SL_SM_EUlSZ_E1_NS1_11comp_targetILNS1_3genE0ELNS1_11target_archE4294967295ELNS1_3gpuE0ELNS1_3repE0EEENS1_36merge_oddeven_config_static_selectorELNS0_4arch9wavefront6targetE0EEEvSL_
		.amdhsa_group_segment_fixed_size 0
		.amdhsa_private_segment_fixed_size 0
		.amdhsa_kernarg_size 48
		.amdhsa_user_sgpr_count 6
		.amdhsa_user_sgpr_private_segment_buffer 1
		.amdhsa_user_sgpr_dispatch_ptr 0
		.amdhsa_user_sgpr_queue_ptr 0
		.amdhsa_user_sgpr_kernarg_segment_ptr 1
		.amdhsa_user_sgpr_dispatch_id 0
		.amdhsa_user_sgpr_flat_scratch_init 0
		.amdhsa_user_sgpr_private_segment_size 0
		.amdhsa_wavefront_size32 1
		.amdhsa_uses_dynamic_stack 0
		.amdhsa_system_sgpr_private_segment_wavefront_offset 0
		.amdhsa_system_sgpr_workgroup_id_x 1
		.amdhsa_system_sgpr_workgroup_id_y 0
		.amdhsa_system_sgpr_workgroup_id_z 0
		.amdhsa_system_sgpr_workgroup_info 0
		.amdhsa_system_vgpr_workitem_id 0
		.amdhsa_next_free_vgpr 1
		.amdhsa_next_free_sgpr 1
		.amdhsa_reserve_vcc 0
		.amdhsa_reserve_flat_scratch 0
		.amdhsa_float_round_mode_32 0
		.amdhsa_float_round_mode_16_64 0
		.amdhsa_float_denorm_mode_32 3
		.amdhsa_float_denorm_mode_16_64 3
		.amdhsa_dx10_clamp 1
		.amdhsa_ieee_mode 1
		.amdhsa_fp16_overflow 0
		.amdhsa_workgroup_processor_mode 1
		.amdhsa_memory_ordered 1
		.amdhsa_forward_progress 1
		.amdhsa_shared_vgpr_count 0
		.amdhsa_exception_fp_ieee_invalid_op 0
		.amdhsa_exception_fp_denorm_src 0
		.amdhsa_exception_fp_ieee_div_zero 0
		.amdhsa_exception_fp_ieee_overflow 0
		.amdhsa_exception_fp_ieee_underflow 0
		.amdhsa_exception_fp_ieee_inexact 0
		.amdhsa_exception_int_div_zero 0
	.end_amdhsa_kernel
	.section	.text._ZN7rocprim17ROCPRIM_400000_NS6detail17trampoline_kernelINS0_14default_configENS1_38merge_sort_block_merge_config_selectorIiNS0_10empty_typeEEEZZNS1_27merge_sort_block_merge_implIS3_N6thrust23THRUST_200600_302600_NS6detail15normal_iteratorINS9_10device_ptrIiEEEEPS5_jNS1_19radix_merge_compareILb0ELb1EiNS0_19identity_decomposerEEEEE10hipError_tT0_T1_T2_jT3_P12ihipStream_tbPNSt15iterator_traitsISK_E10value_typeEPNSQ_ISL_E10value_typeEPSM_NS1_7vsmem_tEENKUlT_SK_SL_SM_E_clISE_PiSF_SF_EESJ_SZ_SK_SL_SM_EUlSZ_E1_NS1_11comp_targetILNS1_3genE0ELNS1_11target_archE4294967295ELNS1_3gpuE0ELNS1_3repE0EEENS1_36merge_oddeven_config_static_selectorELNS0_4arch9wavefront6targetE0EEEvSL_,"axG",@progbits,_ZN7rocprim17ROCPRIM_400000_NS6detail17trampoline_kernelINS0_14default_configENS1_38merge_sort_block_merge_config_selectorIiNS0_10empty_typeEEEZZNS1_27merge_sort_block_merge_implIS3_N6thrust23THRUST_200600_302600_NS6detail15normal_iteratorINS9_10device_ptrIiEEEEPS5_jNS1_19radix_merge_compareILb0ELb1EiNS0_19identity_decomposerEEEEE10hipError_tT0_T1_T2_jT3_P12ihipStream_tbPNSt15iterator_traitsISK_E10value_typeEPNSQ_ISL_E10value_typeEPSM_NS1_7vsmem_tEENKUlT_SK_SL_SM_E_clISE_PiSF_SF_EESJ_SZ_SK_SL_SM_EUlSZ_E1_NS1_11comp_targetILNS1_3genE0ELNS1_11target_archE4294967295ELNS1_3gpuE0ELNS1_3repE0EEENS1_36merge_oddeven_config_static_selectorELNS0_4arch9wavefront6targetE0EEEvSL_,comdat
.Lfunc_end124:
	.size	_ZN7rocprim17ROCPRIM_400000_NS6detail17trampoline_kernelINS0_14default_configENS1_38merge_sort_block_merge_config_selectorIiNS0_10empty_typeEEEZZNS1_27merge_sort_block_merge_implIS3_N6thrust23THRUST_200600_302600_NS6detail15normal_iteratorINS9_10device_ptrIiEEEEPS5_jNS1_19radix_merge_compareILb0ELb1EiNS0_19identity_decomposerEEEEE10hipError_tT0_T1_T2_jT3_P12ihipStream_tbPNSt15iterator_traitsISK_E10value_typeEPNSQ_ISL_E10value_typeEPSM_NS1_7vsmem_tEENKUlT_SK_SL_SM_E_clISE_PiSF_SF_EESJ_SZ_SK_SL_SM_EUlSZ_E1_NS1_11comp_targetILNS1_3genE0ELNS1_11target_archE4294967295ELNS1_3gpuE0ELNS1_3repE0EEENS1_36merge_oddeven_config_static_selectorELNS0_4arch9wavefront6targetE0EEEvSL_, .Lfunc_end124-_ZN7rocprim17ROCPRIM_400000_NS6detail17trampoline_kernelINS0_14default_configENS1_38merge_sort_block_merge_config_selectorIiNS0_10empty_typeEEEZZNS1_27merge_sort_block_merge_implIS3_N6thrust23THRUST_200600_302600_NS6detail15normal_iteratorINS9_10device_ptrIiEEEEPS5_jNS1_19radix_merge_compareILb0ELb1EiNS0_19identity_decomposerEEEEE10hipError_tT0_T1_T2_jT3_P12ihipStream_tbPNSt15iterator_traitsISK_E10value_typeEPNSQ_ISL_E10value_typeEPSM_NS1_7vsmem_tEENKUlT_SK_SL_SM_E_clISE_PiSF_SF_EESJ_SZ_SK_SL_SM_EUlSZ_E1_NS1_11comp_targetILNS1_3genE0ELNS1_11target_archE4294967295ELNS1_3gpuE0ELNS1_3repE0EEENS1_36merge_oddeven_config_static_selectorELNS0_4arch9wavefront6targetE0EEEvSL_
                                        ; -- End function
	.set _ZN7rocprim17ROCPRIM_400000_NS6detail17trampoline_kernelINS0_14default_configENS1_38merge_sort_block_merge_config_selectorIiNS0_10empty_typeEEEZZNS1_27merge_sort_block_merge_implIS3_N6thrust23THRUST_200600_302600_NS6detail15normal_iteratorINS9_10device_ptrIiEEEEPS5_jNS1_19radix_merge_compareILb0ELb1EiNS0_19identity_decomposerEEEEE10hipError_tT0_T1_T2_jT3_P12ihipStream_tbPNSt15iterator_traitsISK_E10value_typeEPNSQ_ISL_E10value_typeEPSM_NS1_7vsmem_tEENKUlT_SK_SL_SM_E_clISE_PiSF_SF_EESJ_SZ_SK_SL_SM_EUlSZ_E1_NS1_11comp_targetILNS1_3genE0ELNS1_11target_archE4294967295ELNS1_3gpuE0ELNS1_3repE0EEENS1_36merge_oddeven_config_static_selectorELNS0_4arch9wavefront6targetE0EEEvSL_.num_vgpr, 0
	.set _ZN7rocprim17ROCPRIM_400000_NS6detail17trampoline_kernelINS0_14default_configENS1_38merge_sort_block_merge_config_selectorIiNS0_10empty_typeEEEZZNS1_27merge_sort_block_merge_implIS3_N6thrust23THRUST_200600_302600_NS6detail15normal_iteratorINS9_10device_ptrIiEEEEPS5_jNS1_19radix_merge_compareILb0ELb1EiNS0_19identity_decomposerEEEEE10hipError_tT0_T1_T2_jT3_P12ihipStream_tbPNSt15iterator_traitsISK_E10value_typeEPNSQ_ISL_E10value_typeEPSM_NS1_7vsmem_tEENKUlT_SK_SL_SM_E_clISE_PiSF_SF_EESJ_SZ_SK_SL_SM_EUlSZ_E1_NS1_11comp_targetILNS1_3genE0ELNS1_11target_archE4294967295ELNS1_3gpuE0ELNS1_3repE0EEENS1_36merge_oddeven_config_static_selectorELNS0_4arch9wavefront6targetE0EEEvSL_.num_agpr, 0
	.set _ZN7rocprim17ROCPRIM_400000_NS6detail17trampoline_kernelINS0_14default_configENS1_38merge_sort_block_merge_config_selectorIiNS0_10empty_typeEEEZZNS1_27merge_sort_block_merge_implIS3_N6thrust23THRUST_200600_302600_NS6detail15normal_iteratorINS9_10device_ptrIiEEEEPS5_jNS1_19radix_merge_compareILb0ELb1EiNS0_19identity_decomposerEEEEE10hipError_tT0_T1_T2_jT3_P12ihipStream_tbPNSt15iterator_traitsISK_E10value_typeEPNSQ_ISL_E10value_typeEPSM_NS1_7vsmem_tEENKUlT_SK_SL_SM_E_clISE_PiSF_SF_EESJ_SZ_SK_SL_SM_EUlSZ_E1_NS1_11comp_targetILNS1_3genE0ELNS1_11target_archE4294967295ELNS1_3gpuE0ELNS1_3repE0EEENS1_36merge_oddeven_config_static_selectorELNS0_4arch9wavefront6targetE0EEEvSL_.numbered_sgpr, 0
	.set _ZN7rocprim17ROCPRIM_400000_NS6detail17trampoline_kernelINS0_14default_configENS1_38merge_sort_block_merge_config_selectorIiNS0_10empty_typeEEEZZNS1_27merge_sort_block_merge_implIS3_N6thrust23THRUST_200600_302600_NS6detail15normal_iteratorINS9_10device_ptrIiEEEEPS5_jNS1_19radix_merge_compareILb0ELb1EiNS0_19identity_decomposerEEEEE10hipError_tT0_T1_T2_jT3_P12ihipStream_tbPNSt15iterator_traitsISK_E10value_typeEPNSQ_ISL_E10value_typeEPSM_NS1_7vsmem_tEENKUlT_SK_SL_SM_E_clISE_PiSF_SF_EESJ_SZ_SK_SL_SM_EUlSZ_E1_NS1_11comp_targetILNS1_3genE0ELNS1_11target_archE4294967295ELNS1_3gpuE0ELNS1_3repE0EEENS1_36merge_oddeven_config_static_selectorELNS0_4arch9wavefront6targetE0EEEvSL_.num_named_barrier, 0
	.set _ZN7rocprim17ROCPRIM_400000_NS6detail17trampoline_kernelINS0_14default_configENS1_38merge_sort_block_merge_config_selectorIiNS0_10empty_typeEEEZZNS1_27merge_sort_block_merge_implIS3_N6thrust23THRUST_200600_302600_NS6detail15normal_iteratorINS9_10device_ptrIiEEEEPS5_jNS1_19radix_merge_compareILb0ELb1EiNS0_19identity_decomposerEEEEE10hipError_tT0_T1_T2_jT3_P12ihipStream_tbPNSt15iterator_traitsISK_E10value_typeEPNSQ_ISL_E10value_typeEPSM_NS1_7vsmem_tEENKUlT_SK_SL_SM_E_clISE_PiSF_SF_EESJ_SZ_SK_SL_SM_EUlSZ_E1_NS1_11comp_targetILNS1_3genE0ELNS1_11target_archE4294967295ELNS1_3gpuE0ELNS1_3repE0EEENS1_36merge_oddeven_config_static_selectorELNS0_4arch9wavefront6targetE0EEEvSL_.private_seg_size, 0
	.set _ZN7rocprim17ROCPRIM_400000_NS6detail17trampoline_kernelINS0_14default_configENS1_38merge_sort_block_merge_config_selectorIiNS0_10empty_typeEEEZZNS1_27merge_sort_block_merge_implIS3_N6thrust23THRUST_200600_302600_NS6detail15normal_iteratorINS9_10device_ptrIiEEEEPS5_jNS1_19radix_merge_compareILb0ELb1EiNS0_19identity_decomposerEEEEE10hipError_tT0_T1_T2_jT3_P12ihipStream_tbPNSt15iterator_traitsISK_E10value_typeEPNSQ_ISL_E10value_typeEPSM_NS1_7vsmem_tEENKUlT_SK_SL_SM_E_clISE_PiSF_SF_EESJ_SZ_SK_SL_SM_EUlSZ_E1_NS1_11comp_targetILNS1_3genE0ELNS1_11target_archE4294967295ELNS1_3gpuE0ELNS1_3repE0EEENS1_36merge_oddeven_config_static_selectorELNS0_4arch9wavefront6targetE0EEEvSL_.uses_vcc, 0
	.set _ZN7rocprim17ROCPRIM_400000_NS6detail17trampoline_kernelINS0_14default_configENS1_38merge_sort_block_merge_config_selectorIiNS0_10empty_typeEEEZZNS1_27merge_sort_block_merge_implIS3_N6thrust23THRUST_200600_302600_NS6detail15normal_iteratorINS9_10device_ptrIiEEEEPS5_jNS1_19radix_merge_compareILb0ELb1EiNS0_19identity_decomposerEEEEE10hipError_tT0_T1_T2_jT3_P12ihipStream_tbPNSt15iterator_traitsISK_E10value_typeEPNSQ_ISL_E10value_typeEPSM_NS1_7vsmem_tEENKUlT_SK_SL_SM_E_clISE_PiSF_SF_EESJ_SZ_SK_SL_SM_EUlSZ_E1_NS1_11comp_targetILNS1_3genE0ELNS1_11target_archE4294967295ELNS1_3gpuE0ELNS1_3repE0EEENS1_36merge_oddeven_config_static_selectorELNS0_4arch9wavefront6targetE0EEEvSL_.uses_flat_scratch, 0
	.set _ZN7rocprim17ROCPRIM_400000_NS6detail17trampoline_kernelINS0_14default_configENS1_38merge_sort_block_merge_config_selectorIiNS0_10empty_typeEEEZZNS1_27merge_sort_block_merge_implIS3_N6thrust23THRUST_200600_302600_NS6detail15normal_iteratorINS9_10device_ptrIiEEEEPS5_jNS1_19radix_merge_compareILb0ELb1EiNS0_19identity_decomposerEEEEE10hipError_tT0_T1_T2_jT3_P12ihipStream_tbPNSt15iterator_traitsISK_E10value_typeEPNSQ_ISL_E10value_typeEPSM_NS1_7vsmem_tEENKUlT_SK_SL_SM_E_clISE_PiSF_SF_EESJ_SZ_SK_SL_SM_EUlSZ_E1_NS1_11comp_targetILNS1_3genE0ELNS1_11target_archE4294967295ELNS1_3gpuE0ELNS1_3repE0EEENS1_36merge_oddeven_config_static_selectorELNS0_4arch9wavefront6targetE0EEEvSL_.has_dyn_sized_stack, 0
	.set _ZN7rocprim17ROCPRIM_400000_NS6detail17trampoline_kernelINS0_14default_configENS1_38merge_sort_block_merge_config_selectorIiNS0_10empty_typeEEEZZNS1_27merge_sort_block_merge_implIS3_N6thrust23THRUST_200600_302600_NS6detail15normal_iteratorINS9_10device_ptrIiEEEEPS5_jNS1_19radix_merge_compareILb0ELb1EiNS0_19identity_decomposerEEEEE10hipError_tT0_T1_T2_jT3_P12ihipStream_tbPNSt15iterator_traitsISK_E10value_typeEPNSQ_ISL_E10value_typeEPSM_NS1_7vsmem_tEENKUlT_SK_SL_SM_E_clISE_PiSF_SF_EESJ_SZ_SK_SL_SM_EUlSZ_E1_NS1_11comp_targetILNS1_3genE0ELNS1_11target_archE4294967295ELNS1_3gpuE0ELNS1_3repE0EEENS1_36merge_oddeven_config_static_selectorELNS0_4arch9wavefront6targetE0EEEvSL_.has_recursion, 0
	.set _ZN7rocprim17ROCPRIM_400000_NS6detail17trampoline_kernelINS0_14default_configENS1_38merge_sort_block_merge_config_selectorIiNS0_10empty_typeEEEZZNS1_27merge_sort_block_merge_implIS3_N6thrust23THRUST_200600_302600_NS6detail15normal_iteratorINS9_10device_ptrIiEEEEPS5_jNS1_19radix_merge_compareILb0ELb1EiNS0_19identity_decomposerEEEEE10hipError_tT0_T1_T2_jT3_P12ihipStream_tbPNSt15iterator_traitsISK_E10value_typeEPNSQ_ISL_E10value_typeEPSM_NS1_7vsmem_tEENKUlT_SK_SL_SM_E_clISE_PiSF_SF_EESJ_SZ_SK_SL_SM_EUlSZ_E1_NS1_11comp_targetILNS1_3genE0ELNS1_11target_archE4294967295ELNS1_3gpuE0ELNS1_3repE0EEENS1_36merge_oddeven_config_static_selectorELNS0_4arch9wavefront6targetE0EEEvSL_.has_indirect_call, 0
	.section	.AMDGPU.csdata,"",@progbits
; Kernel info:
; codeLenInByte = 0
; TotalNumSgprs: 0
; NumVgprs: 0
; ScratchSize: 0
; MemoryBound: 0
; FloatMode: 240
; IeeeMode: 1
; LDSByteSize: 0 bytes/workgroup (compile time only)
; SGPRBlocks: 0
; VGPRBlocks: 0
; NumSGPRsForWavesPerEU: 1
; NumVGPRsForWavesPerEU: 1
; Occupancy: 16
; WaveLimiterHint : 0
; COMPUTE_PGM_RSRC2:SCRATCH_EN: 0
; COMPUTE_PGM_RSRC2:USER_SGPR: 6
; COMPUTE_PGM_RSRC2:TRAP_HANDLER: 0
; COMPUTE_PGM_RSRC2:TGID_X_EN: 1
; COMPUTE_PGM_RSRC2:TGID_Y_EN: 0
; COMPUTE_PGM_RSRC2:TGID_Z_EN: 0
; COMPUTE_PGM_RSRC2:TIDIG_COMP_CNT: 0
	.section	.text._ZN7rocprim17ROCPRIM_400000_NS6detail17trampoline_kernelINS0_14default_configENS1_38merge_sort_block_merge_config_selectorIiNS0_10empty_typeEEEZZNS1_27merge_sort_block_merge_implIS3_N6thrust23THRUST_200600_302600_NS6detail15normal_iteratorINS9_10device_ptrIiEEEEPS5_jNS1_19radix_merge_compareILb0ELb1EiNS0_19identity_decomposerEEEEE10hipError_tT0_T1_T2_jT3_P12ihipStream_tbPNSt15iterator_traitsISK_E10value_typeEPNSQ_ISL_E10value_typeEPSM_NS1_7vsmem_tEENKUlT_SK_SL_SM_E_clISE_PiSF_SF_EESJ_SZ_SK_SL_SM_EUlSZ_E1_NS1_11comp_targetILNS1_3genE10ELNS1_11target_archE1201ELNS1_3gpuE5ELNS1_3repE0EEENS1_36merge_oddeven_config_static_selectorELNS0_4arch9wavefront6targetE0EEEvSL_,"axG",@progbits,_ZN7rocprim17ROCPRIM_400000_NS6detail17trampoline_kernelINS0_14default_configENS1_38merge_sort_block_merge_config_selectorIiNS0_10empty_typeEEEZZNS1_27merge_sort_block_merge_implIS3_N6thrust23THRUST_200600_302600_NS6detail15normal_iteratorINS9_10device_ptrIiEEEEPS5_jNS1_19radix_merge_compareILb0ELb1EiNS0_19identity_decomposerEEEEE10hipError_tT0_T1_T2_jT3_P12ihipStream_tbPNSt15iterator_traitsISK_E10value_typeEPNSQ_ISL_E10value_typeEPSM_NS1_7vsmem_tEENKUlT_SK_SL_SM_E_clISE_PiSF_SF_EESJ_SZ_SK_SL_SM_EUlSZ_E1_NS1_11comp_targetILNS1_3genE10ELNS1_11target_archE1201ELNS1_3gpuE5ELNS1_3repE0EEENS1_36merge_oddeven_config_static_selectorELNS0_4arch9wavefront6targetE0EEEvSL_,comdat
	.protected	_ZN7rocprim17ROCPRIM_400000_NS6detail17trampoline_kernelINS0_14default_configENS1_38merge_sort_block_merge_config_selectorIiNS0_10empty_typeEEEZZNS1_27merge_sort_block_merge_implIS3_N6thrust23THRUST_200600_302600_NS6detail15normal_iteratorINS9_10device_ptrIiEEEEPS5_jNS1_19radix_merge_compareILb0ELb1EiNS0_19identity_decomposerEEEEE10hipError_tT0_T1_T2_jT3_P12ihipStream_tbPNSt15iterator_traitsISK_E10value_typeEPNSQ_ISL_E10value_typeEPSM_NS1_7vsmem_tEENKUlT_SK_SL_SM_E_clISE_PiSF_SF_EESJ_SZ_SK_SL_SM_EUlSZ_E1_NS1_11comp_targetILNS1_3genE10ELNS1_11target_archE1201ELNS1_3gpuE5ELNS1_3repE0EEENS1_36merge_oddeven_config_static_selectorELNS0_4arch9wavefront6targetE0EEEvSL_ ; -- Begin function _ZN7rocprim17ROCPRIM_400000_NS6detail17trampoline_kernelINS0_14default_configENS1_38merge_sort_block_merge_config_selectorIiNS0_10empty_typeEEEZZNS1_27merge_sort_block_merge_implIS3_N6thrust23THRUST_200600_302600_NS6detail15normal_iteratorINS9_10device_ptrIiEEEEPS5_jNS1_19radix_merge_compareILb0ELb1EiNS0_19identity_decomposerEEEEE10hipError_tT0_T1_T2_jT3_P12ihipStream_tbPNSt15iterator_traitsISK_E10value_typeEPNSQ_ISL_E10value_typeEPSM_NS1_7vsmem_tEENKUlT_SK_SL_SM_E_clISE_PiSF_SF_EESJ_SZ_SK_SL_SM_EUlSZ_E1_NS1_11comp_targetILNS1_3genE10ELNS1_11target_archE1201ELNS1_3gpuE5ELNS1_3repE0EEENS1_36merge_oddeven_config_static_selectorELNS0_4arch9wavefront6targetE0EEEvSL_
	.globl	_ZN7rocprim17ROCPRIM_400000_NS6detail17trampoline_kernelINS0_14default_configENS1_38merge_sort_block_merge_config_selectorIiNS0_10empty_typeEEEZZNS1_27merge_sort_block_merge_implIS3_N6thrust23THRUST_200600_302600_NS6detail15normal_iteratorINS9_10device_ptrIiEEEEPS5_jNS1_19radix_merge_compareILb0ELb1EiNS0_19identity_decomposerEEEEE10hipError_tT0_T1_T2_jT3_P12ihipStream_tbPNSt15iterator_traitsISK_E10value_typeEPNSQ_ISL_E10value_typeEPSM_NS1_7vsmem_tEENKUlT_SK_SL_SM_E_clISE_PiSF_SF_EESJ_SZ_SK_SL_SM_EUlSZ_E1_NS1_11comp_targetILNS1_3genE10ELNS1_11target_archE1201ELNS1_3gpuE5ELNS1_3repE0EEENS1_36merge_oddeven_config_static_selectorELNS0_4arch9wavefront6targetE0EEEvSL_
	.p2align	8
	.type	_ZN7rocprim17ROCPRIM_400000_NS6detail17trampoline_kernelINS0_14default_configENS1_38merge_sort_block_merge_config_selectorIiNS0_10empty_typeEEEZZNS1_27merge_sort_block_merge_implIS3_N6thrust23THRUST_200600_302600_NS6detail15normal_iteratorINS9_10device_ptrIiEEEEPS5_jNS1_19radix_merge_compareILb0ELb1EiNS0_19identity_decomposerEEEEE10hipError_tT0_T1_T2_jT3_P12ihipStream_tbPNSt15iterator_traitsISK_E10value_typeEPNSQ_ISL_E10value_typeEPSM_NS1_7vsmem_tEENKUlT_SK_SL_SM_E_clISE_PiSF_SF_EESJ_SZ_SK_SL_SM_EUlSZ_E1_NS1_11comp_targetILNS1_3genE10ELNS1_11target_archE1201ELNS1_3gpuE5ELNS1_3repE0EEENS1_36merge_oddeven_config_static_selectorELNS0_4arch9wavefront6targetE0EEEvSL_,@function
_ZN7rocprim17ROCPRIM_400000_NS6detail17trampoline_kernelINS0_14default_configENS1_38merge_sort_block_merge_config_selectorIiNS0_10empty_typeEEEZZNS1_27merge_sort_block_merge_implIS3_N6thrust23THRUST_200600_302600_NS6detail15normal_iteratorINS9_10device_ptrIiEEEEPS5_jNS1_19radix_merge_compareILb0ELb1EiNS0_19identity_decomposerEEEEE10hipError_tT0_T1_T2_jT3_P12ihipStream_tbPNSt15iterator_traitsISK_E10value_typeEPNSQ_ISL_E10value_typeEPSM_NS1_7vsmem_tEENKUlT_SK_SL_SM_E_clISE_PiSF_SF_EESJ_SZ_SK_SL_SM_EUlSZ_E1_NS1_11comp_targetILNS1_3genE10ELNS1_11target_archE1201ELNS1_3gpuE5ELNS1_3repE0EEENS1_36merge_oddeven_config_static_selectorELNS0_4arch9wavefront6targetE0EEEvSL_: ; @_ZN7rocprim17ROCPRIM_400000_NS6detail17trampoline_kernelINS0_14default_configENS1_38merge_sort_block_merge_config_selectorIiNS0_10empty_typeEEEZZNS1_27merge_sort_block_merge_implIS3_N6thrust23THRUST_200600_302600_NS6detail15normal_iteratorINS9_10device_ptrIiEEEEPS5_jNS1_19radix_merge_compareILb0ELb1EiNS0_19identity_decomposerEEEEE10hipError_tT0_T1_T2_jT3_P12ihipStream_tbPNSt15iterator_traitsISK_E10value_typeEPNSQ_ISL_E10value_typeEPSM_NS1_7vsmem_tEENKUlT_SK_SL_SM_E_clISE_PiSF_SF_EESJ_SZ_SK_SL_SM_EUlSZ_E1_NS1_11comp_targetILNS1_3genE10ELNS1_11target_archE1201ELNS1_3gpuE5ELNS1_3repE0EEENS1_36merge_oddeven_config_static_selectorELNS0_4arch9wavefront6targetE0EEEvSL_
; %bb.0:
	.section	.rodata,"a",@progbits
	.p2align	6, 0x0
	.amdhsa_kernel _ZN7rocprim17ROCPRIM_400000_NS6detail17trampoline_kernelINS0_14default_configENS1_38merge_sort_block_merge_config_selectorIiNS0_10empty_typeEEEZZNS1_27merge_sort_block_merge_implIS3_N6thrust23THRUST_200600_302600_NS6detail15normal_iteratorINS9_10device_ptrIiEEEEPS5_jNS1_19radix_merge_compareILb0ELb1EiNS0_19identity_decomposerEEEEE10hipError_tT0_T1_T2_jT3_P12ihipStream_tbPNSt15iterator_traitsISK_E10value_typeEPNSQ_ISL_E10value_typeEPSM_NS1_7vsmem_tEENKUlT_SK_SL_SM_E_clISE_PiSF_SF_EESJ_SZ_SK_SL_SM_EUlSZ_E1_NS1_11comp_targetILNS1_3genE10ELNS1_11target_archE1201ELNS1_3gpuE5ELNS1_3repE0EEENS1_36merge_oddeven_config_static_selectorELNS0_4arch9wavefront6targetE0EEEvSL_
		.amdhsa_group_segment_fixed_size 0
		.amdhsa_private_segment_fixed_size 0
		.amdhsa_kernarg_size 48
		.amdhsa_user_sgpr_count 6
		.amdhsa_user_sgpr_private_segment_buffer 1
		.amdhsa_user_sgpr_dispatch_ptr 0
		.amdhsa_user_sgpr_queue_ptr 0
		.amdhsa_user_sgpr_kernarg_segment_ptr 1
		.amdhsa_user_sgpr_dispatch_id 0
		.amdhsa_user_sgpr_flat_scratch_init 0
		.amdhsa_user_sgpr_private_segment_size 0
		.amdhsa_wavefront_size32 1
		.amdhsa_uses_dynamic_stack 0
		.amdhsa_system_sgpr_private_segment_wavefront_offset 0
		.amdhsa_system_sgpr_workgroup_id_x 1
		.amdhsa_system_sgpr_workgroup_id_y 0
		.amdhsa_system_sgpr_workgroup_id_z 0
		.amdhsa_system_sgpr_workgroup_info 0
		.amdhsa_system_vgpr_workitem_id 0
		.amdhsa_next_free_vgpr 1
		.amdhsa_next_free_sgpr 1
		.amdhsa_reserve_vcc 0
		.amdhsa_reserve_flat_scratch 0
		.amdhsa_float_round_mode_32 0
		.amdhsa_float_round_mode_16_64 0
		.amdhsa_float_denorm_mode_32 3
		.amdhsa_float_denorm_mode_16_64 3
		.amdhsa_dx10_clamp 1
		.amdhsa_ieee_mode 1
		.amdhsa_fp16_overflow 0
		.amdhsa_workgroup_processor_mode 1
		.amdhsa_memory_ordered 1
		.amdhsa_forward_progress 1
		.amdhsa_shared_vgpr_count 0
		.amdhsa_exception_fp_ieee_invalid_op 0
		.amdhsa_exception_fp_denorm_src 0
		.amdhsa_exception_fp_ieee_div_zero 0
		.amdhsa_exception_fp_ieee_overflow 0
		.amdhsa_exception_fp_ieee_underflow 0
		.amdhsa_exception_fp_ieee_inexact 0
		.amdhsa_exception_int_div_zero 0
	.end_amdhsa_kernel
	.section	.text._ZN7rocprim17ROCPRIM_400000_NS6detail17trampoline_kernelINS0_14default_configENS1_38merge_sort_block_merge_config_selectorIiNS0_10empty_typeEEEZZNS1_27merge_sort_block_merge_implIS3_N6thrust23THRUST_200600_302600_NS6detail15normal_iteratorINS9_10device_ptrIiEEEEPS5_jNS1_19radix_merge_compareILb0ELb1EiNS0_19identity_decomposerEEEEE10hipError_tT0_T1_T2_jT3_P12ihipStream_tbPNSt15iterator_traitsISK_E10value_typeEPNSQ_ISL_E10value_typeEPSM_NS1_7vsmem_tEENKUlT_SK_SL_SM_E_clISE_PiSF_SF_EESJ_SZ_SK_SL_SM_EUlSZ_E1_NS1_11comp_targetILNS1_3genE10ELNS1_11target_archE1201ELNS1_3gpuE5ELNS1_3repE0EEENS1_36merge_oddeven_config_static_selectorELNS0_4arch9wavefront6targetE0EEEvSL_,"axG",@progbits,_ZN7rocprim17ROCPRIM_400000_NS6detail17trampoline_kernelINS0_14default_configENS1_38merge_sort_block_merge_config_selectorIiNS0_10empty_typeEEEZZNS1_27merge_sort_block_merge_implIS3_N6thrust23THRUST_200600_302600_NS6detail15normal_iteratorINS9_10device_ptrIiEEEEPS5_jNS1_19radix_merge_compareILb0ELb1EiNS0_19identity_decomposerEEEEE10hipError_tT0_T1_T2_jT3_P12ihipStream_tbPNSt15iterator_traitsISK_E10value_typeEPNSQ_ISL_E10value_typeEPSM_NS1_7vsmem_tEENKUlT_SK_SL_SM_E_clISE_PiSF_SF_EESJ_SZ_SK_SL_SM_EUlSZ_E1_NS1_11comp_targetILNS1_3genE10ELNS1_11target_archE1201ELNS1_3gpuE5ELNS1_3repE0EEENS1_36merge_oddeven_config_static_selectorELNS0_4arch9wavefront6targetE0EEEvSL_,comdat
.Lfunc_end125:
	.size	_ZN7rocprim17ROCPRIM_400000_NS6detail17trampoline_kernelINS0_14default_configENS1_38merge_sort_block_merge_config_selectorIiNS0_10empty_typeEEEZZNS1_27merge_sort_block_merge_implIS3_N6thrust23THRUST_200600_302600_NS6detail15normal_iteratorINS9_10device_ptrIiEEEEPS5_jNS1_19radix_merge_compareILb0ELb1EiNS0_19identity_decomposerEEEEE10hipError_tT0_T1_T2_jT3_P12ihipStream_tbPNSt15iterator_traitsISK_E10value_typeEPNSQ_ISL_E10value_typeEPSM_NS1_7vsmem_tEENKUlT_SK_SL_SM_E_clISE_PiSF_SF_EESJ_SZ_SK_SL_SM_EUlSZ_E1_NS1_11comp_targetILNS1_3genE10ELNS1_11target_archE1201ELNS1_3gpuE5ELNS1_3repE0EEENS1_36merge_oddeven_config_static_selectorELNS0_4arch9wavefront6targetE0EEEvSL_, .Lfunc_end125-_ZN7rocprim17ROCPRIM_400000_NS6detail17trampoline_kernelINS0_14default_configENS1_38merge_sort_block_merge_config_selectorIiNS0_10empty_typeEEEZZNS1_27merge_sort_block_merge_implIS3_N6thrust23THRUST_200600_302600_NS6detail15normal_iteratorINS9_10device_ptrIiEEEEPS5_jNS1_19radix_merge_compareILb0ELb1EiNS0_19identity_decomposerEEEEE10hipError_tT0_T1_T2_jT3_P12ihipStream_tbPNSt15iterator_traitsISK_E10value_typeEPNSQ_ISL_E10value_typeEPSM_NS1_7vsmem_tEENKUlT_SK_SL_SM_E_clISE_PiSF_SF_EESJ_SZ_SK_SL_SM_EUlSZ_E1_NS1_11comp_targetILNS1_3genE10ELNS1_11target_archE1201ELNS1_3gpuE5ELNS1_3repE0EEENS1_36merge_oddeven_config_static_selectorELNS0_4arch9wavefront6targetE0EEEvSL_
                                        ; -- End function
	.set _ZN7rocprim17ROCPRIM_400000_NS6detail17trampoline_kernelINS0_14default_configENS1_38merge_sort_block_merge_config_selectorIiNS0_10empty_typeEEEZZNS1_27merge_sort_block_merge_implIS3_N6thrust23THRUST_200600_302600_NS6detail15normal_iteratorINS9_10device_ptrIiEEEEPS5_jNS1_19radix_merge_compareILb0ELb1EiNS0_19identity_decomposerEEEEE10hipError_tT0_T1_T2_jT3_P12ihipStream_tbPNSt15iterator_traitsISK_E10value_typeEPNSQ_ISL_E10value_typeEPSM_NS1_7vsmem_tEENKUlT_SK_SL_SM_E_clISE_PiSF_SF_EESJ_SZ_SK_SL_SM_EUlSZ_E1_NS1_11comp_targetILNS1_3genE10ELNS1_11target_archE1201ELNS1_3gpuE5ELNS1_3repE0EEENS1_36merge_oddeven_config_static_selectorELNS0_4arch9wavefront6targetE0EEEvSL_.num_vgpr, 0
	.set _ZN7rocprim17ROCPRIM_400000_NS6detail17trampoline_kernelINS0_14default_configENS1_38merge_sort_block_merge_config_selectorIiNS0_10empty_typeEEEZZNS1_27merge_sort_block_merge_implIS3_N6thrust23THRUST_200600_302600_NS6detail15normal_iteratorINS9_10device_ptrIiEEEEPS5_jNS1_19radix_merge_compareILb0ELb1EiNS0_19identity_decomposerEEEEE10hipError_tT0_T1_T2_jT3_P12ihipStream_tbPNSt15iterator_traitsISK_E10value_typeEPNSQ_ISL_E10value_typeEPSM_NS1_7vsmem_tEENKUlT_SK_SL_SM_E_clISE_PiSF_SF_EESJ_SZ_SK_SL_SM_EUlSZ_E1_NS1_11comp_targetILNS1_3genE10ELNS1_11target_archE1201ELNS1_3gpuE5ELNS1_3repE0EEENS1_36merge_oddeven_config_static_selectorELNS0_4arch9wavefront6targetE0EEEvSL_.num_agpr, 0
	.set _ZN7rocprim17ROCPRIM_400000_NS6detail17trampoline_kernelINS0_14default_configENS1_38merge_sort_block_merge_config_selectorIiNS0_10empty_typeEEEZZNS1_27merge_sort_block_merge_implIS3_N6thrust23THRUST_200600_302600_NS6detail15normal_iteratorINS9_10device_ptrIiEEEEPS5_jNS1_19radix_merge_compareILb0ELb1EiNS0_19identity_decomposerEEEEE10hipError_tT0_T1_T2_jT3_P12ihipStream_tbPNSt15iterator_traitsISK_E10value_typeEPNSQ_ISL_E10value_typeEPSM_NS1_7vsmem_tEENKUlT_SK_SL_SM_E_clISE_PiSF_SF_EESJ_SZ_SK_SL_SM_EUlSZ_E1_NS1_11comp_targetILNS1_3genE10ELNS1_11target_archE1201ELNS1_3gpuE5ELNS1_3repE0EEENS1_36merge_oddeven_config_static_selectorELNS0_4arch9wavefront6targetE0EEEvSL_.numbered_sgpr, 0
	.set _ZN7rocprim17ROCPRIM_400000_NS6detail17trampoline_kernelINS0_14default_configENS1_38merge_sort_block_merge_config_selectorIiNS0_10empty_typeEEEZZNS1_27merge_sort_block_merge_implIS3_N6thrust23THRUST_200600_302600_NS6detail15normal_iteratorINS9_10device_ptrIiEEEEPS5_jNS1_19radix_merge_compareILb0ELb1EiNS0_19identity_decomposerEEEEE10hipError_tT0_T1_T2_jT3_P12ihipStream_tbPNSt15iterator_traitsISK_E10value_typeEPNSQ_ISL_E10value_typeEPSM_NS1_7vsmem_tEENKUlT_SK_SL_SM_E_clISE_PiSF_SF_EESJ_SZ_SK_SL_SM_EUlSZ_E1_NS1_11comp_targetILNS1_3genE10ELNS1_11target_archE1201ELNS1_3gpuE5ELNS1_3repE0EEENS1_36merge_oddeven_config_static_selectorELNS0_4arch9wavefront6targetE0EEEvSL_.num_named_barrier, 0
	.set _ZN7rocprim17ROCPRIM_400000_NS6detail17trampoline_kernelINS0_14default_configENS1_38merge_sort_block_merge_config_selectorIiNS0_10empty_typeEEEZZNS1_27merge_sort_block_merge_implIS3_N6thrust23THRUST_200600_302600_NS6detail15normal_iteratorINS9_10device_ptrIiEEEEPS5_jNS1_19radix_merge_compareILb0ELb1EiNS0_19identity_decomposerEEEEE10hipError_tT0_T1_T2_jT3_P12ihipStream_tbPNSt15iterator_traitsISK_E10value_typeEPNSQ_ISL_E10value_typeEPSM_NS1_7vsmem_tEENKUlT_SK_SL_SM_E_clISE_PiSF_SF_EESJ_SZ_SK_SL_SM_EUlSZ_E1_NS1_11comp_targetILNS1_3genE10ELNS1_11target_archE1201ELNS1_3gpuE5ELNS1_3repE0EEENS1_36merge_oddeven_config_static_selectorELNS0_4arch9wavefront6targetE0EEEvSL_.private_seg_size, 0
	.set _ZN7rocprim17ROCPRIM_400000_NS6detail17trampoline_kernelINS0_14default_configENS1_38merge_sort_block_merge_config_selectorIiNS0_10empty_typeEEEZZNS1_27merge_sort_block_merge_implIS3_N6thrust23THRUST_200600_302600_NS6detail15normal_iteratorINS9_10device_ptrIiEEEEPS5_jNS1_19radix_merge_compareILb0ELb1EiNS0_19identity_decomposerEEEEE10hipError_tT0_T1_T2_jT3_P12ihipStream_tbPNSt15iterator_traitsISK_E10value_typeEPNSQ_ISL_E10value_typeEPSM_NS1_7vsmem_tEENKUlT_SK_SL_SM_E_clISE_PiSF_SF_EESJ_SZ_SK_SL_SM_EUlSZ_E1_NS1_11comp_targetILNS1_3genE10ELNS1_11target_archE1201ELNS1_3gpuE5ELNS1_3repE0EEENS1_36merge_oddeven_config_static_selectorELNS0_4arch9wavefront6targetE0EEEvSL_.uses_vcc, 0
	.set _ZN7rocprim17ROCPRIM_400000_NS6detail17trampoline_kernelINS0_14default_configENS1_38merge_sort_block_merge_config_selectorIiNS0_10empty_typeEEEZZNS1_27merge_sort_block_merge_implIS3_N6thrust23THRUST_200600_302600_NS6detail15normal_iteratorINS9_10device_ptrIiEEEEPS5_jNS1_19radix_merge_compareILb0ELb1EiNS0_19identity_decomposerEEEEE10hipError_tT0_T1_T2_jT3_P12ihipStream_tbPNSt15iterator_traitsISK_E10value_typeEPNSQ_ISL_E10value_typeEPSM_NS1_7vsmem_tEENKUlT_SK_SL_SM_E_clISE_PiSF_SF_EESJ_SZ_SK_SL_SM_EUlSZ_E1_NS1_11comp_targetILNS1_3genE10ELNS1_11target_archE1201ELNS1_3gpuE5ELNS1_3repE0EEENS1_36merge_oddeven_config_static_selectorELNS0_4arch9wavefront6targetE0EEEvSL_.uses_flat_scratch, 0
	.set _ZN7rocprim17ROCPRIM_400000_NS6detail17trampoline_kernelINS0_14default_configENS1_38merge_sort_block_merge_config_selectorIiNS0_10empty_typeEEEZZNS1_27merge_sort_block_merge_implIS3_N6thrust23THRUST_200600_302600_NS6detail15normal_iteratorINS9_10device_ptrIiEEEEPS5_jNS1_19radix_merge_compareILb0ELb1EiNS0_19identity_decomposerEEEEE10hipError_tT0_T1_T2_jT3_P12ihipStream_tbPNSt15iterator_traitsISK_E10value_typeEPNSQ_ISL_E10value_typeEPSM_NS1_7vsmem_tEENKUlT_SK_SL_SM_E_clISE_PiSF_SF_EESJ_SZ_SK_SL_SM_EUlSZ_E1_NS1_11comp_targetILNS1_3genE10ELNS1_11target_archE1201ELNS1_3gpuE5ELNS1_3repE0EEENS1_36merge_oddeven_config_static_selectorELNS0_4arch9wavefront6targetE0EEEvSL_.has_dyn_sized_stack, 0
	.set _ZN7rocprim17ROCPRIM_400000_NS6detail17trampoline_kernelINS0_14default_configENS1_38merge_sort_block_merge_config_selectorIiNS0_10empty_typeEEEZZNS1_27merge_sort_block_merge_implIS3_N6thrust23THRUST_200600_302600_NS6detail15normal_iteratorINS9_10device_ptrIiEEEEPS5_jNS1_19radix_merge_compareILb0ELb1EiNS0_19identity_decomposerEEEEE10hipError_tT0_T1_T2_jT3_P12ihipStream_tbPNSt15iterator_traitsISK_E10value_typeEPNSQ_ISL_E10value_typeEPSM_NS1_7vsmem_tEENKUlT_SK_SL_SM_E_clISE_PiSF_SF_EESJ_SZ_SK_SL_SM_EUlSZ_E1_NS1_11comp_targetILNS1_3genE10ELNS1_11target_archE1201ELNS1_3gpuE5ELNS1_3repE0EEENS1_36merge_oddeven_config_static_selectorELNS0_4arch9wavefront6targetE0EEEvSL_.has_recursion, 0
	.set _ZN7rocprim17ROCPRIM_400000_NS6detail17trampoline_kernelINS0_14default_configENS1_38merge_sort_block_merge_config_selectorIiNS0_10empty_typeEEEZZNS1_27merge_sort_block_merge_implIS3_N6thrust23THRUST_200600_302600_NS6detail15normal_iteratorINS9_10device_ptrIiEEEEPS5_jNS1_19radix_merge_compareILb0ELb1EiNS0_19identity_decomposerEEEEE10hipError_tT0_T1_T2_jT3_P12ihipStream_tbPNSt15iterator_traitsISK_E10value_typeEPNSQ_ISL_E10value_typeEPSM_NS1_7vsmem_tEENKUlT_SK_SL_SM_E_clISE_PiSF_SF_EESJ_SZ_SK_SL_SM_EUlSZ_E1_NS1_11comp_targetILNS1_3genE10ELNS1_11target_archE1201ELNS1_3gpuE5ELNS1_3repE0EEENS1_36merge_oddeven_config_static_selectorELNS0_4arch9wavefront6targetE0EEEvSL_.has_indirect_call, 0
	.section	.AMDGPU.csdata,"",@progbits
; Kernel info:
; codeLenInByte = 0
; TotalNumSgprs: 0
; NumVgprs: 0
; ScratchSize: 0
; MemoryBound: 0
; FloatMode: 240
; IeeeMode: 1
; LDSByteSize: 0 bytes/workgroup (compile time only)
; SGPRBlocks: 0
; VGPRBlocks: 0
; NumSGPRsForWavesPerEU: 1
; NumVGPRsForWavesPerEU: 1
; Occupancy: 16
; WaveLimiterHint : 0
; COMPUTE_PGM_RSRC2:SCRATCH_EN: 0
; COMPUTE_PGM_RSRC2:USER_SGPR: 6
; COMPUTE_PGM_RSRC2:TRAP_HANDLER: 0
; COMPUTE_PGM_RSRC2:TGID_X_EN: 1
; COMPUTE_PGM_RSRC2:TGID_Y_EN: 0
; COMPUTE_PGM_RSRC2:TGID_Z_EN: 0
; COMPUTE_PGM_RSRC2:TIDIG_COMP_CNT: 0
	.section	.text._ZN7rocprim17ROCPRIM_400000_NS6detail17trampoline_kernelINS0_14default_configENS1_38merge_sort_block_merge_config_selectorIiNS0_10empty_typeEEEZZNS1_27merge_sort_block_merge_implIS3_N6thrust23THRUST_200600_302600_NS6detail15normal_iteratorINS9_10device_ptrIiEEEEPS5_jNS1_19radix_merge_compareILb0ELb1EiNS0_19identity_decomposerEEEEE10hipError_tT0_T1_T2_jT3_P12ihipStream_tbPNSt15iterator_traitsISK_E10value_typeEPNSQ_ISL_E10value_typeEPSM_NS1_7vsmem_tEENKUlT_SK_SL_SM_E_clISE_PiSF_SF_EESJ_SZ_SK_SL_SM_EUlSZ_E1_NS1_11comp_targetILNS1_3genE5ELNS1_11target_archE942ELNS1_3gpuE9ELNS1_3repE0EEENS1_36merge_oddeven_config_static_selectorELNS0_4arch9wavefront6targetE0EEEvSL_,"axG",@progbits,_ZN7rocprim17ROCPRIM_400000_NS6detail17trampoline_kernelINS0_14default_configENS1_38merge_sort_block_merge_config_selectorIiNS0_10empty_typeEEEZZNS1_27merge_sort_block_merge_implIS3_N6thrust23THRUST_200600_302600_NS6detail15normal_iteratorINS9_10device_ptrIiEEEEPS5_jNS1_19radix_merge_compareILb0ELb1EiNS0_19identity_decomposerEEEEE10hipError_tT0_T1_T2_jT3_P12ihipStream_tbPNSt15iterator_traitsISK_E10value_typeEPNSQ_ISL_E10value_typeEPSM_NS1_7vsmem_tEENKUlT_SK_SL_SM_E_clISE_PiSF_SF_EESJ_SZ_SK_SL_SM_EUlSZ_E1_NS1_11comp_targetILNS1_3genE5ELNS1_11target_archE942ELNS1_3gpuE9ELNS1_3repE0EEENS1_36merge_oddeven_config_static_selectorELNS0_4arch9wavefront6targetE0EEEvSL_,comdat
	.protected	_ZN7rocprim17ROCPRIM_400000_NS6detail17trampoline_kernelINS0_14default_configENS1_38merge_sort_block_merge_config_selectorIiNS0_10empty_typeEEEZZNS1_27merge_sort_block_merge_implIS3_N6thrust23THRUST_200600_302600_NS6detail15normal_iteratorINS9_10device_ptrIiEEEEPS5_jNS1_19radix_merge_compareILb0ELb1EiNS0_19identity_decomposerEEEEE10hipError_tT0_T1_T2_jT3_P12ihipStream_tbPNSt15iterator_traitsISK_E10value_typeEPNSQ_ISL_E10value_typeEPSM_NS1_7vsmem_tEENKUlT_SK_SL_SM_E_clISE_PiSF_SF_EESJ_SZ_SK_SL_SM_EUlSZ_E1_NS1_11comp_targetILNS1_3genE5ELNS1_11target_archE942ELNS1_3gpuE9ELNS1_3repE0EEENS1_36merge_oddeven_config_static_selectorELNS0_4arch9wavefront6targetE0EEEvSL_ ; -- Begin function _ZN7rocprim17ROCPRIM_400000_NS6detail17trampoline_kernelINS0_14default_configENS1_38merge_sort_block_merge_config_selectorIiNS0_10empty_typeEEEZZNS1_27merge_sort_block_merge_implIS3_N6thrust23THRUST_200600_302600_NS6detail15normal_iteratorINS9_10device_ptrIiEEEEPS5_jNS1_19radix_merge_compareILb0ELb1EiNS0_19identity_decomposerEEEEE10hipError_tT0_T1_T2_jT3_P12ihipStream_tbPNSt15iterator_traitsISK_E10value_typeEPNSQ_ISL_E10value_typeEPSM_NS1_7vsmem_tEENKUlT_SK_SL_SM_E_clISE_PiSF_SF_EESJ_SZ_SK_SL_SM_EUlSZ_E1_NS1_11comp_targetILNS1_3genE5ELNS1_11target_archE942ELNS1_3gpuE9ELNS1_3repE0EEENS1_36merge_oddeven_config_static_selectorELNS0_4arch9wavefront6targetE0EEEvSL_
	.globl	_ZN7rocprim17ROCPRIM_400000_NS6detail17trampoline_kernelINS0_14default_configENS1_38merge_sort_block_merge_config_selectorIiNS0_10empty_typeEEEZZNS1_27merge_sort_block_merge_implIS3_N6thrust23THRUST_200600_302600_NS6detail15normal_iteratorINS9_10device_ptrIiEEEEPS5_jNS1_19radix_merge_compareILb0ELb1EiNS0_19identity_decomposerEEEEE10hipError_tT0_T1_T2_jT3_P12ihipStream_tbPNSt15iterator_traitsISK_E10value_typeEPNSQ_ISL_E10value_typeEPSM_NS1_7vsmem_tEENKUlT_SK_SL_SM_E_clISE_PiSF_SF_EESJ_SZ_SK_SL_SM_EUlSZ_E1_NS1_11comp_targetILNS1_3genE5ELNS1_11target_archE942ELNS1_3gpuE9ELNS1_3repE0EEENS1_36merge_oddeven_config_static_selectorELNS0_4arch9wavefront6targetE0EEEvSL_
	.p2align	8
	.type	_ZN7rocprim17ROCPRIM_400000_NS6detail17trampoline_kernelINS0_14default_configENS1_38merge_sort_block_merge_config_selectorIiNS0_10empty_typeEEEZZNS1_27merge_sort_block_merge_implIS3_N6thrust23THRUST_200600_302600_NS6detail15normal_iteratorINS9_10device_ptrIiEEEEPS5_jNS1_19radix_merge_compareILb0ELb1EiNS0_19identity_decomposerEEEEE10hipError_tT0_T1_T2_jT3_P12ihipStream_tbPNSt15iterator_traitsISK_E10value_typeEPNSQ_ISL_E10value_typeEPSM_NS1_7vsmem_tEENKUlT_SK_SL_SM_E_clISE_PiSF_SF_EESJ_SZ_SK_SL_SM_EUlSZ_E1_NS1_11comp_targetILNS1_3genE5ELNS1_11target_archE942ELNS1_3gpuE9ELNS1_3repE0EEENS1_36merge_oddeven_config_static_selectorELNS0_4arch9wavefront6targetE0EEEvSL_,@function
_ZN7rocprim17ROCPRIM_400000_NS6detail17trampoline_kernelINS0_14default_configENS1_38merge_sort_block_merge_config_selectorIiNS0_10empty_typeEEEZZNS1_27merge_sort_block_merge_implIS3_N6thrust23THRUST_200600_302600_NS6detail15normal_iteratorINS9_10device_ptrIiEEEEPS5_jNS1_19radix_merge_compareILb0ELb1EiNS0_19identity_decomposerEEEEE10hipError_tT0_T1_T2_jT3_P12ihipStream_tbPNSt15iterator_traitsISK_E10value_typeEPNSQ_ISL_E10value_typeEPSM_NS1_7vsmem_tEENKUlT_SK_SL_SM_E_clISE_PiSF_SF_EESJ_SZ_SK_SL_SM_EUlSZ_E1_NS1_11comp_targetILNS1_3genE5ELNS1_11target_archE942ELNS1_3gpuE9ELNS1_3repE0EEENS1_36merge_oddeven_config_static_selectorELNS0_4arch9wavefront6targetE0EEEvSL_: ; @_ZN7rocprim17ROCPRIM_400000_NS6detail17trampoline_kernelINS0_14default_configENS1_38merge_sort_block_merge_config_selectorIiNS0_10empty_typeEEEZZNS1_27merge_sort_block_merge_implIS3_N6thrust23THRUST_200600_302600_NS6detail15normal_iteratorINS9_10device_ptrIiEEEEPS5_jNS1_19radix_merge_compareILb0ELb1EiNS0_19identity_decomposerEEEEE10hipError_tT0_T1_T2_jT3_P12ihipStream_tbPNSt15iterator_traitsISK_E10value_typeEPNSQ_ISL_E10value_typeEPSM_NS1_7vsmem_tEENKUlT_SK_SL_SM_E_clISE_PiSF_SF_EESJ_SZ_SK_SL_SM_EUlSZ_E1_NS1_11comp_targetILNS1_3genE5ELNS1_11target_archE942ELNS1_3gpuE9ELNS1_3repE0EEENS1_36merge_oddeven_config_static_selectorELNS0_4arch9wavefront6targetE0EEEvSL_
; %bb.0:
	.section	.rodata,"a",@progbits
	.p2align	6, 0x0
	.amdhsa_kernel _ZN7rocprim17ROCPRIM_400000_NS6detail17trampoline_kernelINS0_14default_configENS1_38merge_sort_block_merge_config_selectorIiNS0_10empty_typeEEEZZNS1_27merge_sort_block_merge_implIS3_N6thrust23THRUST_200600_302600_NS6detail15normal_iteratorINS9_10device_ptrIiEEEEPS5_jNS1_19radix_merge_compareILb0ELb1EiNS0_19identity_decomposerEEEEE10hipError_tT0_T1_T2_jT3_P12ihipStream_tbPNSt15iterator_traitsISK_E10value_typeEPNSQ_ISL_E10value_typeEPSM_NS1_7vsmem_tEENKUlT_SK_SL_SM_E_clISE_PiSF_SF_EESJ_SZ_SK_SL_SM_EUlSZ_E1_NS1_11comp_targetILNS1_3genE5ELNS1_11target_archE942ELNS1_3gpuE9ELNS1_3repE0EEENS1_36merge_oddeven_config_static_selectorELNS0_4arch9wavefront6targetE0EEEvSL_
		.amdhsa_group_segment_fixed_size 0
		.amdhsa_private_segment_fixed_size 0
		.amdhsa_kernarg_size 48
		.amdhsa_user_sgpr_count 6
		.amdhsa_user_sgpr_private_segment_buffer 1
		.amdhsa_user_sgpr_dispatch_ptr 0
		.amdhsa_user_sgpr_queue_ptr 0
		.amdhsa_user_sgpr_kernarg_segment_ptr 1
		.amdhsa_user_sgpr_dispatch_id 0
		.amdhsa_user_sgpr_flat_scratch_init 0
		.amdhsa_user_sgpr_private_segment_size 0
		.amdhsa_wavefront_size32 1
		.amdhsa_uses_dynamic_stack 0
		.amdhsa_system_sgpr_private_segment_wavefront_offset 0
		.amdhsa_system_sgpr_workgroup_id_x 1
		.amdhsa_system_sgpr_workgroup_id_y 0
		.amdhsa_system_sgpr_workgroup_id_z 0
		.amdhsa_system_sgpr_workgroup_info 0
		.amdhsa_system_vgpr_workitem_id 0
		.amdhsa_next_free_vgpr 1
		.amdhsa_next_free_sgpr 1
		.amdhsa_reserve_vcc 0
		.amdhsa_reserve_flat_scratch 0
		.amdhsa_float_round_mode_32 0
		.amdhsa_float_round_mode_16_64 0
		.amdhsa_float_denorm_mode_32 3
		.amdhsa_float_denorm_mode_16_64 3
		.amdhsa_dx10_clamp 1
		.amdhsa_ieee_mode 1
		.amdhsa_fp16_overflow 0
		.amdhsa_workgroup_processor_mode 1
		.amdhsa_memory_ordered 1
		.amdhsa_forward_progress 1
		.amdhsa_shared_vgpr_count 0
		.amdhsa_exception_fp_ieee_invalid_op 0
		.amdhsa_exception_fp_denorm_src 0
		.amdhsa_exception_fp_ieee_div_zero 0
		.amdhsa_exception_fp_ieee_overflow 0
		.amdhsa_exception_fp_ieee_underflow 0
		.amdhsa_exception_fp_ieee_inexact 0
		.amdhsa_exception_int_div_zero 0
	.end_amdhsa_kernel
	.section	.text._ZN7rocprim17ROCPRIM_400000_NS6detail17trampoline_kernelINS0_14default_configENS1_38merge_sort_block_merge_config_selectorIiNS0_10empty_typeEEEZZNS1_27merge_sort_block_merge_implIS3_N6thrust23THRUST_200600_302600_NS6detail15normal_iteratorINS9_10device_ptrIiEEEEPS5_jNS1_19radix_merge_compareILb0ELb1EiNS0_19identity_decomposerEEEEE10hipError_tT0_T1_T2_jT3_P12ihipStream_tbPNSt15iterator_traitsISK_E10value_typeEPNSQ_ISL_E10value_typeEPSM_NS1_7vsmem_tEENKUlT_SK_SL_SM_E_clISE_PiSF_SF_EESJ_SZ_SK_SL_SM_EUlSZ_E1_NS1_11comp_targetILNS1_3genE5ELNS1_11target_archE942ELNS1_3gpuE9ELNS1_3repE0EEENS1_36merge_oddeven_config_static_selectorELNS0_4arch9wavefront6targetE0EEEvSL_,"axG",@progbits,_ZN7rocprim17ROCPRIM_400000_NS6detail17trampoline_kernelINS0_14default_configENS1_38merge_sort_block_merge_config_selectorIiNS0_10empty_typeEEEZZNS1_27merge_sort_block_merge_implIS3_N6thrust23THRUST_200600_302600_NS6detail15normal_iteratorINS9_10device_ptrIiEEEEPS5_jNS1_19radix_merge_compareILb0ELb1EiNS0_19identity_decomposerEEEEE10hipError_tT0_T1_T2_jT3_P12ihipStream_tbPNSt15iterator_traitsISK_E10value_typeEPNSQ_ISL_E10value_typeEPSM_NS1_7vsmem_tEENKUlT_SK_SL_SM_E_clISE_PiSF_SF_EESJ_SZ_SK_SL_SM_EUlSZ_E1_NS1_11comp_targetILNS1_3genE5ELNS1_11target_archE942ELNS1_3gpuE9ELNS1_3repE0EEENS1_36merge_oddeven_config_static_selectorELNS0_4arch9wavefront6targetE0EEEvSL_,comdat
.Lfunc_end126:
	.size	_ZN7rocprim17ROCPRIM_400000_NS6detail17trampoline_kernelINS0_14default_configENS1_38merge_sort_block_merge_config_selectorIiNS0_10empty_typeEEEZZNS1_27merge_sort_block_merge_implIS3_N6thrust23THRUST_200600_302600_NS6detail15normal_iteratorINS9_10device_ptrIiEEEEPS5_jNS1_19radix_merge_compareILb0ELb1EiNS0_19identity_decomposerEEEEE10hipError_tT0_T1_T2_jT3_P12ihipStream_tbPNSt15iterator_traitsISK_E10value_typeEPNSQ_ISL_E10value_typeEPSM_NS1_7vsmem_tEENKUlT_SK_SL_SM_E_clISE_PiSF_SF_EESJ_SZ_SK_SL_SM_EUlSZ_E1_NS1_11comp_targetILNS1_3genE5ELNS1_11target_archE942ELNS1_3gpuE9ELNS1_3repE0EEENS1_36merge_oddeven_config_static_selectorELNS0_4arch9wavefront6targetE0EEEvSL_, .Lfunc_end126-_ZN7rocprim17ROCPRIM_400000_NS6detail17trampoline_kernelINS0_14default_configENS1_38merge_sort_block_merge_config_selectorIiNS0_10empty_typeEEEZZNS1_27merge_sort_block_merge_implIS3_N6thrust23THRUST_200600_302600_NS6detail15normal_iteratorINS9_10device_ptrIiEEEEPS5_jNS1_19radix_merge_compareILb0ELb1EiNS0_19identity_decomposerEEEEE10hipError_tT0_T1_T2_jT3_P12ihipStream_tbPNSt15iterator_traitsISK_E10value_typeEPNSQ_ISL_E10value_typeEPSM_NS1_7vsmem_tEENKUlT_SK_SL_SM_E_clISE_PiSF_SF_EESJ_SZ_SK_SL_SM_EUlSZ_E1_NS1_11comp_targetILNS1_3genE5ELNS1_11target_archE942ELNS1_3gpuE9ELNS1_3repE0EEENS1_36merge_oddeven_config_static_selectorELNS0_4arch9wavefront6targetE0EEEvSL_
                                        ; -- End function
	.set _ZN7rocprim17ROCPRIM_400000_NS6detail17trampoline_kernelINS0_14default_configENS1_38merge_sort_block_merge_config_selectorIiNS0_10empty_typeEEEZZNS1_27merge_sort_block_merge_implIS3_N6thrust23THRUST_200600_302600_NS6detail15normal_iteratorINS9_10device_ptrIiEEEEPS5_jNS1_19radix_merge_compareILb0ELb1EiNS0_19identity_decomposerEEEEE10hipError_tT0_T1_T2_jT3_P12ihipStream_tbPNSt15iterator_traitsISK_E10value_typeEPNSQ_ISL_E10value_typeEPSM_NS1_7vsmem_tEENKUlT_SK_SL_SM_E_clISE_PiSF_SF_EESJ_SZ_SK_SL_SM_EUlSZ_E1_NS1_11comp_targetILNS1_3genE5ELNS1_11target_archE942ELNS1_3gpuE9ELNS1_3repE0EEENS1_36merge_oddeven_config_static_selectorELNS0_4arch9wavefront6targetE0EEEvSL_.num_vgpr, 0
	.set _ZN7rocprim17ROCPRIM_400000_NS6detail17trampoline_kernelINS0_14default_configENS1_38merge_sort_block_merge_config_selectorIiNS0_10empty_typeEEEZZNS1_27merge_sort_block_merge_implIS3_N6thrust23THRUST_200600_302600_NS6detail15normal_iteratorINS9_10device_ptrIiEEEEPS5_jNS1_19radix_merge_compareILb0ELb1EiNS0_19identity_decomposerEEEEE10hipError_tT0_T1_T2_jT3_P12ihipStream_tbPNSt15iterator_traitsISK_E10value_typeEPNSQ_ISL_E10value_typeEPSM_NS1_7vsmem_tEENKUlT_SK_SL_SM_E_clISE_PiSF_SF_EESJ_SZ_SK_SL_SM_EUlSZ_E1_NS1_11comp_targetILNS1_3genE5ELNS1_11target_archE942ELNS1_3gpuE9ELNS1_3repE0EEENS1_36merge_oddeven_config_static_selectorELNS0_4arch9wavefront6targetE0EEEvSL_.num_agpr, 0
	.set _ZN7rocprim17ROCPRIM_400000_NS6detail17trampoline_kernelINS0_14default_configENS1_38merge_sort_block_merge_config_selectorIiNS0_10empty_typeEEEZZNS1_27merge_sort_block_merge_implIS3_N6thrust23THRUST_200600_302600_NS6detail15normal_iteratorINS9_10device_ptrIiEEEEPS5_jNS1_19radix_merge_compareILb0ELb1EiNS0_19identity_decomposerEEEEE10hipError_tT0_T1_T2_jT3_P12ihipStream_tbPNSt15iterator_traitsISK_E10value_typeEPNSQ_ISL_E10value_typeEPSM_NS1_7vsmem_tEENKUlT_SK_SL_SM_E_clISE_PiSF_SF_EESJ_SZ_SK_SL_SM_EUlSZ_E1_NS1_11comp_targetILNS1_3genE5ELNS1_11target_archE942ELNS1_3gpuE9ELNS1_3repE0EEENS1_36merge_oddeven_config_static_selectorELNS0_4arch9wavefront6targetE0EEEvSL_.numbered_sgpr, 0
	.set _ZN7rocprim17ROCPRIM_400000_NS6detail17trampoline_kernelINS0_14default_configENS1_38merge_sort_block_merge_config_selectorIiNS0_10empty_typeEEEZZNS1_27merge_sort_block_merge_implIS3_N6thrust23THRUST_200600_302600_NS6detail15normal_iteratorINS9_10device_ptrIiEEEEPS5_jNS1_19radix_merge_compareILb0ELb1EiNS0_19identity_decomposerEEEEE10hipError_tT0_T1_T2_jT3_P12ihipStream_tbPNSt15iterator_traitsISK_E10value_typeEPNSQ_ISL_E10value_typeEPSM_NS1_7vsmem_tEENKUlT_SK_SL_SM_E_clISE_PiSF_SF_EESJ_SZ_SK_SL_SM_EUlSZ_E1_NS1_11comp_targetILNS1_3genE5ELNS1_11target_archE942ELNS1_3gpuE9ELNS1_3repE0EEENS1_36merge_oddeven_config_static_selectorELNS0_4arch9wavefront6targetE0EEEvSL_.num_named_barrier, 0
	.set _ZN7rocprim17ROCPRIM_400000_NS6detail17trampoline_kernelINS0_14default_configENS1_38merge_sort_block_merge_config_selectorIiNS0_10empty_typeEEEZZNS1_27merge_sort_block_merge_implIS3_N6thrust23THRUST_200600_302600_NS6detail15normal_iteratorINS9_10device_ptrIiEEEEPS5_jNS1_19radix_merge_compareILb0ELb1EiNS0_19identity_decomposerEEEEE10hipError_tT0_T1_T2_jT3_P12ihipStream_tbPNSt15iterator_traitsISK_E10value_typeEPNSQ_ISL_E10value_typeEPSM_NS1_7vsmem_tEENKUlT_SK_SL_SM_E_clISE_PiSF_SF_EESJ_SZ_SK_SL_SM_EUlSZ_E1_NS1_11comp_targetILNS1_3genE5ELNS1_11target_archE942ELNS1_3gpuE9ELNS1_3repE0EEENS1_36merge_oddeven_config_static_selectorELNS0_4arch9wavefront6targetE0EEEvSL_.private_seg_size, 0
	.set _ZN7rocprim17ROCPRIM_400000_NS6detail17trampoline_kernelINS0_14default_configENS1_38merge_sort_block_merge_config_selectorIiNS0_10empty_typeEEEZZNS1_27merge_sort_block_merge_implIS3_N6thrust23THRUST_200600_302600_NS6detail15normal_iteratorINS9_10device_ptrIiEEEEPS5_jNS1_19radix_merge_compareILb0ELb1EiNS0_19identity_decomposerEEEEE10hipError_tT0_T1_T2_jT3_P12ihipStream_tbPNSt15iterator_traitsISK_E10value_typeEPNSQ_ISL_E10value_typeEPSM_NS1_7vsmem_tEENKUlT_SK_SL_SM_E_clISE_PiSF_SF_EESJ_SZ_SK_SL_SM_EUlSZ_E1_NS1_11comp_targetILNS1_3genE5ELNS1_11target_archE942ELNS1_3gpuE9ELNS1_3repE0EEENS1_36merge_oddeven_config_static_selectorELNS0_4arch9wavefront6targetE0EEEvSL_.uses_vcc, 0
	.set _ZN7rocprim17ROCPRIM_400000_NS6detail17trampoline_kernelINS0_14default_configENS1_38merge_sort_block_merge_config_selectorIiNS0_10empty_typeEEEZZNS1_27merge_sort_block_merge_implIS3_N6thrust23THRUST_200600_302600_NS6detail15normal_iteratorINS9_10device_ptrIiEEEEPS5_jNS1_19radix_merge_compareILb0ELb1EiNS0_19identity_decomposerEEEEE10hipError_tT0_T1_T2_jT3_P12ihipStream_tbPNSt15iterator_traitsISK_E10value_typeEPNSQ_ISL_E10value_typeEPSM_NS1_7vsmem_tEENKUlT_SK_SL_SM_E_clISE_PiSF_SF_EESJ_SZ_SK_SL_SM_EUlSZ_E1_NS1_11comp_targetILNS1_3genE5ELNS1_11target_archE942ELNS1_3gpuE9ELNS1_3repE0EEENS1_36merge_oddeven_config_static_selectorELNS0_4arch9wavefront6targetE0EEEvSL_.uses_flat_scratch, 0
	.set _ZN7rocprim17ROCPRIM_400000_NS6detail17trampoline_kernelINS0_14default_configENS1_38merge_sort_block_merge_config_selectorIiNS0_10empty_typeEEEZZNS1_27merge_sort_block_merge_implIS3_N6thrust23THRUST_200600_302600_NS6detail15normal_iteratorINS9_10device_ptrIiEEEEPS5_jNS1_19radix_merge_compareILb0ELb1EiNS0_19identity_decomposerEEEEE10hipError_tT0_T1_T2_jT3_P12ihipStream_tbPNSt15iterator_traitsISK_E10value_typeEPNSQ_ISL_E10value_typeEPSM_NS1_7vsmem_tEENKUlT_SK_SL_SM_E_clISE_PiSF_SF_EESJ_SZ_SK_SL_SM_EUlSZ_E1_NS1_11comp_targetILNS1_3genE5ELNS1_11target_archE942ELNS1_3gpuE9ELNS1_3repE0EEENS1_36merge_oddeven_config_static_selectorELNS0_4arch9wavefront6targetE0EEEvSL_.has_dyn_sized_stack, 0
	.set _ZN7rocprim17ROCPRIM_400000_NS6detail17trampoline_kernelINS0_14default_configENS1_38merge_sort_block_merge_config_selectorIiNS0_10empty_typeEEEZZNS1_27merge_sort_block_merge_implIS3_N6thrust23THRUST_200600_302600_NS6detail15normal_iteratorINS9_10device_ptrIiEEEEPS5_jNS1_19radix_merge_compareILb0ELb1EiNS0_19identity_decomposerEEEEE10hipError_tT0_T1_T2_jT3_P12ihipStream_tbPNSt15iterator_traitsISK_E10value_typeEPNSQ_ISL_E10value_typeEPSM_NS1_7vsmem_tEENKUlT_SK_SL_SM_E_clISE_PiSF_SF_EESJ_SZ_SK_SL_SM_EUlSZ_E1_NS1_11comp_targetILNS1_3genE5ELNS1_11target_archE942ELNS1_3gpuE9ELNS1_3repE0EEENS1_36merge_oddeven_config_static_selectorELNS0_4arch9wavefront6targetE0EEEvSL_.has_recursion, 0
	.set _ZN7rocprim17ROCPRIM_400000_NS6detail17trampoline_kernelINS0_14default_configENS1_38merge_sort_block_merge_config_selectorIiNS0_10empty_typeEEEZZNS1_27merge_sort_block_merge_implIS3_N6thrust23THRUST_200600_302600_NS6detail15normal_iteratorINS9_10device_ptrIiEEEEPS5_jNS1_19radix_merge_compareILb0ELb1EiNS0_19identity_decomposerEEEEE10hipError_tT0_T1_T2_jT3_P12ihipStream_tbPNSt15iterator_traitsISK_E10value_typeEPNSQ_ISL_E10value_typeEPSM_NS1_7vsmem_tEENKUlT_SK_SL_SM_E_clISE_PiSF_SF_EESJ_SZ_SK_SL_SM_EUlSZ_E1_NS1_11comp_targetILNS1_3genE5ELNS1_11target_archE942ELNS1_3gpuE9ELNS1_3repE0EEENS1_36merge_oddeven_config_static_selectorELNS0_4arch9wavefront6targetE0EEEvSL_.has_indirect_call, 0
	.section	.AMDGPU.csdata,"",@progbits
; Kernel info:
; codeLenInByte = 0
; TotalNumSgprs: 0
; NumVgprs: 0
; ScratchSize: 0
; MemoryBound: 0
; FloatMode: 240
; IeeeMode: 1
; LDSByteSize: 0 bytes/workgroup (compile time only)
; SGPRBlocks: 0
; VGPRBlocks: 0
; NumSGPRsForWavesPerEU: 1
; NumVGPRsForWavesPerEU: 1
; Occupancy: 16
; WaveLimiterHint : 0
; COMPUTE_PGM_RSRC2:SCRATCH_EN: 0
; COMPUTE_PGM_RSRC2:USER_SGPR: 6
; COMPUTE_PGM_RSRC2:TRAP_HANDLER: 0
; COMPUTE_PGM_RSRC2:TGID_X_EN: 1
; COMPUTE_PGM_RSRC2:TGID_Y_EN: 0
; COMPUTE_PGM_RSRC2:TGID_Z_EN: 0
; COMPUTE_PGM_RSRC2:TIDIG_COMP_CNT: 0
	.section	.text._ZN7rocprim17ROCPRIM_400000_NS6detail17trampoline_kernelINS0_14default_configENS1_38merge_sort_block_merge_config_selectorIiNS0_10empty_typeEEEZZNS1_27merge_sort_block_merge_implIS3_N6thrust23THRUST_200600_302600_NS6detail15normal_iteratorINS9_10device_ptrIiEEEEPS5_jNS1_19radix_merge_compareILb0ELb1EiNS0_19identity_decomposerEEEEE10hipError_tT0_T1_T2_jT3_P12ihipStream_tbPNSt15iterator_traitsISK_E10value_typeEPNSQ_ISL_E10value_typeEPSM_NS1_7vsmem_tEENKUlT_SK_SL_SM_E_clISE_PiSF_SF_EESJ_SZ_SK_SL_SM_EUlSZ_E1_NS1_11comp_targetILNS1_3genE4ELNS1_11target_archE910ELNS1_3gpuE8ELNS1_3repE0EEENS1_36merge_oddeven_config_static_selectorELNS0_4arch9wavefront6targetE0EEEvSL_,"axG",@progbits,_ZN7rocprim17ROCPRIM_400000_NS6detail17trampoline_kernelINS0_14default_configENS1_38merge_sort_block_merge_config_selectorIiNS0_10empty_typeEEEZZNS1_27merge_sort_block_merge_implIS3_N6thrust23THRUST_200600_302600_NS6detail15normal_iteratorINS9_10device_ptrIiEEEEPS5_jNS1_19radix_merge_compareILb0ELb1EiNS0_19identity_decomposerEEEEE10hipError_tT0_T1_T2_jT3_P12ihipStream_tbPNSt15iterator_traitsISK_E10value_typeEPNSQ_ISL_E10value_typeEPSM_NS1_7vsmem_tEENKUlT_SK_SL_SM_E_clISE_PiSF_SF_EESJ_SZ_SK_SL_SM_EUlSZ_E1_NS1_11comp_targetILNS1_3genE4ELNS1_11target_archE910ELNS1_3gpuE8ELNS1_3repE0EEENS1_36merge_oddeven_config_static_selectorELNS0_4arch9wavefront6targetE0EEEvSL_,comdat
	.protected	_ZN7rocprim17ROCPRIM_400000_NS6detail17trampoline_kernelINS0_14default_configENS1_38merge_sort_block_merge_config_selectorIiNS0_10empty_typeEEEZZNS1_27merge_sort_block_merge_implIS3_N6thrust23THRUST_200600_302600_NS6detail15normal_iteratorINS9_10device_ptrIiEEEEPS5_jNS1_19radix_merge_compareILb0ELb1EiNS0_19identity_decomposerEEEEE10hipError_tT0_T1_T2_jT3_P12ihipStream_tbPNSt15iterator_traitsISK_E10value_typeEPNSQ_ISL_E10value_typeEPSM_NS1_7vsmem_tEENKUlT_SK_SL_SM_E_clISE_PiSF_SF_EESJ_SZ_SK_SL_SM_EUlSZ_E1_NS1_11comp_targetILNS1_3genE4ELNS1_11target_archE910ELNS1_3gpuE8ELNS1_3repE0EEENS1_36merge_oddeven_config_static_selectorELNS0_4arch9wavefront6targetE0EEEvSL_ ; -- Begin function _ZN7rocprim17ROCPRIM_400000_NS6detail17trampoline_kernelINS0_14default_configENS1_38merge_sort_block_merge_config_selectorIiNS0_10empty_typeEEEZZNS1_27merge_sort_block_merge_implIS3_N6thrust23THRUST_200600_302600_NS6detail15normal_iteratorINS9_10device_ptrIiEEEEPS5_jNS1_19radix_merge_compareILb0ELb1EiNS0_19identity_decomposerEEEEE10hipError_tT0_T1_T2_jT3_P12ihipStream_tbPNSt15iterator_traitsISK_E10value_typeEPNSQ_ISL_E10value_typeEPSM_NS1_7vsmem_tEENKUlT_SK_SL_SM_E_clISE_PiSF_SF_EESJ_SZ_SK_SL_SM_EUlSZ_E1_NS1_11comp_targetILNS1_3genE4ELNS1_11target_archE910ELNS1_3gpuE8ELNS1_3repE0EEENS1_36merge_oddeven_config_static_selectorELNS0_4arch9wavefront6targetE0EEEvSL_
	.globl	_ZN7rocprim17ROCPRIM_400000_NS6detail17trampoline_kernelINS0_14default_configENS1_38merge_sort_block_merge_config_selectorIiNS0_10empty_typeEEEZZNS1_27merge_sort_block_merge_implIS3_N6thrust23THRUST_200600_302600_NS6detail15normal_iteratorINS9_10device_ptrIiEEEEPS5_jNS1_19radix_merge_compareILb0ELb1EiNS0_19identity_decomposerEEEEE10hipError_tT0_T1_T2_jT3_P12ihipStream_tbPNSt15iterator_traitsISK_E10value_typeEPNSQ_ISL_E10value_typeEPSM_NS1_7vsmem_tEENKUlT_SK_SL_SM_E_clISE_PiSF_SF_EESJ_SZ_SK_SL_SM_EUlSZ_E1_NS1_11comp_targetILNS1_3genE4ELNS1_11target_archE910ELNS1_3gpuE8ELNS1_3repE0EEENS1_36merge_oddeven_config_static_selectorELNS0_4arch9wavefront6targetE0EEEvSL_
	.p2align	8
	.type	_ZN7rocprim17ROCPRIM_400000_NS6detail17trampoline_kernelINS0_14default_configENS1_38merge_sort_block_merge_config_selectorIiNS0_10empty_typeEEEZZNS1_27merge_sort_block_merge_implIS3_N6thrust23THRUST_200600_302600_NS6detail15normal_iteratorINS9_10device_ptrIiEEEEPS5_jNS1_19radix_merge_compareILb0ELb1EiNS0_19identity_decomposerEEEEE10hipError_tT0_T1_T2_jT3_P12ihipStream_tbPNSt15iterator_traitsISK_E10value_typeEPNSQ_ISL_E10value_typeEPSM_NS1_7vsmem_tEENKUlT_SK_SL_SM_E_clISE_PiSF_SF_EESJ_SZ_SK_SL_SM_EUlSZ_E1_NS1_11comp_targetILNS1_3genE4ELNS1_11target_archE910ELNS1_3gpuE8ELNS1_3repE0EEENS1_36merge_oddeven_config_static_selectorELNS0_4arch9wavefront6targetE0EEEvSL_,@function
_ZN7rocprim17ROCPRIM_400000_NS6detail17trampoline_kernelINS0_14default_configENS1_38merge_sort_block_merge_config_selectorIiNS0_10empty_typeEEEZZNS1_27merge_sort_block_merge_implIS3_N6thrust23THRUST_200600_302600_NS6detail15normal_iteratorINS9_10device_ptrIiEEEEPS5_jNS1_19radix_merge_compareILb0ELb1EiNS0_19identity_decomposerEEEEE10hipError_tT0_T1_T2_jT3_P12ihipStream_tbPNSt15iterator_traitsISK_E10value_typeEPNSQ_ISL_E10value_typeEPSM_NS1_7vsmem_tEENKUlT_SK_SL_SM_E_clISE_PiSF_SF_EESJ_SZ_SK_SL_SM_EUlSZ_E1_NS1_11comp_targetILNS1_3genE4ELNS1_11target_archE910ELNS1_3gpuE8ELNS1_3repE0EEENS1_36merge_oddeven_config_static_selectorELNS0_4arch9wavefront6targetE0EEEvSL_: ; @_ZN7rocprim17ROCPRIM_400000_NS6detail17trampoline_kernelINS0_14default_configENS1_38merge_sort_block_merge_config_selectorIiNS0_10empty_typeEEEZZNS1_27merge_sort_block_merge_implIS3_N6thrust23THRUST_200600_302600_NS6detail15normal_iteratorINS9_10device_ptrIiEEEEPS5_jNS1_19radix_merge_compareILb0ELb1EiNS0_19identity_decomposerEEEEE10hipError_tT0_T1_T2_jT3_P12ihipStream_tbPNSt15iterator_traitsISK_E10value_typeEPNSQ_ISL_E10value_typeEPSM_NS1_7vsmem_tEENKUlT_SK_SL_SM_E_clISE_PiSF_SF_EESJ_SZ_SK_SL_SM_EUlSZ_E1_NS1_11comp_targetILNS1_3genE4ELNS1_11target_archE910ELNS1_3gpuE8ELNS1_3repE0EEENS1_36merge_oddeven_config_static_selectorELNS0_4arch9wavefront6targetE0EEEvSL_
; %bb.0:
	.section	.rodata,"a",@progbits
	.p2align	6, 0x0
	.amdhsa_kernel _ZN7rocprim17ROCPRIM_400000_NS6detail17trampoline_kernelINS0_14default_configENS1_38merge_sort_block_merge_config_selectorIiNS0_10empty_typeEEEZZNS1_27merge_sort_block_merge_implIS3_N6thrust23THRUST_200600_302600_NS6detail15normal_iteratorINS9_10device_ptrIiEEEEPS5_jNS1_19radix_merge_compareILb0ELb1EiNS0_19identity_decomposerEEEEE10hipError_tT0_T1_T2_jT3_P12ihipStream_tbPNSt15iterator_traitsISK_E10value_typeEPNSQ_ISL_E10value_typeEPSM_NS1_7vsmem_tEENKUlT_SK_SL_SM_E_clISE_PiSF_SF_EESJ_SZ_SK_SL_SM_EUlSZ_E1_NS1_11comp_targetILNS1_3genE4ELNS1_11target_archE910ELNS1_3gpuE8ELNS1_3repE0EEENS1_36merge_oddeven_config_static_selectorELNS0_4arch9wavefront6targetE0EEEvSL_
		.amdhsa_group_segment_fixed_size 0
		.amdhsa_private_segment_fixed_size 0
		.amdhsa_kernarg_size 48
		.amdhsa_user_sgpr_count 6
		.amdhsa_user_sgpr_private_segment_buffer 1
		.amdhsa_user_sgpr_dispatch_ptr 0
		.amdhsa_user_sgpr_queue_ptr 0
		.amdhsa_user_sgpr_kernarg_segment_ptr 1
		.amdhsa_user_sgpr_dispatch_id 0
		.amdhsa_user_sgpr_flat_scratch_init 0
		.amdhsa_user_sgpr_private_segment_size 0
		.amdhsa_wavefront_size32 1
		.amdhsa_uses_dynamic_stack 0
		.amdhsa_system_sgpr_private_segment_wavefront_offset 0
		.amdhsa_system_sgpr_workgroup_id_x 1
		.amdhsa_system_sgpr_workgroup_id_y 0
		.amdhsa_system_sgpr_workgroup_id_z 0
		.amdhsa_system_sgpr_workgroup_info 0
		.amdhsa_system_vgpr_workitem_id 0
		.amdhsa_next_free_vgpr 1
		.amdhsa_next_free_sgpr 1
		.amdhsa_reserve_vcc 0
		.amdhsa_reserve_flat_scratch 0
		.amdhsa_float_round_mode_32 0
		.amdhsa_float_round_mode_16_64 0
		.amdhsa_float_denorm_mode_32 3
		.amdhsa_float_denorm_mode_16_64 3
		.amdhsa_dx10_clamp 1
		.amdhsa_ieee_mode 1
		.amdhsa_fp16_overflow 0
		.amdhsa_workgroup_processor_mode 1
		.amdhsa_memory_ordered 1
		.amdhsa_forward_progress 1
		.amdhsa_shared_vgpr_count 0
		.amdhsa_exception_fp_ieee_invalid_op 0
		.amdhsa_exception_fp_denorm_src 0
		.amdhsa_exception_fp_ieee_div_zero 0
		.amdhsa_exception_fp_ieee_overflow 0
		.amdhsa_exception_fp_ieee_underflow 0
		.amdhsa_exception_fp_ieee_inexact 0
		.amdhsa_exception_int_div_zero 0
	.end_amdhsa_kernel
	.section	.text._ZN7rocprim17ROCPRIM_400000_NS6detail17trampoline_kernelINS0_14default_configENS1_38merge_sort_block_merge_config_selectorIiNS0_10empty_typeEEEZZNS1_27merge_sort_block_merge_implIS3_N6thrust23THRUST_200600_302600_NS6detail15normal_iteratorINS9_10device_ptrIiEEEEPS5_jNS1_19radix_merge_compareILb0ELb1EiNS0_19identity_decomposerEEEEE10hipError_tT0_T1_T2_jT3_P12ihipStream_tbPNSt15iterator_traitsISK_E10value_typeEPNSQ_ISL_E10value_typeEPSM_NS1_7vsmem_tEENKUlT_SK_SL_SM_E_clISE_PiSF_SF_EESJ_SZ_SK_SL_SM_EUlSZ_E1_NS1_11comp_targetILNS1_3genE4ELNS1_11target_archE910ELNS1_3gpuE8ELNS1_3repE0EEENS1_36merge_oddeven_config_static_selectorELNS0_4arch9wavefront6targetE0EEEvSL_,"axG",@progbits,_ZN7rocprim17ROCPRIM_400000_NS6detail17trampoline_kernelINS0_14default_configENS1_38merge_sort_block_merge_config_selectorIiNS0_10empty_typeEEEZZNS1_27merge_sort_block_merge_implIS3_N6thrust23THRUST_200600_302600_NS6detail15normal_iteratorINS9_10device_ptrIiEEEEPS5_jNS1_19radix_merge_compareILb0ELb1EiNS0_19identity_decomposerEEEEE10hipError_tT0_T1_T2_jT3_P12ihipStream_tbPNSt15iterator_traitsISK_E10value_typeEPNSQ_ISL_E10value_typeEPSM_NS1_7vsmem_tEENKUlT_SK_SL_SM_E_clISE_PiSF_SF_EESJ_SZ_SK_SL_SM_EUlSZ_E1_NS1_11comp_targetILNS1_3genE4ELNS1_11target_archE910ELNS1_3gpuE8ELNS1_3repE0EEENS1_36merge_oddeven_config_static_selectorELNS0_4arch9wavefront6targetE0EEEvSL_,comdat
.Lfunc_end127:
	.size	_ZN7rocprim17ROCPRIM_400000_NS6detail17trampoline_kernelINS0_14default_configENS1_38merge_sort_block_merge_config_selectorIiNS0_10empty_typeEEEZZNS1_27merge_sort_block_merge_implIS3_N6thrust23THRUST_200600_302600_NS6detail15normal_iteratorINS9_10device_ptrIiEEEEPS5_jNS1_19radix_merge_compareILb0ELb1EiNS0_19identity_decomposerEEEEE10hipError_tT0_T1_T2_jT3_P12ihipStream_tbPNSt15iterator_traitsISK_E10value_typeEPNSQ_ISL_E10value_typeEPSM_NS1_7vsmem_tEENKUlT_SK_SL_SM_E_clISE_PiSF_SF_EESJ_SZ_SK_SL_SM_EUlSZ_E1_NS1_11comp_targetILNS1_3genE4ELNS1_11target_archE910ELNS1_3gpuE8ELNS1_3repE0EEENS1_36merge_oddeven_config_static_selectorELNS0_4arch9wavefront6targetE0EEEvSL_, .Lfunc_end127-_ZN7rocprim17ROCPRIM_400000_NS6detail17trampoline_kernelINS0_14default_configENS1_38merge_sort_block_merge_config_selectorIiNS0_10empty_typeEEEZZNS1_27merge_sort_block_merge_implIS3_N6thrust23THRUST_200600_302600_NS6detail15normal_iteratorINS9_10device_ptrIiEEEEPS5_jNS1_19radix_merge_compareILb0ELb1EiNS0_19identity_decomposerEEEEE10hipError_tT0_T1_T2_jT3_P12ihipStream_tbPNSt15iterator_traitsISK_E10value_typeEPNSQ_ISL_E10value_typeEPSM_NS1_7vsmem_tEENKUlT_SK_SL_SM_E_clISE_PiSF_SF_EESJ_SZ_SK_SL_SM_EUlSZ_E1_NS1_11comp_targetILNS1_3genE4ELNS1_11target_archE910ELNS1_3gpuE8ELNS1_3repE0EEENS1_36merge_oddeven_config_static_selectorELNS0_4arch9wavefront6targetE0EEEvSL_
                                        ; -- End function
	.set _ZN7rocprim17ROCPRIM_400000_NS6detail17trampoline_kernelINS0_14default_configENS1_38merge_sort_block_merge_config_selectorIiNS0_10empty_typeEEEZZNS1_27merge_sort_block_merge_implIS3_N6thrust23THRUST_200600_302600_NS6detail15normal_iteratorINS9_10device_ptrIiEEEEPS5_jNS1_19radix_merge_compareILb0ELb1EiNS0_19identity_decomposerEEEEE10hipError_tT0_T1_T2_jT3_P12ihipStream_tbPNSt15iterator_traitsISK_E10value_typeEPNSQ_ISL_E10value_typeEPSM_NS1_7vsmem_tEENKUlT_SK_SL_SM_E_clISE_PiSF_SF_EESJ_SZ_SK_SL_SM_EUlSZ_E1_NS1_11comp_targetILNS1_3genE4ELNS1_11target_archE910ELNS1_3gpuE8ELNS1_3repE0EEENS1_36merge_oddeven_config_static_selectorELNS0_4arch9wavefront6targetE0EEEvSL_.num_vgpr, 0
	.set _ZN7rocprim17ROCPRIM_400000_NS6detail17trampoline_kernelINS0_14default_configENS1_38merge_sort_block_merge_config_selectorIiNS0_10empty_typeEEEZZNS1_27merge_sort_block_merge_implIS3_N6thrust23THRUST_200600_302600_NS6detail15normal_iteratorINS9_10device_ptrIiEEEEPS5_jNS1_19radix_merge_compareILb0ELb1EiNS0_19identity_decomposerEEEEE10hipError_tT0_T1_T2_jT3_P12ihipStream_tbPNSt15iterator_traitsISK_E10value_typeEPNSQ_ISL_E10value_typeEPSM_NS1_7vsmem_tEENKUlT_SK_SL_SM_E_clISE_PiSF_SF_EESJ_SZ_SK_SL_SM_EUlSZ_E1_NS1_11comp_targetILNS1_3genE4ELNS1_11target_archE910ELNS1_3gpuE8ELNS1_3repE0EEENS1_36merge_oddeven_config_static_selectorELNS0_4arch9wavefront6targetE0EEEvSL_.num_agpr, 0
	.set _ZN7rocprim17ROCPRIM_400000_NS6detail17trampoline_kernelINS0_14default_configENS1_38merge_sort_block_merge_config_selectorIiNS0_10empty_typeEEEZZNS1_27merge_sort_block_merge_implIS3_N6thrust23THRUST_200600_302600_NS6detail15normal_iteratorINS9_10device_ptrIiEEEEPS5_jNS1_19radix_merge_compareILb0ELb1EiNS0_19identity_decomposerEEEEE10hipError_tT0_T1_T2_jT3_P12ihipStream_tbPNSt15iterator_traitsISK_E10value_typeEPNSQ_ISL_E10value_typeEPSM_NS1_7vsmem_tEENKUlT_SK_SL_SM_E_clISE_PiSF_SF_EESJ_SZ_SK_SL_SM_EUlSZ_E1_NS1_11comp_targetILNS1_3genE4ELNS1_11target_archE910ELNS1_3gpuE8ELNS1_3repE0EEENS1_36merge_oddeven_config_static_selectorELNS0_4arch9wavefront6targetE0EEEvSL_.numbered_sgpr, 0
	.set _ZN7rocprim17ROCPRIM_400000_NS6detail17trampoline_kernelINS0_14default_configENS1_38merge_sort_block_merge_config_selectorIiNS0_10empty_typeEEEZZNS1_27merge_sort_block_merge_implIS3_N6thrust23THRUST_200600_302600_NS6detail15normal_iteratorINS9_10device_ptrIiEEEEPS5_jNS1_19radix_merge_compareILb0ELb1EiNS0_19identity_decomposerEEEEE10hipError_tT0_T1_T2_jT3_P12ihipStream_tbPNSt15iterator_traitsISK_E10value_typeEPNSQ_ISL_E10value_typeEPSM_NS1_7vsmem_tEENKUlT_SK_SL_SM_E_clISE_PiSF_SF_EESJ_SZ_SK_SL_SM_EUlSZ_E1_NS1_11comp_targetILNS1_3genE4ELNS1_11target_archE910ELNS1_3gpuE8ELNS1_3repE0EEENS1_36merge_oddeven_config_static_selectorELNS0_4arch9wavefront6targetE0EEEvSL_.num_named_barrier, 0
	.set _ZN7rocprim17ROCPRIM_400000_NS6detail17trampoline_kernelINS0_14default_configENS1_38merge_sort_block_merge_config_selectorIiNS0_10empty_typeEEEZZNS1_27merge_sort_block_merge_implIS3_N6thrust23THRUST_200600_302600_NS6detail15normal_iteratorINS9_10device_ptrIiEEEEPS5_jNS1_19radix_merge_compareILb0ELb1EiNS0_19identity_decomposerEEEEE10hipError_tT0_T1_T2_jT3_P12ihipStream_tbPNSt15iterator_traitsISK_E10value_typeEPNSQ_ISL_E10value_typeEPSM_NS1_7vsmem_tEENKUlT_SK_SL_SM_E_clISE_PiSF_SF_EESJ_SZ_SK_SL_SM_EUlSZ_E1_NS1_11comp_targetILNS1_3genE4ELNS1_11target_archE910ELNS1_3gpuE8ELNS1_3repE0EEENS1_36merge_oddeven_config_static_selectorELNS0_4arch9wavefront6targetE0EEEvSL_.private_seg_size, 0
	.set _ZN7rocprim17ROCPRIM_400000_NS6detail17trampoline_kernelINS0_14default_configENS1_38merge_sort_block_merge_config_selectorIiNS0_10empty_typeEEEZZNS1_27merge_sort_block_merge_implIS3_N6thrust23THRUST_200600_302600_NS6detail15normal_iteratorINS9_10device_ptrIiEEEEPS5_jNS1_19radix_merge_compareILb0ELb1EiNS0_19identity_decomposerEEEEE10hipError_tT0_T1_T2_jT3_P12ihipStream_tbPNSt15iterator_traitsISK_E10value_typeEPNSQ_ISL_E10value_typeEPSM_NS1_7vsmem_tEENKUlT_SK_SL_SM_E_clISE_PiSF_SF_EESJ_SZ_SK_SL_SM_EUlSZ_E1_NS1_11comp_targetILNS1_3genE4ELNS1_11target_archE910ELNS1_3gpuE8ELNS1_3repE0EEENS1_36merge_oddeven_config_static_selectorELNS0_4arch9wavefront6targetE0EEEvSL_.uses_vcc, 0
	.set _ZN7rocprim17ROCPRIM_400000_NS6detail17trampoline_kernelINS0_14default_configENS1_38merge_sort_block_merge_config_selectorIiNS0_10empty_typeEEEZZNS1_27merge_sort_block_merge_implIS3_N6thrust23THRUST_200600_302600_NS6detail15normal_iteratorINS9_10device_ptrIiEEEEPS5_jNS1_19radix_merge_compareILb0ELb1EiNS0_19identity_decomposerEEEEE10hipError_tT0_T1_T2_jT3_P12ihipStream_tbPNSt15iterator_traitsISK_E10value_typeEPNSQ_ISL_E10value_typeEPSM_NS1_7vsmem_tEENKUlT_SK_SL_SM_E_clISE_PiSF_SF_EESJ_SZ_SK_SL_SM_EUlSZ_E1_NS1_11comp_targetILNS1_3genE4ELNS1_11target_archE910ELNS1_3gpuE8ELNS1_3repE0EEENS1_36merge_oddeven_config_static_selectorELNS0_4arch9wavefront6targetE0EEEvSL_.uses_flat_scratch, 0
	.set _ZN7rocprim17ROCPRIM_400000_NS6detail17trampoline_kernelINS0_14default_configENS1_38merge_sort_block_merge_config_selectorIiNS0_10empty_typeEEEZZNS1_27merge_sort_block_merge_implIS3_N6thrust23THRUST_200600_302600_NS6detail15normal_iteratorINS9_10device_ptrIiEEEEPS5_jNS1_19radix_merge_compareILb0ELb1EiNS0_19identity_decomposerEEEEE10hipError_tT0_T1_T2_jT3_P12ihipStream_tbPNSt15iterator_traitsISK_E10value_typeEPNSQ_ISL_E10value_typeEPSM_NS1_7vsmem_tEENKUlT_SK_SL_SM_E_clISE_PiSF_SF_EESJ_SZ_SK_SL_SM_EUlSZ_E1_NS1_11comp_targetILNS1_3genE4ELNS1_11target_archE910ELNS1_3gpuE8ELNS1_3repE0EEENS1_36merge_oddeven_config_static_selectorELNS0_4arch9wavefront6targetE0EEEvSL_.has_dyn_sized_stack, 0
	.set _ZN7rocprim17ROCPRIM_400000_NS6detail17trampoline_kernelINS0_14default_configENS1_38merge_sort_block_merge_config_selectorIiNS0_10empty_typeEEEZZNS1_27merge_sort_block_merge_implIS3_N6thrust23THRUST_200600_302600_NS6detail15normal_iteratorINS9_10device_ptrIiEEEEPS5_jNS1_19radix_merge_compareILb0ELb1EiNS0_19identity_decomposerEEEEE10hipError_tT0_T1_T2_jT3_P12ihipStream_tbPNSt15iterator_traitsISK_E10value_typeEPNSQ_ISL_E10value_typeEPSM_NS1_7vsmem_tEENKUlT_SK_SL_SM_E_clISE_PiSF_SF_EESJ_SZ_SK_SL_SM_EUlSZ_E1_NS1_11comp_targetILNS1_3genE4ELNS1_11target_archE910ELNS1_3gpuE8ELNS1_3repE0EEENS1_36merge_oddeven_config_static_selectorELNS0_4arch9wavefront6targetE0EEEvSL_.has_recursion, 0
	.set _ZN7rocprim17ROCPRIM_400000_NS6detail17trampoline_kernelINS0_14default_configENS1_38merge_sort_block_merge_config_selectorIiNS0_10empty_typeEEEZZNS1_27merge_sort_block_merge_implIS3_N6thrust23THRUST_200600_302600_NS6detail15normal_iteratorINS9_10device_ptrIiEEEEPS5_jNS1_19radix_merge_compareILb0ELb1EiNS0_19identity_decomposerEEEEE10hipError_tT0_T1_T2_jT3_P12ihipStream_tbPNSt15iterator_traitsISK_E10value_typeEPNSQ_ISL_E10value_typeEPSM_NS1_7vsmem_tEENKUlT_SK_SL_SM_E_clISE_PiSF_SF_EESJ_SZ_SK_SL_SM_EUlSZ_E1_NS1_11comp_targetILNS1_3genE4ELNS1_11target_archE910ELNS1_3gpuE8ELNS1_3repE0EEENS1_36merge_oddeven_config_static_selectorELNS0_4arch9wavefront6targetE0EEEvSL_.has_indirect_call, 0
	.section	.AMDGPU.csdata,"",@progbits
; Kernel info:
; codeLenInByte = 0
; TotalNumSgprs: 0
; NumVgprs: 0
; ScratchSize: 0
; MemoryBound: 0
; FloatMode: 240
; IeeeMode: 1
; LDSByteSize: 0 bytes/workgroup (compile time only)
; SGPRBlocks: 0
; VGPRBlocks: 0
; NumSGPRsForWavesPerEU: 1
; NumVGPRsForWavesPerEU: 1
; Occupancy: 16
; WaveLimiterHint : 0
; COMPUTE_PGM_RSRC2:SCRATCH_EN: 0
; COMPUTE_PGM_RSRC2:USER_SGPR: 6
; COMPUTE_PGM_RSRC2:TRAP_HANDLER: 0
; COMPUTE_PGM_RSRC2:TGID_X_EN: 1
; COMPUTE_PGM_RSRC2:TGID_Y_EN: 0
; COMPUTE_PGM_RSRC2:TGID_Z_EN: 0
; COMPUTE_PGM_RSRC2:TIDIG_COMP_CNT: 0
	.section	.text._ZN7rocprim17ROCPRIM_400000_NS6detail17trampoline_kernelINS0_14default_configENS1_38merge_sort_block_merge_config_selectorIiNS0_10empty_typeEEEZZNS1_27merge_sort_block_merge_implIS3_N6thrust23THRUST_200600_302600_NS6detail15normal_iteratorINS9_10device_ptrIiEEEEPS5_jNS1_19radix_merge_compareILb0ELb1EiNS0_19identity_decomposerEEEEE10hipError_tT0_T1_T2_jT3_P12ihipStream_tbPNSt15iterator_traitsISK_E10value_typeEPNSQ_ISL_E10value_typeEPSM_NS1_7vsmem_tEENKUlT_SK_SL_SM_E_clISE_PiSF_SF_EESJ_SZ_SK_SL_SM_EUlSZ_E1_NS1_11comp_targetILNS1_3genE3ELNS1_11target_archE908ELNS1_3gpuE7ELNS1_3repE0EEENS1_36merge_oddeven_config_static_selectorELNS0_4arch9wavefront6targetE0EEEvSL_,"axG",@progbits,_ZN7rocprim17ROCPRIM_400000_NS6detail17trampoline_kernelINS0_14default_configENS1_38merge_sort_block_merge_config_selectorIiNS0_10empty_typeEEEZZNS1_27merge_sort_block_merge_implIS3_N6thrust23THRUST_200600_302600_NS6detail15normal_iteratorINS9_10device_ptrIiEEEEPS5_jNS1_19radix_merge_compareILb0ELb1EiNS0_19identity_decomposerEEEEE10hipError_tT0_T1_T2_jT3_P12ihipStream_tbPNSt15iterator_traitsISK_E10value_typeEPNSQ_ISL_E10value_typeEPSM_NS1_7vsmem_tEENKUlT_SK_SL_SM_E_clISE_PiSF_SF_EESJ_SZ_SK_SL_SM_EUlSZ_E1_NS1_11comp_targetILNS1_3genE3ELNS1_11target_archE908ELNS1_3gpuE7ELNS1_3repE0EEENS1_36merge_oddeven_config_static_selectorELNS0_4arch9wavefront6targetE0EEEvSL_,comdat
	.protected	_ZN7rocprim17ROCPRIM_400000_NS6detail17trampoline_kernelINS0_14default_configENS1_38merge_sort_block_merge_config_selectorIiNS0_10empty_typeEEEZZNS1_27merge_sort_block_merge_implIS3_N6thrust23THRUST_200600_302600_NS6detail15normal_iteratorINS9_10device_ptrIiEEEEPS5_jNS1_19radix_merge_compareILb0ELb1EiNS0_19identity_decomposerEEEEE10hipError_tT0_T1_T2_jT3_P12ihipStream_tbPNSt15iterator_traitsISK_E10value_typeEPNSQ_ISL_E10value_typeEPSM_NS1_7vsmem_tEENKUlT_SK_SL_SM_E_clISE_PiSF_SF_EESJ_SZ_SK_SL_SM_EUlSZ_E1_NS1_11comp_targetILNS1_3genE3ELNS1_11target_archE908ELNS1_3gpuE7ELNS1_3repE0EEENS1_36merge_oddeven_config_static_selectorELNS0_4arch9wavefront6targetE0EEEvSL_ ; -- Begin function _ZN7rocprim17ROCPRIM_400000_NS6detail17trampoline_kernelINS0_14default_configENS1_38merge_sort_block_merge_config_selectorIiNS0_10empty_typeEEEZZNS1_27merge_sort_block_merge_implIS3_N6thrust23THRUST_200600_302600_NS6detail15normal_iteratorINS9_10device_ptrIiEEEEPS5_jNS1_19radix_merge_compareILb0ELb1EiNS0_19identity_decomposerEEEEE10hipError_tT0_T1_T2_jT3_P12ihipStream_tbPNSt15iterator_traitsISK_E10value_typeEPNSQ_ISL_E10value_typeEPSM_NS1_7vsmem_tEENKUlT_SK_SL_SM_E_clISE_PiSF_SF_EESJ_SZ_SK_SL_SM_EUlSZ_E1_NS1_11comp_targetILNS1_3genE3ELNS1_11target_archE908ELNS1_3gpuE7ELNS1_3repE0EEENS1_36merge_oddeven_config_static_selectorELNS0_4arch9wavefront6targetE0EEEvSL_
	.globl	_ZN7rocprim17ROCPRIM_400000_NS6detail17trampoline_kernelINS0_14default_configENS1_38merge_sort_block_merge_config_selectorIiNS0_10empty_typeEEEZZNS1_27merge_sort_block_merge_implIS3_N6thrust23THRUST_200600_302600_NS6detail15normal_iteratorINS9_10device_ptrIiEEEEPS5_jNS1_19radix_merge_compareILb0ELb1EiNS0_19identity_decomposerEEEEE10hipError_tT0_T1_T2_jT3_P12ihipStream_tbPNSt15iterator_traitsISK_E10value_typeEPNSQ_ISL_E10value_typeEPSM_NS1_7vsmem_tEENKUlT_SK_SL_SM_E_clISE_PiSF_SF_EESJ_SZ_SK_SL_SM_EUlSZ_E1_NS1_11comp_targetILNS1_3genE3ELNS1_11target_archE908ELNS1_3gpuE7ELNS1_3repE0EEENS1_36merge_oddeven_config_static_selectorELNS0_4arch9wavefront6targetE0EEEvSL_
	.p2align	8
	.type	_ZN7rocprim17ROCPRIM_400000_NS6detail17trampoline_kernelINS0_14default_configENS1_38merge_sort_block_merge_config_selectorIiNS0_10empty_typeEEEZZNS1_27merge_sort_block_merge_implIS3_N6thrust23THRUST_200600_302600_NS6detail15normal_iteratorINS9_10device_ptrIiEEEEPS5_jNS1_19radix_merge_compareILb0ELb1EiNS0_19identity_decomposerEEEEE10hipError_tT0_T1_T2_jT3_P12ihipStream_tbPNSt15iterator_traitsISK_E10value_typeEPNSQ_ISL_E10value_typeEPSM_NS1_7vsmem_tEENKUlT_SK_SL_SM_E_clISE_PiSF_SF_EESJ_SZ_SK_SL_SM_EUlSZ_E1_NS1_11comp_targetILNS1_3genE3ELNS1_11target_archE908ELNS1_3gpuE7ELNS1_3repE0EEENS1_36merge_oddeven_config_static_selectorELNS0_4arch9wavefront6targetE0EEEvSL_,@function
_ZN7rocprim17ROCPRIM_400000_NS6detail17trampoline_kernelINS0_14default_configENS1_38merge_sort_block_merge_config_selectorIiNS0_10empty_typeEEEZZNS1_27merge_sort_block_merge_implIS3_N6thrust23THRUST_200600_302600_NS6detail15normal_iteratorINS9_10device_ptrIiEEEEPS5_jNS1_19radix_merge_compareILb0ELb1EiNS0_19identity_decomposerEEEEE10hipError_tT0_T1_T2_jT3_P12ihipStream_tbPNSt15iterator_traitsISK_E10value_typeEPNSQ_ISL_E10value_typeEPSM_NS1_7vsmem_tEENKUlT_SK_SL_SM_E_clISE_PiSF_SF_EESJ_SZ_SK_SL_SM_EUlSZ_E1_NS1_11comp_targetILNS1_3genE3ELNS1_11target_archE908ELNS1_3gpuE7ELNS1_3repE0EEENS1_36merge_oddeven_config_static_selectorELNS0_4arch9wavefront6targetE0EEEvSL_: ; @_ZN7rocprim17ROCPRIM_400000_NS6detail17trampoline_kernelINS0_14default_configENS1_38merge_sort_block_merge_config_selectorIiNS0_10empty_typeEEEZZNS1_27merge_sort_block_merge_implIS3_N6thrust23THRUST_200600_302600_NS6detail15normal_iteratorINS9_10device_ptrIiEEEEPS5_jNS1_19radix_merge_compareILb0ELb1EiNS0_19identity_decomposerEEEEE10hipError_tT0_T1_T2_jT3_P12ihipStream_tbPNSt15iterator_traitsISK_E10value_typeEPNSQ_ISL_E10value_typeEPSM_NS1_7vsmem_tEENKUlT_SK_SL_SM_E_clISE_PiSF_SF_EESJ_SZ_SK_SL_SM_EUlSZ_E1_NS1_11comp_targetILNS1_3genE3ELNS1_11target_archE908ELNS1_3gpuE7ELNS1_3repE0EEENS1_36merge_oddeven_config_static_selectorELNS0_4arch9wavefront6targetE0EEEvSL_
; %bb.0:
	.section	.rodata,"a",@progbits
	.p2align	6, 0x0
	.amdhsa_kernel _ZN7rocprim17ROCPRIM_400000_NS6detail17trampoline_kernelINS0_14default_configENS1_38merge_sort_block_merge_config_selectorIiNS0_10empty_typeEEEZZNS1_27merge_sort_block_merge_implIS3_N6thrust23THRUST_200600_302600_NS6detail15normal_iteratorINS9_10device_ptrIiEEEEPS5_jNS1_19radix_merge_compareILb0ELb1EiNS0_19identity_decomposerEEEEE10hipError_tT0_T1_T2_jT3_P12ihipStream_tbPNSt15iterator_traitsISK_E10value_typeEPNSQ_ISL_E10value_typeEPSM_NS1_7vsmem_tEENKUlT_SK_SL_SM_E_clISE_PiSF_SF_EESJ_SZ_SK_SL_SM_EUlSZ_E1_NS1_11comp_targetILNS1_3genE3ELNS1_11target_archE908ELNS1_3gpuE7ELNS1_3repE0EEENS1_36merge_oddeven_config_static_selectorELNS0_4arch9wavefront6targetE0EEEvSL_
		.amdhsa_group_segment_fixed_size 0
		.amdhsa_private_segment_fixed_size 0
		.amdhsa_kernarg_size 48
		.amdhsa_user_sgpr_count 6
		.amdhsa_user_sgpr_private_segment_buffer 1
		.amdhsa_user_sgpr_dispatch_ptr 0
		.amdhsa_user_sgpr_queue_ptr 0
		.amdhsa_user_sgpr_kernarg_segment_ptr 1
		.amdhsa_user_sgpr_dispatch_id 0
		.amdhsa_user_sgpr_flat_scratch_init 0
		.amdhsa_user_sgpr_private_segment_size 0
		.amdhsa_wavefront_size32 1
		.amdhsa_uses_dynamic_stack 0
		.amdhsa_system_sgpr_private_segment_wavefront_offset 0
		.amdhsa_system_sgpr_workgroup_id_x 1
		.amdhsa_system_sgpr_workgroup_id_y 0
		.amdhsa_system_sgpr_workgroup_id_z 0
		.amdhsa_system_sgpr_workgroup_info 0
		.amdhsa_system_vgpr_workitem_id 0
		.amdhsa_next_free_vgpr 1
		.amdhsa_next_free_sgpr 1
		.amdhsa_reserve_vcc 0
		.amdhsa_reserve_flat_scratch 0
		.amdhsa_float_round_mode_32 0
		.amdhsa_float_round_mode_16_64 0
		.amdhsa_float_denorm_mode_32 3
		.amdhsa_float_denorm_mode_16_64 3
		.amdhsa_dx10_clamp 1
		.amdhsa_ieee_mode 1
		.amdhsa_fp16_overflow 0
		.amdhsa_workgroup_processor_mode 1
		.amdhsa_memory_ordered 1
		.amdhsa_forward_progress 1
		.amdhsa_shared_vgpr_count 0
		.amdhsa_exception_fp_ieee_invalid_op 0
		.amdhsa_exception_fp_denorm_src 0
		.amdhsa_exception_fp_ieee_div_zero 0
		.amdhsa_exception_fp_ieee_overflow 0
		.amdhsa_exception_fp_ieee_underflow 0
		.amdhsa_exception_fp_ieee_inexact 0
		.amdhsa_exception_int_div_zero 0
	.end_amdhsa_kernel
	.section	.text._ZN7rocprim17ROCPRIM_400000_NS6detail17trampoline_kernelINS0_14default_configENS1_38merge_sort_block_merge_config_selectorIiNS0_10empty_typeEEEZZNS1_27merge_sort_block_merge_implIS3_N6thrust23THRUST_200600_302600_NS6detail15normal_iteratorINS9_10device_ptrIiEEEEPS5_jNS1_19radix_merge_compareILb0ELb1EiNS0_19identity_decomposerEEEEE10hipError_tT0_T1_T2_jT3_P12ihipStream_tbPNSt15iterator_traitsISK_E10value_typeEPNSQ_ISL_E10value_typeEPSM_NS1_7vsmem_tEENKUlT_SK_SL_SM_E_clISE_PiSF_SF_EESJ_SZ_SK_SL_SM_EUlSZ_E1_NS1_11comp_targetILNS1_3genE3ELNS1_11target_archE908ELNS1_3gpuE7ELNS1_3repE0EEENS1_36merge_oddeven_config_static_selectorELNS0_4arch9wavefront6targetE0EEEvSL_,"axG",@progbits,_ZN7rocprim17ROCPRIM_400000_NS6detail17trampoline_kernelINS0_14default_configENS1_38merge_sort_block_merge_config_selectorIiNS0_10empty_typeEEEZZNS1_27merge_sort_block_merge_implIS3_N6thrust23THRUST_200600_302600_NS6detail15normal_iteratorINS9_10device_ptrIiEEEEPS5_jNS1_19radix_merge_compareILb0ELb1EiNS0_19identity_decomposerEEEEE10hipError_tT0_T1_T2_jT3_P12ihipStream_tbPNSt15iterator_traitsISK_E10value_typeEPNSQ_ISL_E10value_typeEPSM_NS1_7vsmem_tEENKUlT_SK_SL_SM_E_clISE_PiSF_SF_EESJ_SZ_SK_SL_SM_EUlSZ_E1_NS1_11comp_targetILNS1_3genE3ELNS1_11target_archE908ELNS1_3gpuE7ELNS1_3repE0EEENS1_36merge_oddeven_config_static_selectorELNS0_4arch9wavefront6targetE0EEEvSL_,comdat
.Lfunc_end128:
	.size	_ZN7rocprim17ROCPRIM_400000_NS6detail17trampoline_kernelINS0_14default_configENS1_38merge_sort_block_merge_config_selectorIiNS0_10empty_typeEEEZZNS1_27merge_sort_block_merge_implIS3_N6thrust23THRUST_200600_302600_NS6detail15normal_iteratorINS9_10device_ptrIiEEEEPS5_jNS1_19radix_merge_compareILb0ELb1EiNS0_19identity_decomposerEEEEE10hipError_tT0_T1_T2_jT3_P12ihipStream_tbPNSt15iterator_traitsISK_E10value_typeEPNSQ_ISL_E10value_typeEPSM_NS1_7vsmem_tEENKUlT_SK_SL_SM_E_clISE_PiSF_SF_EESJ_SZ_SK_SL_SM_EUlSZ_E1_NS1_11comp_targetILNS1_3genE3ELNS1_11target_archE908ELNS1_3gpuE7ELNS1_3repE0EEENS1_36merge_oddeven_config_static_selectorELNS0_4arch9wavefront6targetE0EEEvSL_, .Lfunc_end128-_ZN7rocprim17ROCPRIM_400000_NS6detail17trampoline_kernelINS0_14default_configENS1_38merge_sort_block_merge_config_selectorIiNS0_10empty_typeEEEZZNS1_27merge_sort_block_merge_implIS3_N6thrust23THRUST_200600_302600_NS6detail15normal_iteratorINS9_10device_ptrIiEEEEPS5_jNS1_19radix_merge_compareILb0ELb1EiNS0_19identity_decomposerEEEEE10hipError_tT0_T1_T2_jT3_P12ihipStream_tbPNSt15iterator_traitsISK_E10value_typeEPNSQ_ISL_E10value_typeEPSM_NS1_7vsmem_tEENKUlT_SK_SL_SM_E_clISE_PiSF_SF_EESJ_SZ_SK_SL_SM_EUlSZ_E1_NS1_11comp_targetILNS1_3genE3ELNS1_11target_archE908ELNS1_3gpuE7ELNS1_3repE0EEENS1_36merge_oddeven_config_static_selectorELNS0_4arch9wavefront6targetE0EEEvSL_
                                        ; -- End function
	.set _ZN7rocprim17ROCPRIM_400000_NS6detail17trampoline_kernelINS0_14default_configENS1_38merge_sort_block_merge_config_selectorIiNS0_10empty_typeEEEZZNS1_27merge_sort_block_merge_implIS3_N6thrust23THRUST_200600_302600_NS6detail15normal_iteratorINS9_10device_ptrIiEEEEPS5_jNS1_19radix_merge_compareILb0ELb1EiNS0_19identity_decomposerEEEEE10hipError_tT0_T1_T2_jT3_P12ihipStream_tbPNSt15iterator_traitsISK_E10value_typeEPNSQ_ISL_E10value_typeEPSM_NS1_7vsmem_tEENKUlT_SK_SL_SM_E_clISE_PiSF_SF_EESJ_SZ_SK_SL_SM_EUlSZ_E1_NS1_11comp_targetILNS1_3genE3ELNS1_11target_archE908ELNS1_3gpuE7ELNS1_3repE0EEENS1_36merge_oddeven_config_static_selectorELNS0_4arch9wavefront6targetE0EEEvSL_.num_vgpr, 0
	.set _ZN7rocprim17ROCPRIM_400000_NS6detail17trampoline_kernelINS0_14default_configENS1_38merge_sort_block_merge_config_selectorIiNS0_10empty_typeEEEZZNS1_27merge_sort_block_merge_implIS3_N6thrust23THRUST_200600_302600_NS6detail15normal_iteratorINS9_10device_ptrIiEEEEPS5_jNS1_19radix_merge_compareILb0ELb1EiNS0_19identity_decomposerEEEEE10hipError_tT0_T1_T2_jT3_P12ihipStream_tbPNSt15iterator_traitsISK_E10value_typeEPNSQ_ISL_E10value_typeEPSM_NS1_7vsmem_tEENKUlT_SK_SL_SM_E_clISE_PiSF_SF_EESJ_SZ_SK_SL_SM_EUlSZ_E1_NS1_11comp_targetILNS1_3genE3ELNS1_11target_archE908ELNS1_3gpuE7ELNS1_3repE0EEENS1_36merge_oddeven_config_static_selectorELNS0_4arch9wavefront6targetE0EEEvSL_.num_agpr, 0
	.set _ZN7rocprim17ROCPRIM_400000_NS6detail17trampoline_kernelINS0_14default_configENS1_38merge_sort_block_merge_config_selectorIiNS0_10empty_typeEEEZZNS1_27merge_sort_block_merge_implIS3_N6thrust23THRUST_200600_302600_NS6detail15normal_iteratorINS9_10device_ptrIiEEEEPS5_jNS1_19radix_merge_compareILb0ELb1EiNS0_19identity_decomposerEEEEE10hipError_tT0_T1_T2_jT3_P12ihipStream_tbPNSt15iterator_traitsISK_E10value_typeEPNSQ_ISL_E10value_typeEPSM_NS1_7vsmem_tEENKUlT_SK_SL_SM_E_clISE_PiSF_SF_EESJ_SZ_SK_SL_SM_EUlSZ_E1_NS1_11comp_targetILNS1_3genE3ELNS1_11target_archE908ELNS1_3gpuE7ELNS1_3repE0EEENS1_36merge_oddeven_config_static_selectorELNS0_4arch9wavefront6targetE0EEEvSL_.numbered_sgpr, 0
	.set _ZN7rocprim17ROCPRIM_400000_NS6detail17trampoline_kernelINS0_14default_configENS1_38merge_sort_block_merge_config_selectorIiNS0_10empty_typeEEEZZNS1_27merge_sort_block_merge_implIS3_N6thrust23THRUST_200600_302600_NS6detail15normal_iteratorINS9_10device_ptrIiEEEEPS5_jNS1_19radix_merge_compareILb0ELb1EiNS0_19identity_decomposerEEEEE10hipError_tT0_T1_T2_jT3_P12ihipStream_tbPNSt15iterator_traitsISK_E10value_typeEPNSQ_ISL_E10value_typeEPSM_NS1_7vsmem_tEENKUlT_SK_SL_SM_E_clISE_PiSF_SF_EESJ_SZ_SK_SL_SM_EUlSZ_E1_NS1_11comp_targetILNS1_3genE3ELNS1_11target_archE908ELNS1_3gpuE7ELNS1_3repE0EEENS1_36merge_oddeven_config_static_selectorELNS0_4arch9wavefront6targetE0EEEvSL_.num_named_barrier, 0
	.set _ZN7rocprim17ROCPRIM_400000_NS6detail17trampoline_kernelINS0_14default_configENS1_38merge_sort_block_merge_config_selectorIiNS0_10empty_typeEEEZZNS1_27merge_sort_block_merge_implIS3_N6thrust23THRUST_200600_302600_NS6detail15normal_iteratorINS9_10device_ptrIiEEEEPS5_jNS1_19radix_merge_compareILb0ELb1EiNS0_19identity_decomposerEEEEE10hipError_tT0_T1_T2_jT3_P12ihipStream_tbPNSt15iterator_traitsISK_E10value_typeEPNSQ_ISL_E10value_typeEPSM_NS1_7vsmem_tEENKUlT_SK_SL_SM_E_clISE_PiSF_SF_EESJ_SZ_SK_SL_SM_EUlSZ_E1_NS1_11comp_targetILNS1_3genE3ELNS1_11target_archE908ELNS1_3gpuE7ELNS1_3repE0EEENS1_36merge_oddeven_config_static_selectorELNS0_4arch9wavefront6targetE0EEEvSL_.private_seg_size, 0
	.set _ZN7rocprim17ROCPRIM_400000_NS6detail17trampoline_kernelINS0_14default_configENS1_38merge_sort_block_merge_config_selectorIiNS0_10empty_typeEEEZZNS1_27merge_sort_block_merge_implIS3_N6thrust23THRUST_200600_302600_NS6detail15normal_iteratorINS9_10device_ptrIiEEEEPS5_jNS1_19radix_merge_compareILb0ELb1EiNS0_19identity_decomposerEEEEE10hipError_tT0_T1_T2_jT3_P12ihipStream_tbPNSt15iterator_traitsISK_E10value_typeEPNSQ_ISL_E10value_typeEPSM_NS1_7vsmem_tEENKUlT_SK_SL_SM_E_clISE_PiSF_SF_EESJ_SZ_SK_SL_SM_EUlSZ_E1_NS1_11comp_targetILNS1_3genE3ELNS1_11target_archE908ELNS1_3gpuE7ELNS1_3repE0EEENS1_36merge_oddeven_config_static_selectorELNS0_4arch9wavefront6targetE0EEEvSL_.uses_vcc, 0
	.set _ZN7rocprim17ROCPRIM_400000_NS6detail17trampoline_kernelINS0_14default_configENS1_38merge_sort_block_merge_config_selectorIiNS0_10empty_typeEEEZZNS1_27merge_sort_block_merge_implIS3_N6thrust23THRUST_200600_302600_NS6detail15normal_iteratorINS9_10device_ptrIiEEEEPS5_jNS1_19radix_merge_compareILb0ELb1EiNS0_19identity_decomposerEEEEE10hipError_tT0_T1_T2_jT3_P12ihipStream_tbPNSt15iterator_traitsISK_E10value_typeEPNSQ_ISL_E10value_typeEPSM_NS1_7vsmem_tEENKUlT_SK_SL_SM_E_clISE_PiSF_SF_EESJ_SZ_SK_SL_SM_EUlSZ_E1_NS1_11comp_targetILNS1_3genE3ELNS1_11target_archE908ELNS1_3gpuE7ELNS1_3repE0EEENS1_36merge_oddeven_config_static_selectorELNS0_4arch9wavefront6targetE0EEEvSL_.uses_flat_scratch, 0
	.set _ZN7rocprim17ROCPRIM_400000_NS6detail17trampoline_kernelINS0_14default_configENS1_38merge_sort_block_merge_config_selectorIiNS0_10empty_typeEEEZZNS1_27merge_sort_block_merge_implIS3_N6thrust23THRUST_200600_302600_NS6detail15normal_iteratorINS9_10device_ptrIiEEEEPS5_jNS1_19radix_merge_compareILb0ELb1EiNS0_19identity_decomposerEEEEE10hipError_tT0_T1_T2_jT3_P12ihipStream_tbPNSt15iterator_traitsISK_E10value_typeEPNSQ_ISL_E10value_typeEPSM_NS1_7vsmem_tEENKUlT_SK_SL_SM_E_clISE_PiSF_SF_EESJ_SZ_SK_SL_SM_EUlSZ_E1_NS1_11comp_targetILNS1_3genE3ELNS1_11target_archE908ELNS1_3gpuE7ELNS1_3repE0EEENS1_36merge_oddeven_config_static_selectorELNS0_4arch9wavefront6targetE0EEEvSL_.has_dyn_sized_stack, 0
	.set _ZN7rocprim17ROCPRIM_400000_NS6detail17trampoline_kernelINS0_14default_configENS1_38merge_sort_block_merge_config_selectorIiNS0_10empty_typeEEEZZNS1_27merge_sort_block_merge_implIS3_N6thrust23THRUST_200600_302600_NS6detail15normal_iteratorINS9_10device_ptrIiEEEEPS5_jNS1_19radix_merge_compareILb0ELb1EiNS0_19identity_decomposerEEEEE10hipError_tT0_T1_T2_jT3_P12ihipStream_tbPNSt15iterator_traitsISK_E10value_typeEPNSQ_ISL_E10value_typeEPSM_NS1_7vsmem_tEENKUlT_SK_SL_SM_E_clISE_PiSF_SF_EESJ_SZ_SK_SL_SM_EUlSZ_E1_NS1_11comp_targetILNS1_3genE3ELNS1_11target_archE908ELNS1_3gpuE7ELNS1_3repE0EEENS1_36merge_oddeven_config_static_selectorELNS0_4arch9wavefront6targetE0EEEvSL_.has_recursion, 0
	.set _ZN7rocprim17ROCPRIM_400000_NS6detail17trampoline_kernelINS0_14default_configENS1_38merge_sort_block_merge_config_selectorIiNS0_10empty_typeEEEZZNS1_27merge_sort_block_merge_implIS3_N6thrust23THRUST_200600_302600_NS6detail15normal_iteratorINS9_10device_ptrIiEEEEPS5_jNS1_19radix_merge_compareILb0ELb1EiNS0_19identity_decomposerEEEEE10hipError_tT0_T1_T2_jT3_P12ihipStream_tbPNSt15iterator_traitsISK_E10value_typeEPNSQ_ISL_E10value_typeEPSM_NS1_7vsmem_tEENKUlT_SK_SL_SM_E_clISE_PiSF_SF_EESJ_SZ_SK_SL_SM_EUlSZ_E1_NS1_11comp_targetILNS1_3genE3ELNS1_11target_archE908ELNS1_3gpuE7ELNS1_3repE0EEENS1_36merge_oddeven_config_static_selectorELNS0_4arch9wavefront6targetE0EEEvSL_.has_indirect_call, 0
	.section	.AMDGPU.csdata,"",@progbits
; Kernel info:
; codeLenInByte = 0
; TotalNumSgprs: 0
; NumVgprs: 0
; ScratchSize: 0
; MemoryBound: 0
; FloatMode: 240
; IeeeMode: 1
; LDSByteSize: 0 bytes/workgroup (compile time only)
; SGPRBlocks: 0
; VGPRBlocks: 0
; NumSGPRsForWavesPerEU: 1
; NumVGPRsForWavesPerEU: 1
; Occupancy: 16
; WaveLimiterHint : 0
; COMPUTE_PGM_RSRC2:SCRATCH_EN: 0
; COMPUTE_PGM_RSRC2:USER_SGPR: 6
; COMPUTE_PGM_RSRC2:TRAP_HANDLER: 0
; COMPUTE_PGM_RSRC2:TGID_X_EN: 1
; COMPUTE_PGM_RSRC2:TGID_Y_EN: 0
; COMPUTE_PGM_RSRC2:TGID_Z_EN: 0
; COMPUTE_PGM_RSRC2:TIDIG_COMP_CNT: 0
	.section	.text._ZN7rocprim17ROCPRIM_400000_NS6detail17trampoline_kernelINS0_14default_configENS1_38merge_sort_block_merge_config_selectorIiNS0_10empty_typeEEEZZNS1_27merge_sort_block_merge_implIS3_N6thrust23THRUST_200600_302600_NS6detail15normal_iteratorINS9_10device_ptrIiEEEEPS5_jNS1_19radix_merge_compareILb0ELb1EiNS0_19identity_decomposerEEEEE10hipError_tT0_T1_T2_jT3_P12ihipStream_tbPNSt15iterator_traitsISK_E10value_typeEPNSQ_ISL_E10value_typeEPSM_NS1_7vsmem_tEENKUlT_SK_SL_SM_E_clISE_PiSF_SF_EESJ_SZ_SK_SL_SM_EUlSZ_E1_NS1_11comp_targetILNS1_3genE2ELNS1_11target_archE906ELNS1_3gpuE6ELNS1_3repE0EEENS1_36merge_oddeven_config_static_selectorELNS0_4arch9wavefront6targetE0EEEvSL_,"axG",@progbits,_ZN7rocprim17ROCPRIM_400000_NS6detail17trampoline_kernelINS0_14default_configENS1_38merge_sort_block_merge_config_selectorIiNS0_10empty_typeEEEZZNS1_27merge_sort_block_merge_implIS3_N6thrust23THRUST_200600_302600_NS6detail15normal_iteratorINS9_10device_ptrIiEEEEPS5_jNS1_19radix_merge_compareILb0ELb1EiNS0_19identity_decomposerEEEEE10hipError_tT0_T1_T2_jT3_P12ihipStream_tbPNSt15iterator_traitsISK_E10value_typeEPNSQ_ISL_E10value_typeEPSM_NS1_7vsmem_tEENKUlT_SK_SL_SM_E_clISE_PiSF_SF_EESJ_SZ_SK_SL_SM_EUlSZ_E1_NS1_11comp_targetILNS1_3genE2ELNS1_11target_archE906ELNS1_3gpuE6ELNS1_3repE0EEENS1_36merge_oddeven_config_static_selectorELNS0_4arch9wavefront6targetE0EEEvSL_,comdat
	.protected	_ZN7rocprim17ROCPRIM_400000_NS6detail17trampoline_kernelINS0_14default_configENS1_38merge_sort_block_merge_config_selectorIiNS0_10empty_typeEEEZZNS1_27merge_sort_block_merge_implIS3_N6thrust23THRUST_200600_302600_NS6detail15normal_iteratorINS9_10device_ptrIiEEEEPS5_jNS1_19radix_merge_compareILb0ELb1EiNS0_19identity_decomposerEEEEE10hipError_tT0_T1_T2_jT3_P12ihipStream_tbPNSt15iterator_traitsISK_E10value_typeEPNSQ_ISL_E10value_typeEPSM_NS1_7vsmem_tEENKUlT_SK_SL_SM_E_clISE_PiSF_SF_EESJ_SZ_SK_SL_SM_EUlSZ_E1_NS1_11comp_targetILNS1_3genE2ELNS1_11target_archE906ELNS1_3gpuE6ELNS1_3repE0EEENS1_36merge_oddeven_config_static_selectorELNS0_4arch9wavefront6targetE0EEEvSL_ ; -- Begin function _ZN7rocprim17ROCPRIM_400000_NS6detail17trampoline_kernelINS0_14default_configENS1_38merge_sort_block_merge_config_selectorIiNS0_10empty_typeEEEZZNS1_27merge_sort_block_merge_implIS3_N6thrust23THRUST_200600_302600_NS6detail15normal_iteratorINS9_10device_ptrIiEEEEPS5_jNS1_19radix_merge_compareILb0ELb1EiNS0_19identity_decomposerEEEEE10hipError_tT0_T1_T2_jT3_P12ihipStream_tbPNSt15iterator_traitsISK_E10value_typeEPNSQ_ISL_E10value_typeEPSM_NS1_7vsmem_tEENKUlT_SK_SL_SM_E_clISE_PiSF_SF_EESJ_SZ_SK_SL_SM_EUlSZ_E1_NS1_11comp_targetILNS1_3genE2ELNS1_11target_archE906ELNS1_3gpuE6ELNS1_3repE0EEENS1_36merge_oddeven_config_static_selectorELNS0_4arch9wavefront6targetE0EEEvSL_
	.globl	_ZN7rocprim17ROCPRIM_400000_NS6detail17trampoline_kernelINS0_14default_configENS1_38merge_sort_block_merge_config_selectorIiNS0_10empty_typeEEEZZNS1_27merge_sort_block_merge_implIS3_N6thrust23THRUST_200600_302600_NS6detail15normal_iteratorINS9_10device_ptrIiEEEEPS5_jNS1_19radix_merge_compareILb0ELb1EiNS0_19identity_decomposerEEEEE10hipError_tT0_T1_T2_jT3_P12ihipStream_tbPNSt15iterator_traitsISK_E10value_typeEPNSQ_ISL_E10value_typeEPSM_NS1_7vsmem_tEENKUlT_SK_SL_SM_E_clISE_PiSF_SF_EESJ_SZ_SK_SL_SM_EUlSZ_E1_NS1_11comp_targetILNS1_3genE2ELNS1_11target_archE906ELNS1_3gpuE6ELNS1_3repE0EEENS1_36merge_oddeven_config_static_selectorELNS0_4arch9wavefront6targetE0EEEvSL_
	.p2align	8
	.type	_ZN7rocprim17ROCPRIM_400000_NS6detail17trampoline_kernelINS0_14default_configENS1_38merge_sort_block_merge_config_selectorIiNS0_10empty_typeEEEZZNS1_27merge_sort_block_merge_implIS3_N6thrust23THRUST_200600_302600_NS6detail15normal_iteratorINS9_10device_ptrIiEEEEPS5_jNS1_19radix_merge_compareILb0ELb1EiNS0_19identity_decomposerEEEEE10hipError_tT0_T1_T2_jT3_P12ihipStream_tbPNSt15iterator_traitsISK_E10value_typeEPNSQ_ISL_E10value_typeEPSM_NS1_7vsmem_tEENKUlT_SK_SL_SM_E_clISE_PiSF_SF_EESJ_SZ_SK_SL_SM_EUlSZ_E1_NS1_11comp_targetILNS1_3genE2ELNS1_11target_archE906ELNS1_3gpuE6ELNS1_3repE0EEENS1_36merge_oddeven_config_static_selectorELNS0_4arch9wavefront6targetE0EEEvSL_,@function
_ZN7rocprim17ROCPRIM_400000_NS6detail17trampoline_kernelINS0_14default_configENS1_38merge_sort_block_merge_config_selectorIiNS0_10empty_typeEEEZZNS1_27merge_sort_block_merge_implIS3_N6thrust23THRUST_200600_302600_NS6detail15normal_iteratorINS9_10device_ptrIiEEEEPS5_jNS1_19radix_merge_compareILb0ELb1EiNS0_19identity_decomposerEEEEE10hipError_tT0_T1_T2_jT3_P12ihipStream_tbPNSt15iterator_traitsISK_E10value_typeEPNSQ_ISL_E10value_typeEPSM_NS1_7vsmem_tEENKUlT_SK_SL_SM_E_clISE_PiSF_SF_EESJ_SZ_SK_SL_SM_EUlSZ_E1_NS1_11comp_targetILNS1_3genE2ELNS1_11target_archE906ELNS1_3gpuE6ELNS1_3repE0EEENS1_36merge_oddeven_config_static_selectorELNS0_4arch9wavefront6targetE0EEEvSL_: ; @_ZN7rocprim17ROCPRIM_400000_NS6detail17trampoline_kernelINS0_14default_configENS1_38merge_sort_block_merge_config_selectorIiNS0_10empty_typeEEEZZNS1_27merge_sort_block_merge_implIS3_N6thrust23THRUST_200600_302600_NS6detail15normal_iteratorINS9_10device_ptrIiEEEEPS5_jNS1_19radix_merge_compareILb0ELb1EiNS0_19identity_decomposerEEEEE10hipError_tT0_T1_T2_jT3_P12ihipStream_tbPNSt15iterator_traitsISK_E10value_typeEPNSQ_ISL_E10value_typeEPSM_NS1_7vsmem_tEENKUlT_SK_SL_SM_E_clISE_PiSF_SF_EESJ_SZ_SK_SL_SM_EUlSZ_E1_NS1_11comp_targetILNS1_3genE2ELNS1_11target_archE906ELNS1_3gpuE6ELNS1_3repE0EEENS1_36merge_oddeven_config_static_selectorELNS0_4arch9wavefront6targetE0EEEvSL_
; %bb.0:
	.section	.rodata,"a",@progbits
	.p2align	6, 0x0
	.amdhsa_kernel _ZN7rocprim17ROCPRIM_400000_NS6detail17trampoline_kernelINS0_14default_configENS1_38merge_sort_block_merge_config_selectorIiNS0_10empty_typeEEEZZNS1_27merge_sort_block_merge_implIS3_N6thrust23THRUST_200600_302600_NS6detail15normal_iteratorINS9_10device_ptrIiEEEEPS5_jNS1_19radix_merge_compareILb0ELb1EiNS0_19identity_decomposerEEEEE10hipError_tT0_T1_T2_jT3_P12ihipStream_tbPNSt15iterator_traitsISK_E10value_typeEPNSQ_ISL_E10value_typeEPSM_NS1_7vsmem_tEENKUlT_SK_SL_SM_E_clISE_PiSF_SF_EESJ_SZ_SK_SL_SM_EUlSZ_E1_NS1_11comp_targetILNS1_3genE2ELNS1_11target_archE906ELNS1_3gpuE6ELNS1_3repE0EEENS1_36merge_oddeven_config_static_selectorELNS0_4arch9wavefront6targetE0EEEvSL_
		.amdhsa_group_segment_fixed_size 0
		.amdhsa_private_segment_fixed_size 0
		.amdhsa_kernarg_size 48
		.amdhsa_user_sgpr_count 6
		.amdhsa_user_sgpr_private_segment_buffer 1
		.amdhsa_user_sgpr_dispatch_ptr 0
		.amdhsa_user_sgpr_queue_ptr 0
		.amdhsa_user_sgpr_kernarg_segment_ptr 1
		.amdhsa_user_sgpr_dispatch_id 0
		.amdhsa_user_sgpr_flat_scratch_init 0
		.amdhsa_user_sgpr_private_segment_size 0
		.amdhsa_wavefront_size32 1
		.amdhsa_uses_dynamic_stack 0
		.amdhsa_system_sgpr_private_segment_wavefront_offset 0
		.amdhsa_system_sgpr_workgroup_id_x 1
		.amdhsa_system_sgpr_workgroup_id_y 0
		.amdhsa_system_sgpr_workgroup_id_z 0
		.amdhsa_system_sgpr_workgroup_info 0
		.amdhsa_system_vgpr_workitem_id 0
		.amdhsa_next_free_vgpr 1
		.amdhsa_next_free_sgpr 1
		.amdhsa_reserve_vcc 0
		.amdhsa_reserve_flat_scratch 0
		.amdhsa_float_round_mode_32 0
		.amdhsa_float_round_mode_16_64 0
		.amdhsa_float_denorm_mode_32 3
		.amdhsa_float_denorm_mode_16_64 3
		.amdhsa_dx10_clamp 1
		.amdhsa_ieee_mode 1
		.amdhsa_fp16_overflow 0
		.amdhsa_workgroup_processor_mode 1
		.amdhsa_memory_ordered 1
		.amdhsa_forward_progress 1
		.amdhsa_shared_vgpr_count 0
		.amdhsa_exception_fp_ieee_invalid_op 0
		.amdhsa_exception_fp_denorm_src 0
		.amdhsa_exception_fp_ieee_div_zero 0
		.amdhsa_exception_fp_ieee_overflow 0
		.amdhsa_exception_fp_ieee_underflow 0
		.amdhsa_exception_fp_ieee_inexact 0
		.amdhsa_exception_int_div_zero 0
	.end_amdhsa_kernel
	.section	.text._ZN7rocprim17ROCPRIM_400000_NS6detail17trampoline_kernelINS0_14default_configENS1_38merge_sort_block_merge_config_selectorIiNS0_10empty_typeEEEZZNS1_27merge_sort_block_merge_implIS3_N6thrust23THRUST_200600_302600_NS6detail15normal_iteratorINS9_10device_ptrIiEEEEPS5_jNS1_19radix_merge_compareILb0ELb1EiNS0_19identity_decomposerEEEEE10hipError_tT0_T1_T2_jT3_P12ihipStream_tbPNSt15iterator_traitsISK_E10value_typeEPNSQ_ISL_E10value_typeEPSM_NS1_7vsmem_tEENKUlT_SK_SL_SM_E_clISE_PiSF_SF_EESJ_SZ_SK_SL_SM_EUlSZ_E1_NS1_11comp_targetILNS1_3genE2ELNS1_11target_archE906ELNS1_3gpuE6ELNS1_3repE0EEENS1_36merge_oddeven_config_static_selectorELNS0_4arch9wavefront6targetE0EEEvSL_,"axG",@progbits,_ZN7rocprim17ROCPRIM_400000_NS6detail17trampoline_kernelINS0_14default_configENS1_38merge_sort_block_merge_config_selectorIiNS0_10empty_typeEEEZZNS1_27merge_sort_block_merge_implIS3_N6thrust23THRUST_200600_302600_NS6detail15normal_iteratorINS9_10device_ptrIiEEEEPS5_jNS1_19radix_merge_compareILb0ELb1EiNS0_19identity_decomposerEEEEE10hipError_tT0_T1_T2_jT3_P12ihipStream_tbPNSt15iterator_traitsISK_E10value_typeEPNSQ_ISL_E10value_typeEPSM_NS1_7vsmem_tEENKUlT_SK_SL_SM_E_clISE_PiSF_SF_EESJ_SZ_SK_SL_SM_EUlSZ_E1_NS1_11comp_targetILNS1_3genE2ELNS1_11target_archE906ELNS1_3gpuE6ELNS1_3repE0EEENS1_36merge_oddeven_config_static_selectorELNS0_4arch9wavefront6targetE0EEEvSL_,comdat
.Lfunc_end129:
	.size	_ZN7rocprim17ROCPRIM_400000_NS6detail17trampoline_kernelINS0_14default_configENS1_38merge_sort_block_merge_config_selectorIiNS0_10empty_typeEEEZZNS1_27merge_sort_block_merge_implIS3_N6thrust23THRUST_200600_302600_NS6detail15normal_iteratorINS9_10device_ptrIiEEEEPS5_jNS1_19radix_merge_compareILb0ELb1EiNS0_19identity_decomposerEEEEE10hipError_tT0_T1_T2_jT3_P12ihipStream_tbPNSt15iterator_traitsISK_E10value_typeEPNSQ_ISL_E10value_typeEPSM_NS1_7vsmem_tEENKUlT_SK_SL_SM_E_clISE_PiSF_SF_EESJ_SZ_SK_SL_SM_EUlSZ_E1_NS1_11comp_targetILNS1_3genE2ELNS1_11target_archE906ELNS1_3gpuE6ELNS1_3repE0EEENS1_36merge_oddeven_config_static_selectorELNS0_4arch9wavefront6targetE0EEEvSL_, .Lfunc_end129-_ZN7rocprim17ROCPRIM_400000_NS6detail17trampoline_kernelINS0_14default_configENS1_38merge_sort_block_merge_config_selectorIiNS0_10empty_typeEEEZZNS1_27merge_sort_block_merge_implIS3_N6thrust23THRUST_200600_302600_NS6detail15normal_iteratorINS9_10device_ptrIiEEEEPS5_jNS1_19radix_merge_compareILb0ELb1EiNS0_19identity_decomposerEEEEE10hipError_tT0_T1_T2_jT3_P12ihipStream_tbPNSt15iterator_traitsISK_E10value_typeEPNSQ_ISL_E10value_typeEPSM_NS1_7vsmem_tEENKUlT_SK_SL_SM_E_clISE_PiSF_SF_EESJ_SZ_SK_SL_SM_EUlSZ_E1_NS1_11comp_targetILNS1_3genE2ELNS1_11target_archE906ELNS1_3gpuE6ELNS1_3repE0EEENS1_36merge_oddeven_config_static_selectorELNS0_4arch9wavefront6targetE0EEEvSL_
                                        ; -- End function
	.set _ZN7rocprim17ROCPRIM_400000_NS6detail17trampoline_kernelINS0_14default_configENS1_38merge_sort_block_merge_config_selectorIiNS0_10empty_typeEEEZZNS1_27merge_sort_block_merge_implIS3_N6thrust23THRUST_200600_302600_NS6detail15normal_iteratorINS9_10device_ptrIiEEEEPS5_jNS1_19radix_merge_compareILb0ELb1EiNS0_19identity_decomposerEEEEE10hipError_tT0_T1_T2_jT3_P12ihipStream_tbPNSt15iterator_traitsISK_E10value_typeEPNSQ_ISL_E10value_typeEPSM_NS1_7vsmem_tEENKUlT_SK_SL_SM_E_clISE_PiSF_SF_EESJ_SZ_SK_SL_SM_EUlSZ_E1_NS1_11comp_targetILNS1_3genE2ELNS1_11target_archE906ELNS1_3gpuE6ELNS1_3repE0EEENS1_36merge_oddeven_config_static_selectorELNS0_4arch9wavefront6targetE0EEEvSL_.num_vgpr, 0
	.set _ZN7rocprim17ROCPRIM_400000_NS6detail17trampoline_kernelINS0_14default_configENS1_38merge_sort_block_merge_config_selectorIiNS0_10empty_typeEEEZZNS1_27merge_sort_block_merge_implIS3_N6thrust23THRUST_200600_302600_NS6detail15normal_iteratorINS9_10device_ptrIiEEEEPS5_jNS1_19radix_merge_compareILb0ELb1EiNS0_19identity_decomposerEEEEE10hipError_tT0_T1_T2_jT3_P12ihipStream_tbPNSt15iterator_traitsISK_E10value_typeEPNSQ_ISL_E10value_typeEPSM_NS1_7vsmem_tEENKUlT_SK_SL_SM_E_clISE_PiSF_SF_EESJ_SZ_SK_SL_SM_EUlSZ_E1_NS1_11comp_targetILNS1_3genE2ELNS1_11target_archE906ELNS1_3gpuE6ELNS1_3repE0EEENS1_36merge_oddeven_config_static_selectorELNS0_4arch9wavefront6targetE0EEEvSL_.num_agpr, 0
	.set _ZN7rocprim17ROCPRIM_400000_NS6detail17trampoline_kernelINS0_14default_configENS1_38merge_sort_block_merge_config_selectorIiNS0_10empty_typeEEEZZNS1_27merge_sort_block_merge_implIS3_N6thrust23THRUST_200600_302600_NS6detail15normal_iteratorINS9_10device_ptrIiEEEEPS5_jNS1_19radix_merge_compareILb0ELb1EiNS0_19identity_decomposerEEEEE10hipError_tT0_T1_T2_jT3_P12ihipStream_tbPNSt15iterator_traitsISK_E10value_typeEPNSQ_ISL_E10value_typeEPSM_NS1_7vsmem_tEENKUlT_SK_SL_SM_E_clISE_PiSF_SF_EESJ_SZ_SK_SL_SM_EUlSZ_E1_NS1_11comp_targetILNS1_3genE2ELNS1_11target_archE906ELNS1_3gpuE6ELNS1_3repE0EEENS1_36merge_oddeven_config_static_selectorELNS0_4arch9wavefront6targetE0EEEvSL_.numbered_sgpr, 0
	.set _ZN7rocprim17ROCPRIM_400000_NS6detail17trampoline_kernelINS0_14default_configENS1_38merge_sort_block_merge_config_selectorIiNS0_10empty_typeEEEZZNS1_27merge_sort_block_merge_implIS3_N6thrust23THRUST_200600_302600_NS6detail15normal_iteratorINS9_10device_ptrIiEEEEPS5_jNS1_19radix_merge_compareILb0ELb1EiNS0_19identity_decomposerEEEEE10hipError_tT0_T1_T2_jT3_P12ihipStream_tbPNSt15iterator_traitsISK_E10value_typeEPNSQ_ISL_E10value_typeEPSM_NS1_7vsmem_tEENKUlT_SK_SL_SM_E_clISE_PiSF_SF_EESJ_SZ_SK_SL_SM_EUlSZ_E1_NS1_11comp_targetILNS1_3genE2ELNS1_11target_archE906ELNS1_3gpuE6ELNS1_3repE0EEENS1_36merge_oddeven_config_static_selectorELNS0_4arch9wavefront6targetE0EEEvSL_.num_named_barrier, 0
	.set _ZN7rocprim17ROCPRIM_400000_NS6detail17trampoline_kernelINS0_14default_configENS1_38merge_sort_block_merge_config_selectorIiNS0_10empty_typeEEEZZNS1_27merge_sort_block_merge_implIS3_N6thrust23THRUST_200600_302600_NS6detail15normal_iteratorINS9_10device_ptrIiEEEEPS5_jNS1_19radix_merge_compareILb0ELb1EiNS0_19identity_decomposerEEEEE10hipError_tT0_T1_T2_jT3_P12ihipStream_tbPNSt15iterator_traitsISK_E10value_typeEPNSQ_ISL_E10value_typeEPSM_NS1_7vsmem_tEENKUlT_SK_SL_SM_E_clISE_PiSF_SF_EESJ_SZ_SK_SL_SM_EUlSZ_E1_NS1_11comp_targetILNS1_3genE2ELNS1_11target_archE906ELNS1_3gpuE6ELNS1_3repE0EEENS1_36merge_oddeven_config_static_selectorELNS0_4arch9wavefront6targetE0EEEvSL_.private_seg_size, 0
	.set _ZN7rocprim17ROCPRIM_400000_NS6detail17trampoline_kernelINS0_14default_configENS1_38merge_sort_block_merge_config_selectorIiNS0_10empty_typeEEEZZNS1_27merge_sort_block_merge_implIS3_N6thrust23THRUST_200600_302600_NS6detail15normal_iteratorINS9_10device_ptrIiEEEEPS5_jNS1_19radix_merge_compareILb0ELb1EiNS0_19identity_decomposerEEEEE10hipError_tT0_T1_T2_jT3_P12ihipStream_tbPNSt15iterator_traitsISK_E10value_typeEPNSQ_ISL_E10value_typeEPSM_NS1_7vsmem_tEENKUlT_SK_SL_SM_E_clISE_PiSF_SF_EESJ_SZ_SK_SL_SM_EUlSZ_E1_NS1_11comp_targetILNS1_3genE2ELNS1_11target_archE906ELNS1_3gpuE6ELNS1_3repE0EEENS1_36merge_oddeven_config_static_selectorELNS0_4arch9wavefront6targetE0EEEvSL_.uses_vcc, 0
	.set _ZN7rocprim17ROCPRIM_400000_NS6detail17trampoline_kernelINS0_14default_configENS1_38merge_sort_block_merge_config_selectorIiNS0_10empty_typeEEEZZNS1_27merge_sort_block_merge_implIS3_N6thrust23THRUST_200600_302600_NS6detail15normal_iteratorINS9_10device_ptrIiEEEEPS5_jNS1_19radix_merge_compareILb0ELb1EiNS0_19identity_decomposerEEEEE10hipError_tT0_T1_T2_jT3_P12ihipStream_tbPNSt15iterator_traitsISK_E10value_typeEPNSQ_ISL_E10value_typeEPSM_NS1_7vsmem_tEENKUlT_SK_SL_SM_E_clISE_PiSF_SF_EESJ_SZ_SK_SL_SM_EUlSZ_E1_NS1_11comp_targetILNS1_3genE2ELNS1_11target_archE906ELNS1_3gpuE6ELNS1_3repE0EEENS1_36merge_oddeven_config_static_selectorELNS0_4arch9wavefront6targetE0EEEvSL_.uses_flat_scratch, 0
	.set _ZN7rocprim17ROCPRIM_400000_NS6detail17trampoline_kernelINS0_14default_configENS1_38merge_sort_block_merge_config_selectorIiNS0_10empty_typeEEEZZNS1_27merge_sort_block_merge_implIS3_N6thrust23THRUST_200600_302600_NS6detail15normal_iteratorINS9_10device_ptrIiEEEEPS5_jNS1_19radix_merge_compareILb0ELb1EiNS0_19identity_decomposerEEEEE10hipError_tT0_T1_T2_jT3_P12ihipStream_tbPNSt15iterator_traitsISK_E10value_typeEPNSQ_ISL_E10value_typeEPSM_NS1_7vsmem_tEENKUlT_SK_SL_SM_E_clISE_PiSF_SF_EESJ_SZ_SK_SL_SM_EUlSZ_E1_NS1_11comp_targetILNS1_3genE2ELNS1_11target_archE906ELNS1_3gpuE6ELNS1_3repE0EEENS1_36merge_oddeven_config_static_selectorELNS0_4arch9wavefront6targetE0EEEvSL_.has_dyn_sized_stack, 0
	.set _ZN7rocprim17ROCPRIM_400000_NS6detail17trampoline_kernelINS0_14default_configENS1_38merge_sort_block_merge_config_selectorIiNS0_10empty_typeEEEZZNS1_27merge_sort_block_merge_implIS3_N6thrust23THRUST_200600_302600_NS6detail15normal_iteratorINS9_10device_ptrIiEEEEPS5_jNS1_19radix_merge_compareILb0ELb1EiNS0_19identity_decomposerEEEEE10hipError_tT0_T1_T2_jT3_P12ihipStream_tbPNSt15iterator_traitsISK_E10value_typeEPNSQ_ISL_E10value_typeEPSM_NS1_7vsmem_tEENKUlT_SK_SL_SM_E_clISE_PiSF_SF_EESJ_SZ_SK_SL_SM_EUlSZ_E1_NS1_11comp_targetILNS1_3genE2ELNS1_11target_archE906ELNS1_3gpuE6ELNS1_3repE0EEENS1_36merge_oddeven_config_static_selectorELNS0_4arch9wavefront6targetE0EEEvSL_.has_recursion, 0
	.set _ZN7rocprim17ROCPRIM_400000_NS6detail17trampoline_kernelINS0_14default_configENS1_38merge_sort_block_merge_config_selectorIiNS0_10empty_typeEEEZZNS1_27merge_sort_block_merge_implIS3_N6thrust23THRUST_200600_302600_NS6detail15normal_iteratorINS9_10device_ptrIiEEEEPS5_jNS1_19radix_merge_compareILb0ELb1EiNS0_19identity_decomposerEEEEE10hipError_tT0_T1_T2_jT3_P12ihipStream_tbPNSt15iterator_traitsISK_E10value_typeEPNSQ_ISL_E10value_typeEPSM_NS1_7vsmem_tEENKUlT_SK_SL_SM_E_clISE_PiSF_SF_EESJ_SZ_SK_SL_SM_EUlSZ_E1_NS1_11comp_targetILNS1_3genE2ELNS1_11target_archE906ELNS1_3gpuE6ELNS1_3repE0EEENS1_36merge_oddeven_config_static_selectorELNS0_4arch9wavefront6targetE0EEEvSL_.has_indirect_call, 0
	.section	.AMDGPU.csdata,"",@progbits
; Kernel info:
; codeLenInByte = 0
; TotalNumSgprs: 0
; NumVgprs: 0
; ScratchSize: 0
; MemoryBound: 0
; FloatMode: 240
; IeeeMode: 1
; LDSByteSize: 0 bytes/workgroup (compile time only)
; SGPRBlocks: 0
; VGPRBlocks: 0
; NumSGPRsForWavesPerEU: 1
; NumVGPRsForWavesPerEU: 1
; Occupancy: 16
; WaveLimiterHint : 0
; COMPUTE_PGM_RSRC2:SCRATCH_EN: 0
; COMPUTE_PGM_RSRC2:USER_SGPR: 6
; COMPUTE_PGM_RSRC2:TRAP_HANDLER: 0
; COMPUTE_PGM_RSRC2:TGID_X_EN: 1
; COMPUTE_PGM_RSRC2:TGID_Y_EN: 0
; COMPUTE_PGM_RSRC2:TGID_Z_EN: 0
; COMPUTE_PGM_RSRC2:TIDIG_COMP_CNT: 0
	.section	.text._ZN7rocprim17ROCPRIM_400000_NS6detail17trampoline_kernelINS0_14default_configENS1_38merge_sort_block_merge_config_selectorIiNS0_10empty_typeEEEZZNS1_27merge_sort_block_merge_implIS3_N6thrust23THRUST_200600_302600_NS6detail15normal_iteratorINS9_10device_ptrIiEEEEPS5_jNS1_19radix_merge_compareILb0ELb1EiNS0_19identity_decomposerEEEEE10hipError_tT0_T1_T2_jT3_P12ihipStream_tbPNSt15iterator_traitsISK_E10value_typeEPNSQ_ISL_E10value_typeEPSM_NS1_7vsmem_tEENKUlT_SK_SL_SM_E_clISE_PiSF_SF_EESJ_SZ_SK_SL_SM_EUlSZ_E1_NS1_11comp_targetILNS1_3genE9ELNS1_11target_archE1100ELNS1_3gpuE3ELNS1_3repE0EEENS1_36merge_oddeven_config_static_selectorELNS0_4arch9wavefront6targetE0EEEvSL_,"axG",@progbits,_ZN7rocprim17ROCPRIM_400000_NS6detail17trampoline_kernelINS0_14default_configENS1_38merge_sort_block_merge_config_selectorIiNS0_10empty_typeEEEZZNS1_27merge_sort_block_merge_implIS3_N6thrust23THRUST_200600_302600_NS6detail15normal_iteratorINS9_10device_ptrIiEEEEPS5_jNS1_19radix_merge_compareILb0ELb1EiNS0_19identity_decomposerEEEEE10hipError_tT0_T1_T2_jT3_P12ihipStream_tbPNSt15iterator_traitsISK_E10value_typeEPNSQ_ISL_E10value_typeEPSM_NS1_7vsmem_tEENKUlT_SK_SL_SM_E_clISE_PiSF_SF_EESJ_SZ_SK_SL_SM_EUlSZ_E1_NS1_11comp_targetILNS1_3genE9ELNS1_11target_archE1100ELNS1_3gpuE3ELNS1_3repE0EEENS1_36merge_oddeven_config_static_selectorELNS0_4arch9wavefront6targetE0EEEvSL_,comdat
	.protected	_ZN7rocprim17ROCPRIM_400000_NS6detail17trampoline_kernelINS0_14default_configENS1_38merge_sort_block_merge_config_selectorIiNS0_10empty_typeEEEZZNS1_27merge_sort_block_merge_implIS3_N6thrust23THRUST_200600_302600_NS6detail15normal_iteratorINS9_10device_ptrIiEEEEPS5_jNS1_19radix_merge_compareILb0ELb1EiNS0_19identity_decomposerEEEEE10hipError_tT0_T1_T2_jT3_P12ihipStream_tbPNSt15iterator_traitsISK_E10value_typeEPNSQ_ISL_E10value_typeEPSM_NS1_7vsmem_tEENKUlT_SK_SL_SM_E_clISE_PiSF_SF_EESJ_SZ_SK_SL_SM_EUlSZ_E1_NS1_11comp_targetILNS1_3genE9ELNS1_11target_archE1100ELNS1_3gpuE3ELNS1_3repE0EEENS1_36merge_oddeven_config_static_selectorELNS0_4arch9wavefront6targetE0EEEvSL_ ; -- Begin function _ZN7rocprim17ROCPRIM_400000_NS6detail17trampoline_kernelINS0_14default_configENS1_38merge_sort_block_merge_config_selectorIiNS0_10empty_typeEEEZZNS1_27merge_sort_block_merge_implIS3_N6thrust23THRUST_200600_302600_NS6detail15normal_iteratorINS9_10device_ptrIiEEEEPS5_jNS1_19radix_merge_compareILb0ELb1EiNS0_19identity_decomposerEEEEE10hipError_tT0_T1_T2_jT3_P12ihipStream_tbPNSt15iterator_traitsISK_E10value_typeEPNSQ_ISL_E10value_typeEPSM_NS1_7vsmem_tEENKUlT_SK_SL_SM_E_clISE_PiSF_SF_EESJ_SZ_SK_SL_SM_EUlSZ_E1_NS1_11comp_targetILNS1_3genE9ELNS1_11target_archE1100ELNS1_3gpuE3ELNS1_3repE0EEENS1_36merge_oddeven_config_static_selectorELNS0_4arch9wavefront6targetE0EEEvSL_
	.globl	_ZN7rocprim17ROCPRIM_400000_NS6detail17trampoline_kernelINS0_14default_configENS1_38merge_sort_block_merge_config_selectorIiNS0_10empty_typeEEEZZNS1_27merge_sort_block_merge_implIS3_N6thrust23THRUST_200600_302600_NS6detail15normal_iteratorINS9_10device_ptrIiEEEEPS5_jNS1_19radix_merge_compareILb0ELb1EiNS0_19identity_decomposerEEEEE10hipError_tT0_T1_T2_jT3_P12ihipStream_tbPNSt15iterator_traitsISK_E10value_typeEPNSQ_ISL_E10value_typeEPSM_NS1_7vsmem_tEENKUlT_SK_SL_SM_E_clISE_PiSF_SF_EESJ_SZ_SK_SL_SM_EUlSZ_E1_NS1_11comp_targetILNS1_3genE9ELNS1_11target_archE1100ELNS1_3gpuE3ELNS1_3repE0EEENS1_36merge_oddeven_config_static_selectorELNS0_4arch9wavefront6targetE0EEEvSL_
	.p2align	8
	.type	_ZN7rocprim17ROCPRIM_400000_NS6detail17trampoline_kernelINS0_14default_configENS1_38merge_sort_block_merge_config_selectorIiNS0_10empty_typeEEEZZNS1_27merge_sort_block_merge_implIS3_N6thrust23THRUST_200600_302600_NS6detail15normal_iteratorINS9_10device_ptrIiEEEEPS5_jNS1_19radix_merge_compareILb0ELb1EiNS0_19identity_decomposerEEEEE10hipError_tT0_T1_T2_jT3_P12ihipStream_tbPNSt15iterator_traitsISK_E10value_typeEPNSQ_ISL_E10value_typeEPSM_NS1_7vsmem_tEENKUlT_SK_SL_SM_E_clISE_PiSF_SF_EESJ_SZ_SK_SL_SM_EUlSZ_E1_NS1_11comp_targetILNS1_3genE9ELNS1_11target_archE1100ELNS1_3gpuE3ELNS1_3repE0EEENS1_36merge_oddeven_config_static_selectorELNS0_4arch9wavefront6targetE0EEEvSL_,@function
_ZN7rocprim17ROCPRIM_400000_NS6detail17trampoline_kernelINS0_14default_configENS1_38merge_sort_block_merge_config_selectorIiNS0_10empty_typeEEEZZNS1_27merge_sort_block_merge_implIS3_N6thrust23THRUST_200600_302600_NS6detail15normal_iteratorINS9_10device_ptrIiEEEEPS5_jNS1_19radix_merge_compareILb0ELb1EiNS0_19identity_decomposerEEEEE10hipError_tT0_T1_T2_jT3_P12ihipStream_tbPNSt15iterator_traitsISK_E10value_typeEPNSQ_ISL_E10value_typeEPSM_NS1_7vsmem_tEENKUlT_SK_SL_SM_E_clISE_PiSF_SF_EESJ_SZ_SK_SL_SM_EUlSZ_E1_NS1_11comp_targetILNS1_3genE9ELNS1_11target_archE1100ELNS1_3gpuE3ELNS1_3repE0EEENS1_36merge_oddeven_config_static_selectorELNS0_4arch9wavefront6targetE0EEEvSL_: ; @_ZN7rocprim17ROCPRIM_400000_NS6detail17trampoline_kernelINS0_14default_configENS1_38merge_sort_block_merge_config_selectorIiNS0_10empty_typeEEEZZNS1_27merge_sort_block_merge_implIS3_N6thrust23THRUST_200600_302600_NS6detail15normal_iteratorINS9_10device_ptrIiEEEEPS5_jNS1_19radix_merge_compareILb0ELb1EiNS0_19identity_decomposerEEEEE10hipError_tT0_T1_T2_jT3_P12ihipStream_tbPNSt15iterator_traitsISK_E10value_typeEPNSQ_ISL_E10value_typeEPSM_NS1_7vsmem_tEENKUlT_SK_SL_SM_E_clISE_PiSF_SF_EESJ_SZ_SK_SL_SM_EUlSZ_E1_NS1_11comp_targetILNS1_3genE9ELNS1_11target_archE1100ELNS1_3gpuE3ELNS1_3repE0EEENS1_36merge_oddeven_config_static_selectorELNS0_4arch9wavefront6targetE0EEEvSL_
; %bb.0:
	.section	.rodata,"a",@progbits
	.p2align	6, 0x0
	.amdhsa_kernel _ZN7rocprim17ROCPRIM_400000_NS6detail17trampoline_kernelINS0_14default_configENS1_38merge_sort_block_merge_config_selectorIiNS0_10empty_typeEEEZZNS1_27merge_sort_block_merge_implIS3_N6thrust23THRUST_200600_302600_NS6detail15normal_iteratorINS9_10device_ptrIiEEEEPS5_jNS1_19radix_merge_compareILb0ELb1EiNS0_19identity_decomposerEEEEE10hipError_tT0_T1_T2_jT3_P12ihipStream_tbPNSt15iterator_traitsISK_E10value_typeEPNSQ_ISL_E10value_typeEPSM_NS1_7vsmem_tEENKUlT_SK_SL_SM_E_clISE_PiSF_SF_EESJ_SZ_SK_SL_SM_EUlSZ_E1_NS1_11comp_targetILNS1_3genE9ELNS1_11target_archE1100ELNS1_3gpuE3ELNS1_3repE0EEENS1_36merge_oddeven_config_static_selectorELNS0_4arch9wavefront6targetE0EEEvSL_
		.amdhsa_group_segment_fixed_size 0
		.amdhsa_private_segment_fixed_size 0
		.amdhsa_kernarg_size 48
		.amdhsa_user_sgpr_count 6
		.amdhsa_user_sgpr_private_segment_buffer 1
		.amdhsa_user_sgpr_dispatch_ptr 0
		.amdhsa_user_sgpr_queue_ptr 0
		.amdhsa_user_sgpr_kernarg_segment_ptr 1
		.amdhsa_user_sgpr_dispatch_id 0
		.amdhsa_user_sgpr_flat_scratch_init 0
		.amdhsa_user_sgpr_private_segment_size 0
		.amdhsa_wavefront_size32 1
		.amdhsa_uses_dynamic_stack 0
		.amdhsa_system_sgpr_private_segment_wavefront_offset 0
		.amdhsa_system_sgpr_workgroup_id_x 1
		.amdhsa_system_sgpr_workgroup_id_y 0
		.amdhsa_system_sgpr_workgroup_id_z 0
		.amdhsa_system_sgpr_workgroup_info 0
		.amdhsa_system_vgpr_workitem_id 0
		.amdhsa_next_free_vgpr 1
		.amdhsa_next_free_sgpr 1
		.amdhsa_reserve_vcc 0
		.amdhsa_reserve_flat_scratch 0
		.amdhsa_float_round_mode_32 0
		.amdhsa_float_round_mode_16_64 0
		.amdhsa_float_denorm_mode_32 3
		.amdhsa_float_denorm_mode_16_64 3
		.amdhsa_dx10_clamp 1
		.amdhsa_ieee_mode 1
		.amdhsa_fp16_overflow 0
		.amdhsa_workgroup_processor_mode 1
		.amdhsa_memory_ordered 1
		.amdhsa_forward_progress 1
		.amdhsa_shared_vgpr_count 0
		.amdhsa_exception_fp_ieee_invalid_op 0
		.amdhsa_exception_fp_denorm_src 0
		.amdhsa_exception_fp_ieee_div_zero 0
		.amdhsa_exception_fp_ieee_overflow 0
		.amdhsa_exception_fp_ieee_underflow 0
		.amdhsa_exception_fp_ieee_inexact 0
		.amdhsa_exception_int_div_zero 0
	.end_amdhsa_kernel
	.section	.text._ZN7rocprim17ROCPRIM_400000_NS6detail17trampoline_kernelINS0_14default_configENS1_38merge_sort_block_merge_config_selectorIiNS0_10empty_typeEEEZZNS1_27merge_sort_block_merge_implIS3_N6thrust23THRUST_200600_302600_NS6detail15normal_iteratorINS9_10device_ptrIiEEEEPS5_jNS1_19radix_merge_compareILb0ELb1EiNS0_19identity_decomposerEEEEE10hipError_tT0_T1_T2_jT3_P12ihipStream_tbPNSt15iterator_traitsISK_E10value_typeEPNSQ_ISL_E10value_typeEPSM_NS1_7vsmem_tEENKUlT_SK_SL_SM_E_clISE_PiSF_SF_EESJ_SZ_SK_SL_SM_EUlSZ_E1_NS1_11comp_targetILNS1_3genE9ELNS1_11target_archE1100ELNS1_3gpuE3ELNS1_3repE0EEENS1_36merge_oddeven_config_static_selectorELNS0_4arch9wavefront6targetE0EEEvSL_,"axG",@progbits,_ZN7rocprim17ROCPRIM_400000_NS6detail17trampoline_kernelINS0_14default_configENS1_38merge_sort_block_merge_config_selectorIiNS0_10empty_typeEEEZZNS1_27merge_sort_block_merge_implIS3_N6thrust23THRUST_200600_302600_NS6detail15normal_iteratorINS9_10device_ptrIiEEEEPS5_jNS1_19radix_merge_compareILb0ELb1EiNS0_19identity_decomposerEEEEE10hipError_tT0_T1_T2_jT3_P12ihipStream_tbPNSt15iterator_traitsISK_E10value_typeEPNSQ_ISL_E10value_typeEPSM_NS1_7vsmem_tEENKUlT_SK_SL_SM_E_clISE_PiSF_SF_EESJ_SZ_SK_SL_SM_EUlSZ_E1_NS1_11comp_targetILNS1_3genE9ELNS1_11target_archE1100ELNS1_3gpuE3ELNS1_3repE0EEENS1_36merge_oddeven_config_static_selectorELNS0_4arch9wavefront6targetE0EEEvSL_,comdat
.Lfunc_end130:
	.size	_ZN7rocprim17ROCPRIM_400000_NS6detail17trampoline_kernelINS0_14default_configENS1_38merge_sort_block_merge_config_selectorIiNS0_10empty_typeEEEZZNS1_27merge_sort_block_merge_implIS3_N6thrust23THRUST_200600_302600_NS6detail15normal_iteratorINS9_10device_ptrIiEEEEPS5_jNS1_19radix_merge_compareILb0ELb1EiNS0_19identity_decomposerEEEEE10hipError_tT0_T1_T2_jT3_P12ihipStream_tbPNSt15iterator_traitsISK_E10value_typeEPNSQ_ISL_E10value_typeEPSM_NS1_7vsmem_tEENKUlT_SK_SL_SM_E_clISE_PiSF_SF_EESJ_SZ_SK_SL_SM_EUlSZ_E1_NS1_11comp_targetILNS1_3genE9ELNS1_11target_archE1100ELNS1_3gpuE3ELNS1_3repE0EEENS1_36merge_oddeven_config_static_selectorELNS0_4arch9wavefront6targetE0EEEvSL_, .Lfunc_end130-_ZN7rocprim17ROCPRIM_400000_NS6detail17trampoline_kernelINS0_14default_configENS1_38merge_sort_block_merge_config_selectorIiNS0_10empty_typeEEEZZNS1_27merge_sort_block_merge_implIS3_N6thrust23THRUST_200600_302600_NS6detail15normal_iteratorINS9_10device_ptrIiEEEEPS5_jNS1_19radix_merge_compareILb0ELb1EiNS0_19identity_decomposerEEEEE10hipError_tT0_T1_T2_jT3_P12ihipStream_tbPNSt15iterator_traitsISK_E10value_typeEPNSQ_ISL_E10value_typeEPSM_NS1_7vsmem_tEENKUlT_SK_SL_SM_E_clISE_PiSF_SF_EESJ_SZ_SK_SL_SM_EUlSZ_E1_NS1_11comp_targetILNS1_3genE9ELNS1_11target_archE1100ELNS1_3gpuE3ELNS1_3repE0EEENS1_36merge_oddeven_config_static_selectorELNS0_4arch9wavefront6targetE0EEEvSL_
                                        ; -- End function
	.set _ZN7rocprim17ROCPRIM_400000_NS6detail17trampoline_kernelINS0_14default_configENS1_38merge_sort_block_merge_config_selectorIiNS0_10empty_typeEEEZZNS1_27merge_sort_block_merge_implIS3_N6thrust23THRUST_200600_302600_NS6detail15normal_iteratorINS9_10device_ptrIiEEEEPS5_jNS1_19radix_merge_compareILb0ELb1EiNS0_19identity_decomposerEEEEE10hipError_tT0_T1_T2_jT3_P12ihipStream_tbPNSt15iterator_traitsISK_E10value_typeEPNSQ_ISL_E10value_typeEPSM_NS1_7vsmem_tEENKUlT_SK_SL_SM_E_clISE_PiSF_SF_EESJ_SZ_SK_SL_SM_EUlSZ_E1_NS1_11comp_targetILNS1_3genE9ELNS1_11target_archE1100ELNS1_3gpuE3ELNS1_3repE0EEENS1_36merge_oddeven_config_static_selectorELNS0_4arch9wavefront6targetE0EEEvSL_.num_vgpr, 0
	.set _ZN7rocprim17ROCPRIM_400000_NS6detail17trampoline_kernelINS0_14default_configENS1_38merge_sort_block_merge_config_selectorIiNS0_10empty_typeEEEZZNS1_27merge_sort_block_merge_implIS3_N6thrust23THRUST_200600_302600_NS6detail15normal_iteratorINS9_10device_ptrIiEEEEPS5_jNS1_19radix_merge_compareILb0ELb1EiNS0_19identity_decomposerEEEEE10hipError_tT0_T1_T2_jT3_P12ihipStream_tbPNSt15iterator_traitsISK_E10value_typeEPNSQ_ISL_E10value_typeEPSM_NS1_7vsmem_tEENKUlT_SK_SL_SM_E_clISE_PiSF_SF_EESJ_SZ_SK_SL_SM_EUlSZ_E1_NS1_11comp_targetILNS1_3genE9ELNS1_11target_archE1100ELNS1_3gpuE3ELNS1_3repE0EEENS1_36merge_oddeven_config_static_selectorELNS0_4arch9wavefront6targetE0EEEvSL_.num_agpr, 0
	.set _ZN7rocprim17ROCPRIM_400000_NS6detail17trampoline_kernelINS0_14default_configENS1_38merge_sort_block_merge_config_selectorIiNS0_10empty_typeEEEZZNS1_27merge_sort_block_merge_implIS3_N6thrust23THRUST_200600_302600_NS6detail15normal_iteratorINS9_10device_ptrIiEEEEPS5_jNS1_19radix_merge_compareILb0ELb1EiNS0_19identity_decomposerEEEEE10hipError_tT0_T1_T2_jT3_P12ihipStream_tbPNSt15iterator_traitsISK_E10value_typeEPNSQ_ISL_E10value_typeEPSM_NS1_7vsmem_tEENKUlT_SK_SL_SM_E_clISE_PiSF_SF_EESJ_SZ_SK_SL_SM_EUlSZ_E1_NS1_11comp_targetILNS1_3genE9ELNS1_11target_archE1100ELNS1_3gpuE3ELNS1_3repE0EEENS1_36merge_oddeven_config_static_selectorELNS0_4arch9wavefront6targetE0EEEvSL_.numbered_sgpr, 0
	.set _ZN7rocprim17ROCPRIM_400000_NS6detail17trampoline_kernelINS0_14default_configENS1_38merge_sort_block_merge_config_selectorIiNS0_10empty_typeEEEZZNS1_27merge_sort_block_merge_implIS3_N6thrust23THRUST_200600_302600_NS6detail15normal_iteratorINS9_10device_ptrIiEEEEPS5_jNS1_19radix_merge_compareILb0ELb1EiNS0_19identity_decomposerEEEEE10hipError_tT0_T1_T2_jT3_P12ihipStream_tbPNSt15iterator_traitsISK_E10value_typeEPNSQ_ISL_E10value_typeEPSM_NS1_7vsmem_tEENKUlT_SK_SL_SM_E_clISE_PiSF_SF_EESJ_SZ_SK_SL_SM_EUlSZ_E1_NS1_11comp_targetILNS1_3genE9ELNS1_11target_archE1100ELNS1_3gpuE3ELNS1_3repE0EEENS1_36merge_oddeven_config_static_selectorELNS0_4arch9wavefront6targetE0EEEvSL_.num_named_barrier, 0
	.set _ZN7rocprim17ROCPRIM_400000_NS6detail17trampoline_kernelINS0_14default_configENS1_38merge_sort_block_merge_config_selectorIiNS0_10empty_typeEEEZZNS1_27merge_sort_block_merge_implIS3_N6thrust23THRUST_200600_302600_NS6detail15normal_iteratorINS9_10device_ptrIiEEEEPS5_jNS1_19radix_merge_compareILb0ELb1EiNS0_19identity_decomposerEEEEE10hipError_tT0_T1_T2_jT3_P12ihipStream_tbPNSt15iterator_traitsISK_E10value_typeEPNSQ_ISL_E10value_typeEPSM_NS1_7vsmem_tEENKUlT_SK_SL_SM_E_clISE_PiSF_SF_EESJ_SZ_SK_SL_SM_EUlSZ_E1_NS1_11comp_targetILNS1_3genE9ELNS1_11target_archE1100ELNS1_3gpuE3ELNS1_3repE0EEENS1_36merge_oddeven_config_static_selectorELNS0_4arch9wavefront6targetE0EEEvSL_.private_seg_size, 0
	.set _ZN7rocprim17ROCPRIM_400000_NS6detail17trampoline_kernelINS0_14default_configENS1_38merge_sort_block_merge_config_selectorIiNS0_10empty_typeEEEZZNS1_27merge_sort_block_merge_implIS3_N6thrust23THRUST_200600_302600_NS6detail15normal_iteratorINS9_10device_ptrIiEEEEPS5_jNS1_19radix_merge_compareILb0ELb1EiNS0_19identity_decomposerEEEEE10hipError_tT0_T1_T2_jT3_P12ihipStream_tbPNSt15iterator_traitsISK_E10value_typeEPNSQ_ISL_E10value_typeEPSM_NS1_7vsmem_tEENKUlT_SK_SL_SM_E_clISE_PiSF_SF_EESJ_SZ_SK_SL_SM_EUlSZ_E1_NS1_11comp_targetILNS1_3genE9ELNS1_11target_archE1100ELNS1_3gpuE3ELNS1_3repE0EEENS1_36merge_oddeven_config_static_selectorELNS0_4arch9wavefront6targetE0EEEvSL_.uses_vcc, 0
	.set _ZN7rocprim17ROCPRIM_400000_NS6detail17trampoline_kernelINS0_14default_configENS1_38merge_sort_block_merge_config_selectorIiNS0_10empty_typeEEEZZNS1_27merge_sort_block_merge_implIS3_N6thrust23THRUST_200600_302600_NS6detail15normal_iteratorINS9_10device_ptrIiEEEEPS5_jNS1_19radix_merge_compareILb0ELb1EiNS0_19identity_decomposerEEEEE10hipError_tT0_T1_T2_jT3_P12ihipStream_tbPNSt15iterator_traitsISK_E10value_typeEPNSQ_ISL_E10value_typeEPSM_NS1_7vsmem_tEENKUlT_SK_SL_SM_E_clISE_PiSF_SF_EESJ_SZ_SK_SL_SM_EUlSZ_E1_NS1_11comp_targetILNS1_3genE9ELNS1_11target_archE1100ELNS1_3gpuE3ELNS1_3repE0EEENS1_36merge_oddeven_config_static_selectorELNS0_4arch9wavefront6targetE0EEEvSL_.uses_flat_scratch, 0
	.set _ZN7rocprim17ROCPRIM_400000_NS6detail17trampoline_kernelINS0_14default_configENS1_38merge_sort_block_merge_config_selectorIiNS0_10empty_typeEEEZZNS1_27merge_sort_block_merge_implIS3_N6thrust23THRUST_200600_302600_NS6detail15normal_iteratorINS9_10device_ptrIiEEEEPS5_jNS1_19radix_merge_compareILb0ELb1EiNS0_19identity_decomposerEEEEE10hipError_tT0_T1_T2_jT3_P12ihipStream_tbPNSt15iterator_traitsISK_E10value_typeEPNSQ_ISL_E10value_typeEPSM_NS1_7vsmem_tEENKUlT_SK_SL_SM_E_clISE_PiSF_SF_EESJ_SZ_SK_SL_SM_EUlSZ_E1_NS1_11comp_targetILNS1_3genE9ELNS1_11target_archE1100ELNS1_3gpuE3ELNS1_3repE0EEENS1_36merge_oddeven_config_static_selectorELNS0_4arch9wavefront6targetE0EEEvSL_.has_dyn_sized_stack, 0
	.set _ZN7rocprim17ROCPRIM_400000_NS6detail17trampoline_kernelINS0_14default_configENS1_38merge_sort_block_merge_config_selectorIiNS0_10empty_typeEEEZZNS1_27merge_sort_block_merge_implIS3_N6thrust23THRUST_200600_302600_NS6detail15normal_iteratorINS9_10device_ptrIiEEEEPS5_jNS1_19radix_merge_compareILb0ELb1EiNS0_19identity_decomposerEEEEE10hipError_tT0_T1_T2_jT3_P12ihipStream_tbPNSt15iterator_traitsISK_E10value_typeEPNSQ_ISL_E10value_typeEPSM_NS1_7vsmem_tEENKUlT_SK_SL_SM_E_clISE_PiSF_SF_EESJ_SZ_SK_SL_SM_EUlSZ_E1_NS1_11comp_targetILNS1_3genE9ELNS1_11target_archE1100ELNS1_3gpuE3ELNS1_3repE0EEENS1_36merge_oddeven_config_static_selectorELNS0_4arch9wavefront6targetE0EEEvSL_.has_recursion, 0
	.set _ZN7rocprim17ROCPRIM_400000_NS6detail17trampoline_kernelINS0_14default_configENS1_38merge_sort_block_merge_config_selectorIiNS0_10empty_typeEEEZZNS1_27merge_sort_block_merge_implIS3_N6thrust23THRUST_200600_302600_NS6detail15normal_iteratorINS9_10device_ptrIiEEEEPS5_jNS1_19radix_merge_compareILb0ELb1EiNS0_19identity_decomposerEEEEE10hipError_tT0_T1_T2_jT3_P12ihipStream_tbPNSt15iterator_traitsISK_E10value_typeEPNSQ_ISL_E10value_typeEPSM_NS1_7vsmem_tEENKUlT_SK_SL_SM_E_clISE_PiSF_SF_EESJ_SZ_SK_SL_SM_EUlSZ_E1_NS1_11comp_targetILNS1_3genE9ELNS1_11target_archE1100ELNS1_3gpuE3ELNS1_3repE0EEENS1_36merge_oddeven_config_static_selectorELNS0_4arch9wavefront6targetE0EEEvSL_.has_indirect_call, 0
	.section	.AMDGPU.csdata,"",@progbits
; Kernel info:
; codeLenInByte = 0
; TotalNumSgprs: 0
; NumVgprs: 0
; ScratchSize: 0
; MemoryBound: 0
; FloatMode: 240
; IeeeMode: 1
; LDSByteSize: 0 bytes/workgroup (compile time only)
; SGPRBlocks: 0
; VGPRBlocks: 0
; NumSGPRsForWavesPerEU: 1
; NumVGPRsForWavesPerEU: 1
; Occupancy: 16
; WaveLimiterHint : 0
; COMPUTE_PGM_RSRC2:SCRATCH_EN: 0
; COMPUTE_PGM_RSRC2:USER_SGPR: 6
; COMPUTE_PGM_RSRC2:TRAP_HANDLER: 0
; COMPUTE_PGM_RSRC2:TGID_X_EN: 1
; COMPUTE_PGM_RSRC2:TGID_Y_EN: 0
; COMPUTE_PGM_RSRC2:TGID_Z_EN: 0
; COMPUTE_PGM_RSRC2:TIDIG_COMP_CNT: 0
	.section	.text._ZN7rocprim17ROCPRIM_400000_NS6detail17trampoline_kernelINS0_14default_configENS1_38merge_sort_block_merge_config_selectorIiNS0_10empty_typeEEEZZNS1_27merge_sort_block_merge_implIS3_N6thrust23THRUST_200600_302600_NS6detail15normal_iteratorINS9_10device_ptrIiEEEEPS5_jNS1_19radix_merge_compareILb0ELb1EiNS0_19identity_decomposerEEEEE10hipError_tT0_T1_T2_jT3_P12ihipStream_tbPNSt15iterator_traitsISK_E10value_typeEPNSQ_ISL_E10value_typeEPSM_NS1_7vsmem_tEENKUlT_SK_SL_SM_E_clISE_PiSF_SF_EESJ_SZ_SK_SL_SM_EUlSZ_E1_NS1_11comp_targetILNS1_3genE8ELNS1_11target_archE1030ELNS1_3gpuE2ELNS1_3repE0EEENS1_36merge_oddeven_config_static_selectorELNS0_4arch9wavefront6targetE0EEEvSL_,"axG",@progbits,_ZN7rocprim17ROCPRIM_400000_NS6detail17trampoline_kernelINS0_14default_configENS1_38merge_sort_block_merge_config_selectorIiNS0_10empty_typeEEEZZNS1_27merge_sort_block_merge_implIS3_N6thrust23THRUST_200600_302600_NS6detail15normal_iteratorINS9_10device_ptrIiEEEEPS5_jNS1_19radix_merge_compareILb0ELb1EiNS0_19identity_decomposerEEEEE10hipError_tT0_T1_T2_jT3_P12ihipStream_tbPNSt15iterator_traitsISK_E10value_typeEPNSQ_ISL_E10value_typeEPSM_NS1_7vsmem_tEENKUlT_SK_SL_SM_E_clISE_PiSF_SF_EESJ_SZ_SK_SL_SM_EUlSZ_E1_NS1_11comp_targetILNS1_3genE8ELNS1_11target_archE1030ELNS1_3gpuE2ELNS1_3repE0EEENS1_36merge_oddeven_config_static_selectorELNS0_4arch9wavefront6targetE0EEEvSL_,comdat
	.protected	_ZN7rocprim17ROCPRIM_400000_NS6detail17trampoline_kernelINS0_14default_configENS1_38merge_sort_block_merge_config_selectorIiNS0_10empty_typeEEEZZNS1_27merge_sort_block_merge_implIS3_N6thrust23THRUST_200600_302600_NS6detail15normal_iteratorINS9_10device_ptrIiEEEEPS5_jNS1_19radix_merge_compareILb0ELb1EiNS0_19identity_decomposerEEEEE10hipError_tT0_T1_T2_jT3_P12ihipStream_tbPNSt15iterator_traitsISK_E10value_typeEPNSQ_ISL_E10value_typeEPSM_NS1_7vsmem_tEENKUlT_SK_SL_SM_E_clISE_PiSF_SF_EESJ_SZ_SK_SL_SM_EUlSZ_E1_NS1_11comp_targetILNS1_3genE8ELNS1_11target_archE1030ELNS1_3gpuE2ELNS1_3repE0EEENS1_36merge_oddeven_config_static_selectorELNS0_4arch9wavefront6targetE0EEEvSL_ ; -- Begin function _ZN7rocprim17ROCPRIM_400000_NS6detail17trampoline_kernelINS0_14default_configENS1_38merge_sort_block_merge_config_selectorIiNS0_10empty_typeEEEZZNS1_27merge_sort_block_merge_implIS3_N6thrust23THRUST_200600_302600_NS6detail15normal_iteratorINS9_10device_ptrIiEEEEPS5_jNS1_19radix_merge_compareILb0ELb1EiNS0_19identity_decomposerEEEEE10hipError_tT0_T1_T2_jT3_P12ihipStream_tbPNSt15iterator_traitsISK_E10value_typeEPNSQ_ISL_E10value_typeEPSM_NS1_7vsmem_tEENKUlT_SK_SL_SM_E_clISE_PiSF_SF_EESJ_SZ_SK_SL_SM_EUlSZ_E1_NS1_11comp_targetILNS1_3genE8ELNS1_11target_archE1030ELNS1_3gpuE2ELNS1_3repE0EEENS1_36merge_oddeven_config_static_selectorELNS0_4arch9wavefront6targetE0EEEvSL_
	.globl	_ZN7rocprim17ROCPRIM_400000_NS6detail17trampoline_kernelINS0_14default_configENS1_38merge_sort_block_merge_config_selectorIiNS0_10empty_typeEEEZZNS1_27merge_sort_block_merge_implIS3_N6thrust23THRUST_200600_302600_NS6detail15normal_iteratorINS9_10device_ptrIiEEEEPS5_jNS1_19radix_merge_compareILb0ELb1EiNS0_19identity_decomposerEEEEE10hipError_tT0_T1_T2_jT3_P12ihipStream_tbPNSt15iterator_traitsISK_E10value_typeEPNSQ_ISL_E10value_typeEPSM_NS1_7vsmem_tEENKUlT_SK_SL_SM_E_clISE_PiSF_SF_EESJ_SZ_SK_SL_SM_EUlSZ_E1_NS1_11comp_targetILNS1_3genE8ELNS1_11target_archE1030ELNS1_3gpuE2ELNS1_3repE0EEENS1_36merge_oddeven_config_static_selectorELNS0_4arch9wavefront6targetE0EEEvSL_
	.p2align	8
	.type	_ZN7rocprim17ROCPRIM_400000_NS6detail17trampoline_kernelINS0_14default_configENS1_38merge_sort_block_merge_config_selectorIiNS0_10empty_typeEEEZZNS1_27merge_sort_block_merge_implIS3_N6thrust23THRUST_200600_302600_NS6detail15normal_iteratorINS9_10device_ptrIiEEEEPS5_jNS1_19radix_merge_compareILb0ELb1EiNS0_19identity_decomposerEEEEE10hipError_tT0_T1_T2_jT3_P12ihipStream_tbPNSt15iterator_traitsISK_E10value_typeEPNSQ_ISL_E10value_typeEPSM_NS1_7vsmem_tEENKUlT_SK_SL_SM_E_clISE_PiSF_SF_EESJ_SZ_SK_SL_SM_EUlSZ_E1_NS1_11comp_targetILNS1_3genE8ELNS1_11target_archE1030ELNS1_3gpuE2ELNS1_3repE0EEENS1_36merge_oddeven_config_static_selectorELNS0_4arch9wavefront6targetE0EEEvSL_,@function
_ZN7rocprim17ROCPRIM_400000_NS6detail17trampoline_kernelINS0_14default_configENS1_38merge_sort_block_merge_config_selectorIiNS0_10empty_typeEEEZZNS1_27merge_sort_block_merge_implIS3_N6thrust23THRUST_200600_302600_NS6detail15normal_iteratorINS9_10device_ptrIiEEEEPS5_jNS1_19radix_merge_compareILb0ELb1EiNS0_19identity_decomposerEEEEE10hipError_tT0_T1_T2_jT3_P12ihipStream_tbPNSt15iterator_traitsISK_E10value_typeEPNSQ_ISL_E10value_typeEPSM_NS1_7vsmem_tEENKUlT_SK_SL_SM_E_clISE_PiSF_SF_EESJ_SZ_SK_SL_SM_EUlSZ_E1_NS1_11comp_targetILNS1_3genE8ELNS1_11target_archE1030ELNS1_3gpuE2ELNS1_3repE0EEENS1_36merge_oddeven_config_static_selectorELNS0_4arch9wavefront6targetE0EEEvSL_: ; @_ZN7rocprim17ROCPRIM_400000_NS6detail17trampoline_kernelINS0_14default_configENS1_38merge_sort_block_merge_config_selectorIiNS0_10empty_typeEEEZZNS1_27merge_sort_block_merge_implIS3_N6thrust23THRUST_200600_302600_NS6detail15normal_iteratorINS9_10device_ptrIiEEEEPS5_jNS1_19radix_merge_compareILb0ELb1EiNS0_19identity_decomposerEEEEE10hipError_tT0_T1_T2_jT3_P12ihipStream_tbPNSt15iterator_traitsISK_E10value_typeEPNSQ_ISL_E10value_typeEPSM_NS1_7vsmem_tEENKUlT_SK_SL_SM_E_clISE_PiSF_SF_EESJ_SZ_SK_SL_SM_EUlSZ_E1_NS1_11comp_targetILNS1_3genE8ELNS1_11target_archE1030ELNS1_3gpuE2ELNS1_3repE0EEENS1_36merge_oddeven_config_static_selectorELNS0_4arch9wavefront6targetE0EEEvSL_
; %bb.0:
	s_load_dword s7, s[4:5], 0x20
	s_waitcnt lgkmcnt(0)
	s_lshr_b32 s0, s7, 8
	s_cmp_lg_u32 s6, s0
	s_cselect_b32 s14, -1, 0
	s_cmp_eq_u32 s6, s0
	s_cselect_b32 s12, -1, 0
	s_lshl_b32 s2, s6, 8
	s_sub_i32 s0, s7, s2
	v_cmp_gt_u32_e64 s1, s0, v0
	s_or_b32 s0, s14, s1
	s_and_saveexec_b32 s3, s0
	s_cbranch_execz .LBB131_20
; %bb.1:
	s_clause 0x1
	s_load_dwordx4 s[8:11], s[4:5], 0x0
	s_load_dword s13, s[4:5], 0x24
	s_mov_b32 s3, 0
	v_lshlrev_b32_e32 v1, 2, v0
	s_lshl_b64 s[16:17], s[2:3], 2
	v_add_nc_u32_e32 v0, s2, v0
	s_waitcnt lgkmcnt(0)
	s_add_u32 s16, s8, s16
	s_addc_u32 s17, s9, s17
	s_lshr_b32 s0, s13, 8
	global_load_dword v2, v1, s[16:17]
	s_sub_i32 s15, 0, s0
	s_and_b32 s6, s6, s15
	s_and_b32 s0, s6, s0
	s_lshl_b32 s15, s6, 8
	s_sub_i32 s6, 0, s13
	s_cmp_eq_u32 s0, 0
	s_cselect_b32 s0, -1, 0
	s_and_b32 s16, s0, exec_lo
	s_cselect_b32 s6, s13, s6
	s_add_i32 s6, s6, s15
	s_cmp_gt_u32 s7, s6
	s_cbranch_scc1 .LBB131_3
; %bb.2:
	v_cmp_gt_u32_e32 vcc_lo, s7, v0
	s_or_b32 s3, vcc_lo, s14
	s_and_b32 s3, s3, exec_lo
	s_cbranch_execz .LBB131_4
	s_branch .LBB131_18
.LBB131_3:
.LBB131_4:
	s_load_dword s2, s[4:5], 0x28
	s_min_u32 s4, s6, s7
	s_and_b32 vcc_lo, exec_lo, s12
	s_add_i32 s5, s15, s4
	s_add_i32 s13, s4, s13
	v_subrev_nc_u32_e32 v0, s5, v0
	s_min_u32 s5, s15, s4
	v_add_nc_u32_e32 v3, s5, v0
	s_min_u32 s5, s13, s7
	s_waitcnt vmcnt(0) lgkmcnt(0)
	v_and_b32_e32 v4, s2, v2
	s_cbranch_vccz .LBB131_12
; %bb.5:
                                        ; implicit-def: $vgpr0
	s_and_saveexec_b32 s7, s1
	s_cbranch_execz .LBB131_11
; %bb.6:
	v_mov_b32_e32 v5, s4
	s_cmp_ge_u32 s6, s5
	s_cbranch_scc1 .LBB131_10
; %bb.7:
	v_mov_b32_e32 v6, s5
	v_mov_b32_e32 v5, s4
	;; [unrolled: 1-line block ×3, first 2 shown]
	s_mov_b32 s1, 0
	.p2align	6
.LBB131_8:                              ; =>This Inner Loop Header: Depth=1
	v_add_nc_u32_e32 v0, v5, v6
	v_lshrrev_b32_e32 v0, 1, v0
	v_lshlrev_b64 v[7:8], 2, v[0:1]
	v_add_co_u32 v7, vcc_lo, s8, v7
	v_add_co_ci_u32_e64 v8, null, s9, v8, vcc_lo
	global_load_dword v7, v[7:8], off
	s_waitcnt vmcnt(0)
	v_and_b32_e32 v7, s2, v7
	v_cmp_gt_i32_e32 vcc_lo, v4, v7
	v_cndmask_b32_e64 v8, 0, 1, vcc_lo
	v_cmp_le_i32_e32 vcc_lo, v7, v4
	v_cndmask_b32_e64 v7, 0, 1, vcc_lo
	v_cndmask_b32_e64 v7, v7, v8, s0
	v_add_nc_u32_e32 v8, 1, v0
	v_and_b32_e32 v7, 1, v7
	v_cmp_eq_u32_e32 vcc_lo, 1, v7
	v_cndmask_b32_e32 v6, v0, v6, vcc_lo
	v_cndmask_b32_e32 v5, v5, v8, vcc_lo
	v_cmp_ge_u32_e32 vcc_lo, v5, v6
	s_or_b32 s1, vcc_lo, s1
	s_andn2_b32 exec_lo, exec_lo, s1
	s_cbranch_execnz .LBB131_8
; %bb.9:
	s_or_b32 exec_lo, exec_lo, s1
.LBB131_10:
	v_add_nc_u32_e32 v0, v5, v3
	s_or_b32 s3, s3, exec_lo
.LBB131_11:
	s_or_b32 exec_lo, exec_lo, s7
	s_branch .LBB131_18
.LBB131_12:
                                        ; implicit-def: $vgpr0
	s_cbranch_execz .LBB131_18
; %bb.13:
	v_mov_b32_e32 v5, s4
	s_cmp_ge_u32 s6, s5
	s_cbranch_scc1 .LBB131_17
; %bb.14:
	v_mov_b32_e32 v6, s5
	v_mov_b32_e32 v5, s4
	;; [unrolled: 1-line block ×3, first 2 shown]
	s_mov_b32 s1, 0
	.p2align	6
.LBB131_15:                             ; =>This Inner Loop Header: Depth=1
	v_add_nc_u32_e32 v0, v5, v6
	v_lshrrev_b32_e32 v0, 1, v0
	v_lshlrev_b64 v[7:8], 2, v[0:1]
	v_add_co_u32 v7, vcc_lo, s8, v7
	v_add_co_ci_u32_e64 v8, null, s9, v8, vcc_lo
	global_load_dword v7, v[7:8], off
	s_waitcnt vmcnt(0)
	v_and_b32_e32 v7, s2, v7
	v_cmp_gt_i32_e32 vcc_lo, v4, v7
	v_cndmask_b32_e64 v8, 0, 1, vcc_lo
	v_cmp_le_i32_e32 vcc_lo, v7, v4
	v_cndmask_b32_e64 v7, 0, 1, vcc_lo
	v_cndmask_b32_e64 v7, v7, v8, s0
	v_add_nc_u32_e32 v8, 1, v0
	v_and_b32_e32 v7, 1, v7
	v_cmp_eq_u32_e32 vcc_lo, 1, v7
	v_cndmask_b32_e32 v6, v0, v6, vcc_lo
	v_cndmask_b32_e32 v5, v5, v8, vcc_lo
	v_cmp_ge_u32_e32 vcc_lo, v5, v6
	s_or_b32 s1, vcc_lo, s1
	s_andn2_b32 exec_lo, exec_lo, s1
	s_cbranch_execnz .LBB131_15
; %bb.16:
	s_or_b32 exec_lo, exec_lo, s1
.LBB131_17:
	v_add_nc_u32_e32 v0, v5, v3
	s_mov_b32 s3, -1
.LBB131_18:
	s_and_b32 exec_lo, exec_lo, s3
	s_cbranch_execz .LBB131_20
; %bb.19:
	v_mov_b32_e32 v1, 0
	v_lshlrev_b64 v[0:1], 2, v[0:1]
	v_add_co_u32 v0, vcc_lo, s10, v0
	v_add_co_ci_u32_e64 v1, null, s11, v1, vcc_lo
	s_waitcnt vmcnt(0)
	global_store_dword v[0:1], v2, off
.LBB131_20:
	s_endpgm
	.section	.rodata,"a",@progbits
	.p2align	6, 0x0
	.amdhsa_kernel _ZN7rocprim17ROCPRIM_400000_NS6detail17trampoline_kernelINS0_14default_configENS1_38merge_sort_block_merge_config_selectorIiNS0_10empty_typeEEEZZNS1_27merge_sort_block_merge_implIS3_N6thrust23THRUST_200600_302600_NS6detail15normal_iteratorINS9_10device_ptrIiEEEEPS5_jNS1_19radix_merge_compareILb0ELb1EiNS0_19identity_decomposerEEEEE10hipError_tT0_T1_T2_jT3_P12ihipStream_tbPNSt15iterator_traitsISK_E10value_typeEPNSQ_ISL_E10value_typeEPSM_NS1_7vsmem_tEENKUlT_SK_SL_SM_E_clISE_PiSF_SF_EESJ_SZ_SK_SL_SM_EUlSZ_E1_NS1_11comp_targetILNS1_3genE8ELNS1_11target_archE1030ELNS1_3gpuE2ELNS1_3repE0EEENS1_36merge_oddeven_config_static_selectorELNS0_4arch9wavefront6targetE0EEEvSL_
		.amdhsa_group_segment_fixed_size 0
		.amdhsa_private_segment_fixed_size 0
		.amdhsa_kernarg_size 48
		.amdhsa_user_sgpr_count 6
		.amdhsa_user_sgpr_private_segment_buffer 1
		.amdhsa_user_sgpr_dispatch_ptr 0
		.amdhsa_user_sgpr_queue_ptr 0
		.amdhsa_user_sgpr_kernarg_segment_ptr 1
		.amdhsa_user_sgpr_dispatch_id 0
		.amdhsa_user_sgpr_flat_scratch_init 0
		.amdhsa_user_sgpr_private_segment_size 0
		.amdhsa_wavefront_size32 1
		.amdhsa_uses_dynamic_stack 0
		.amdhsa_system_sgpr_private_segment_wavefront_offset 0
		.amdhsa_system_sgpr_workgroup_id_x 1
		.amdhsa_system_sgpr_workgroup_id_y 0
		.amdhsa_system_sgpr_workgroup_id_z 0
		.amdhsa_system_sgpr_workgroup_info 0
		.amdhsa_system_vgpr_workitem_id 0
		.amdhsa_next_free_vgpr 9
		.amdhsa_next_free_sgpr 18
		.amdhsa_reserve_vcc 1
		.amdhsa_reserve_flat_scratch 0
		.amdhsa_float_round_mode_32 0
		.amdhsa_float_round_mode_16_64 0
		.amdhsa_float_denorm_mode_32 3
		.amdhsa_float_denorm_mode_16_64 3
		.amdhsa_dx10_clamp 1
		.amdhsa_ieee_mode 1
		.amdhsa_fp16_overflow 0
		.amdhsa_workgroup_processor_mode 1
		.amdhsa_memory_ordered 1
		.amdhsa_forward_progress 1
		.amdhsa_shared_vgpr_count 0
		.amdhsa_exception_fp_ieee_invalid_op 0
		.amdhsa_exception_fp_denorm_src 0
		.amdhsa_exception_fp_ieee_div_zero 0
		.amdhsa_exception_fp_ieee_overflow 0
		.amdhsa_exception_fp_ieee_underflow 0
		.amdhsa_exception_fp_ieee_inexact 0
		.amdhsa_exception_int_div_zero 0
	.end_amdhsa_kernel
	.section	.text._ZN7rocprim17ROCPRIM_400000_NS6detail17trampoline_kernelINS0_14default_configENS1_38merge_sort_block_merge_config_selectorIiNS0_10empty_typeEEEZZNS1_27merge_sort_block_merge_implIS3_N6thrust23THRUST_200600_302600_NS6detail15normal_iteratorINS9_10device_ptrIiEEEEPS5_jNS1_19radix_merge_compareILb0ELb1EiNS0_19identity_decomposerEEEEE10hipError_tT0_T1_T2_jT3_P12ihipStream_tbPNSt15iterator_traitsISK_E10value_typeEPNSQ_ISL_E10value_typeEPSM_NS1_7vsmem_tEENKUlT_SK_SL_SM_E_clISE_PiSF_SF_EESJ_SZ_SK_SL_SM_EUlSZ_E1_NS1_11comp_targetILNS1_3genE8ELNS1_11target_archE1030ELNS1_3gpuE2ELNS1_3repE0EEENS1_36merge_oddeven_config_static_selectorELNS0_4arch9wavefront6targetE0EEEvSL_,"axG",@progbits,_ZN7rocprim17ROCPRIM_400000_NS6detail17trampoline_kernelINS0_14default_configENS1_38merge_sort_block_merge_config_selectorIiNS0_10empty_typeEEEZZNS1_27merge_sort_block_merge_implIS3_N6thrust23THRUST_200600_302600_NS6detail15normal_iteratorINS9_10device_ptrIiEEEEPS5_jNS1_19radix_merge_compareILb0ELb1EiNS0_19identity_decomposerEEEEE10hipError_tT0_T1_T2_jT3_P12ihipStream_tbPNSt15iterator_traitsISK_E10value_typeEPNSQ_ISL_E10value_typeEPSM_NS1_7vsmem_tEENKUlT_SK_SL_SM_E_clISE_PiSF_SF_EESJ_SZ_SK_SL_SM_EUlSZ_E1_NS1_11comp_targetILNS1_3genE8ELNS1_11target_archE1030ELNS1_3gpuE2ELNS1_3repE0EEENS1_36merge_oddeven_config_static_selectorELNS0_4arch9wavefront6targetE0EEEvSL_,comdat
.Lfunc_end131:
	.size	_ZN7rocprim17ROCPRIM_400000_NS6detail17trampoline_kernelINS0_14default_configENS1_38merge_sort_block_merge_config_selectorIiNS0_10empty_typeEEEZZNS1_27merge_sort_block_merge_implIS3_N6thrust23THRUST_200600_302600_NS6detail15normal_iteratorINS9_10device_ptrIiEEEEPS5_jNS1_19radix_merge_compareILb0ELb1EiNS0_19identity_decomposerEEEEE10hipError_tT0_T1_T2_jT3_P12ihipStream_tbPNSt15iterator_traitsISK_E10value_typeEPNSQ_ISL_E10value_typeEPSM_NS1_7vsmem_tEENKUlT_SK_SL_SM_E_clISE_PiSF_SF_EESJ_SZ_SK_SL_SM_EUlSZ_E1_NS1_11comp_targetILNS1_3genE8ELNS1_11target_archE1030ELNS1_3gpuE2ELNS1_3repE0EEENS1_36merge_oddeven_config_static_selectorELNS0_4arch9wavefront6targetE0EEEvSL_, .Lfunc_end131-_ZN7rocprim17ROCPRIM_400000_NS6detail17trampoline_kernelINS0_14default_configENS1_38merge_sort_block_merge_config_selectorIiNS0_10empty_typeEEEZZNS1_27merge_sort_block_merge_implIS3_N6thrust23THRUST_200600_302600_NS6detail15normal_iteratorINS9_10device_ptrIiEEEEPS5_jNS1_19radix_merge_compareILb0ELb1EiNS0_19identity_decomposerEEEEE10hipError_tT0_T1_T2_jT3_P12ihipStream_tbPNSt15iterator_traitsISK_E10value_typeEPNSQ_ISL_E10value_typeEPSM_NS1_7vsmem_tEENKUlT_SK_SL_SM_E_clISE_PiSF_SF_EESJ_SZ_SK_SL_SM_EUlSZ_E1_NS1_11comp_targetILNS1_3genE8ELNS1_11target_archE1030ELNS1_3gpuE2ELNS1_3repE0EEENS1_36merge_oddeven_config_static_selectorELNS0_4arch9wavefront6targetE0EEEvSL_
                                        ; -- End function
	.set _ZN7rocprim17ROCPRIM_400000_NS6detail17trampoline_kernelINS0_14default_configENS1_38merge_sort_block_merge_config_selectorIiNS0_10empty_typeEEEZZNS1_27merge_sort_block_merge_implIS3_N6thrust23THRUST_200600_302600_NS6detail15normal_iteratorINS9_10device_ptrIiEEEEPS5_jNS1_19radix_merge_compareILb0ELb1EiNS0_19identity_decomposerEEEEE10hipError_tT0_T1_T2_jT3_P12ihipStream_tbPNSt15iterator_traitsISK_E10value_typeEPNSQ_ISL_E10value_typeEPSM_NS1_7vsmem_tEENKUlT_SK_SL_SM_E_clISE_PiSF_SF_EESJ_SZ_SK_SL_SM_EUlSZ_E1_NS1_11comp_targetILNS1_3genE8ELNS1_11target_archE1030ELNS1_3gpuE2ELNS1_3repE0EEENS1_36merge_oddeven_config_static_selectorELNS0_4arch9wavefront6targetE0EEEvSL_.num_vgpr, 9
	.set _ZN7rocprim17ROCPRIM_400000_NS6detail17trampoline_kernelINS0_14default_configENS1_38merge_sort_block_merge_config_selectorIiNS0_10empty_typeEEEZZNS1_27merge_sort_block_merge_implIS3_N6thrust23THRUST_200600_302600_NS6detail15normal_iteratorINS9_10device_ptrIiEEEEPS5_jNS1_19radix_merge_compareILb0ELb1EiNS0_19identity_decomposerEEEEE10hipError_tT0_T1_T2_jT3_P12ihipStream_tbPNSt15iterator_traitsISK_E10value_typeEPNSQ_ISL_E10value_typeEPSM_NS1_7vsmem_tEENKUlT_SK_SL_SM_E_clISE_PiSF_SF_EESJ_SZ_SK_SL_SM_EUlSZ_E1_NS1_11comp_targetILNS1_3genE8ELNS1_11target_archE1030ELNS1_3gpuE2ELNS1_3repE0EEENS1_36merge_oddeven_config_static_selectorELNS0_4arch9wavefront6targetE0EEEvSL_.num_agpr, 0
	.set _ZN7rocprim17ROCPRIM_400000_NS6detail17trampoline_kernelINS0_14default_configENS1_38merge_sort_block_merge_config_selectorIiNS0_10empty_typeEEEZZNS1_27merge_sort_block_merge_implIS3_N6thrust23THRUST_200600_302600_NS6detail15normal_iteratorINS9_10device_ptrIiEEEEPS5_jNS1_19radix_merge_compareILb0ELb1EiNS0_19identity_decomposerEEEEE10hipError_tT0_T1_T2_jT3_P12ihipStream_tbPNSt15iterator_traitsISK_E10value_typeEPNSQ_ISL_E10value_typeEPSM_NS1_7vsmem_tEENKUlT_SK_SL_SM_E_clISE_PiSF_SF_EESJ_SZ_SK_SL_SM_EUlSZ_E1_NS1_11comp_targetILNS1_3genE8ELNS1_11target_archE1030ELNS1_3gpuE2ELNS1_3repE0EEENS1_36merge_oddeven_config_static_selectorELNS0_4arch9wavefront6targetE0EEEvSL_.numbered_sgpr, 18
	.set _ZN7rocprim17ROCPRIM_400000_NS6detail17trampoline_kernelINS0_14default_configENS1_38merge_sort_block_merge_config_selectorIiNS0_10empty_typeEEEZZNS1_27merge_sort_block_merge_implIS3_N6thrust23THRUST_200600_302600_NS6detail15normal_iteratorINS9_10device_ptrIiEEEEPS5_jNS1_19radix_merge_compareILb0ELb1EiNS0_19identity_decomposerEEEEE10hipError_tT0_T1_T2_jT3_P12ihipStream_tbPNSt15iterator_traitsISK_E10value_typeEPNSQ_ISL_E10value_typeEPSM_NS1_7vsmem_tEENKUlT_SK_SL_SM_E_clISE_PiSF_SF_EESJ_SZ_SK_SL_SM_EUlSZ_E1_NS1_11comp_targetILNS1_3genE8ELNS1_11target_archE1030ELNS1_3gpuE2ELNS1_3repE0EEENS1_36merge_oddeven_config_static_selectorELNS0_4arch9wavefront6targetE0EEEvSL_.num_named_barrier, 0
	.set _ZN7rocprim17ROCPRIM_400000_NS6detail17trampoline_kernelINS0_14default_configENS1_38merge_sort_block_merge_config_selectorIiNS0_10empty_typeEEEZZNS1_27merge_sort_block_merge_implIS3_N6thrust23THRUST_200600_302600_NS6detail15normal_iteratorINS9_10device_ptrIiEEEEPS5_jNS1_19radix_merge_compareILb0ELb1EiNS0_19identity_decomposerEEEEE10hipError_tT0_T1_T2_jT3_P12ihipStream_tbPNSt15iterator_traitsISK_E10value_typeEPNSQ_ISL_E10value_typeEPSM_NS1_7vsmem_tEENKUlT_SK_SL_SM_E_clISE_PiSF_SF_EESJ_SZ_SK_SL_SM_EUlSZ_E1_NS1_11comp_targetILNS1_3genE8ELNS1_11target_archE1030ELNS1_3gpuE2ELNS1_3repE0EEENS1_36merge_oddeven_config_static_selectorELNS0_4arch9wavefront6targetE0EEEvSL_.private_seg_size, 0
	.set _ZN7rocprim17ROCPRIM_400000_NS6detail17trampoline_kernelINS0_14default_configENS1_38merge_sort_block_merge_config_selectorIiNS0_10empty_typeEEEZZNS1_27merge_sort_block_merge_implIS3_N6thrust23THRUST_200600_302600_NS6detail15normal_iteratorINS9_10device_ptrIiEEEEPS5_jNS1_19radix_merge_compareILb0ELb1EiNS0_19identity_decomposerEEEEE10hipError_tT0_T1_T2_jT3_P12ihipStream_tbPNSt15iterator_traitsISK_E10value_typeEPNSQ_ISL_E10value_typeEPSM_NS1_7vsmem_tEENKUlT_SK_SL_SM_E_clISE_PiSF_SF_EESJ_SZ_SK_SL_SM_EUlSZ_E1_NS1_11comp_targetILNS1_3genE8ELNS1_11target_archE1030ELNS1_3gpuE2ELNS1_3repE0EEENS1_36merge_oddeven_config_static_selectorELNS0_4arch9wavefront6targetE0EEEvSL_.uses_vcc, 1
	.set _ZN7rocprim17ROCPRIM_400000_NS6detail17trampoline_kernelINS0_14default_configENS1_38merge_sort_block_merge_config_selectorIiNS0_10empty_typeEEEZZNS1_27merge_sort_block_merge_implIS3_N6thrust23THRUST_200600_302600_NS6detail15normal_iteratorINS9_10device_ptrIiEEEEPS5_jNS1_19radix_merge_compareILb0ELb1EiNS0_19identity_decomposerEEEEE10hipError_tT0_T1_T2_jT3_P12ihipStream_tbPNSt15iterator_traitsISK_E10value_typeEPNSQ_ISL_E10value_typeEPSM_NS1_7vsmem_tEENKUlT_SK_SL_SM_E_clISE_PiSF_SF_EESJ_SZ_SK_SL_SM_EUlSZ_E1_NS1_11comp_targetILNS1_3genE8ELNS1_11target_archE1030ELNS1_3gpuE2ELNS1_3repE0EEENS1_36merge_oddeven_config_static_selectorELNS0_4arch9wavefront6targetE0EEEvSL_.uses_flat_scratch, 0
	.set _ZN7rocprim17ROCPRIM_400000_NS6detail17trampoline_kernelINS0_14default_configENS1_38merge_sort_block_merge_config_selectorIiNS0_10empty_typeEEEZZNS1_27merge_sort_block_merge_implIS3_N6thrust23THRUST_200600_302600_NS6detail15normal_iteratorINS9_10device_ptrIiEEEEPS5_jNS1_19radix_merge_compareILb0ELb1EiNS0_19identity_decomposerEEEEE10hipError_tT0_T1_T2_jT3_P12ihipStream_tbPNSt15iterator_traitsISK_E10value_typeEPNSQ_ISL_E10value_typeEPSM_NS1_7vsmem_tEENKUlT_SK_SL_SM_E_clISE_PiSF_SF_EESJ_SZ_SK_SL_SM_EUlSZ_E1_NS1_11comp_targetILNS1_3genE8ELNS1_11target_archE1030ELNS1_3gpuE2ELNS1_3repE0EEENS1_36merge_oddeven_config_static_selectorELNS0_4arch9wavefront6targetE0EEEvSL_.has_dyn_sized_stack, 0
	.set _ZN7rocprim17ROCPRIM_400000_NS6detail17trampoline_kernelINS0_14default_configENS1_38merge_sort_block_merge_config_selectorIiNS0_10empty_typeEEEZZNS1_27merge_sort_block_merge_implIS3_N6thrust23THRUST_200600_302600_NS6detail15normal_iteratorINS9_10device_ptrIiEEEEPS5_jNS1_19radix_merge_compareILb0ELb1EiNS0_19identity_decomposerEEEEE10hipError_tT0_T1_T2_jT3_P12ihipStream_tbPNSt15iterator_traitsISK_E10value_typeEPNSQ_ISL_E10value_typeEPSM_NS1_7vsmem_tEENKUlT_SK_SL_SM_E_clISE_PiSF_SF_EESJ_SZ_SK_SL_SM_EUlSZ_E1_NS1_11comp_targetILNS1_3genE8ELNS1_11target_archE1030ELNS1_3gpuE2ELNS1_3repE0EEENS1_36merge_oddeven_config_static_selectorELNS0_4arch9wavefront6targetE0EEEvSL_.has_recursion, 0
	.set _ZN7rocprim17ROCPRIM_400000_NS6detail17trampoline_kernelINS0_14default_configENS1_38merge_sort_block_merge_config_selectorIiNS0_10empty_typeEEEZZNS1_27merge_sort_block_merge_implIS3_N6thrust23THRUST_200600_302600_NS6detail15normal_iteratorINS9_10device_ptrIiEEEEPS5_jNS1_19radix_merge_compareILb0ELb1EiNS0_19identity_decomposerEEEEE10hipError_tT0_T1_T2_jT3_P12ihipStream_tbPNSt15iterator_traitsISK_E10value_typeEPNSQ_ISL_E10value_typeEPSM_NS1_7vsmem_tEENKUlT_SK_SL_SM_E_clISE_PiSF_SF_EESJ_SZ_SK_SL_SM_EUlSZ_E1_NS1_11comp_targetILNS1_3genE8ELNS1_11target_archE1030ELNS1_3gpuE2ELNS1_3repE0EEENS1_36merge_oddeven_config_static_selectorELNS0_4arch9wavefront6targetE0EEEvSL_.has_indirect_call, 0
	.section	.AMDGPU.csdata,"",@progbits
; Kernel info:
; codeLenInByte = 692
; TotalNumSgprs: 20
; NumVgprs: 9
; ScratchSize: 0
; MemoryBound: 0
; FloatMode: 240
; IeeeMode: 1
; LDSByteSize: 0 bytes/workgroup (compile time only)
; SGPRBlocks: 0
; VGPRBlocks: 1
; NumSGPRsForWavesPerEU: 20
; NumVGPRsForWavesPerEU: 9
; Occupancy: 16
; WaveLimiterHint : 0
; COMPUTE_PGM_RSRC2:SCRATCH_EN: 0
; COMPUTE_PGM_RSRC2:USER_SGPR: 6
; COMPUTE_PGM_RSRC2:TRAP_HANDLER: 0
; COMPUTE_PGM_RSRC2:TGID_X_EN: 1
; COMPUTE_PGM_RSRC2:TGID_Y_EN: 0
; COMPUTE_PGM_RSRC2:TGID_Z_EN: 0
; COMPUTE_PGM_RSRC2:TIDIG_COMP_CNT: 0
	.section	.text._ZN7rocprim17ROCPRIM_400000_NS6detail17trampoline_kernelINS0_14default_configENS1_35radix_sort_onesweep_config_selectorIiNS0_10empty_typeEEEZNS1_34radix_sort_onesweep_global_offsetsIS3_Lb0EN6thrust23THRUST_200600_302600_NS6detail15normal_iteratorINS9_10device_ptrIiEEEEPS5_jNS0_19identity_decomposerEEE10hipError_tT1_T2_PT3_SK_jT4_jjP12ihipStream_tbEUlT_E_NS1_11comp_targetILNS1_3genE0ELNS1_11target_archE4294967295ELNS1_3gpuE0ELNS1_3repE0EEENS1_52radix_sort_onesweep_histogram_config_static_selectorELNS0_4arch9wavefront6targetE0EEEvSI_,"axG",@progbits,_ZN7rocprim17ROCPRIM_400000_NS6detail17trampoline_kernelINS0_14default_configENS1_35radix_sort_onesweep_config_selectorIiNS0_10empty_typeEEEZNS1_34radix_sort_onesweep_global_offsetsIS3_Lb0EN6thrust23THRUST_200600_302600_NS6detail15normal_iteratorINS9_10device_ptrIiEEEEPS5_jNS0_19identity_decomposerEEE10hipError_tT1_T2_PT3_SK_jT4_jjP12ihipStream_tbEUlT_E_NS1_11comp_targetILNS1_3genE0ELNS1_11target_archE4294967295ELNS1_3gpuE0ELNS1_3repE0EEENS1_52radix_sort_onesweep_histogram_config_static_selectorELNS0_4arch9wavefront6targetE0EEEvSI_,comdat
	.protected	_ZN7rocprim17ROCPRIM_400000_NS6detail17trampoline_kernelINS0_14default_configENS1_35radix_sort_onesweep_config_selectorIiNS0_10empty_typeEEEZNS1_34radix_sort_onesweep_global_offsetsIS3_Lb0EN6thrust23THRUST_200600_302600_NS6detail15normal_iteratorINS9_10device_ptrIiEEEEPS5_jNS0_19identity_decomposerEEE10hipError_tT1_T2_PT3_SK_jT4_jjP12ihipStream_tbEUlT_E_NS1_11comp_targetILNS1_3genE0ELNS1_11target_archE4294967295ELNS1_3gpuE0ELNS1_3repE0EEENS1_52radix_sort_onesweep_histogram_config_static_selectorELNS0_4arch9wavefront6targetE0EEEvSI_ ; -- Begin function _ZN7rocprim17ROCPRIM_400000_NS6detail17trampoline_kernelINS0_14default_configENS1_35radix_sort_onesweep_config_selectorIiNS0_10empty_typeEEEZNS1_34radix_sort_onesweep_global_offsetsIS3_Lb0EN6thrust23THRUST_200600_302600_NS6detail15normal_iteratorINS9_10device_ptrIiEEEEPS5_jNS0_19identity_decomposerEEE10hipError_tT1_T2_PT3_SK_jT4_jjP12ihipStream_tbEUlT_E_NS1_11comp_targetILNS1_3genE0ELNS1_11target_archE4294967295ELNS1_3gpuE0ELNS1_3repE0EEENS1_52radix_sort_onesweep_histogram_config_static_selectorELNS0_4arch9wavefront6targetE0EEEvSI_
	.globl	_ZN7rocprim17ROCPRIM_400000_NS6detail17trampoline_kernelINS0_14default_configENS1_35radix_sort_onesweep_config_selectorIiNS0_10empty_typeEEEZNS1_34radix_sort_onesweep_global_offsetsIS3_Lb0EN6thrust23THRUST_200600_302600_NS6detail15normal_iteratorINS9_10device_ptrIiEEEEPS5_jNS0_19identity_decomposerEEE10hipError_tT1_T2_PT3_SK_jT4_jjP12ihipStream_tbEUlT_E_NS1_11comp_targetILNS1_3genE0ELNS1_11target_archE4294967295ELNS1_3gpuE0ELNS1_3repE0EEENS1_52radix_sort_onesweep_histogram_config_static_selectorELNS0_4arch9wavefront6targetE0EEEvSI_
	.p2align	8
	.type	_ZN7rocprim17ROCPRIM_400000_NS6detail17trampoline_kernelINS0_14default_configENS1_35radix_sort_onesweep_config_selectorIiNS0_10empty_typeEEEZNS1_34radix_sort_onesweep_global_offsetsIS3_Lb0EN6thrust23THRUST_200600_302600_NS6detail15normal_iteratorINS9_10device_ptrIiEEEEPS5_jNS0_19identity_decomposerEEE10hipError_tT1_T2_PT3_SK_jT4_jjP12ihipStream_tbEUlT_E_NS1_11comp_targetILNS1_3genE0ELNS1_11target_archE4294967295ELNS1_3gpuE0ELNS1_3repE0EEENS1_52radix_sort_onesweep_histogram_config_static_selectorELNS0_4arch9wavefront6targetE0EEEvSI_,@function
_ZN7rocprim17ROCPRIM_400000_NS6detail17trampoline_kernelINS0_14default_configENS1_35radix_sort_onesweep_config_selectorIiNS0_10empty_typeEEEZNS1_34radix_sort_onesweep_global_offsetsIS3_Lb0EN6thrust23THRUST_200600_302600_NS6detail15normal_iteratorINS9_10device_ptrIiEEEEPS5_jNS0_19identity_decomposerEEE10hipError_tT1_T2_PT3_SK_jT4_jjP12ihipStream_tbEUlT_E_NS1_11comp_targetILNS1_3genE0ELNS1_11target_archE4294967295ELNS1_3gpuE0ELNS1_3repE0EEENS1_52radix_sort_onesweep_histogram_config_static_selectorELNS0_4arch9wavefront6targetE0EEEvSI_: ; @_ZN7rocprim17ROCPRIM_400000_NS6detail17trampoline_kernelINS0_14default_configENS1_35radix_sort_onesweep_config_selectorIiNS0_10empty_typeEEEZNS1_34radix_sort_onesweep_global_offsetsIS3_Lb0EN6thrust23THRUST_200600_302600_NS6detail15normal_iteratorINS9_10device_ptrIiEEEEPS5_jNS0_19identity_decomposerEEE10hipError_tT1_T2_PT3_SK_jT4_jjP12ihipStream_tbEUlT_E_NS1_11comp_targetILNS1_3genE0ELNS1_11target_archE4294967295ELNS1_3gpuE0ELNS1_3repE0EEENS1_52radix_sort_onesweep_histogram_config_static_selectorELNS0_4arch9wavefront6targetE0EEEvSI_
; %bb.0:
	.section	.rodata,"a",@progbits
	.p2align	6, 0x0
	.amdhsa_kernel _ZN7rocprim17ROCPRIM_400000_NS6detail17trampoline_kernelINS0_14default_configENS1_35radix_sort_onesweep_config_selectorIiNS0_10empty_typeEEEZNS1_34radix_sort_onesweep_global_offsetsIS3_Lb0EN6thrust23THRUST_200600_302600_NS6detail15normal_iteratorINS9_10device_ptrIiEEEEPS5_jNS0_19identity_decomposerEEE10hipError_tT1_T2_PT3_SK_jT4_jjP12ihipStream_tbEUlT_E_NS1_11comp_targetILNS1_3genE0ELNS1_11target_archE4294967295ELNS1_3gpuE0ELNS1_3repE0EEENS1_52radix_sort_onesweep_histogram_config_static_selectorELNS0_4arch9wavefront6targetE0EEEvSI_
		.amdhsa_group_segment_fixed_size 0
		.amdhsa_private_segment_fixed_size 0
		.amdhsa_kernarg_size 40
		.amdhsa_user_sgpr_count 6
		.amdhsa_user_sgpr_private_segment_buffer 1
		.amdhsa_user_sgpr_dispatch_ptr 0
		.amdhsa_user_sgpr_queue_ptr 0
		.amdhsa_user_sgpr_kernarg_segment_ptr 1
		.amdhsa_user_sgpr_dispatch_id 0
		.amdhsa_user_sgpr_flat_scratch_init 0
		.amdhsa_user_sgpr_private_segment_size 0
		.amdhsa_wavefront_size32 1
		.amdhsa_uses_dynamic_stack 0
		.amdhsa_system_sgpr_private_segment_wavefront_offset 0
		.amdhsa_system_sgpr_workgroup_id_x 1
		.amdhsa_system_sgpr_workgroup_id_y 0
		.amdhsa_system_sgpr_workgroup_id_z 0
		.amdhsa_system_sgpr_workgroup_info 0
		.amdhsa_system_vgpr_workitem_id 0
		.amdhsa_next_free_vgpr 1
		.amdhsa_next_free_sgpr 1
		.amdhsa_reserve_vcc 0
		.amdhsa_reserve_flat_scratch 0
		.amdhsa_float_round_mode_32 0
		.amdhsa_float_round_mode_16_64 0
		.amdhsa_float_denorm_mode_32 3
		.amdhsa_float_denorm_mode_16_64 3
		.amdhsa_dx10_clamp 1
		.amdhsa_ieee_mode 1
		.amdhsa_fp16_overflow 0
		.amdhsa_workgroup_processor_mode 1
		.amdhsa_memory_ordered 1
		.amdhsa_forward_progress 1
		.amdhsa_shared_vgpr_count 0
		.amdhsa_exception_fp_ieee_invalid_op 0
		.amdhsa_exception_fp_denorm_src 0
		.amdhsa_exception_fp_ieee_div_zero 0
		.amdhsa_exception_fp_ieee_overflow 0
		.amdhsa_exception_fp_ieee_underflow 0
		.amdhsa_exception_fp_ieee_inexact 0
		.amdhsa_exception_int_div_zero 0
	.end_amdhsa_kernel
	.section	.text._ZN7rocprim17ROCPRIM_400000_NS6detail17trampoline_kernelINS0_14default_configENS1_35radix_sort_onesweep_config_selectorIiNS0_10empty_typeEEEZNS1_34radix_sort_onesweep_global_offsetsIS3_Lb0EN6thrust23THRUST_200600_302600_NS6detail15normal_iteratorINS9_10device_ptrIiEEEEPS5_jNS0_19identity_decomposerEEE10hipError_tT1_T2_PT3_SK_jT4_jjP12ihipStream_tbEUlT_E_NS1_11comp_targetILNS1_3genE0ELNS1_11target_archE4294967295ELNS1_3gpuE0ELNS1_3repE0EEENS1_52radix_sort_onesweep_histogram_config_static_selectorELNS0_4arch9wavefront6targetE0EEEvSI_,"axG",@progbits,_ZN7rocprim17ROCPRIM_400000_NS6detail17trampoline_kernelINS0_14default_configENS1_35radix_sort_onesweep_config_selectorIiNS0_10empty_typeEEEZNS1_34radix_sort_onesweep_global_offsetsIS3_Lb0EN6thrust23THRUST_200600_302600_NS6detail15normal_iteratorINS9_10device_ptrIiEEEEPS5_jNS0_19identity_decomposerEEE10hipError_tT1_T2_PT3_SK_jT4_jjP12ihipStream_tbEUlT_E_NS1_11comp_targetILNS1_3genE0ELNS1_11target_archE4294967295ELNS1_3gpuE0ELNS1_3repE0EEENS1_52radix_sort_onesweep_histogram_config_static_selectorELNS0_4arch9wavefront6targetE0EEEvSI_,comdat
.Lfunc_end132:
	.size	_ZN7rocprim17ROCPRIM_400000_NS6detail17trampoline_kernelINS0_14default_configENS1_35radix_sort_onesweep_config_selectorIiNS0_10empty_typeEEEZNS1_34radix_sort_onesweep_global_offsetsIS3_Lb0EN6thrust23THRUST_200600_302600_NS6detail15normal_iteratorINS9_10device_ptrIiEEEEPS5_jNS0_19identity_decomposerEEE10hipError_tT1_T2_PT3_SK_jT4_jjP12ihipStream_tbEUlT_E_NS1_11comp_targetILNS1_3genE0ELNS1_11target_archE4294967295ELNS1_3gpuE0ELNS1_3repE0EEENS1_52radix_sort_onesweep_histogram_config_static_selectorELNS0_4arch9wavefront6targetE0EEEvSI_, .Lfunc_end132-_ZN7rocprim17ROCPRIM_400000_NS6detail17trampoline_kernelINS0_14default_configENS1_35radix_sort_onesweep_config_selectorIiNS0_10empty_typeEEEZNS1_34radix_sort_onesweep_global_offsetsIS3_Lb0EN6thrust23THRUST_200600_302600_NS6detail15normal_iteratorINS9_10device_ptrIiEEEEPS5_jNS0_19identity_decomposerEEE10hipError_tT1_T2_PT3_SK_jT4_jjP12ihipStream_tbEUlT_E_NS1_11comp_targetILNS1_3genE0ELNS1_11target_archE4294967295ELNS1_3gpuE0ELNS1_3repE0EEENS1_52radix_sort_onesweep_histogram_config_static_selectorELNS0_4arch9wavefront6targetE0EEEvSI_
                                        ; -- End function
	.set _ZN7rocprim17ROCPRIM_400000_NS6detail17trampoline_kernelINS0_14default_configENS1_35radix_sort_onesweep_config_selectorIiNS0_10empty_typeEEEZNS1_34radix_sort_onesweep_global_offsetsIS3_Lb0EN6thrust23THRUST_200600_302600_NS6detail15normal_iteratorINS9_10device_ptrIiEEEEPS5_jNS0_19identity_decomposerEEE10hipError_tT1_T2_PT3_SK_jT4_jjP12ihipStream_tbEUlT_E_NS1_11comp_targetILNS1_3genE0ELNS1_11target_archE4294967295ELNS1_3gpuE0ELNS1_3repE0EEENS1_52radix_sort_onesweep_histogram_config_static_selectorELNS0_4arch9wavefront6targetE0EEEvSI_.num_vgpr, 0
	.set _ZN7rocprim17ROCPRIM_400000_NS6detail17trampoline_kernelINS0_14default_configENS1_35radix_sort_onesweep_config_selectorIiNS0_10empty_typeEEEZNS1_34radix_sort_onesweep_global_offsetsIS3_Lb0EN6thrust23THRUST_200600_302600_NS6detail15normal_iteratorINS9_10device_ptrIiEEEEPS5_jNS0_19identity_decomposerEEE10hipError_tT1_T2_PT3_SK_jT4_jjP12ihipStream_tbEUlT_E_NS1_11comp_targetILNS1_3genE0ELNS1_11target_archE4294967295ELNS1_3gpuE0ELNS1_3repE0EEENS1_52radix_sort_onesweep_histogram_config_static_selectorELNS0_4arch9wavefront6targetE0EEEvSI_.num_agpr, 0
	.set _ZN7rocprim17ROCPRIM_400000_NS6detail17trampoline_kernelINS0_14default_configENS1_35radix_sort_onesweep_config_selectorIiNS0_10empty_typeEEEZNS1_34radix_sort_onesweep_global_offsetsIS3_Lb0EN6thrust23THRUST_200600_302600_NS6detail15normal_iteratorINS9_10device_ptrIiEEEEPS5_jNS0_19identity_decomposerEEE10hipError_tT1_T2_PT3_SK_jT4_jjP12ihipStream_tbEUlT_E_NS1_11comp_targetILNS1_3genE0ELNS1_11target_archE4294967295ELNS1_3gpuE0ELNS1_3repE0EEENS1_52radix_sort_onesweep_histogram_config_static_selectorELNS0_4arch9wavefront6targetE0EEEvSI_.numbered_sgpr, 0
	.set _ZN7rocprim17ROCPRIM_400000_NS6detail17trampoline_kernelINS0_14default_configENS1_35radix_sort_onesweep_config_selectorIiNS0_10empty_typeEEEZNS1_34radix_sort_onesweep_global_offsetsIS3_Lb0EN6thrust23THRUST_200600_302600_NS6detail15normal_iteratorINS9_10device_ptrIiEEEEPS5_jNS0_19identity_decomposerEEE10hipError_tT1_T2_PT3_SK_jT4_jjP12ihipStream_tbEUlT_E_NS1_11comp_targetILNS1_3genE0ELNS1_11target_archE4294967295ELNS1_3gpuE0ELNS1_3repE0EEENS1_52radix_sort_onesweep_histogram_config_static_selectorELNS0_4arch9wavefront6targetE0EEEvSI_.num_named_barrier, 0
	.set _ZN7rocprim17ROCPRIM_400000_NS6detail17trampoline_kernelINS0_14default_configENS1_35radix_sort_onesweep_config_selectorIiNS0_10empty_typeEEEZNS1_34radix_sort_onesweep_global_offsetsIS3_Lb0EN6thrust23THRUST_200600_302600_NS6detail15normal_iteratorINS9_10device_ptrIiEEEEPS5_jNS0_19identity_decomposerEEE10hipError_tT1_T2_PT3_SK_jT4_jjP12ihipStream_tbEUlT_E_NS1_11comp_targetILNS1_3genE0ELNS1_11target_archE4294967295ELNS1_3gpuE0ELNS1_3repE0EEENS1_52radix_sort_onesweep_histogram_config_static_selectorELNS0_4arch9wavefront6targetE0EEEvSI_.private_seg_size, 0
	.set _ZN7rocprim17ROCPRIM_400000_NS6detail17trampoline_kernelINS0_14default_configENS1_35radix_sort_onesweep_config_selectorIiNS0_10empty_typeEEEZNS1_34radix_sort_onesweep_global_offsetsIS3_Lb0EN6thrust23THRUST_200600_302600_NS6detail15normal_iteratorINS9_10device_ptrIiEEEEPS5_jNS0_19identity_decomposerEEE10hipError_tT1_T2_PT3_SK_jT4_jjP12ihipStream_tbEUlT_E_NS1_11comp_targetILNS1_3genE0ELNS1_11target_archE4294967295ELNS1_3gpuE0ELNS1_3repE0EEENS1_52radix_sort_onesweep_histogram_config_static_selectorELNS0_4arch9wavefront6targetE0EEEvSI_.uses_vcc, 0
	.set _ZN7rocprim17ROCPRIM_400000_NS6detail17trampoline_kernelINS0_14default_configENS1_35radix_sort_onesweep_config_selectorIiNS0_10empty_typeEEEZNS1_34radix_sort_onesweep_global_offsetsIS3_Lb0EN6thrust23THRUST_200600_302600_NS6detail15normal_iteratorINS9_10device_ptrIiEEEEPS5_jNS0_19identity_decomposerEEE10hipError_tT1_T2_PT3_SK_jT4_jjP12ihipStream_tbEUlT_E_NS1_11comp_targetILNS1_3genE0ELNS1_11target_archE4294967295ELNS1_3gpuE0ELNS1_3repE0EEENS1_52radix_sort_onesweep_histogram_config_static_selectorELNS0_4arch9wavefront6targetE0EEEvSI_.uses_flat_scratch, 0
	.set _ZN7rocprim17ROCPRIM_400000_NS6detail17trampoline_kernelINS0_14default_configENS1_35radix_sort_onesweep_config_selectorIiNS0_10empty_typeEEEZNS1_34radix_sort_onesweep_global_offsetsIS3_Lb0EN6thrust23THRUST_200600_302600_NS6detail15normal_iteratorINS9_10device_ptrIiEEEEPS5_jNS0_19identity_decomposerEEE10hipError_tT1_T2_PT3_SK_jT4_jjP12ihipStream_tbEUlT_E_NS1_11comp_targetILNS1_3genE0ELNS1_11target_archE4294967295ELNS1_3gpuE0ELNS1_3repE0EEENS1_52radix_sort_onesweep_histogram_config_static_selectorELNS0_4arch9wavefront6targetE0EEEvSI_.has_dyn_sized_stack, 0
	.set _ZN7rocprim17ROCPRIM_400000_NS6detail17trampoline_kernelINS0_14default_configENS1_35radix_sort_onesweep_config_selectorIiNS0_10empty_typeEEEZNS1_34radix_sort_onesweep_global_offsetsIS3_Lb0EN6thrust23THRUST_200600_302600_NS6detail15normal_iteratorINS9_10device_ptrIiEEEEPS5_jNS0_19identity_decomposerEEE10hipError_tT1_T2_PT3_SK_jT4_jjP12ihipStream_tbEUlT_E_NS1_11comp_targetILNS1_3genE0ELNS1_11target_archE4294967295ELNS1_3gpuE0ELNS1_3repE0EEENS1_52radix_sort_onesweep_histogram_config_static_selectorELNS0_4arch9wavefront6targetE0EEEvSI_.has_recursion, 0
	.set _ZN7rocprim17ROCPRIM_400000_NS6detail17trampoline_kernelINS0_14default_configENS1_35radix_sort_onesweep_config_selectorIiNS0_10empty_typeEEEZNS1_34radix_sort_onesweep_global_offsetsIS3_Lb0EN6thrust23THRUST_200600_302600_NS6detail15normal_iteratorINS9_10device_ptrIiEEEEPS5_jNS0_19identity_decomposerEEE10hipError_tT1_T2_PT3_SK_jT4_jjP12ihipStream_tbEUlT_E_NS1_11comp_targetILNS1_3genE0ELNS1_11target_archE4294967295ELNS1_3gpuE0ELNS1_3repE0EEENS1_52radix_sort_onesweep_histogram_config_static_selectorELNS0_4arch9wavefront6targetE0EEEvSI_.has_indirect_call, 0
	.section	.AMDGPU.csdata,"",@progbits
; Kernel info:
; codeLenInByte = 0
; TotalNumSgprs: 0
; NumVgprs: 0
; ScratchSize: 0
; MemoryBound: 0
; FloatMode: 240
; IeeeMode: 1
; LDSByteSize: 0 bytes/workgroup (compile time only)
; SGPRBlocks: 0
; VGPRBlocks: 0
; NumSGPRsForWavesPerEU: 1
; NumVGPRsForWavesPerEU: 1
; Occupancy: 16
; WaveLimiterHint : 0
; COMPUTE_PGM_RSRC2:SCRATCH_EN: 0
; COMPUTE_PGM_RSRC2:USER_SGPR: 6
; COMPUTE_PGM_RSRC2:TRAP_HANDLER: 0
; COMPUTE_PGM_RSRC2:TGID_X_EN: 1
; COMPUTE_PGM_RSRC2:TGID_Y_EN: 0
; COMPUTE_PGM_RSRC2:TGID_Z_EN: 0
; COMPUTE_PGM_RSRC2:TIDIG_COMP_CNT: 0
	.section	.text._ZN7rocprim17ROCPRIM_400000_NS6detail17trampoline_kernelINS0_14default_configENS1_35radix_sort_onesweep_config_selectorIiNS0_10empty_typeEEEZNS1_34radix_sort_onesweep_global_offsetsIS3_Lb0EN6thrust23THRUST_200600_302600_NS6detail15normal_iteratorINS9_10device_ptrIiEEEEPS5_jNS0_19identity_decomposerEEE10hipError_tT1_T2_PT3_SK_jT4_jjP12ihipStream_tbEUlT_E_NS1_11comp_targetILNS1_3genE6ELNS1_11target_archE950ELNS1_3gpuE13ELNS1_3repE0EEENS1_52radix_sort_onesweep_histogram_config_static_selectorELNS0_4arch9wavefront6targetE0EEEvSI_,"axG",@progbits,_ZN7rocprim17ROCPRIM_400000_NS6detail17trampoline_kernelINS0_14default_configENS1_35radix_sort_onesweep_config_selectorIiNS0_10empty_typeEEEZNS1_34radix_sort_onesweep_global_offsetsIS3_Lb0EN6thrust23THRUST_200600_302600_NS6detail15normal_iteratorINS9_10device_ptrIiEEEEPS5_jNS0_19identity_decomposerEEE10hipError_tT1_T2_PT3_SK_jT4_jjP12ihipStream_tbEUlT_E_NS1_11comp_targetILNS1_3genE6ELNS1_11target_archE950ELNS1_3gpuE13ELNS1_3repE0EEENS1_52radix_sort_onesweep_histogram_config_static_selectorELNS0_4arch9wavefront6targetE0EEEvSI_,comdat
	.protected	_ZN7rocprim17ROCPRIM_400000_NS6detail17trampoline_kernelINS0_14default_configENS1_35radix_sort_onesweep_config_selectorIiNS0_10empty_typeEEEZNS1_34radix_sort_onesweep_global_offsetsIS3_Lb0EN6thrust23THRUST_200600_302600_NS6detail15normal_iteratorINS9_10device_ptrIiEEEEPS5_jNS0_19identity_decomposerEEE10hipError_tT1_T2_PT3_SK_jT4_jjP12ihipStream_tbEUlT_E_NS1_11comp_targetILNS1_3genE6ELNS1_11target_archE950ELNS1_3gpuE13ELNS1_3repE0EEENS1_52radix_sort_onesweep_histogram_config_static_selectorELNS0_4arch9wavefront6targetE0EEEvSI_ ; -- Begin function _ZN7rocprim17ROCPRIM_400000_NS6detail17trampoline_kernelINS0_14default_configENS1_35radix_sort_onesweep_config_selectorIiNS0_10empty_typeEEEZNS1_34radix_sort_onesweep_global_offsetsIS3_Lb0EN6thrust23THRUST_200600_302600_NS6detail15normal_iteratorINS9_10device_ptrIiEEEEPS5_jNS0_19identity_decomposerEEE10hipError_tT1_T2_PT3_SK_jT4_jjP12ihipStream_tbEUlT_E_NS1_11comp_targetILNS1_3genE6ELNS1_11target_archE950ELNS1_3gpuE13ELNS1_3repE0EEENS1_52radix_sort_onesweep_histogram_config_static_selectorELNS0_4arch9wavefront6targetE0EEEvSI_
	.globl	_ZN7rocprim17ROCPRIM_400000_NS6detail17trampoline_kernelINS0_14default_configENS1_35radix_sort_onesweep_config_selectorIiNS0_10empty_typeEEEZNS1_34radix_sort_onesweep_global_offsetsIS3_Lb0EN6thrust23THRUST_200600_302600_NS6detail15normal_iteratorINS9_10device_ptrIiEEEEPS5_jNS0_19identity_decomposerEEE10hipError_tT1_T2_PT3_SK_jT4_jjP12ihipStream_tbEUlT_E_NS1_11comp_targetILNS1_3genE6ELNS1_11target_archE950ELNS1_3gpuE13ELNS1_3repE0EEENS1_52radix_sort_onesweep_histogram_config_static_selectorELNS0_4arch9wavefront6targetE0EEEvSI_
	.p2align	8
	.type	_ZN7rocprim17ROCPRIM_400000_NS6detail17trampoline_kernelINS0_14default_configENS1_35radix_sort_onesweep_config_selectorIiNS0_10empty_typeEEEZNS1_34radix_sort_onesweep_global_offsetsIS3_Lb0EN6thrust23THRUST_200600_302600_NS6detail15normal_iteratorINS9_10device_ptrIiEEEEPS5_jNS0_19identity_decomposerEEE10hipError_tT1_T2_PT3_SK_jT4_jjP12ihipStream_tbEUlT_E_NS1_11comp_targetILNS1_3genE6ELNS1_11target_archE950ELNS1_3gpuE13ELNS1_3repE0EEENS1_52radix_sort_onesweep_histogram_config_static_selectorELNS0_4arch9wavefront6targetE0EEEvSI_,@function
_ZN7rocprim17ROCPRIM_400000_NS6detail17trampoline_kernelINS0_14default_configENS1_35radix_sort_onesweep_config_selectorIiNS0_10empty_typeEEEZNS1_34radix_sort_onesweep_global_offsetsIS3_Lb0EN6thrust23THRUST_200600_302600_NS6detail15normal_iteratorINS9_10device_ptrIiEEEEPS5_jNS0_19identity_decomposerEEE10hipError_tT1_T2_PT3_SK_jT4_jjP12ihipStream_tbEUlT_E_NS1_11comp_targetILNS1_3genE6ELNS1_11target_archE950ELNS1_3gpuE13ELNS1_3repE0EEENS1_52radix_sort_onesweep_histogram_config_static_selectorELNS0_4arch9wavefront6targetE0EEEvSI_: ; @_ZN7rocprim17ROCPRIM_400000_NS6detail17trampoline_kernelINS0_14default_configENS1_35radix_sort_onesweep_config_selectorIiNS0_10empty_typeEEEZNS1_34radix_sort_onesweep_global_offsetsIS3_Lb0EN6thrust23THRUST_200600_302600_NS6detail15normal_iteratorINS9_10device_ptrIiEEEEPS5_jNS0_19identity_decomposerEEE10hipError_tT1_T2_PT3_SK_jT4_jjP12ihipStream_tbEUlT_E_NS1_11comp_targetILNS1_3genE6ELNS1_11target_archE950ELNS1_3gpuE13ELNS1_3repE0EEENS1_52radix_sort_onesweep_histogram_config_static_selectorELNS0_4arch9wavefront6targetE0EEEvSI_
; %bb.0:
	.section	.rodata,"a",@progbits
	.p2align	6, 0x0
	.amdhsa_kernel _ZN7rocprim17ROCPRIM_400000_NS6detail17trampoline_kernelINS0_14default_configENS1_35radix_sort_onesweep_config_selectorIiNS0_10empty_typeEEEZNS1_34radix_sort_onesweep_global_offsetsIS3_Lb0EN6thrust23THRUST_200600_302600_NS6detail15normal_iteratorINS9_10device_ptrIiEEEEPS5_jNS0_19identity_decomposerEEE10hipError_tT1_T2_PT3_SK_jT4_jjP12ihipStream_tbEUlT_E_NS1_11comp_targetILNS1_3genE6ELNS1_11target_archE950ELNS1_3gpuE13ELNS1_3repE0EEENS1_52radix_sort_onesweep_histogram_config_static_selectorELNS0_4arch9wavefront6targetE0EEEvSI_
		.amdhsa_group_segment_fixed_size 0
		.amdhsa_private_segment_fixed_size 0
		.amdhsa_kernarg_size 40
		.amdhsa_user_sgpr_count 6
		.amdhsa_user_sgpr_private_segment_buffer 1
		.amdhsa_user_sgpr_dispatch_ptr 0
		.amdhsa_user_sgpr_queue_ptr 0
		.amdhsa_user_sgpr_kernarg_segment_ptr 1
		.amdhsa_user_sgpr_dispatch_id 0
		.amdhsa_user_sgpr_flat_scratch_init 0
		.amdhsa_user_sgpr_private_segment_size 0
		.amdhsa_wavefront_size32 1
		.amdhsa_uses_dynamic_stack 0
		.amdhsa_system_sgpr_private_segment_wavefront_offset 0
		.amdhsa_system_sgpr_workgroup_id_x 1
		.amdhsa_system_sgpr_workgroup_id_y 0
		.amdhsa_system_sgpr_workgroup_id_z 0
		.amdhsa_system_sgpr_workgroup_info 0
		.amdhsa_system_vgpr_workitem_id 0
		.amdhsa_next_free_vgpr 1
		.amdhsa_next_free_sgpr 1
		.amdhsa_reserve_vcc 0
		.amdhsa_reserve_flat_scratch 0
		.amdhsa_float_round_mode_32 0
		.amdhsa_float_round_mode_16_64 0
		.amdhsa_float_denorm_mode_32 3
		.amdhsa_float_denorm_mode_16_64 3
		.amdhsa_dx10_clamp 1
		.amdhsa_ieee_mode 1
		.amdhsa_fp16_overflow 0
		.amdhsa_workgroup_processor_mode 1
		.amdhsa_memory_ordered 1
		.amdhsa_forward_progress 1
		.amdhsa_shared_vgpr_count 0
		.amdhsa_exception_fp_ieee_invalid_op 0
		.amdhsa_exception_fp_denorm_src 0
		.amdhsa_exception_fp_ieee_div_zero 0
		.amdhsa_exception_fp_ieee_overflow 0
		.amdhsa_exception_fp_ieee_underflow 0
		.amdhsa_exception_fp_ieee_inexact 0
		.amdhsa_exception_int_div_zero 0
	.end_amdhsa_kernel
	.section	.text._ZN7rocprim17ROCPRIM_400000_NS6detail17trampoline_kernelINS0_14default_configENS1_35radix_sort_onesweep_config_selectorIiNS0_10empty_typeEEEZNS1_34radix_sort_onesweep_global_offsetsIS3_Lb0EN6thrust23THRUST_200600_302600_NS6detail15normal_iteratorINS9_10device_ptrIiEEEEPS5_jNS0_19identity_decomposerEEE10hipError_tT1_T2_PT3_SK_jT4_jjP12ihipStream_tbEUlT_E_NS1_11comp_targetILNS1_3genE6ELNS1_11target_archE950ELNS1_3gpuE13ELNS1_3repE0EEENS1_52radix_sort_onesweep_histogram_config_static_selectorELNS0_4arch9wavefront6targetE0EEEvSI_,"axG",@progbits,_ZN7rocprim17ROCPRIM_400000_NS6detail17trampoline_kernelINS0_14default_configENS1_35radix_sort_onesweep_config_selectorIiNS0_10empty_typeEEEZNS1_34radix_sort_onesweep_global_offsetsIS3_Lb0EN6thrust23THRUST_200600_302600_NS6detail15normal_iteratorINS9_10device_ptrIiEEEEPS5_jNS0_19identity_decomposerEEE10hipError_tT1_T2_PT3_SK_jT4_jjP12ihipStream_tbEUlT_E_NS1_11comp_targetILNS1_3genE6ELNS1_11target_archE950ELNS1_3gpuE13ELNS1_3repE0EEENS1_52radix_sort_onesweep_histogram_config_static_selectorELNS0_4arch9wavefront6targetE0EEEvSI_,comdat
.Lfunc_end133:
	.size	_ZN7rocprim17ROCPRIM_400000_NS6detail17trampoline_kernelINS0_14default_configENS1_35radix_sort_onesweep_config_selectorIiNS0_10empty_typeEEEZNS1_34radix_sort_onesweep_global_offsetsIS3_Lb0EN6thrust23THRUST_200600_302600_NS6detail15normal_iteratorINS9_10device_ptrIiEEEEPS5_jNS0_19identity_decomposerEEE10hipError_tT1_T2_PT3_SK_jT4_jjP12ihipStream_tbEUlT_E_NS1_11comp_targetILNS1_3genE6ELNS1_11target_archE950ELNS1_3gpuE13ELNS1_3repE0EEENS1_52radix_sort_onesweep_histogram_config_static_selectorELNS0_4arch9wavefront6targetE0EEEvSI_, .Lfunc_end133-_ZN7rocprim17ROCPRIM_400000_NS6detail17trampoline_kernelINS0_14default_configENS1_35radix_sort_onesweep_config_selectorIiNS0_10empty_typeEEEZNS1_34radix_sort_onesweep_global_offsetsIS3_Lb0EN6thrust23THRUST_200600_302600_NS6detail15normal_iteratorINS9_10device_ptrIiEEEEPS5_jNS0_19identity_decomposerEEE10hipError_tT1_T2_PT3_SK_jT4_jjP12ihipStream_tbEUlT_E_NS1_11comp_targetILNS1_3genE6ELNS1_11target_archE950ELNS1_3gpuE13ELNS1_3repE0EEENS1_52radix_sort_onesweep_histogram_config_static_selectorELNS0_4arch9wavefront6targetE0EEEvSI_
                                        ; -- End function
	.set _ZN7rocprim17ROCPRIM_400000_NS6detail17trampoline_kernelINS0_14default_configENS1_35radix_sort_onesweep_config_selectorIiNS0_10empty_typeEEEZNS1_34radix_sort_onesweep_global_offsetsIS3_Lb0EN6thrust23THRUST_200600_302600_NS6detail15normal_iteratorINS9_10device_ptrIiEEEEPS5_jNS0_19identity_decomposerEEE10hipError_tT1_T2_PT3_SK_jT4_jjP12ihipStream_tbEUlT_E_NS1_11comp_targetILNS1_3genE6ELNS1_11target_archE950ELNS1_3gpuE13ELNS1_3repE0EEENS1_52radix_sort_onesweep_histogram_config_static_selectorELNS0_4arch9wavefront6targetE0EEEvSI_.num_vgpr, 0
	.set _ZN7rocprim17ROCPRIM_400000_NS6detail17trampoline_kernelINS0_14default_configENS1_35radix_sort_onesweep_config_selectorIiNS0_10empty_typeEEEZNS1_34radix_sort_onesweep_global_offsetsIS3_Lb0EN6thrust23THRUST_200600_302600_NS6detail15normal_iteratorINS9_10device_ptrIiEEEEPS5_jNS0_19identity_decomposerEEE10hipError_tT1_T2_PT3_SK_jT4_jjP12ihipStream_tbEUlT_E_NS1_11comp_targetILNS1_3genE6ELNS1_11target_archE950ELNS1_3gpuE13ELNS1_3repE0EEENS1_52radix_sort_onesweep_histogram_config_static_selectorELNS0_4arch9wavefront6targetE0EEEvSI_.num_agpr, 0
	.set _ZN7rocprim17ROCPRIM_400000_NS6detail17trampoline_kernelINS0_14default_configENS1_35radix_sort_onesweep_config_selectorIiNS0_10empty_typeEEEZNS1_34radix_sort_onesweep_global_offsetsIS3_Lb0EN6thrust23THRUST_200600_302600_NS6detail15normal_iteratorINS9_10device_ptrIiEEEEPS5_jNS0_19identity_decomposerEEE10hipError_tT1_T2_PT3_SK_jT4_jjP12ihipStream_tbEUlT_E_NS1_11comp_targetILNS1_3genE6ELNS1_11target_archE950ELNS1_3gpuE13ELNS1_3repE0EEENS1_52radix_sort_onesweep_histogram_config_static_selectorELNS0_4arch9wavefront6targetE0EEEvSI_.numbered_sgpr, 0
	.set _ZN7rocprim17ROCPRIM_400000_NS6detail17trampoline_kernelINS0_14default_configENS1_35radix_sort_onesweep_config_selectorIiNS0_10empty_typeEEEZNS1_34radix_sort_onesweep_global_offsetsIS3_Lb0EN6thrust23THRUST_200600_302600_NS6detail15normal_iteratorINS9_10device_ptrIiEEEEPS5_jNS0_19identity_decomposerEEE10hipError_tT1_T2_PT3_SK_jT4_jjP12ihipStream_tbEUlT_E_NS1_11comp_targetILNS1_3genE6ELNS1_11target_archE950ELNS1_3gpuE13ELNS1_3repE0EEENS1_52radix_sort_onesweep_histogram_config_static_selectorELNS0_4arch9wavefront6targetE0EEEvSI_.num_named_barrier, 0
	.set _ZN7rocprim17ROCPRIM_400000_NS6detail17trampoline_kernelINS0_14default_configENS1_35radix_sort_onesweep_config_selectorIiNS0_10empty_typeEEEZNS1_34radix_sort_onesweep_global_offsetsIS3_Lb0EN6thrust23THRUST_200600_302600_NS6detail15normal_iteratorINS9_10device_ptrIiEEEEPS5_jNS0_19identity_decomposerEEE10hipError_tT1_T2_PT3_SK_jT4_jjP12ihipStream_tbEUlT_E_NS1_11comp_targetILNS1_3genE6ELNS1_11target_archE950ELNS1_3gpuE13ELNS1_3repE0EEENS1_52radix_sort_onesweep_histogram_config_static_selectorELNS0_4arch9wavefront6targetE0EEEvSI_.private_seg_size, 0
	.set _ZN7rocprim17ROCPRIM_400000_NS6detail17trampoline_kernelINS0_14default_configENS1_35radix_sort_onesweep_config_selectorIiNS0_10empty_typeEEEZNS1_34radix_sort_onesweep_global_offsetsIS3_Lb0EN6thrust23THRUST_200600_302600_NS6detail15normal_iteratorINS9_10device_ptrIiEEEEPS5_jNS0_19identity_decomposerEEE10hipError_tT1_T2_PT3_SK_jT4_jjP12ihipStream_tbEUlT_E_NS1_11comp_targetILNS1_3genE6ELNS1_11target_archE950ELNS1_3gpuE13ELNS1_3repE0EEENS1_52radix_sort_onesweep_histogram_config_static_selectorELNS0_4arch9wavefront6targetE0EEEvSI_.uses_vcc, 0
	.set _ZN7rocprim17ROCPRIM_400000_NS6detail17trampoline_kernelINS0_14default_configENS1_35radix_sort_onesweep_config_selectorIiNS0_10empty_typeEEEZNS1_34radix_sort_onesweep_global_offsetsIS3_Lb0EN6thrust23THRUST_200600_302600_NS6detail15normal_iteratorINS9_10device_ptrIiEEEEPS5_jNS0_19identity_decomposerEEE10hipError_tT1_T2_PT3_SK_jT4_jjP12ihipStream_tbEUlT_E_NS1_11comp_targetILNS1_3genE6ELNS1_11target_archE950ELNS1_3gpuE13ELNS1_3repE0EEENS1_52radix_sort_onesweep_histogram_config_static_selectorELNS0_4arch9wavefront6targetE0EEEvSI_.uses_flat_scratch, 0
	.set _ZN7rocprim17ROCPRIM_400000_NS6detail17trampoline_kernelINS0_14default_configENS1_35radix_sort_onesweep_config_selectorIiNS0_10empty_typeEEEZNS1_34radix_sort_onesweep_global_offsetsIS3_Lb0EN6thrust23THRUST_200600_302600_NS6detail15normal_iteratorINS9_10device_ptrIiEEEEPS5_jNS0_19identity_decomposerEEE10hipError_tT1_T2_PT3_SK_jT4_jjP12ihipStream_tbEUlT_E_NS1_11comp_targetILNS1_3genE6ELNS1_11target_archE950ELNS1_3gpuE13ELNS1_3repE0EEENS1_52radix_sort_onesweep_histogram_config_static_selectorELNS0_4arch9wavefront6targetE0EEEvSI_.has_dyn_sized_stack, 0
	.set _ZN7rocprim17ROCPRIM_400000_NS6detail17trampoline_kernelINS0_14default_configENS1_35radix_sort_onesweep_config_selectorIiNS0_10empty_typeEEEZNS1_34radix_sort_onesweep_global_offsetsIS3_Lb0EN6thrust23THRUST_200600_302600_NS6detail15normal_iteratorINS9_10device_ptrIiEEEEPS5_jNS0_19identity_decomposerEEE10hipError_tT1_T2_PT3_SK_jT4_jjP12ihipStream_tbEUlT_E_NS1_11comp_targetILNS1_3genE6ELNS1_11target_archE950ELNS1_3gpuE13ELNS1_3repE0EEENS1_52radix_sort_onesweep_histogram_config_static_selectorELNS0_4arch9wavefront6targetE0EEEvSI_.has_recursion, 0
	.set _ZN7rocprim17ROCPRIM_400000_NS6detail17trampoline_kernelINS0_14default_configENS1_35radix_sort_onesweep_config_selectorIiNS0_10empty_typeEEEZNS1_34radix_sort_onesweep_global_offsetsIS3_Lb0EN6thrust23THRUST_200600_302600_NS6detail15normal_iteratorINS9_10device_ptrIiEEEEPS5_jNS0_19identity_decomposerEEE10hipError_tT1_T2_PT3_SK_jT4_jjP12ihipStream_tbEUlT_E_NS1_11comp_targetILNS1_3genE6ELNS1_11target_archE950ELNS1_3gpuE13ELNS1_3repE0EEENS1_52radix_sort_onesweep_histogram_config_static_selectorELNS0_4arch9wavefront6targetE0EEEvSI_.has_indirect_call, 0
	.section	.AMDGPU.csdata,"",@progbits
; Kernel info:
; codeLenInByte = 0
; TotalNumSgprs: 0
; NumVgprs: 0
; ScratchSize: 0
; MemoryBound: 0
; FloatMode: 240
; IeeeMode: 1
; LDSByteSize: 0 bytes/workgroup (compile time only)
; SGPRBlocks: 0
; VGPRBlocks: 0
; NumSGPRsForWavesPerEU: 1
; NumVGPRsForWavesPerEU: 1
; Occupancy: 16
; WaveLimiterHint : 0
; COMPUTE_PGM_RSRC2:SCRATCH_EN: 0
; COMPUTE_PGM_RSRC2:USER_SGPR: 6
; COMPUTE_PGM_RSRC2:TRAP_HANDLER: 0
; COMPUTE_PGM_RSRC2:TGID_X_EN: 1
; COMPUTE_PGM_RSRC2:TGID_Y_EN: 0
; COMPUTE_PGM_RSRC2:TGID_Z_EN: 0
; COMPUTE_PGM_RSRC2:TIDIG_COMP_CNT: 0
	.section	.text._ZN7rocprim17ROCPRIM_400000_NS6detail17trampoline_kernelINS0_14default_configENS1_35radix_sort_onesweep_config_selectorIiNS0_10empty_typeEEEZNS1_34radix_sort_onesweep_global_offsetsIS3_Lb0EN6thrust23THRUST_200600_302600_NS6detail15normal_iteratorINS9_10device_ptrIiEEEEPS5_jNS0_19identity_decomposerEEE10hipError_tT1_T2_PT3_SK_jT4_jjP12ihipStream_tbEUlT_E_NS1_11comp_targetILNS1_3genE5ELNS1_11target_archE942ELNS1_3gpuE9ELNS1_3repE0EEENS1_52radix_sort_onesweep_histogram_config_static_selectorELNS0_4arch9wavefront6targetE0EEEvSI_,"axG",@progbits,_ZN7rocprim17ROCPRIM_400000_NS6detail17trampoline_kernelINS0_14default_configENS1_35radix_sort_onesweep_config_selectorIiNS0_10empty_typeEEEZNS1_34radix_sort_onesweep_global_offsetsIS3_Lb0EN6thrust23THRUST_200600_302600_NS6detail15normal_iteratorINS9_10device_ptrIiEEEEPS5_jNS0_19identity_decomposerEEE10hipError_tT1_T2_PT3_SK_jT4_jjP12ihipStream_tbEUlT_E_NS1_11comp_targetILNS1_3genE5ELNS1_11target_archE942ELNS1_3gpuE9ELNS1_3repE0EEENS1_52radix_sort_onesweep_histogram_config_static_selectorELNS0_4arch9wavefront6targetE0EEEvSI_,comdat
	.protected	_ZN7rocprim17ROCPRIM_400000_NS6detail17trampoline_kernelINS0_14default_configENS1_35radix_sort_onesweep_config_selectorIiNS0_10empty_typeEEEZNS1_34radix_sort_onesweep_global_offsetsIS3_Lb0EN6thrust23THRUST_200600_302600_NS6detail15normal_iteratorINS9_10device_ptrIiEEEEPS5_jNS0_19identity_decomposerEEE10hipError_tT1_T2_PT3_SK_jT4_jjP12ihipStream_tbEUlT_E_NS1_11comp_targetILNS1_3genE5ELNS1_11target_archE942ELNS1_3gpuE9ELNS1_3repE0EEENS1_52radix_sort_onesweep_histogram_config_static_selectorELNS0_4arch9wavefront6targetE0EEEvSI_ ; -- Begin function _ZN7rocprim17ROCPRIM_400000_NS6detail17trampoline_kernelINS0_14default_configENS1_35radix_sort_onesweep_config_selectorIiNS0_10empty_typeEEEZNS1_34radix_sort_onesweep_global_offsetsIS3_Lb0EN6thrust23THRUST_200600_302600_NS6detail15normal_iteratorINS9_10device_ptrIiEEEEPS5_jNS0_19identity_decomposerEEE10hipError_tT1_T2_PT3_SK_jT4_jjP12ihipStream_tbEUlT_E_NS1_11comp_targetILNS1_3genE5ELNS1_11target_archE942ELNS1_3gpuE9ELNS1_3repE0EEENS1_52radix_sort_onesweep_histogram_config_static_selectorELNS0_4arch9wavefront6targetE0EEEvSI_
	.globl	_ZN7rocprim17ROCPRIM_400000_NS6detail17trampoline_kernelINS0_14default_configENS1_35radix_sort_onesweep_config_selectorIiNS0_10empty_typeEEEZNS1_34radix_sort_onesweep_global_offsetsIS3_Lb0EN6thrust23THRUST_200600_302600_NS6detail15normal_iteratorINS9_10device_ptrIiEEEEPS5_jNS0_19identity_decomposerEEE10hipError_tT1_T2_PT3_SK_jT4_jjP12ihipStream_tbEUlT_E_NS1_11comp_targetILNS1_3genE5ELNS1_11target_archE942ELNS1_3gpuE9ELNS1_3repE0EEENS1_52radix_sort_onesweep_histogram_config_static_selectorELNS0_4arch9wavefront6targetE0EEEvSI_
	.p2align	8
	.type	_ZN7rocprim17ROCPRIM_400000_NS6detail17trampoline_kernelINS0_14default_configENS1_35radix_sort_onesweep_config_selectorIiNS0_10empty_typeEEEZNS1_34radix_sort_onesweep_global_offsetsIS3_Lb0EN6thrust23THRUST_200600_302600_NS6detail15normal_iteratorINS9_10device_ptrIiEEEEPS5_jNS0_19identity_decomposerEEE10hipError_tT1_T2_PT3_SK_jT4_jjP12ihipStream_tbEUlT_E_NS1_11comp_targetILNS1_3genE5ELNS1_11target_archE942ELNS1_3gpuE9ELNS1_3repE0EEENS1_52radix_sort_onesweep_histogram_config_static_selectorELNS0_4arch9wavefront6targetE0EEEvSI_,@function
_ZN7rocprim17ROCPRIM_400000_NS6detail17trampoline_kernelINS0_14default_configENS1_35radix_sort_onesweep_config_selectorIiNS0_10empty_typeEEEZNS1_34radix_sort_onesweep_global_offsetsIS3_Lb0EN6thrust23THRUST_200600_302600_NS6detail15normal_iteratorINS9_10device_ptrIiEEEEPS5_jNS0_19identity_decomposerEEE10hipError_tT1_T2_PT3_SK_jT4_jjP12ihipStream_tbEUlT_E_NS1_11comp_targetILNS1_3genE5ELNS1_11target_archE942ELNS1_3gpuE9ELNS1_3repE0EEENS1_52radix_sort_onesweep_histogram_config_static_selectorELNS0_4arch9wavefront6targetE0EEEvSI_: ; @_ZN7rocprim17ROCPRIM_400000_NS6detail17trampoline_kernelINS0_14default_configENS1_35radix_sort_onesweep_config_selectorIiNS0_10empty_typeEEEZNS1_34radix_sort_onesweep_global_offsetsIS3_Lb0EN6thrust23THRUST_200600_302600_NS6detail15normal_iteratorINS9_10device_ptrIiEEEEPS5_jNS0_19identity_decomposerEEE10hipError_tT1_T2_PT3_SK_jT4_jjP12ihipStream_tbEUlT_E_NS1_11comp_targetILNS1_3genE5ELNS1_11target_archE942ELNS1_3gpuE9ELNS1_3repE0EEENS1_52radix_sort_onesweep_histogram_config_static_selectorELNS0_4arch9wavefront6targetE0EEEvSI_
; %bb.0:
	.section	.rodata,"a",@progbits
	.p2align	6, 0x0
	.amdhsa_kernel _ZN7rocprim17ROCPRIM_400000_NS6detail17trampoline_kernelINS0_14default_configENS1_35radix_sort_onesweep_config_selectorIiNS0_10empty_typeEEEZNS1_34radix_sort_onesweep_global_offsetsIS3_Lb0EN6thrust23THRUST_200600_302600_NS6detail15normal_iteratorINS9_10device_ptrIiEEEEPS5_jNS0_19identity_decomposerEEE10hipError_tT1_T2_PT3_SK_jT4_jjP12ihipStream_tbEUlT_E_NS1_11comp_targetILNS1_3genE5ELNS1_11target_archE942ELNS1_3gpuE9ELNS1_3repE0EEENS1_52radix_sort_onesweep_histogram_config_static_selectorELNS0_4arch9wavefront6targetE0EEEvSI_
		.amdhsa_group_segment_fixed_size 0
		.amdhsa_private_segment_fixed_size 0
		.amdhsa_kernarg_size 40
		.amdhsa_user_sgpr_count 6
		.amdhsa_user_sgpr_private_segment_buffer 1
		.amdhsa_user_sgpr_dispatch_ptr 0
		.amdhsa_user_sgpr_queue_ptr 0
		.amdhsa_user_sgpr_kernarg_segment_ptr 1
		.amdhsa_user_sgpr_dispatch_id 0
		.amdhsa_user_sgpr_flat_scratch_init 0
		.amdhsa_user_sgpr_private_segment_size 0
		.amdhsa_wavefront_size32 1
		.amdhsa_uses_dynamic_stack 0
		.amdhsa_system_sgpr_private_segment_wavefront_offset 0
		.amdhsa_system_sgpr_workgroup_id_x 1
		.amdhsa_system_sgpr_workgroup_id_y 0
		.amdhsa_system_sgpr_workgroup_id_z 0
		.amdhsa_system_sgpr_workgroup_info 0
		.amdhsa_system_vgpr_workitem_id 0
		.amdhsa_next_free_vgpr 1
		.amdhsa_next_free_sgpr 1
		.amdhsa_reserve_vcc 0
		.amdhsa_reserve_flat_scratch 0
		.amdhsa_float_round_mode_32 0
		.amdhsa_float_round_mode_16_64 0
		.amdhsa_float_denorm_mode_32 3
		.amdhsa_float_denorm_mode_16_64 3
		.amdhsa_dx10_clamp 1
		.amdhsa_ieee_mode 1
		.amdhsa_fp16_overflow 0
		.amdhsa_workgroup_processor_mode 1
		.amdhsa_memory_ordered 1
		.amdhsa_forward_progress 1
		.amdhsa_shared_vgpr_count 0
		.amdhsa_exception_fp_ieee_invalid_op 0
		.amdhsa_exception_fp_denorm_src 0
		.amdhsa_exception_fp_ieee_div_zero 0
		.amdhsa_exception_fp_ieee_overflow 0
		.amdhsa_exception_fp_ieee_underflow 0
		.amdhsa_exception_fp_ieee_inexact 0
		.amdhsa_exception_int_div_zero 0
	.end_amdhsa_kernel
	.section	.text._ZN7rocprim17ROCPRIM_400000_NS6detail17trampoline_kernelINS0_14default_configENS1_35radix_sort_onesweep_config_selectorIiNS0_10empty_typeEEEZNS1_34radix_sort_onesweep_global_offsetsIS3_Lb0EN6thrust23THRUST_200600_302600_NS6detail15normal_iteratorINS9_10device_ptrIiEEEEPS5_jNS0_19identity_decomposerEEE10hipError_tT1_T2_PT3_SK_jT4_jjP12ihipStream_tbEUlT_E_NS1_11comp_targetILNS1_3genE5ELNS1_11target_archE942ELNS1_3gpuE9ELNS1_3repE0EEENS1_52radix_sort_onesweep_histogram_config_static_selectorELNS0_4arch9wavefront6targetE0EEEvSI_,"axG",@progbits,_ZN7rocprim17ROCPRIM_400000_NS6detail17trampoline_kernelINS0_14default_configENS1_35radix_sort_onesweep_config_selectorIiNS0_10empty_typeEEEZNS1_34radix_sort_onesweep_global_offsetsIS3_Lb0EN6thrust23THRUST_200600_302600_NS6detail15normal_iteratorINS9_10device_ptrIiEEEEPS5_jNS0_19identity_decomposerEEE10hipError_tT1_T2_PT3_SK_jT4_jjP12ihipStream_tbEUlT_E_NS1_11comp_targetILNS1_3genE5ELNS1_11target_archE942ELNS1_3gpuE9ELNS1_3repE0EEENS1_52radix_sort_onesweep_histogram_config_static_selectorELNS0_4arch9wavefront6targetE0EEEvSI_,comdat
.Lfunc_end134:
	.size	_ZN7rocprim17ROCPRIM_400000_NS6detail17trampoline_kernelINS0_14default_configENS1_35radix_sort_onesweep_config_selectorIiNS0_10empty_typeEEEZNS1_34radix_sort_onesweep_global_offsetsIS3_Lb0EN6thrust23THRUST_200600_302600_NS6detail15normal_iteratorINS9_10device_ptrIiEEEEPS5_jNS0_19identity_decomposerEEE10hipError_tT1_T2_PT3_SK_jT4_jjP12ihipStream_tbEUlT_E_NS1_11comp_targetILNS1_3genE5ELNS1_11target_archE942ELNS1_3gpuE9ELNS1_3repE0EEENS1_52radix_sort_onesweep_histogram_config_static_selectorELNS0_4arch9wavefront6targetE0EEEvSI_, .Lfunc_end134-_ZN7rocprim17ROCPRIM_400000_NS6detail17trampoline_kernelINS0_14default_configENS1_35radix_sort_onesweep_config_selectorIiNS0_10empty_typeEEEZNS1_34radix_sort_onesweep_global_offsetsIS3_Lb0EN6thrust23THRUST_200600_302600_NS6detail15normal_iteratorINS9_10device_ptrIiEEEEPS5_jNS0_19identity_decomposerEEE10hipError_tT1_T2_PT3_SK_jT4_jjP12ihipStream_tbEUlT_E_NS1_11comp_targetILNS1_3genE5ELNS1_11target_archE942ELNS1_3gpuE9ELNS1_3repE0EEENS1_52radix_sort_onesweep_histogram_config_static_selectorELNS0_4arch9wavefront6targetE0EEEvSI_
                                        ; -- End function
	.set _ZN7rocprim17ROCPRIM_400000_NS6detail17trampoline_kernelINS0_14default_configENS1_35radix_sort_onesweep_config_selectorIiNS0_10empty_typeEEEZNS1_34radix_sort_onesweep_global_offsetsIS3_Lb0EN6thrust23THRUST_200600_302600_NS6detail15normal_iteratorINS9_10device_ptrIiEEEEPS5_jNS0_19identity_decomposerEEE10hipError_tT1_T2_PT3_SK_jT4_jjP12ihipStream_tbEUlT_E_NS1_11comp_targetILNS1_3genE5ELNS1_11target_archE942ELNS1_3gpuE9ELNS1_3repE0EEENS1_52radix_sort_onesweep_histogram_config_static_selectorELNS0_4arch9wavefront6targetE0EEEvSI_.num_vgpr, 0
	.set _ZN7rocprim17ROCPRIM_400000_NS6detail17trampoline_kernelINS0_14default_configENS1_35radix_sort_onesweep_config_selectorIiNS0_10empty_typeEEEZNS1_34radix_sort_onesweep_global_offsetsIS3_Lb0EN6thrust23THRUST_200600_302600_NS6detail15normal_iteratorINS9_10device_ptrIiEEEEPS5_jNS0_19identity_decomposerEEE10hipError_tT1_T2_PT3_SK_jT4_jjP12ihipStream_tbEUlT_E_NS1_11comp_targetILNS1_3genE5ELNS1_11target_archE942ELNS1_3gpuE9ELNS1_3repE0EEENS1_52radix_sort_onesweep_histogram_config_static_selectorELNS0_4arch9wavefront6targetE0EEEvSI_.num_agpr, 0
	.set _ZN7rocprim17ROCPRIM_400000_NS6detail17trampoline_kernelINS0_14default_configENS1_35radix_sort_onesweep_config_selectorIiNS0_10empty_typeEEEZNS1_34radix_sort_onesweep_global_offsetsIS3_Lb0EN6thrust23THRUST_200600_302600_NS6detail15normal_iteratorINS9_10device_ptrIiEEEEPS5_jNS0_19identity_decomposerEEE10hipError_tT1_T2_PT3_SK_jT4_jjP12ihipStream_tbEUlT_E_NS1_11comp_targetILNS1_3genE5ELNS1_11target_archE942ELNS1_3gpuE9ELNS1_3repE0EEENS1_52radix_sort_onesweep_histogram_config_static_selectorELNS0_4arch9wavefront6targetE0EEEvSI_.numbered_sgpr, 0
	.set _ZN7rocprim17ROCPRIM_400000_NS6detail17trampoline_kernelINS0_14default_configENS1_35radix_sort_onesweep_config_selectorIiNS0_10empty_typeEEEZNS1_34radix_sort_onesweep_global_offsetsIS3_Lb0EN6thrust23THRUST_200600_302600_NS6detail15normal_iteratorINS9_10device_ptrIiEEEEPS5_jNS0_19identity_decomposerEEE10hipError_tT1_T2_PT3_SK_jT4_jjP12ihipStream_tbEUlT_E_NS1_11comp_targetILNS1_3genE5ELNS1_11target_archE942ELNS1_3gpuE9ELNS1_3repE0EEENS1_52radix_sort_onesweep_histogram_config_static_selectorELNS0_4arch9wavefront6targetE0EEEvSI_.num_named_barrier, 0
	.set _ZN7rocprim17ROCPRIM_400000_NS6detail17trampoline_kernelINS0_14default_configENS1_35radix_sort_onesweep_config_selectorIiNS0_10empty_typeEEEZNS1_34radix_sort_onesweep_global_offsetsIS3_Lb0EN6thrust23THRUST_200600_302600_NS6detail15normal_iteratorINS9_10device_ptrIiEEEEPS5_jNS0_19identity_decomposerEEE10hipError_tT1_T2_PT3_SK_jT4_jjP12ihipStream_tbEUlT_E_NS1_11comp_targetILNS1_3genE5ELNS1_11target_archE942ELNS1_3gpuE9ELNS1_3repE0EEENS1_52radix_sort_onesweep_histogram_config_static_selectorELNS0_4arch9wavefront6targetE0EEEvSI_.private_seg_size, 0
	.set _ZN7rocprim17ROCPRIM_400000_NS6detail17trampoline_kernelINS0_14default_configENS1_35radix_sort_onesweep_config_selectorIiNS0_10empty_typeEEEZNS1_34radix_sort_onesweep_global_offsetsIS3_Lb0EN6thrust23THRUST_200600_302600_NS6detail15normal_iteratorINS9_10device_ptrIiEEEEPS5_jNS0_19identity_decomposerEEE10hipError_tT1_T2_PT3_SK_jT4_jjP12ihipStream_tbEUlT_E_NS1_11comp_targetILNS1_3genE5ELNS1_11target_archE942ELNS1_3gpuE9ELNS1_3repE0EEENS1_52radix_sort_onesweep_histogram_config_static_selectorELNS0_4arch9wavefront6targetE0EEEvSI_.uses_vcc, 0
	.set _ZN7rocprim17ROCPRIM_400000_NS6detail17trampoline_kernelINS0_14default_configENS1_35radix_sort_onesweep_config_selectorIiNS0_10empty_typeEEEZNS1_34radix_sort_onesweep_global_offsetsIS3_Lb0EN6thrust23THRUST_200600_302600_NS6detail15normal_iteratorINS9_10device_ptrIiEEEEPS5_jNS0_19identity_decomposerEEE10hipError_tT1_T2_PT3_SK_jT4_jjP12ihipStream_tbEUlT_E_NS1_11comp_targetILNS1_3genE5ELNS1_11target_archE942ELNS1_3gpuE9ELNS1_3repE0EEENS1_52radix_sort_onesweep_histogram_config_static_selectorELNS0_4arch9wavefront6targetE0EEEvSI_.uses_flat_scratch, 0
	.set _ZN7rocprim17ROCPRIM_400000_NS6detail17trampoline_kernelINS0_14default_configENS1_35radix_sort_onesweep_config_selectorIiNS0_10empty_typeEEEZNS1_34radix_sort_onesweep_global_offsetsIS3_Lb0EN6thrust23THRUST_200600_302600_NS6detail15normal_iteratorINS9_10device_ptrIiEEEEPS5_jNS0_19identity_decomposerEEE10hipError_tT1_T2_PT3_SK_jT4_jjP12ihipStream_tbEUlT_E_NS1_11comp_targetILNS1_3genE5ELNS1_11target_archE942ELNS1_3gpuE9ELNS1_3repE0EEENS1_52radix_sort_onesweep_histogram_config_static_selectorELNS0_4arch9wavefront6targetE0EEEvSI_.has_dyn_sized_stack, 0
	.set _ZN7rocprim17ROCPRIM_400000_NS6detail17trampoline_kernelINS0_14default_configENS1_35radix_sort_onesweep_config_selectorIiNS0_10empty_typeEEEZNS1_34radix_sort_onesweep_global_offsetsIS3_Lb0EN6thrust23THRUST_200600_302600_NS6detail15normal_iteratorINS9_10device_ptrIiEEEEPS5_jNS0_19identity_decomposerEEE10hipError_tT1_T2_PT3_SK_jT4_jjP12ihipStream_tbEUlT_E_NS1_11comp_targetILNS1_3genE5ELNS1_11target_archE942ELNS1_3gpuE9ELNS1_3repE0EEENS1_52radix_sort_onesweep_histogram_config_static_selectorELNS0_4arch9wavefront6targetE0EEEvSI_.has_recursion, 0
	.set _ZN7rocprim17ROCPRIM_400000_NS6detail17trampoline_kernelINS0_14default_configENS1_35radix_sort_onesweep_config_selectorIiNS0_10empty_typeEEEZNS1_34radix_sort_onesweep_global_offsetsIS3_Lb0EN6thrust23THRUST_200600_302600_NS6detail15normal_iteratorINS9_10device_ptrIiEEEEPS5_jNS0_19identity_decomposerEEE10hipError_tT1_T2_PT3_SK_jT4_jjP12ihipStream_tbEUlT_E_NS1_11comp_targetILNS1_3genE5ELNS1_11target_archE942ELNS1_3gpuE9ELNS1_3repE0EEENS1_52radix_sort_onesweep_histogram_config_static_selectorELNS0_4arch9wavefront6targetE0EEEvSI_.has_indirect_call, 0
	.section	.AMDGPU.csdata,"",@progbits
; Kernel info:
; codeLenInByte = 0
; TotalNumSgprs: 0
; NumVgprs: 0
; ScratchSize: 0
; MemoryBound: 0
; FloatMode: 240
; IeeeMode: 1
; LDSByteSize: 0 bytes/workgroup (compile time only)
; SGPRBlocks: 0
; VGPRBlocks: 0
; NumSGPRsForWavesPerEU: 1
; NumVGPRsForWavesPerEU: 1
; Occupancy: 16
; WaveLimiterHint : 0
; COMPUTE_PGM_RSRC2:SCRATCH_EN: 0
; COMPUTE_PGM_RSRC2:USER_SGPR: 6
; COMPUTE_PGM_RSRC2:TRAP_HANDLER: 0
; COMPUTE_PGM_RSRC2:TGID_X_EN: 1
; COMPUTE_PGM_RSRC2:TGID_Y_EN: 0
; COMPUTE_PGM_RSRC2:TGID_Z_EN: 0
; COMPUTE_PGM_RSRC2:TIDIG_COMP_CNT: 0
	.section	.text._ZN7rocprim17ROCPRIM_400000_NS6detail17trampoline_kernelINS0_14default_configENS1_35radix_sort_onesweep_config_selectorIiNS0_10empty_typeEEEZNS1_34radix_sort_onesweep_global_offsetsIS3_Lb0EN6thrust23THRUST_200600_302600_NS6detail15normal_iteratorINS9_10device_ptrIiEEEEPS5_jNS0_19identity_decomposerEEE10hipError_tT1_T2_PT3_SK_jT4_jjP12ihipStream_tbEUlT_E_NS1_11comp_targetILNS1_3genE2ELNS1_11target_archE906ELNS1_3gpuE6ELNS1_3repE0EEENS1_52radix_sort_onesweep_histogram_config_static_selectorELNS0_4arch9wavefront6targetE0EEEvSI_,"axG",@progbits,_ZN7rocprim17ROCPRIM_400000_NS6detail17trampoline_kernelINS0_14default_configENS1_35radix_sort_onesweep_config_selectorIiNS0_10empty_typeEEEZNS1_34radix_sort_onesweep_global_offsetsIS3_Lb0EN6thrust23THRUST_200600_302600_NS6detail15normal_iteratorINS9_10device_ptrIiEEEEPS5_jNS0_19identity_decomposerEEE10hipError_tT1_T2_PT3_SK_jT4_jjP12ihipStream_tbEUlT_E_NS1_11comp_targetILNS1_3genE2ELNS1_11target_archE906ELNS1_3gpuE6ELNS1_3repE0EEENS1_52radix_sort_onesweep_histogram_config_static_selectorELNS0_4arch9wavefront6targetE0EEEvSI_,comdat
	.protected	_ZN7rocprim17ROCPRIM_400000_NS6detail17trampoline_kernelINS0_14default_configENS1_35radix_sort_onesweep_config_selectorIiNS0_10empty_typeEEEZNS1_34radix_sort_onesweep_global_offsetsIS3_Lb0EN6thrust23THRUST_200600_302600_NS6detail15normal_iteratorINS9_10device_ptrIiEEEEPS5_jNS0_19identity_decomposerEEE10hipError_tT1_T2_PT3_SK_jT4_jjP12ihipStream_tbEUlT_E_NS1_11comp_targetILNS1_3genE2ELNS1_11target_archE906ELNS1_3gpuE6ELNS1_3repE0EEENS1_52radix_sort_onesweep_histogram_config_static_selectorELNS0_4arch9wavefront6targetE0EEEvSI_ ; -- Begin function _ZN7rocprim17ROCPRIM_400000_NS6detail17trampoline_kernelINS0_14default_configENS1_35radix_sort_onesweep_config_selectorIiNS0_10empty_typeEEEZNS1_34radix_sort_onesweep_global_offsetsIS3_Lb0EN6thrust23THRUST_200600_302600_NS6detail15normal_iteratorINS9_10device_ptrIiEEEEPS5_jNS0_19identity_decomposerEEE10hipError_tT1_T2_PT3_SK_jT4_jjP12ihipStream_tbEUlT_E_NS1_11comp_targetILNS1_3genE2ELNS1_11target_archE906ELNS1_3gpuE6ELNS1_3repE0EEENS1_52radix_sort_onesweep_histogram_config_static_selectorELNS0_4arch9wavefront6targetE0EEEvSI_
	.globl	_ZN7rocprim17ROCPRIM_400000_NS6detail17trampoline_kernelINS0_14default_configENS1_35radix_sort_onesweep_config_selectorIiNS0_10empty_typeEEEZNS1_34radix_sort_onesweep_global_offsetsIS3_Lb0EN6thrust23THRUST_200600_302600_NS6detail15normal_iteratorINS9_10device_ptrIiEEEEPS5_jNS0_19identity_decomposerEEE10hipError_tT1_T2_PT3_SK_jT4_jjP12ihipStream_tbEUlT_E_NS1_11comp_targetILNS1_3genE2ELNS1_11target_archE906ELNS1_3gpuE6ELNS1_3repE0EEENS1_52radix_sort_onesweep_histogram_config_static_selectorELNS0_4arch9wavefront6targetE0EEEvSI_
	.p2align	8
	.type	_ZN7rocprim17ROCPRIM_400000_NS6detail17trampoline_kernelINS0_14default_configENS1_35radix_sort_onesweep_config_selectorIiNS0_10empty_typeEEEZNS1_34radix_sort_onesweep_global_offsetsIS3_Lb0EN6thrust23THRUST_200600_302600_NS6detail15normal_iteratorINS9_10device_ptrIiEEEEPS5_jNS0_19identity_decomposerEEE10hipError_tT1_T2_PT3_SK_jT4_jjP12ihipStream_tbEUlT_E_NS1_11comp_targetILNS1_3genE2ELNS1_11target_archE906ELNS1_3gpuE6ELNS1_3repE0EEENS1_52radix_sort_onesweep_histogram_config_static_selectorELNS0_4arch9wavefront6targetE0EEEvSI_,@function
_ZN7rocprim17ROCPRIM_400000_NS6detail17trampoline_kernelINS0_14default_configENS1_35radix_sort_onesweep_config_selectorIiNS0_10empty_typeEEEZNS1_34radix_sort_onesweep_global_offsetsIS3_Lb0EN6thrust23THRUST_200600_302600_NS6detail15normal_iteratorINS9_10device_ptrIiEEEEPS5_jNS0_19identity_decomposerEEE10hipError_tT1_T2_PT3_SK_jT4_jjP12ihipStream_tbEUlT_E_NS1_11comp_targetILNS1_3genE2ELNS1_11target_archE906ELNS1_3gpuE6ELNS1_3repE0EEENS1_52radix_sort_onesweep_histogram_config_static_selectorELNS0_4arch9wavefront6targetE0EEEvSI_: ; @_ZN7rocprim17ROCPRIM_400000_NS6detail17trampoline_kernelINS0_14default_configENS1_35radix_sort_onesweep_config_selectorIiNS0_10empty_typeEEEZNS1_34radix_sort_onesweep_global_offsetsIS3_Lb0EN6thrust23THRUST_200600_302600_NS6detail15normal_iteratorINS9_10device_ptrIiEEEEPS5_jNS0_19identity_decomposerEEE10hipError_tT1_T2_PT3_SK_jT4_jjP12ihipStream_tbEUlT_E_NS1_11comp_targetILNS1_3genE2ELNS1_11target_archE906ELNS1_3gpuE6ELNS1_3repE0EEENS1_52radix_sort_onesweep_histogram_config_static_selectorELNS0_4arch9wavefront6targetE0EEEvSI_
; %bb.0:
	.section	.rodata,"a",@progbits
	.p2align	6, 0x0
	.amdhsa_kernel _ZN7rocprim17ROCPRIM_400000_NS6detail17trampoline_kernelINS0_14default_configENS1_35radix_sort_onesweep_config_selectorIiNS0_10empty_typeEEEZNS1_34radix_sort_onesweep_global_offsetsIS3_Lb0EN6thrust23THRUST_200600_302600_NS6detail15normal_iteratorINS9_10device_ptrIiEEEEPS5_jNS0_19identity_decomposerEEE10hipError_tT1_T2_PT3_SK_jT4_jjP12ihipStream_tbEUlT_E_NS1_11comp_targetILNS1_3genE2ELNS1_11target_archE906ELNS1_3gpuE6ELNS1_3repE0EEENS1_52radix_sort_onesweep_histogram_config_static_selectorELNS0_4arch9wavefront6targetE0EEEvSI_
		.amdhsa_group_segment_fixed_size 0
		.amdhsa_private_segment_fixed_size 0
		.amdhsa_kernarg_size 40
		.amdhsa_user_sgpr_count 6
		.amdhsa_user_sgpr_private_segment_buffer 1
		.amdhsa_user_sgpr_dispatch_ptr 0
		.amdhsa_user_sgpr_queue_ptr 0
		.amdhsa_user_sgpr_kernarg_segment_ptr 1
		.amdhsa_user_sgpr_dispatch_id 0
		.amdhsa_user_sgpr_flat_scratch_init 0
		.amdhsa_user_sgpr_private_segment_size 0
		.amdhsa_wavefront_size32 1
		.amdhsa_uses_dynamic_stack 0
		.amdhsa_system_sgpr_private_segment_wavefront_offset 0
		.amdhsa_system_sgpr_workgroup_id_x 1
		.amdhsa_system_sgpr_workgroup_id_y 0
		.amdhsa_system_sgpr_workgroup_id_z 0
		.amdhsa_system_sgpr_workgroup_info 0
		.amdhsa_system_vgpr_workitem_id 0
		.amdhsa_next_free_vgpr 1
		.amdhsa_next_free_sgpr 1
		.amdhsa_reserve_vcc 0
		.amdhsa_reserve_flat_scratch 0
		.amdhsa_float_round_mode_32 0
		.amdhsa_float_round_mode_16_64 0
		.amdhsa_float_denorm_mode_32 3
		.amdhsa_float_denorm_mode_16_64 3
		.amdhsa_dx10_clamp 1
		.amdhsa_ieee_mode 1
		.amdhsa_fp16_overflow 0
		.amdhsa_workgroup_processor_mode 1
		.amdhsa_memory_ordered 1
		.amdhsa_forward_progress 1
		.amdhsa_shared_vgpr_count 0
		.amdhsa_exception_fp_ieee_invalid_op 0
		.amdhsa_exception_fp_denorm_src 0
		.amdhsa_exception_fp_ieee_div_zero 0
		.amdhsa_exception_fp_ieee_overflow 0
		.amdhsa_exception_fp_ieee_underflow 0
		.amdhsa_exception_fp_ieee_inexact 0
		.amdhsa_exception_int_div_zero 0
	.end_amdhsa_kernel
	.section	.text._ZN7rocprim17ROCPRIM_400000_NS6detail17trampoline_kernelINS0_14default_configENS1_35radix_sort_onesweep_config_selectorIiNS0_10empty_typeEEEZNS1_34radix_sort_onesweep_global_offsetsIS3_Lb0EN6thrust23THRUST_200600_302600_NS6detail15normal_iteratorINS9_10device_ptrIiEEEEPS5_jNS0_19identity_decomposerEEE10hipError_tT1_T2_PT3_SK_jT4_jjP12ihipStream_tbEUlT_E_NS1_11comp_targetILNS1_3genE2ELNS1_11target_archE906ELNS1_3gpuE6ELNS1_3repE0EEENS1_52radix_sort_onesweep_histogram_config_static_selectorELNS0_4arch9wavefront6targetE0EEEvSI_,"axG",@progbits,_ZN7rocprim17ROCPRIM_400000_NS6detail17trampoline_kernelINS0_14default_configENS1_35radix_sort_onesweep_config_selectorIiNS0_10empty_typeEEEZNS1_34radix_sort_onesweep_global_offsetsIS3_Lb0EN6thrust23THRUST_200600_302600_NS6detail15normal_iteratorINS9_10device_ptrIiEEEEPS5_jNS0_19identity_decomposerEEE10hipError_tT1_T2_PT3_SK_jT4_jjP12ihipStream_tbEUlT_E_NS1_11comp_targetILNS1_3genE2ELNS1_11target_archE906ELNS1_3gpuE6ELNS1_3repE0EEENS1_52radix_sort_onesweep_histogram_config_static_selectorELNS0_4arch9wavefront6targetE0EEEvSI_,comdat
.Lfunc_end135:
	.size	_ZN7rocprim17ROCPRIM_400000_NS6detail17trampoline_kernelINS0_14default_configENS1_35radix_sort_onesweep_config_selectorIiNS0_10empty_typeEEEZNS1_34radix_sort_onesweep_global_offsetsIS3_Lb0EN6thrust23THRUST_200600_302600_NS6detail15normal_iteratorINS9_10device_ptrIiEEEEPS5_jNS0_19identity_decomposerEEE10hipError_tT1_T2_PT3_SK_jT4_jjP12ihipStream_tbEUlT_E_NS1_11comp_targetILNS1_3genE2ELNS1_11target_archE906ELNS1_3gpuE6ELNS1_3repE0EEENS1_52radix_sort_onesweep_histogram_config_static_selectorELNS0_4arch9wavefront6targetE0EEEvSI_, .Lfunc_end135-_ZN7rocprim17ROCPRIM_400000_NS6detail17trampoline_kernelINS0_14default_configENS1_35radix_sort_onesweep_config_selectorIiNS0_10empty_typeEEEZNS1_34radix_sort_onesweep_global_offsetsIS3_Lb0EN6thrust23THRUST_200600_302600_NS6detail15normal_iteratorINS9_10device_ptrIiEEEEPS5_jNS0_19identity_decomposerEEE10hipError_tT1_T2_PT3_SK_jT4_jjP12ihipStream_tbEUlT_E_NS1_11comp_targetILNS1_3genE2ELNS1_11target_archE906ELNS1_3gpuE6ELNS1_3repE0EEENS1_52radix_sort_onesweep_histogram_config_static_selectorELNS0_4arch9wavefront6targetE0EEEvSI_
                                        ; -- End function
	.set _ZN7rocprim17ROCPRIM_400000_NS6detail17trampoline_kernelINS0_14default_configENS1_35radix_sort_onesweep_config_selectorIiNS0_10empty_typeEEEZNS1_34radix_sort_onesweep_global_offsetsIS3_Lb0EN6thrust23THRUST_200600_302600_NS6detail15normal_iteratorINS9_10device_ptrIiEEEEPS5_jNS0_19identity_decomposerEEE10hipError_tT1_T2_PT3_SK_jT4_jjP12ihipStream_tbEUlT_E_NS1_11comp_targetILNS1_3genE2ELNS1_11target_archE906ELNS1_3gpuE6ELNS1_3repE0EEENS1_52radix_sort_onesweep_histogram_config_static_selectorELNS0_4arch9wavefront6targetE0EEEvSI_.num_vgpr, 0
	.set _ZN7rocprim17ROCPRIM_400000_NS6detail17trampoline_kernelINS0_14default_configENS1_35radix_sort_onesweep_config_selectorIiNS0_10empty_typeEEEZNS1_34radix_sort_onesweep_global_offsetsIS3_Lb0EN6thrust23THRUST_200600_302600_NS6detail15normal_iteratorINS9_10device_ptrIiEEEEPS5_jNS0_19identity_decomposerEEE10hipError_tT1_T2_PT3_SK_jT4_jjP12ihipStream_tbEUlT_E_NS1_11comp_targetILNS1_3genE2ELNS1_11target_archE906ELNS1_3gpuE6ELNS1_3repE0EEENS1_52radix_sort_onesweep_histogram_config_static_selectorELNS0_4arch9wavefront6targetE0EEEvSI_.num_agpr, 0
	.set _ZN7rocprim17ROCPRIM_400000_NS6detail17trampoline_kernelINS0_14default_configENS1_35radix_sort_onesweep_config_selectorIiNS0_10empty_typeEEEZNS1_34radix_sort_onesweep_global_offsetsIS3_Lb0EN6thrust23THRUST_200600_302600_NS6detail15normal_iteratorINS9_10device_ptrIiEEEEPS5_jNS0_19identity_decomposerEEE10hipError_tT1_T2_PT3_SK_jT4_jjP12ihipStream_tbEUlT_E_NS1_11comp_targetILNS1_3genE2ELNS1_11target_archE906ELNS1_3gpuE6ELNS1_3repE0EEENS1_52radix_sort_onesweep_histogram_config_static_selectorELNS0_4arch9wavefront6targetE0EEEvSI_.numbered_sgpr, 0
	.set _ZN7rocprim17ROCPRIM_400000_NS6detail17trampoline_kernelINS0_14default_configENS1_35radix_sort_onesweep_config_selectorIiNS0_10empty_typeEEEZNS1_34radix_sort_onesweep_global_offsetsIS3_Lb0EN6thrust23THRUST_200600_302600_NS6detail15normal_iteratorINS9_10device_ptrIiEEEEPS5_jNS0_19identity_decomposerEEE10hipError_tT1_T2_PT3_SK_jT4_jjP12ihipStream_tbEUlT_E_NS1_11comp_targetILNS1_3genE2ELNS1_11target_archE906ELNS1_3gpuE6ELNS1_3repE0EEENS1_52radix_sort_onesweep_histogram_config_static_selectorELNS0_4arch9wavefront6targetE0EEEvSI_.num_named_barrier, 0
	.set _ZN7rocprim17ROCPRIM_400000_NS6detail17trampoline_kernelINS0_14default_configENS1_35radix_sort_onesweep_config_selectorIiNS0_10empty_typeEEEZNS1_34radix_sort_onesweep_global_offsetsIS3_Lb0EN6thrust23THRUST_200600_302600_NS6detail15normal_iteratorINS9_10device_ptrIiEEEEPS5_jNS0_19identity_decomposerEEE10hipError_tT1_T2_PT3_SK_jT4_jjP12ihipStream_tbEUlT_E_NS1_11comp_targetILNS1_3genE2ELNS1_11target_archE906ELNS1_3gpuE6ELNS1_3repE0EEENS1_52radix_sort_onesweep_histogram_config_static_selectorELNS0_4arch9wavefront6targetE0EEEvSI_.private_seg_size, 0
	.set _ZN7rocprim17ROCPRIM_400000_NS6detail17trampoline_kernelINS0_14default_configENS1_35radix_sort_onesweep_config_selectorIiNS0_10empty_typeEEEZNS1_34radix_sort_onesweep_global_offsetsIS3_Lb0EN6thrust23THRUST_200600_302600_NS6detail15normal_iteratorINS9_10device_ptrIiEEEEPS5_jNS0_19identity_decomposerEEE10hipError_tT1_T2_PT3_SK_jT4_jjP12ihipStream_tbEUlT_E_NS1_11comp_targetILNS1_3genE2ELNS1_11target_archE906ELNS1_3gpuE6ELNS1_3repE0EEENS1_52radix_sort_onesweep_histogram_config_static_selectorELNS0_4arch9wavefront6targetE0EEEvSI_.uses_vcc, 0
	.set _ZN7rocprim17ROCPRIM_400000_NS6detail17trampoline_kernelINS0_14default_configENS1_35radix_sort_onesweep_config_selectorIiNS0_10empty_typeEEEZNS1_34radix_sort_onesweep_global_offsetsIS3_Lb0EN6thrust23THRUST_200600_302600_NS6detail15normal_iteratorINS9_10device_ptrIiEEEEPS5_jNS0_19identity_decomposerEEE10hipError_tT1_T2_PT3_SK_jT4_jjP12ihipStream_tbEUlT_E_NS1_11comp_targetILNS1_3genE2ELNS1_11target_archE906ELNS1_3gpuE6ELNS1_3repE0EEENS1_52radix_sort_onesweep_histogram_config_static_selectorELNS0_4arch9wavefront6targetE0EEEvSI_.uses_flat_scratch, 0
	.set _ZN7rocprim17ROCPRIM_400000_NS6detail17trampoline_kernelINS0_14default_configENS1_35radix_sort_onesweep_config_selectorIiNS0_10empty_typeEEEZNS1_34radix_sort_onesweep_global_offsetsIS3_Lb0EN6thrust23THRUST_200600_302600_NS6detail15normal_iteratorINS9_10device_ptrIiEEEEPS5_jNS0_19identity_decomposerEEE10hipError_tT1_T2_PT3_SK_jT4_jjP12ihipStream_tbEUlT_E_NS1_11comp_targetILNS1_3genE2ELNS1_11target_archE906ELNS1_3gpuE6ELNS1_3repE0EEENS1_52radix_sort_onesweep_histogram_config_static_selectorELNS0_4arch9wavefront6targetE0EEEvSI_.has_dyn_sized_stack, 0
	.set _ZN7rocprim17ROCPRIM_400000_NS6detail17trampoline_kernelINS0_14default_configENS1_35radix_sort_onesweep_config_selectorIiNS0_10empty_typeEEEZNS1_34radix_sort_onesweep_global_offsetsIS3_Lb0EN6thrust23THRUST_200600_302600_NS6detail15normal_iteratorINS9_10device_ptrIiEEEEPS5_jNS0_19identity_decomposerEEE10hipError_tT1_T2_PT3_SK_jT4_jjP12ihipStream_tbEUlT_E_NS1_11comp_targetILNS1_3genE2ELNS1_11target_archE906ELNS1_3gpuE6ELNS1_3repE0EEENS1_52radix_sort_onesweep_histogram_config_static_selectorELNS0_4arch9wavefront6targetE0EEEvSI_.has_recursion, 0
	.set _ZN7rocprim17ROCPRIM_400000_NS6detail17trampoline_kernelINS0_14default_configENS1_35radix_sort_onesweep_config_selectorIiNS0_10empty_typeEEEZNS1_34radix_sort_onesweep_global_offsetsIS3_Lb0EN6thrust23THRUST_200600_302600_NS6detail15normal_iteratorINS9_10device_ptrIiEEEEPS5_jNS0_19identity_decomposerEEE10hipError_tT1_T2_PT3_SK_jT4_jjP12ihipStream_tbEUlT_E_NS1_11comp_targetILNS1_3genE2ELNS1_11target_archE906ELNS1_3gpuE6ELNS1_3repE0EEENS1_52radix_sort_onesweep_histogram_config_static_selectorELNS0_4arch9wavefront6targetE0EEEvSI_.has_indirect_call, 0
	.section	.AMDGPU.csdata,"",@progbits
; Kernel info:
; codeLenInByte = 0
; TotalNumSgprs: 0
; NumVgprs: 0
; ScratchSize: 0
; MemoryBound: 0
; FloatMode: 240
; IeeeMode: 1
; LDSByteSize: 0 bytes/workgroup (compile time only)
; SGPRBlocks: 0
; VGPRBlocks: 0
; NumSGPRsForWavesPerEU: 1
; NumVGPRsForWavesPerEU: 1
; Occupancy: 16
; WaveLimiterHint : 0
; COMPUTE_PGM_RSRC2:SCRATCH_EN: 0
; COMPUTE_PGM_RSRC2:USER_SGPR: 6
; COMPUTE_PGM_RSRC2:TRAP_HANDLER: 0
; COMPUTE_PGM_RSRC2:TGID_X_EN: 1
; COMPUTE_PGM_RSRC2:TGID_Y_EN: 0
; COMPUTE_PGM_RSRC2:TGID_Z_EN: 0
; COMPUTE_PGM_RSRC2:TIDIG_COMP_CNT: 0
	.section	.text._ZN7rocprim17ROCPRIM_400000_NS6detail17trampoline_kernelINS0_14default_configENS1_35radix_sort_onesweep_config_selectorIiNS0_10empty_typeEEEZNS1_34radix_sort_onesweep_global_offsetsIS3_Lb0EN6thrust23THRUST_200600_302600_NS6detail15normal_iteratorINS9_10device_ptrIiEEEEPS5_jNS0_19identity_decomposerEEE10hipError_tT1_T2_PT3_SK_jT4_jjP12ihipStream_tbEUlT_E_NS1_11comp_targetILNS1_3genE4ELNS1_11target_archE910ELNS1_3gpuE8ELNS1_3repE0EEENS1_52radix_sort_onesweep_histogram_config_static_selectorELNS0_4arch9wavefront6targetE0EEEvSI_,"axG",@progbits,_ZN7rocprim17ROCPRIM_400000_NS6detail17trampoline_kernelINS0_14default_configENS1_35radix_sort_onesweep_config_selectorIiNS0_10empty_typeEEEZNS1_34radix_sort_onesweep_global_offsetsIS3_Lb0EN6thrust23THRUST_200600_302600_NS6detail15normal_iteratorINS9_10device_ptrIiEEEEPS5_jNS0_19identity_decomposerEEE10hipError_tT1_T2_PT3_SK_jT4_jjP12ihipStream_tbEUlT_E_NS1_11comp_targetILNS1_3genE4ELNS1_11target_archE910ELNS1_3gpuE8ELNS1_3repE0EEENS1_52radix_sort_onesweep_histogram_config_static_selectorELNS0_4arch9wavefront6targetE0EEEvSI_,comdat
	.protected	_ZN7rocprim17ROCPRIM_400000_NS6detail17trampoline_kernelINS0_14default_configENS1_35radix_sort_onesweep_config_selectorIiNS0_10empty_typeEEEZNS1_34radix_sort_onesweep_global_offsetsIS3_Lb0EN6thrust23THRUST_200600_302600_NS6detail15normal_iteratorINS9_10device_ptrIiEEEEPS5_jNS0_19identity_decomposerEEE10hipError_tT1_T2_PT3_SK_jT4_jjP12ihipStream_tbEUlT_E_NS1_11comp_targetILNS1_3genE4ELNS1_11target_archE910ELNS1_3gpuE8ELNS1_3repE0EEENS1_52radix_sort_onesweep_histogram_config_static_selectorELNS0_4arch9wavefront6targetE0EEEvSI_ ; -- Begin function _ZN7rocprim17ROCPRIM_400000_NS6detail17trampoline_kernelINS0_14default_configENS1_35radix_sort_onesweep_config_selectorIiNS0_10empty_typeEEEZNS1_34radix_sort_onesweep_global_offsetsIS3_Lb0EN6thrust23THRUST_200600_302600_NS6detail15normal_iteratorINS9_10device_ptrIiEEEEPS5_jNS0_19identity_decomposerEEE10hipError_tT1_T2_PT3_SK_jT4_jjP12ihipStream_tbEUlT_E_NS1_11comp_targetILNS1_3genE4ELNS1_11target_archE910ELNS1_3gpuE8ELNS1_3repE0EEENS1_52radix_sort_onesweep_histogram_config_static_selectorELNS0_4arch9wavefront6targetE0EEEvSI_
	.globl	_ZN7rocprim17ROCPRIM_400000_NS6detail17trampoline_kernelINS0_14default_configENS1_35radix_sort_onesweep_config_selectorIiNS0_10empty_typeEEEZNS1_34radix_sort_onesweep_global_offsetsIS3_Lb0EN6thrust23THRUST_200600_302600_NS6detail15normal_iteratorINS9_10device_ptrIiEEEEPS5_jNS0_19identity_decomposerEEE10hipError_tT1_T2_PT3_SK_jT4_jjP12ihipStream_tbEUlT_E_NS1_11comp_targetILNS1_3genE4ELNS1_11target_archE910ELNS1_3gpuE8ELNS1_3repE0EEENS1_52radix_sort_onesweep_histogram_config_static_selectorELNS0_4arch9wavefront6targetE0EEEvSI_
	.p2align	8
	.type	_ZN7rocprim17ROCPRIM_400000_NS6detail17trampoline_kernelINS0_14default_configENS1_35radix_sort_onesweep_config_selectorIiNS0_10empty_typeEEEZNS1_34radix_sort_onesweep_global_offsetsIS3_Lb0EN6thrust23THRUST_200600_302600_NS6detail15normal_iteratorINS9_10device_ptrIiEEEEPS5_jNS0_19identity_decomposerEEE10hipError_tT1_T2_PT3_SK_jT4_jjP12ihipStream_tbEUlT_E_NS1_11comp_targetILNS1_3genE4ELNS1_11target_archE910ELNS1_3gpuE8ELNS1_3repE0EEENS1_52radix_sort_onesweep_histogram_config_static_selectorELNS0_4arch9wavefront6targetE0EEEvSI_,@function
_ZN7rocprim17ROCPRIM_400000_NS6detail17trampoline_kernelINS0_14default_configENS1_35radix_sort_onesweep_config_selectorIiNS0_10empty_typeEEEZNS1_34radix_sort_onesweep_global_offsetsIS3_Lb0EN6thrust23THRUST_200600_302600_NS6detail15normal_iteratorINS9_10device_ptrIiEEEEPS5_jNS0_19identity_decomposerEEE10hipError_tT1_T2_PT3_SK_jT4_jjP12ihipStream_tbEUlT_E_NS1_11comp_targetILNS1_3genE4ELNS1_11target_archE910ELNS1_3gpuE8ELNS1_3repE0EEENS1_52radix_sort_onesweep_histogram_config_static_selectorELNS0_4arch9wavefront6targetE0EEEvSI_: ; @_ZN7rocprim17ROCPRIM_400000_NS6detail17trampoline_kernelINS0_14default_configENS1_35radix_sort_onesweep_config_selectorIiNS0_10empty_typeEEEZNS1_34radix_sort_onesweep_global_offsetsIS3_Lb0EN6thrust23THRUST_200600_302600_NS6detail15normal_iteratorINS9_10device_ptrIiEEEEPS5_jNS0_19identity_decomposerEEE10hipError_tT1_T2_PT3_SK_jT4_jjP12ihipStream_tbEUlT_E_NS1_11comp_targetILNS1_3genE4ELNS1_11target_archE910ELNS1_3gpuE8ELNS1_3repE0EEENS1_52radix_sort_onesweep_histogram_config_static_selectorELNS0_4arch9wavefront6targetE0EEEvSI_
; %bb.0:
	.section	.rodata,"a",@progbits
	.p2align	6, 0x0
	.amdhsa_kernel _ZN7rocprim17ROCPRIM_400000_NS6detail17trampoline_kernelINS0_14default_configENS1_35radix_sort_onesweep_config_selectorIiNS0_10empty_typeEEEZNS1_34radix_sort_onesweep_global_offsetsIS3_Lb0EN6thrust23THRUST_200600_302600_NS6detail15normal_iteratorINS9_10device_ptrIiEEEEPS5_jNS0_19identity_decomposerEEE10hipError_tT1_T2_PT3_SK_jT4_jjP12ihipStream_tbEUlT_E_NS1_11comp_targetILNS1_3genE4ELNS1_11target_archE910ELNS1_3gpuE8ELNS1_3repE0EEENS1_52radix_sort_onesweep_histogram_config_static_selectorELNS0_4arch9wavefront6targetE0EEEvSI_
		.amdhsa_group_segment_fixed_size 0
		.amdhsa_private_segment_fixed_size 0
		.amdhsa_kernarg_size 40
		.amdhsa_user_sgpr_count 6
		.amdhsa_user_sgpr_private_segment_buffer 1
		.amdhsa_user_sgpr_dispatch_ptr 0
		.amdhsa_user_sgpr_queue_ptr 0
		.amdhsa_user_sgpr_kernarg_segment_ptr 1
		.amdhsa_user_sgpr_dispatch_id 0
		.amdhsa_user_sgpr_flat_scratch_init 0
		.amdhsa_user_sgpr_private_segment_size 0
		.amdhsa_wavefront_size32 1
		.amdhsa_uses_dynamic_stack 0
		.amdhsa_system_sgpr_private_segment_wavefront_offset 0
		.amdhsa_system_sgpr_workgroup_id_x 1
		.amdhsa_system_sgpr_workgroup_id_y 0
		.amdhsa_system_sgpr_workgroup_id_z 0
		.amdhsa_system_sgpr_workgroup_info 0
		.amdhsa_system_vgpr_workitem_id 0
		.amdhsa_next_free_vgpr 1
		.amdhsa_next_free_sgpr 1
		.amdhsa_reserve_vcc 0
		.amdhsa_reserve_flat_scratch 0
		.amdhsa_float_round_mode_32 0
		.amdhsa_float_round_mode_16_64 0
		.amdhsa_float_denorm_mode_32 3
		.amdhsa_float_denorm_mode_16_64 3
		.amdhsa_dx10_clamp 1
		.amdhsa_ieee_mode 1
		.amdhsa_fp16_overflow 0
		.amdhsa_workgroup_processor_mode 1
		.amdhsa_memory_ordered 1
		.amdhsa_forward_progress 1
		.amdhsa_shared_vgpr_count 0
		.amdhsa_exception_fp_ieee_invalid_op 0
		.amdhsa_exception_fp_denorm_src 0
		.amdhsa_exception_fp_ieee_div_zero 0
		.amdhsa_exception_fp_ieee_overflow 0
		.amdhsa_exception_fp_ieee_underflow 0
		.amdhsa_exception_fp_ieee_inexact 0
		.amdhsa_exception_int_div_zero 0
	.end_amdhsa_kernel
	.section	.text._ZN7rocprim17ROCPRIM_400000_NS6detail17trampoline_kernelINS0_14default_configENS1_35radix_sort_onesweep_config_selectorIiNS0_10empty_typeEEEZNS1_34radix_sort_onesweep_global_offsetsIS3_Lb0EN6thrust23THRUST_200600_302600_NS6detail15normal_iteratorINS9_10device_ptrIiEEEEPS5_jNS0_19identity_decomposerEEE10hipError_tT1_T2_PT3_SK_jT4_jjP12ihipStream_tbEUlT_E_NS1_11comp_targetILNS1_3genE4ELNS1_11target_archE910ELNS1_3gpuE8ELNS1_3repE0EEENS1_52radix_sort_onesweep_histogram_config_static_selectorELNS0_4arch9wavefront6targetE0EEEvSI_,"axG",@progbits,_ZN7rocprim17ROCPRIM_400000_NS6detail17trampoline_kernelINS0_14default_configENS1_35radix_sort_onesweep_config_selectorIiNS0_10empty_typeEEEZNS1_34radix_sort_onesweep_global_offsetsIS3_Lb0EN6thrust23THRUST_200600_302600_NS6detail15normal_iteratorINS9_10device_ptrIiEEEEPS5_jNS0_19identity_decomposerEEE10hipError_tT1_T2_PT3_SK_jT4_jjP12ihipStream_tbEUlT_E_NS1_11comp_targetILNS1_3genE4ELNS1_11target_archE910ELNS1_3gpuE8ELNS1_3repE0EEENS1_52radix_sort_onesweep_histogram_config_static_selectorELNS0_4arch9wavefront6targetE0EEEvSI_,comdat
.Lfunc_end136:
	.size	_ZN7rocprim17ROCPRIM_400000_NS6detail17trampoline_kernelINS0_14default_configENS1_35radix_sort_onesweep_config_selectorIiNS0_10empty_typeEEEZNS1_34radix_sort_onesweep_global_offsetsIS3_Lb0EN6thrust23THRUST_200600_302600_NS6detail15normal_iteratorINS9_10device_ptrIiEEEEPS5_jNS0_19identity_decomposerEEE10hipError_tT1_T2_PT3_SK_jT4_jjP12ihipStream_tbEUlT_E_NS1_11comp_targetILNS1_3genE4ELNS1_11target_archE910ELNS1_3gpuE8ELNS1_3repE0EEENS1_52radix_sort_onesweep_histogram_config_static_selectorELNS0_4arch9wavefront6targetE0EEEvSI_, .Lfunc_end136-_ZN7rocprim17ROCPRIM_400000_NS6detail17trampoline_kernelINS0_14default_configENS1_35radix_sort_onesweep_config_selectorIiNS0_10empty_typeEEEZNS1_34radix_sort_onesweep_global_offsetsIS3_Lb0EN6thrust23THRUST_200600_302600_NS6detail15normal_iteratorINS9_10device_ptrIiEEEEPS5_jNS0_19identity_decomposerEEE10hipError_tT1_T2_PT3_SK_jT4_jjP12ihipStream_tbEUlT_E_NS1_11comp_targetILNS1_3genE4ELNS1_11target_archE910ELNS1_3gpuE8ELNS1_3repE0EEENS1_52radix_sort_onesweep_histogram_config_static_selectorELNS0_4arch9wavefront6targetE0EEEvSI_
                                        ; -- End function
	.set _ZN7rocprim17ROCPRIM_400000_NS6detail17trampoline_kernelINS0_14default_configENS1_35radix_sort_onesweep_config_selectorIiNS0_10empty_typeEEEZNS1_34radix_sort_onesweep_global_offsetsIS3_Lb0EN6thrust23THRUST_200600_302600_NS6detail15normal_iteratorINS9_10device_ptrIiEEEEPS5_jNS0_19identity_decomposerEEE10hipError_tT1_T2_PT3_SK_jT4_jjP12ihipStream_tbEUlT_E_NS1_11comp_targetILNS1_3genE4ELNS1_11target_archE910ELNS1_3gpuE8ELNS1_3repE0EEENS1_52radix_sort_onesweep_histogram_config_static_selectorELNS0_4arch9wavefront6targetE0EEEvSI_.num_vgpr, 0
	.set _ZN7rocprim17ROCPRIM_400000_NS6detail17trampoline_kernelINS0_14default_configENS1_35radix_sort_onesweep_config_selectorIiNS0_10empty_typeEEEZNS1_34radix_sort_onesweep_global_offsetsIS3_Lb0EN6thrust23THRUST_200600_302600_NS6detail15normal_iteratorINS9_10device_ptrIiEEEEPS5_jNS0_19identity_decomposerEEE10hipError_tT1_T2_PT3_SK_jT4_jjP12ihipStream_tbEUlT_E_NS1_11comp_targetILNS1_3genE4ELNS1_11target_archE910ELNS1_3gpuE8ELNS1_3repE0EEENS1_52radix_sort_onesweep_histogram_config_static_selectorELNS0_4arch9wavefront6targetE0EEEvSI_.num_agpr, 0
	.set _ZN7rocprim17ROCPRIM_400000_NS6detail17trampoline_kernelINS0_14default_configENS1_35radix_sort_onesweep_config_selectorIiNS0_10empty_typeEEEZNS1_34radix_sort_onesweep_global_offsetsIS3_Lb0EN6thrust23THRUST_200600_302600_NS6detail15normal_iteratorINS9_10device_ptrIiEEEEPS5_jNS0_19identity_decomposerEEE10hipError_tT1_T2_PT3_SK_jT4_jjP12ihipStream_tbEUlT_E_NS1_11comp_targetILNS1_3genE4ELNS1_11target_archE910ELNS1_3gpuE8ELNS1_3repE0EEENS1_52radix_sort_onesweep_histogram_config_static_selectorELNS0_4arch9wavefront6targetE0EEEvSI_.numbered_sgpr, 0
	.set _ZN7rocprim17ROCPRIM_400000_NS6detail17trampoline_kernelINS0_14default_configENS1_35radix_sort_onesweep_config_selectorIiNS0_10empty_typeEEEZNS1_34radix_sort_onesweep_global_offsetsIS3_Lb0EN6thrust23THRUST_200600_302600_NS6detail15normal_iteratorINS9_10device_ptrIiEEEEPS5_jNS0_19identity_decomposerEEE10hipError_tT1_T2_PT3_SK_jT4_jjP12ihipStream_tbEUlT_E_NS1_11comp_targetILNS1_3genE4ELNS1_11target_archE910ELNS1_3gpuE8ELNS1_3repE0EEENS1_52radix_sort_onesweep_histogram_config_static_selectorELNS0_4arch9wavefront6targetE0EEEvSI_.num_named_barrier, 0
	.set _ZN7rocprim17ROCPRIM_400000_NS6detail17trampoline_kernelINS0_14default_configENS1_35radix_sort_onesweep_config_selectorIiNS0_10empty_typeEEEZNS1_34radix_sort_onesweep_global_offsetsIS3_Lb0EN6thrust23THRUST_200600_302600_NS6detail15normal_iteratorINS9_10device_ptrIiEEEEPS5_jNS0_19identity_decomposerEEE10hipError_tT1_T2_PT3_SK_jT4_jjP12ihipStream_tbEUlT_E_NS1_11comp_targetILNS1_3genE4ELNS1_11target_archE910ELNS1_3gpuE8ELNS1_3repE0EEENS1_52radix_sort_onesweep_histogram_config_static_selectorELNS0_4arch9wavefront6targetE0EEEvSI_.private_seg_size, 0
	.set _ZN7rocprim17ROCPRIM_400000_NS6detail17trampoline_kernelINS0_14default_configENS1_35radix_sort_onesweep_config_selectorIiNS0_10empty_typeEEEZNS1_34radix_sort_onesweep_global_offsetsIS3_Lb0EN6thrust23THRUST_200600_302600_NS6detail15normal_iteratorINS9_10device_ptrIiEEEEPS5_jNS0_19identity_decomposerEEE10hipError_tT1_T2_PT3_SK_jT4_jjP12ihipStream_tbEUlT_E_NS1_11comp_targetILNS1_3genE4ELNS1_11target_archE910ELNS1_3gpuE8ELNS1_3repE0EEENS1_52radix_sort_onesweep_histogram_config_static_selectorELNS0_4arch9wavefront6targetE0EEEvSI_.uses_vcc, 0
	.set _ZN7rocprim17ROCPRIM_400000_NS6detail17trampoline_kernelINS0_14default_configENS1_35radix_sort_onesweep_config_selectorIiNS0_10empty_typeEEEZNS1_34radix_sort_onesweep_global_offsetsIS3_Lb0EN6thrust23THRUST_200600_302600_NS6detail15normal_iteratorINS9_10device_ptrIiEEEEPS5_jNS0_19identity_decomposerEEE10hipError_tT1_T2_PT3_SK_jT4_jjP12ihipStream_tbEUlT_E_NS1_11comp_targetILNS1_3genE4ELNS1_11target_archE910ELNS1_3gpuE8ELNS1_3repE0EEENS1_52radix_sort_onesweep_histogram_config_static_selectorELNS0_4arch9wavefront6targetE0EEEvSI_.uses_flat_scratch, 0
	.set _ZN7rocprim17ROCPRIM_400000_NS6detail17trampoline_kernelINS0_14default_configENS1_35radix_sort_onesweep_config_selectorIiNS0_10empty_typeEEEZNS1_34radix_sort_onesweep_global_offsetsIS3_Lb0EN6thrust23THRUST_200600_302600_NS6detail15normal_iteratorINS9_10device_ptrIiEEEEPS5_jNS0_19identity_decomposerEEE10hipError_tT1_T2_PT3_SK_jT4_jjP12ihipStream_tbEUlT_E_NS1_11comp_targetILNS1_3genE4ELNS1_11target_archE910ELNS1_3gpuE8ELNS1_3repE0EEENS1_52radix_sort_onesweep_histogram_config_static_selectorELNS0_4arch9wavefront6targetE0EEEvSI_.has_dyn_sized_stack, 0
	.set _ZN7rocprim17ROCPRIM_400000_NS6detail17trampoline_kernelINS0_14default_configENS1_35radix_sort_onesweep_config_selectorIiNS0_10empty_typeEEEZNS1_34radix_sort_onesweep_global_offsetsIS3_Lb0EN6thrust23THRUST_200600_302600_NS6detail15normal_iteratorINS9_10device_ptrIiEEEEPS5_jNS0_19identity_decomposerEEE10hipError_tT1_T2_PT3_SK_jT4_jjP12ihipStream_tbEUlT_E_NS1_11comp_targetILNS1_3genE4ELNS1_11target_archE910ELNS1_3gpuE8ELNS1_3repE0EEENS1_52radix_sort_onesweep_histogram_config_static_selectorELNS0_4arch9wavefront6targetE0EEEvSI_.has_recursion, 0
	.set _ZN7rocprim17ROCPRIM_400000_NS6detail17trampoline_kernelINS0_14default_configENS1_35radix_sort_onesweep_config_selectorIiNS0_10empty_typeEEEZNS1_34radix_sort_onesweep_global_offsetsIS3_Lb0EN6thrust23THRUST_200600_302600_NS6detail15normal_iteratorINS9_10device_ptrIiEEEEPS5_jNS0_19identity_decomposerEEE10hipError_tT1_T2_PT3_SK_jT4_jjP12ihipStream_tbEUlT_E_NS1_11comp_targetILNS1_3genE4ELNS1_11target_archE910ELNS1_3gpuE8ELNS1_3repE0EEENS1_52radix_sort_onesweep_histogram_config_static_selectorELNS0_4arch9wavefront6targetE0EEEvSI_.has_indirect_call, 0
	.section	.AMDGPU.csdata,"",@progbits
; Kernel info:
; codeLenInByte = 0
; TotalNumSgprs: 0
; NumVgprs: 0
; ScratchSize: 0
; MemoryBound: 0
; FloatMode: 240
; IeeeMode: 1
; LDSByteSize: 0 bytes/workgroup (compile time only)
; SGPRBlocks: 0
; VGPRBlocks: 0
; NumSGPRsForWavesPerEU: 1
; NumVGPRsForWavesPerEU: 1
; Occupancy: 16
; WaveLimiterHint : 0
; COMPUTE_PGM_RSRC2:SCRATCH_EN: 0
; COMPUTE_PGM_RSRC2:USER_SGPR: 6
; COMPUTE_PGM_RSRC2:TRAP_HANDLER: 0
; COMPUTE_PGM_RSRC2:TGID_X_EN: 1
; COMPUTE_PGM_RSRC2:TGID_Y_EN: 0
; COMPUTE_PGM_RSRC2:TGID_Z_EN: 0
; COMPUTE_PGM_RSRC2:TIDIG_COMP_CNT: 0
	.section	.text._ZN7rocprim17ROCPRIM_400000_NS6detail17trampoline_kernelINS0_14default_configENS1_35radix_sort_onesweep_config_selectorIiNS0_10empty_typeEEEZNS1_34radix_sort_onesweep_global_offsetsIS3_Lb0EN6thrust23THRUST_200600_302600_NS6detail15normal_iteratorINS9_10device_ptrIiEEEEPS5_jNS0_19identity_decomposerEEE10hipError_tT1_T2_PT3_SK_jT4_jjP12ihipStream_tbEUlT_E_NS1_11comp_targetILNS1_3genE3ELNS1_11target_archE908ELNS1_3gpuE7ELNS1_3repE0EEENS1_52radix_sort_onesweep_histogram_config_static_selectorELNS0_4arch9wavefront6targetE0EEEvSI_,"axG",@progbits,_ZN7rocprim17ROCPRIM_400000_NS6detail17trampoline_kernelINS0_14default_configENS1_35radix_sort_onesweep_config_selectorIiNS0_10empty_typeEEEZNS1_34radix_sort_onesweep_global_offsetsIS3_Lb0EN6thrust23THRUST_200600_302600_NS6detail15normal_iteratorINS9_10device_ptrIiEEEEPS5_jNS0_19identity_decomposerEEE10hipError_tT1_T2_PT3_SK_jT4_jjP12ihipStream_tbEUlT_E_NS1_11comp_targetILNS1_3genE3ELNS1_11target_archE908ELNS1_3gpuE7ELNS1_3repE0EEENS1_52radix_sort_onesweep_histogram_config_static_selectorELNS0_4arch9wavefront6targetE0EEEvSI_,comdat
	.protected	_ZN7rocprim17ROCPRIM_400000_NS6detail17trampoline_kernelINS0_14default_configENS1_35radix_sort_onesweep_config_selectorIiNS0_10empty_typeEEEZNS1_34radix_sort_onesweep_global_offsetsIS3_Lb0EN6thrust23THRUST_200600_302600_NS6detail15normal_iteratorINS9_10device_ptrIiEEEEPS5_jNS0_19identity_decomposerEEE10hipError_tT1_T2_PT3_SK_jT4_jjP12ihipStream_tbEUlT_E_NS1_11comp_targetILNS1_3genE3ELNS1_11target_archE908ELNS1_3gpuE7ELNS1_3repE0EEENS1_52radix_sort_onesweep_histogram_config_static_selectorELNS0_4arch9wavefront6targetE0EEEvSI_ ; -- Begin function _ZN7rocprim17ROCPRIM_400000_NS6detail17trampoline_kernelINS0_14default_configENS1_35radix_sort_onesweep_config_selectorIiNS0_10empty_typeEEEZNS1_34radix_sort_onesweep_global_offsetsIS3_Lb0EN6thrust23THRUST_200600_302600_NS6detail15normal_iteratorINS9_10device_ptrIiEEEEPS5_jNS0_19identity_decomposerEEE10hipError_tT1_T2_PT3_SK_jT4_jjP12ihipStream_tbEUlT_E_NS1_11comp_targetILNS1_3genE3ELNS1_11target_archE908ELNS1_3gpuE7ELNS1_3repE0EEENS1_52radix_sort_onesweep_histogram_config_static_selectorELNS0_4arch9wavefront6targetE0EEEvSI_
	.globl	_ZN7rocprim17ROCPRIM_400000_NS6detail17trampoline_kernelINS0_14default_configENS1_35radix_sort_onesweep_config_selectorIiNS0_10empty_typeEEEZNS1_34radix_sort_onesweep_global_offsetsIS3_Lb0EN6thrust23THRUST_200600_302600_NS6detail15normal_iteratorINS9_10device_ptrIiEEEEPS5_jNS0_19identity_decomposerEEE10hipError_tT1_T2_PT3_SK_jT4_jjP12ihipStream_tbEUlT_E_NS1_11comp_targetILNS1_3genE3ELNS1_11target_archE908ELNS1_3gpuE7ELNS1_3repE0EEENS1_52radix_sort_onesweep_histogram_config_static_selectorELNS0_4arch9wavefront6targetE0EEEvSI_
	.p2align	8
	.type	_ZN7rocprim17ROCPRIM_400000_NS6detail17trampoline_kernelINS0_14default_configENS1_35radix_sort_onesweep_config_selectorIiNS0_10empty_typeEEEZNS1_34radix_sort_onesweep_global_offsetsIS3_Lb0EN6thrust23THRUST_200600_302600_NS6detail15normal_iteratorINS9_10device_ptrIiEEEEPS5_jNS0_19identity_decomposerEEE10hipError_tT1_T2_PT3_SK_jT4_jjP12ihipStream_tbEUlT_E_NS1_11comp_targetILNS1_3genE3ELNS1_11target_archE908ELNS1_3gpuE7ELNS1_3repE0EEENS1_52radix_sort_onesweep_histogram_config_static_selectorELNS0_4arch9wavefront6targetE0EEEvSI_,@function
_ZN7rocprim17ROCPRIM_400000_NS6detail17trampoline_kernelINS0_14default_configENS1_35radix_sort_onesweep_config_selectorIiNS0_10empty_typeEEEZNS1_34radix_sort_onesweep_global_offsetsIS3_Lb0EN6thrust23THRUST_200600_302600_NS6detail15normal_iteratorINS9_10device_ptrIiEEEEPS5_jNS0_19identity_decomposerEEE10hipError_tT1_T2_PT3_SK_jT4_jjP12ihipStream_tbEUlT_E_NS1_11comp_targetILNS1_3genE3ELNS1_11target_archE908ELNS1_3gpuE7ELNS1_3repE0EEENS1_52radix_sort_onesweep_histogram_config_static_selectorELNS0_4arch9wavefront6targetE0EEEvSI_: ; @_ZN7rocprim17ROCPRIM_400000_NS6detail17trampoline_kernelINS0_14default_configENS1_35radix_sort_onesweep_config_selectorIiNS0_10empty_typeEEEZNS1_34radix_sort_onesweep_global_offsetsIS3_Lb0EN6thrust23THRUST_200600_302600_NS6detail15normal_iteratorINS9_10device_ptrIiEEEEPS5_jNS0_19identity_decomposerEEE10hipError_tT1_T2_PT3_SK_jT4_jjP12ihipStream_tbEUlT_E_NS1_11comp_targetILNS1_3genE3ELNS1_11target_archE908ELNS1_3gpuE7ELNS1_3repE0EEENS1_52radix_sort_onesweep_histogram_config_static_selectorELNS0_4arch9wavefront6targetE0EEEvSI_
; %bb.0:
	.section	.rodata,"a",@progbits
	.p2align	6, 0x0
	.amdhsa_kernel _ZN7rocprim17ROCPRIM_400000_NS6detail17trampoline_kernelINS0_14default_configENS1_35radix_sort_onesweep_config_selectorIiNS0_10empty_typeEEEZNS1_34radix_sort_onesweep_global_offsetsIS3_Lb0EN6thrust23THRUST_200600_302600_NS6detail15normal_iteratorINS9_10device_ptrIiEEEEPS5_jNS0_19identity_decomposerEEE10hipError_tT1_T2_PT3_SK_jT4_jjP12ihipStream_tbEUlT_E_NS1_11comp_targetILNS1_3genE3ELNS1_11target_archE908ELNS1_3gpuE7ELNS1_3repE0EEENS1_52radix_sort_onesweep_histogram_config_static_selectorELNS0_4arch9wavefront6targetE0EEEvSI_
		.amdhsa_group_segment_fixed_size 0
		.amdhsa_private_segment_fixed_size 0
		.amdhsa_kernarg_size 40
		.amdhsa_user_sgpr_count 6
		.amdhsa_user_sgpr_private_segment_buffer 1
		.amdhsa_user_sgpr_dispatch_ptr 0
		.amdhsa_user_sgpr_queue_ptr 0
		.amdhsa_user_sgpr_kernarg_segment_ptr 1
		.amdhsa_user_sgpr_dispatch_id 0
		.amdhsa_user_sgpr_flat_scratch_init 0
		.amdhsa_user_sgpr_private_segment_size 0
		.amdhsa_wavefront_size32 1
		.amdhsa_uses_dynamic_stack 0
		.amdhsa_system_sgpr_private_segment_wavefront_offset 0
		.amdhsa_system_sgpr_workgroup_id_x 1
		.amdhsa_system_sgpr_workgroup_id_y 0
		.amdhsa_system_sgpr_workgroup_id_z 0
		.amdhsa_system_sgpr_workgroup_info 0
		.amdhsa_system_vgpr_workitem_id 0
		.amdhsa_next_free_vgpr 1
		.amdhsa_next_free_sgpr 1
		.amdhsa_reserve_vcc 0
		.amdhsa_reserve_flat_scratch 0
		.amdhsa_float_round_mode_32 0
		.amdhsa_float_round_mode_16_64 0
		.amdhsa_float_denorm_mode_32 3
		.amdhsa_float_denorm_mode_16_64 3
		.amdhsa_dx10_clamp 1
		.amdhsa_ieee_mode 1
		.amdhsa_fp16_overflow 0
		.amdhsa_workgroup_processor_mode 1
		.amdhsa_memory_ordered 1
		.amdhsa_forward_progress 1
		.amdhsa_shared_vgpr_count 0
		.amdhsa_exception_fp_ieee_invalid_op 0
		.amdhsa_exception_fp_denorm_src 0
		.amdhsa_exception_fp_ieee_div_zero 0
		.amdhsa_exception_fp_ieee_overflow 0
		.amdhsa_exception_fp_ieee_underflow 0
		.amdhsa_exception_fp_ieee_inexact 0
		.amdhsa_exception_int_div_zero 0
	.end_amdhsa_kernel
	.section	.text._ZN7rocprim17ROCPRIM_400000_NS6detail17trampoline_kernelINS0_14default_configENS1_35radix_sort_onesweep_config_selectorIiNS0_10empty_typeEEEZNS1_34radix_sort_onesweep_global_offsetsIS3_Lb0EN6thrust23THRUST_200600_302600_NS6detail15normal_iteratorINS9_10device_ptrIiEEEEPS5_jNS0_19identity_decomposerEEE10hipError_tT1_T2_PT3_SK_jT4_jjP12ihipStream_tbEUlT_E_NS1_11comp_targetILNS1_3genE3ELNS1_11target_archE908ELNS1_3gpuE7ELNS1_3repE0EEENS1_52radix_sort_onesweep_histogram_config_static_selectorELNS0_4arch9wavefront6targetE0EEEvSI_,"axG",@progbits,_ZN7rocprim17ROCPRIM_400000_NS6detail17trampoline_kernelINS0_14default_configENS1_35radix_sort_onesweep_config_selectorIiNS0_10empty_typeEEEZNS1_34radix_sort_onesweep_global_offsetsIS3_Lb0EN6thrust23THRUST_200600_302600_NS6detail15normal_iteratorINS9_10device_ptrIiEEEEPS5_jNS0_19identity_decomposerEEE10hipError_tT1_T2_PT3_SK_jT4_jjP12ihipStream_tbEUlT_E_NS1_11comp_targetILNS1_3genE3ELNS1_11target_archE908ELNS1_3gpuE7ELNS1_3repE0EEENS1_52radix_sort_onesweep_histogram_config_static_selectorELNS0_4arch9wavefront6targetE0EEEvSI_,comdat
.Lfunc_end137:
	.size	_ZN7rocprim17ROCPRIM_400000_NS6detail17trampoline_kernelINS0_14default_configENS1_35radix_sort_onesweep_config_selectorIiNS0_10empty_typeEEEZNS1_34radix_sort_onesweep_global_offsetsIS3_Lb0EN6thrust23THRUST_200600_302600_NS6detail15normal_iteratorINS9_10device_ptrIiEEEEPS5_jNS0_19identity_decomposerEEE10hipError_tT1_T2_PT3_SK_jT4_jjP12ihipStream_tbEUlT_E_NS1_11comp_targetILNS1_3genE3ELNS1_11target_archE908ELNS1_3gpuE7ELNS1_3repE0EEENS1_52radix_sort_onesweep_histogram_config_static_selectorELNS0_4arch9wavefront6targetE0EEEvSI_, .Lfunc_end137-_ZN7rocprim17ROCPRIM_400000_NS6detail17trampoline_kernelINS0_14default_configENS1_35radix_sort_onesweep_config_selectorIiNS0_10empty_typeEEEZNS1_34radix_sort_onesweep_global_offsetsIS3_Lb0EN6thrust23THRUST_200600_302600_NS6detail15normal_iteratorINS9_10device_ptrIiEEEEPS5_jNS0_19identity_decomposerEEE10hipError_tT1_T2_PT3_SK_jT4_jjP12ihipStream_tbEUlT_E_NS1_11comp_targetILNS1_3genE3ELNS1_11target_archE908ELNS1_3gpuE7ELNS1_3repE0EEENS1_52radix_sort_onesweep_histogram_config_static_selectorELNS0_4arch9wavefront6targetE0EEEvSI_
                                        ; -- End function
	.set _ZN7rocprim17ROCPRIM_400000_NS6detail17trampoline_kernelINS0_14default_configENS1_35radix_sort_onesweep_config_selectorIiNS0_10empty_typeEEEZNS1_34radix_sort_onesweep_global_offsetsIS3_Lb0EN6thrust23THRUST_200600_302600_NS6detail15normal_iteratorINS9_10device_ptrIiEEEEPS5_jNS0_19identity_decomposerEEE10hipError_tT1_T2_PT3_SK_jT4_jjP12ihipStream_tbEUlT_E_NS1_11comp_targetILNS1_3genE3ELNS1_11target_archE908ELNS1_3gpuE7ELNS1_3repE0EEENS1_52radix_sort_onesweep_histogram_config_static_selectorELNS0_4arch9wavefront6targetE0EEEvSI_.num_vgpr, 0
	.set _ZN7rocprim17ROCPRIM_400000_NS6detail17trampoline_kernelINS0_14default_configENS1_35radix_sort_onesweep_config_selectorIiNS0_10empty_typeEEEZNS1_34radix_sort_onesweep_global_offsetsIS3_Lb0EN6thrust23THRUST_200600_302600_NS6detail15normal_iteratorINS9_10device_ptrIiEEEEPS5_jNS0_19identity_decomposerEEE10hipError_tT1_T2_PT3_SK_jT4_jjP12ihipStream_tbEUlT_E_NS1_11comp_targetILNS1_3genE3ELNS1_11target_archE908ELNS1_3gpuE7ELNS1_3repE0EEENS1_52radix_sort_onesweep_histogram_config_static_selectorELNS0_4arch9wavefront6targetE0EEEvSI_.num_agpr, 0
	.set _ZN7rocprim17ROCPRIM_400000_NS6detail17trampoline_kernelINS0_14default_configENS1_35radix_sort_onesweep_config_selectorIiNS0_10empty_typeEEEZNS1_34radix_sort_onesweep_global_offsetsIS3_Lb0EN6thrust23THRUST_200600_302600_NS6detail15normal_iteratorINS9_10device_ptrIiEEEEPS5_jNS0_19identity_decomposerEEE10hipError_tT1_T2_PT3_SK_jT4_jjP12ihipStream_tbEUlT_E_NS1_11comp_targetILNS1_3genE3ELNS1_11target_archE908ELNS1_3gpuE7ELNS1_3repE0EEENS1_52radix_sort_onesweep_histogram_config_static_selectorELNS0_4arch9wavefront6targetE0EEEvSI_.numbered_sgpr, 0
	.set _ZN7rocprim17ROCPRIM_400000_NS6detail17trampoline_kernelINS0_14default_configENS1_35radix_sort_onesweep_config_selectorIiNS0_10empty_typeEEEZNS1_34radix_sort_onesweep_global_offsetsIS3_Lb0EN6thrust23THRUST_200600_302600_NS6detail15normal_iteratorINS9_10device_ptrIiEEEEPS5_jNS0_19identity_decomposerEEE10hipError_tT1_T2_PT3_SK_jT4_jjP12ihipStream_tbEUlT_E_NS1_11comp_targetILNS1_3genE3ELNS1_11target_archE908ELNS1_3gpuE7ELNS1_3repE0EEENS1_52radix_sort_onesweep_histogram_config_static_selectorELNS0_4arch9wavefront6targetE0EEEvSI_.num_named_barrier, 0
	.set _ZN7rocprim17ROCPRIM_400000_NS6detail17trampoline_kernelINS0_14default_configENS1_35radix_sort_onesweep_config_selectorIiNS0_10empty_typeEEEZNS1_34radix_sort_onesweep_global_offsetsIS3_Lb0EN6thrust23THRUST_200600_302600_NS6detail15normal_iteratorINS9_10device_ptrIiEEEEPS5_jNS0_19identity_decomposerEEE10hipError_tT1_T2_PT3_SK_jT4_jjP12ihipStream_tbEUlT_E_NS1_11comp_targetILNS1_3genE3ELNS1_11target_archE908ELNS1_3gpuE7ELNS1_3repE0EEENS1_52radix_sort_onesweep_histogram_config_static_selectorELNS0_4arch9wavefront6targetE0EEEvSI_.private_seg_size, 0
	.set _ZN7rocprim17ROCPRIM_400000_NS6detail17trampoline_kernelINS0_14default_configENS1_35radix_sort_onesweep_config_selectorIiNS0_10empty_typeEEEZNS1_34radix_sort_onesweep_global_offsetsIS3_Lb0EN6thrust23THRUST_200600_302600_NS6detail15normal_iteratorINS9_10device_ptrIiEEEEPS5_jNS0_19identity_decomposerEEE10hipError_tT1_T2_PT3_SK_jT4_jjP12ihipStream_tbEUlT_E_NS1_11comp_targetILNS1_3genE3ELNS1_11target_archE908ELNS1_3gpuE7ELNS1_3repE0EEENS1_52radix_sort_onesweep_histogram_config_static_selectorELNS0_4arch9wavefront6targetE0EEEvSI_.uses_vcc, 0
	.set _ZN7rocprim17ROCPRIM_400000_NS6detail17trampoline_kernelINS0_14default_configENS1_35radix_sort_onesweep_config_selectorIiNS0_10empty_typeEEEZNS1_34radix_sort_onesweep_global_offsetsIS3_Lb0EN6thrust23THRUST_200600_302600_NS6detail15normal_iteratorINS9_10device_ptrIiEEEEPS5_jNS0_19identity_decomposerEEE10hipError_tT1_T2_PT3_SK_jT4_jjP12ihipStream_tbEUlT_E_NS1_11comp_targetILNS1_3genE3ELNS1_11target_archE908ELNS1_3gpuE7ELNS1_3repE0EEENS1_52radix_sort_onesweep_histogram_config_static_selectorELNS0_4arch9wavefront6targetE0EEEvSI_.uses_flat_scratch, 0
	.set _ZN7rocprim17ROCPRIM_400000_NS6detail17trampoline_kernelINS0_14default_configENS1_35radix_sort_onesweep_config_selectorIiNS0_10empty_typeEEEZNS1_34radix_sort_onesweep_global_offsetsIS3_Lb0EN6thrust23THRUST_200600_302600_NS6detail15normal_iteratorINS9_10device_ptrIiEEEEPS5_jNS0_19identity_decomposerEEE10hipError_tT1_T2_PT3_SK_jT4_jjP12ihipStream_tbEUlT_E_NS1_11comp_targetILNS1_3genE3ELNS1_11target_archE908ELNS1_3gpuE7ELNS1_3repE0EEENS1_52radix_sort_onesweep_histogram_config_static_selectorELNS0_4arch9wavefront6targetE0EEEvSI_.has_dyn_sized_stack, 0
	.set _ZN7rocprim17ROCPRIM_400000_NS6detail17trampoline_kernelINS0_14default_configENS1_35radix_sort_onesweep_config_selectorIiNS0_10empty_typeEEEZNS1_34radix_sort_onesweep_global_offsetsIS3_Lb0EN6thrust23THRUST_200600_302600_NS6detail15normal_iteratorINS9_10device_ptrIiEEEEPS5_jNS0_19identity_decomposerEEE10hipError_tT1_T2_PT3_SK_jT4_jjP12ihipStream_tbEUlT_E_NS1_11comp_targetILNS1_3genE3ELNS1_11target_archE908ELNS1_3gpuE7ELNS1_3repE0EEENS1_52radix_sort_onesweep_histogram_config_static_selectorELNS0_4arch9wavefront6targetE0EEEvSI_.has_recursion, 0
	.set _ZN7rocprim17ROCPRIM_400000_NS6detail17trampoline_kernelINS0_14default_configENS1_35radix_sort_onesweep_config_selectorIiNS0_10empty_typeEEEZNS1_34radix_sort_onesweep_global_offsetsIS3_Lb0EN6thrust23THRUST_200600_302600_NS6detail15normal_iteratorINS9_10device_ptrIiEEEEPS5_jNS0_19identity_decomposerEEE10hipError_tT1_T2_PT3_SK_jT4_jjP12ihipStream_tbEUlT_E_NS1_11comp_targetILNS1_3genE3ELNS1_11target_archE908ELNS1_3gpuE7ELNS1_3repE0EEENS1_52radix_sort_onesweep_histogram_config_static_selectorELNS0_4arch9wavefront6targetE0EEEvSI_.has_indirect_call, 0
	.section	.AMDGPU.csdata,"",@progbits
; Kernel info:
; codeLenInByte = 0
; TotalNumSgprs: 0
; NumVgprs: 0
; ScratchSize: 0
; MemoryBound: 0
; FloatMode: 240
; IeeeMode: 1
; LDSByteSize: 0 bytes/workgroup (compile time only)
; SGPRBlocks: 0
; VGPRBlocks: 0
; NumSGPRsForWavesPerEU: 1
; NumVGPRsForWavesPerEU: 1
; Occupancy: 16
; WaveLimiterHint : 0
; COMPUTE_PGM_RSRC2:SCRATCH_EN: 0
; COMPUTE_PGM_RSRC2:USER_SGPR: 6
; COMPUTE_PGM_RSRC2:TRAP_HANDLER: 0
; COMPUTE_PGM_RSRC2:TGID_X_EN: 1
; COMPUTE_PGM_RSRC2:TGID_Y_EN: 0
; COMPUTE_PGM_RSRC2:TGID_Z_EN: 0
; COMPUTE_PGM_RSRC2:TIDIG_COMP_CNT: 0
	.section	.text._ZN7rocprim17ROCPRIM_400000_NS6detail17trampoline_kernelINS0_14default_configENS1_35radix_sort_onesweep_config_selectorIiNS0_10empty_typeEEEZNS1_34radix_sort_onesweep_global_offsetsIS3_Lb0EN6thrust23THRUST_200600_302600_NS6detail15normal_iteratorINS9_10device_ptrIiEEEEPS5_jNS0_19identity_decomposerEEE10hipError_tT1_T2_PT3_SK_jT4_jjP12ihipStream_tbEUlT_E_NS1_11comp_targetILNS1_3genE10ELNS1_11target_archE1201ELNS1_3gpuE5ELNS1_3repE0EEENS1_52radix_sort_onesweep_histogram_config_static_selectorELNS0_4arch9wavefront6targetE0EEEvSI_,"axG",@progbits,_ZN7rocprim17ROCPRIM_400000_NS6detail17trampoline_kernelINS0_14default_configENS1_35radix_sort_onesweep_config_selectorIiNS0_10empty_typeEEEZNS1_34radix_sort_onesweep_global_offsetsIS3_Lb0EN6thrust23THRUST_200600_302600_NS6detail15normal_iteratorINS9_10device_ptrIiEEEEPS5_jNS0_19identity_decomposerEEE10hipError_tT1_T2_PT3_SK_jT4_jjP12ihipStream_tbEUlT_E_NS1_11comp_targetILNS1_3genE10ELNS1_11target_archE1201ELNS1_3gpuE5ELNS1_3repE0EEENS1_52radix_sort_onesweep_histogram_config_static_selectorELNS0_4arch9wavefront6targetE0EEEvSI_,comdat
	.protected	_ZN7rocprim17ROCPRIM_400000_NS6detail17trampoline_kernelINS0_14default_configENS1_35radix_sort_onesweep_config_selectorIiNS0_10empty_typeEEEZNS1_34radix_sort_onesweep_global_offsetsIS3_Lb0EN6thrust23THRUST_200600_302600_NS6detail15normal_iteratorINS9_10device_ptrIiEEEEPS5_jNS0_19identity_decomposerEEE10hipError_tT1_T2_PT3_SK_jT4_jjP12ihipStream_tbEUlT_E_NS1_11comp_targetILNS1_3genE10ELNS1_11target_archE1201ELNS1_3gpuE5ELNS1_3repE0EEENS1_52radix_sort_onesweep_histogram_config_static_selectorELNS0_4arch9wavefront6targetE0EEEvSI_ ; -- Begin function _ZN7rocprim17ROCPRIM_400000_NS6detail17trampoline_kernelINS0_14default_configENS1_35radix_sort_onesweep_config_selectorIiNS0_10empty_typeEEEZNS1_34radix_sort_onesweep_global_offsetsIS3_Lb0EN6thrust23THRUST_200600_302600_NS6detail15normal_iteratorINS9_10device_ptrIiEEEEPS5_jNS0_19identity_decomposerEEE10hipError_tT1_T2_PT3_SK_jT4_jjP12ihipStream_tbEUlT_E_NS1_11comp_targetILNS1_3genE10ELNS1_11target_archE1201ELNS1_3gpuE5ELNS1_3repE0EEENS1_52radix_sort_onesweep_histogram_config_static_selectorELNS0_4arch9wavefront6targetE0EEEvSI_
	.globl	_ZN7rocprim17ROCPRIM_400000_NS6detail17trampoline_kernelINS0_14default_configENS1_35radix_sort_onesweep_config_selectorIiNS0_10empty_typeEEEZNS1_34radix_sort_onesweep_global_offsetsIS3_Lb0EN6thrust23THRUST_200600_302600_NS6detail15normal_iteratorINS9_10device_ptrIiEEEEPS5_jNS0_19identity_decomposerEEE10hipError_tT1_T2_PT3_SK_jT4_jjP12ihipStream_tbEUlT_E_NS1_11comp_targetILNS1_3genE10ELNS1_11target_archE1201ELNS1_3gpuE5ELNS1_3repE0EEENS1_52radix_sort_onesweep_histogram_config_static_selectorELNS0_4arch9wavefront6targetE0EEEvSI_
	.p2align	8
	.type	_ZN7rocprim17ROCPRIM_400000_NS6detail17trampoline_kernelINS0_14default_configENS1_35radix_sort_onesweep_config_selectorIiNS0_10empty_typeEEEZNS1_34radix_sort_onesweep_global_offsetsIS3_Lb0EN6thrust23THRUST_200600_302600_NS6detail15normal_iteratorINS9_10device_ptrIiEEEEPS5_jNS0_19identity_decomposerEEE10hipError_tT1_T2_PT3_SK_jT4_jjP12ihipStream_tbEUlT_E_NS1_11comp_targetILNS1_3genE10ELNS1_11target_archE1201ELNS1_3gpuE5ELNS1_3repE0EEENS1_52radix_sort_onesweep_histogram_config_static_selectorELNS0_4arch9wavefront6targetE0EEEvSI_,@function
_ZN7rocprim17ROCPRIM_400000_NS6detail17trampoline_kernelINS0_14default_configENS1_35radix_sort_onesweep_config_selectorIiNS0_10empty_typeEEEZNS1_34radix_sort_onesweep_global_offsetsIS3_Lb0EN6thrust23THRUST_200600_302600_NS6detail15normal_iteratorINS9_10device_ptrIiEEEEPS5_jNS0_19identity_decomposerEEE10hipError_tT1_T2_PT3_SK_jT4_jjP12ihipStream_tbEUlT_E_NS1_11comp_targetILNS1_3genE10ELNS1_11target_archE1201ELNS1_3gpuE5ELNS1_3repE0EEENS1_52radix_sort_onesweep_histogram_config_static_selectorELNS0_4arch9wavefront6targetE0EEEvSI_: ; @_ZN7rocprim17ROCPRIM_400000_NS6detail17trampoline_kernelINS0_14default_configENS1_35radix_sort_onesweep_config_selectorIiNS0_10empty_typeEEEZNS1_34radix_sort_onesweep_global_offsetsIS3_Lb0EN6thrust23THRUST_200600_302600_NS6detail15normal_iteratorINS9_10device_ptrIiEEEEPS5_jNS0_19identity_decomposerEEE10hipError_tT1_T2_PT3_SK_jT4_jjP12ihipStream_tbEUlT_E_NS1_11comp_targetILNS1_3genE10ELNS1_11target_archE1201ELNS1_3gpuE5ELNS1_3repE0EEENS1_52radix_sort_onesweep_histogram_config_static_selectorELNS0_4arch9wavefront6targetE0EEEvSI_
; %bb.0:
	.section	.rodata,"a",@progbits
	.p2align	6, 0x0
	.amdhsa_kernel _ZN7rocprim17ROCPRIM_400000_NS6detail17trampoline_kernelINS0_14default_configENS1_35radix_sort_onesweep_config_selectorIiNS0_10empty_typeEEEZNS1_34radix_sort_onesweep_global_offsetsIS3_Lb0EN6thrust23THRUST_200600_302600_NS6detail15normal_iteratorINS9_10device_ptrIiEEEEPS5_jNS0_19identity_decomposerEEE10hipError_tT1_T2_PT3_SK_jT4_jjP12ihipStream_tbEUlT_E_NS1_11comp_targetILNS1_3genE10ELNS1_11target_archE1201ELNS1_3gpuE5ELNS1_3repE0EEENS1_52radix_sort_onesweep_histogram_config_static_selectorELNS0_4arch9wavefront6targetE0EEEvSI_
		.amdhsa_group_segment_fixed_size 0
		.amdhsa_private_segment_fixed_size 0
		.amdhsa_kernarg_size 40
		.amdhsa_user_sgpr_count 6
		.amdhsa_user_sgpr_private_segment_buffer 1
		.amdhsa_user_sgpr_dispatch_ptr 0
		.amdhsa_user_sgpr_queue_ptr 0
		.amdhsa_user_sgpr_kernarg_segment_ptr 1
		.amdhsa_user_sgpr_dispatch_id 0
		.amdhsa_user_sgpr_flat_scratch_init 0
		.amdhsa_user_sgpr_private_segment_size 0
		.amdhsa_wavefront_size32 1
		.amdhsa_uses_dynamic_stack 0
		.amdhsa_system_sgpr_private_segment_wavefront_offset 0
		.amdhsa_system_sgpr_workgroup_id_x 1
		.amdhsa_system_sgpr_workgroup_id_y 0
		.amdhsa_system_sgpr_workgroup_id_z 0
		.amdhsa_system_sgpr_workgroup_info 0
		.amdhsa_system_vgpr_workitem_id 0
		.amdhsa_next_free_vgpr 1
		.amdhsa_next_free_sgpr 1
		.amdhsa_reserve_vcc 0
		.amdhsa_reserve_flat_scratch 0
		.amdhsa_float_round_mode_32 0
		.amdhsa_float_round_mode_16_64 0
		.amdhsa_float_denorm_mode_32 3
		.amdhsa_float_denorm_mode_16_64 3
		.amdhsa_dx10_clamp 1
		.amdhsa_ieee_mode 1
		.amdhsa_fp16_overflow 0
		.amdhsa_workgroup_processor_mode 1
		.amdhsa_memory_ordered 1
		.amdhsa_forward_progress 1
		.amdhsa_shared_vgpr_count 0
		.amdhsa_exception_fp_ieee_invalid_op 0
		.amdhsa_exception_fp_denorm_src 0
		.amdhsa_exception_fp_ieee_div_zero 0
		.amdhsa_exception_fp_ieee_overflow 0
		.amdhsa_exception_fp_ieee_underflow 0
		.amdhsa_exception_fp_ieee_inexact 0
		.amdhsa_exception_int_div_zero 0
	.end_amdhsa_kernel
	.section	.text._ZN7rocprim17ROCPRIM_400000_NS6detail17trampoline_kernelINS0_14default_configENS1_35radix_sort_onesweep_config_selectorIiNS0_10empty_typeEEEZNS1_34radix_sort_onesweep_global_offsetsIS3_Lb0EN6thrust23THRUST_200600_302600_NS6detail15normal_iteratorINS9_10device_ptrIiEEEEPS5_jNS0_19identity_decomposerEEE10hipError_tT1_T2_PT3_SK_jT4_jjP12ihipStream_tbEUlT_E_NS1_11comp_targetILNS1_3genE10ELNS1_11target_archE1201ELNS1_3gpuE5ELNS1_3repE0EEENS1_52radix_sort_onesweep_histogram_config_static_selectorELNS0_4arch9wavefront6targetE0EEEvSI_,"axG",@progbits,_ZN7rocprim17ROCPRIM_400000_NS6detail17trampoline_kernelINS0_14default_configENS1_35radix_sort_onesweep_config_selectorIiNS0_10empty_typeEEEZNS1_34radix_sort_onesweep_global_offsetsIS3_Lb0EN6thrust23THRUST_200600_302600_NS6detail15normal_iteratorINS9_10device_ptrIiEEEEPS5_jNS0_19identity_decomposerEEE10hipError_tT1_T2_PT3_SK_jT4_jjP12ihipStream_tbEUlT_E_NS1_11comp_targetILNS1_3genE10ELNS1_11target_archE1201ELNS1_3gpuE5ELNS1_3repE0EEENS1_52radix_sort_onesweep_histogram_config_static_selectorELNS0_4arch9wavefront6targetE0EEEvSI_,comdat
.Lfunc_end138:
	.size	_ZN7rocprim17ROCPRIM_400000_NS6detail17trampoline_kernelINS0_14default_configENS1_35radix_sort_onesweep_config_selectorIiNS0_10empty_typeEEEZNS1_34radix_sort_onesweep_global_offsetsIS3_Lb0EN6thrust23THRUST_200600_302600_NS6detail15normal_iteratorINS9_10device_ptrIiEEEEPS5_jNS0_19identity_decomposerEEE10hipError_tT1_T2_PT3_SK_jT4_jjP12ihipStream_tbEUlT_E_NS1_11comp_targetILNS1_3genE10ELNS1_11target_archE1201ELNS1_3gpuE5ELNS1_3repE0EEENS1_52radix_sort_onesweep_histogram_config_static_selectorELNS0_4arch9wavefront6targetE0EEEvSI_, .Lfunc_end138-_ZN7rocprim17ROCPRIM_400000_NS6detail17trampoline_kernelINS0_14default_configENS1_35radix_sort_onesweep_config_selectorIiNS0_10empty_typeEEEZNS1_34radix_sort_onesweep_global_offsetsIS3_Lb0EN6thrust23THRUST_200600_302600_NS6detail15normal_iteratorINS9_10device_ptrIiEEEEPS5_jNS0_19identity_decomposerEEE10hipError_tT1_T2_PT3_SK_jT4_jjP12ihipStream_tbEUlT_E_NS1_11comp_targetILNS1_3genE10ELNS1_11target_archE1201ELNS1_3gpuE5ELNS1_3repE0EEENS1_52radix_sort_onesweep_histogram_config_static_selectorELNS0_4arch9wavefront6targetE0EEEvSI_
                                        ; -- End function
	.set _ZN7rocprim17ROCPRIM_400000_NS6detail17trampoline_kernelINS0_14default_configENS1_35radix_sort_onesweep_config_selectorIiNS0_10empty_typeEEEZNS1_34radix_sort_onesweep_global_offsetsIS3_Lb0EN6thrust23THRUST_200600_302600_NS6detail15normal_iteratorINS9_10device_ptrIiEEEEPS5_jNS0_19identity_decomposerEEE10hipError_tT1_T2_PT3_SK_jT4_jjP12ihipStream_tbEUlT_E_NS1_11comp_targetILNS1_3genE10ELNS1_11target_archE1201ELNS1_3gpuE5ELNS1_3repE0EEENS1_52radix_sort_onesweep_histogram_config_static_selectorELNS0_4arch9wavefront6targetE0EEEvSI_.num_vgpr, 0
	.set _ZN7rocprim17ROCPRIM_400000_NS6detail17trampoline_kernelINS0_14default_configENS1_35radix_sort_onesweep_config_selectorIiNS0_10empty_typeEEEZNS1_34radix_sort_onesweep_global_offsetsIS3_Lb0EN6thrust23THRUST_200600_302600_NS6detail15normal_iteratorINS9_10device_ptrIiEEEEPS5_jNS0_19identity_decomposerEEE10hipError_tT1_T2_PT3_SK_jT4_jjP12ihipStream_tbEUlT_E_NS1_11comp_targetILNS1_3genE10ELNS1_11target_archE1201ELNS1_3gpuE5ELNS1_3repE0EEENS1_52radix_sort_onesweep_histogram_config_static_selectorELNS0_4arch9wavefront6targetE0EEEvSI_.num_agpr, 0
	.set _ZN7rocprim17ROCPRIM_400000_NS6detail17trampoline_kernelINS0_14default_configENS1_35radix_sort_onesweep_config_selectorIiNS0_10empty_typeEEEZNS1_34radix_sort_onesweep_global_offsetsIS3_Lb0EN6thrust23THRUST_200600_302600_NS6detail15normal_iteratorINS9_10device_ptrIiEEEEPS5_jNS0_19identity_decomposerEEE10hipError_tT1_T2_PT3_SK_jT4_jjP12ihipStream_tbEUlT_E_NS1_11comp_targetILNS1_3genE10ELNS1_11target_archE1201ELNS1_3gpuE5ELNS1_3repE0EEENS1_52radix_sort_onesweep_histogram_config_static_selectorELNS0_4arch9wavefront6targetE0EEEvSI_.numbered_sgpr, 0
	.set _ZN7rocprim17ROCPRIM_400000_NS6detail17trampoline_kernelINS0_14default_configENS1_35radix_sort_onesweep_config_selectorIiNS0_10empty_typeEEEZNS1_34radix_sort_onesweep_global_offsetsIS3_Lb0EN6thrust23THRUST_200600_302600_NS6detail15normal_iteratorINS9_10device_ptrIiEEEEPS5_jNS0_19identity_decomposerEEE10hipError_tT1_T2_PT3_SK_jT4_jjP12ihipStream_tbEUlT_E_NS1_11comp_targetILNS1_3genE10ELNS1_11target_archE1201ELNS1_3gpuE5ELNS1_3repE0EEENS1_52radix_sort_onesweep_histogram_config_static_selectorELNS0_4arch9wavefront6targetE0EEEvSI_.num_named_barrier, 0
	.set _ZN7rocprim17ROCPRIM_400000_NS6detail17trampoline_kernelINS0_14default_configENS1_35radix_sort_onesweep_config_selectorIiNS0_10empty_typeEEEZNS1_34radix_sort_onesweep_global_offsetsIS3_Lb0EN6thrust23THRUST_200600_302600_NS6detail15normal_iteratorINS9_10device_ptrIiEEEEPS5_jNS0_19identity_decomposerEEE10hipError_tT1_T2_PT3_SK_jT4_jjP12ihipStream_tbEUlT_E_NS1_11comp_targetILNS1_3genE10ELNS1_11target_archE1201ELNS1_3gpuE5ELNS1_3repE0EEENS1_52radix_sort_onesweep_histogram_config_static_selectorELNS0_4arch9wavefront6targetE0EEEvSI_.private_seg_size, 0
	.set _ZN7rocprim17ROCPRIM_400000_NS6detail17trampoline_kernelINS0_14default_configENS1_35radix_sort_onesweep_config_selectorIiNS0_10empty_typeEEEZNS1_34radix_sort_onesweep_global_offsetsIS3_Lb0EN6thrust23THRUST_200600_302600_NS6detail15normal_iteratorINS9_10device_ptrIiEEEEPS5_jNS0_19identity_decomposerEEE10hipError_tT1_T2_PT3_SK_jT4_jjP12ihipStream_tbEUlT_E_NS1_11comp_targetILNS1_3genE10ELNS1_11target_archE1201ELNS1_3gpuE5ELNS1_3repE0EEENS1_52radix_sort_onesweep_histogram_config_static_selectorELNS0_4arch9wavefront6targetE0EEEvSI_.uses_vcc, 0
	.set _ZN7rocprim17ROCPRIM_400000_NS6detail17trampoline_kernelINS0_14default_configENS1_35radix_sort_onesweep_config_selectorIiNS0_10empty_typeEEEZNS1_34radix_sort_onesweep_global_offsetsIS3_Lb0EN6thrust23THRUST_200600_302600_NS6detail15normal_iteratorINS9_10device_ptrIiEEEEPS5_jNS0_19identity_decomposerEEE10hipError_tT1_T2_PT3_SK_jT4_jjP12ihipStream_tbEUlT_E_NS1_11comp_targetILNS1_3genE10ELNS1_11target_archE1201ELNS1_3gpuE5ELNS1_3repE0EEENS1_52radix_sort_onesweep_histogram_config_static_selectorELNS0_4arch9wavefront6targetE0EEEvSI_.uses_flat_scratch, 0
	.set _ZN7rocprim17ROCPRIM_400000_NS6detail17trampoline_kernelINS0_14default_configENS1_35radix_sort_onesweep_config_selectorIiNS0_10empty_typeEEEZNS1_34radix_sort_onesweep_global_offsetsIS3_Lb0EN6thrust23THRUST_200600_302600_NS6detail15normal_iteratorINS9_10device_ptrIiEEEEPS5_jNS0_19identity_decomposerEEE10hipError_tT1_T2_PT3_SK_jT4_jjP12ihipStream_tbEUlT_E_NS1_11comp_targetILNS1_3genE10ELNS1_11target_archE1201ELNS1_3gpuE5ELNS1_3repE0EEENS1_52radix_sort_onesweep_histogram_config_static_selectorELNS0_4arch9wavefront6targetE0EEEvSI_.has_dyn_sized_stack, 0
	.set _ZN7rocprim17ROCPRIM_400000_NS6detail17trampoline_kernelINS0_14default_configENS1_35radix_sort_onesweep_config_selectorIiNS0_10empty_typeEEEZNS1_34radix_sort_onesweep_global_offsetsIS3_Lb0EN6thrust23THRUST_200600_302600_NS6detail15normal_iteratorINS9_10device_ptrIiEEEEPS5_jNS0_19identity_decomposerEEE10hipError_tT1_T2_PT3_SK_jT4_jjP12ihipStream_tbEUlT_E_NS1_11comp_targetILNS1_3genE10ELNS1_11target_archE1201ELNS1_3gpuE5ELNS1_3repE0EEENS1_52radix_sort_onesweep_histogram_config_static_selectorELNS0_4arch9wavefront6targetE0EEEvSI_.has_recursion, 0
	.set _ZN7rocprim17ROCPRIM_400000_NS6detail17trampoline_kernelINS0_14default_configENS1_35radix_sort_onesweep_config_selectorIiNS0_10empty_typeEEEZNS1_34radix_sort_onesweep_global_offsetsIS3_Lb0EN6thrust23THRUST_200600_302600_NS6detail15normal_iteratorINS9_10device_ptrIiEEEEPS5_jNS0_19identity_decomposerEEE10hipError_tT1_T2_PT3_SK_jT4_jjP12ihipStream_tbEUlT_E_NS1_11comp_targetILNS1_3genE10ELNS1_11target_archE1201ELNS1_3gpuE5ELNS1_3repE0EEENS1_52radix_sort_onesweep_histogram_config_static_selectorELNS0_4arch9wavefront6targetE0EEEvSI_.has_indirect_call, 0
	.section	.AMDGPU.csdata,"",@progbits
; Kernel info:
; codeLenInByte = 0
; TotalNumSgprs: 0
; NumVgprs: 0
; ScratchSize: 0
; MemoryBound: 0
; FloatMode: 240
; IeeeMode: 1
; LDSByteSize: 0 bytes/workgroup (compile time only)
; SGPRBlocks: 0
; VGPRBlocks: 0
; NumSGPRsForWavesPerEU: 1
; NumVGPRsForWavesPerEU: 1
; Occupancy: 16
; WaveLimiterHint : 0
; COMPUTE_PGM_RSRC2:SCRATCH_EN: 0
; COMPUTE_PGM_RSRC2:USER_SGPR: 6
; COMPUTE_PGM_RSRC2:TRAP_HANDLER: 0
; COMPUTE_PGM_RSRC2:TGID_X_EN: 1
; COMPUTE_PGM_RSRC2:TGID_Y_EN: 0
; COMPUTE_PGM_RSRC2:TGID_Z_EN: 0
; COMPUTE_PGM_RSRC2:TIDIG_COMP_CNT: 0
	.section	.text._ZN7rocprim17ROCPRIM_400000_NS6detail17trampoline_kernelINS0_14default_configENS1_35radix_sort_onesweep_config_selectorIiNS0_10empty_typeEEEZNS1_34radix_sort_onesweep_global_offsetsIS3_Lb0EN6thrust23THRUST_200600_302600_NS6detail15normal_iteratorINS9_10device_ptrIiEEEEPS5_jNS0_19identity_decomposerEEE10hipError_tT1_T2_PT3_SK_jT4_jjP12ihipStream_tbEUlT_E_NS1_11comp_targetILNS1_3genE9ELNS1_11target_archE1100ELNS1_3gpuE3ELNS1_3repE0EEENS1_52radix_sort_onesweep_histogram_config_static_selectorELNS0_4arch9wavefront6targetE0EEEvSI_,"axG",@progbits,_ZN7rocprim17ROCPRIM_400000_NS6detail17trampoline_kernelINS0_14default_configENS1_35radix_sort_onesweep_config_selectorIiNS0_10empty_typeEEEZNS1_34radix_sort_onesweep_global_offsetsIS3_Lb0EN6thrust23THRUST_200600_302600_NS6detail15normal_iteratorINS9_10device_ptrIiEEEEPS5_jNS0_19identity_decomposerEEE10hipError_tT1_T2_PT3_SK_jT4_jjP12ihipStream_tbEUlT_E_NS1_11comp_targetILNS1_3genE9ELNS1_11target_archE1100ELNS1_3gpuE3ELNS1_3repE0EEENS1_52radix_sort_onesweep_histogram_config_static_selectorELNS0_4arch9wavefront6targetE0EEEvSI_,comdat
	.protected	_ZN7rocprim17ROCPRIM_400000_NS6detail17trampoline_kernelINS0_14default_configENS1_35radix_sort_onesweep_config_selectorIiNS0_10empty_typeEEEZNS1_34radix_sort_onesweep_global_offsetsIS3_Lb0EN6thrust23THRUST_200600_302600_NS6detail15normal_iteratorINS9_10device_ptrIiEEEEPS5_jNS0_19identity_decomposerEEE10hipError_tT1_T2_PT3_SK_jT4_jjP12ihipStream_tbEUlT_E_NS1_11comp_targetILNS1_3genE9ELNS1_11target_archE1100ELNS1_3gpuE3ELNS1_3repE0EEENS1_52radix_sort_onesweep_histogram_config_static_selectorELNS0_4arch9wavefront6targetE0EEEvSI_ ; -- Begin function _ZN7rocprim17ROCPRIM_400000_NS6detail17trampoline_kernelINS0_14default_configENS1_35radix_sort_onesweep_config_selectorIiNS0_10empty_typeEEEZNS1_34radix_sort_onesweep_global_offsetsIS3_Lb0EN6thrust23THRUST_200600_302600_NS6detail15normal_iteratorINS9_10device_ptrIiEEEEPS5_jNS0_19identity_decomposerEEE10hipError_tT1_T2_PT3_SK_jT4_jjP12ihipStream_tbEUlT_E_NS1_11comp_targetILNS1_3genE9ELNS1_11target_archE1100ELNS1_3gpuE3ELNS1_3repE0EEENS1_52radix_sort_onesweep_histogram_config_static_selectorELNS0_4arch9wavefront6targetE0EEEvSI_
	.globl	_ZN7rocprim17ROCPRIM_400000_NS6detail17trampoline_kernelINS0_14default_configENS1_35radix_sort_onesweep_config_selectorIiNS0_10empty_typeEEEZNS1_34radix_sort_onesweep_global_offsetsIS3_Lb0EN6thrust23THRUST_200600_302600_NS6detail15normal_iteratorINS9_10device_ptrIiEEEEPS5_jNS0_19identity_decomposerEEE10hipError_tT1_T2_PT3_SK_jT4_jjP12ihipStream_tbEUlT_E_NS1_11comp_targetILNS1_3genE9ELNS1_11target_archE1100ELNS1_3gpuE3ELNS1_3repE0EEENS1_52radix_sort_onesweep_histogram_config_static_selectorELNS0_4arch9wavefront6targetE0EEEvSI_
	.p2align	8
	.type	_ZN7rocprim17ROCPRIM_400000_NS6detail17trampoline_kernelINS0_14default_configENS1_35radix_sort_onesweep_config_selectorIiNS0_10empty_typeEEEZNS1_34radix_sort_onesweep_global_offsetsIS3_Lb0EN6thrust23THRUST_200600_302600_NS6detail15normal_iteratorINS9_10device_ptrIiEEEEPS5_jNS0_19identity_decomposerEEE10hipError_tT1_T2_PT3_SK_jT4_jjP12ihipStream_tbEUlT_E_NS1_11comp_targetILNS1_3genE9ELNS1_11target_archE1100ELNS1_3gpuE3ELNS1_3repE0EEENS1_52radix_sort_onesweep_histogram_config_static_selectorELNS0_4arch9wavefront6targetE0EEEvSI_,@function
_ZN7rocprim17ROCPRIM_400000_NS6detail17trampoline_kernelINS0_14default_configENS1_35radix_sort_onesweep_config_selectorIiNS0_10empty_typeEEEZNS1_34radix_sort_onesweep_global_offsetsIS3_Lb0EN6thrust23THRUST_200600_302600_NS6detail15normal_iteratorINS9_10device_ptrIiEEEEPS5_jNS0_19identity_decomposerEEE10hipError_tT1_T2_PT3_SK_jT4_jjP12ihipStream_tbEUlT_E_NS1_11comp_targetILNS1_3genE9ELNS1_11target_archE1100ELNS1_3gpuE3ELNS1_3repE0EEENS1_52radix_sort_onesweep_histogram_config_static_selectorELNS0_4arch9wavefront6targetE0EEEvSI_: ; @_ZN7rocprim17ROCPRIM_400000_NS6detail17trampoline_kernelINS0_14default_configENS1_35radix_sort_onesweep_config_selectorIiNS0_10empty_typeEEEZNS1_34radix_sort_onesweep_global_offsetsIS3_Lb0EN6thrust23THRUST_200600_302600_NS6detail15normal_iteratorINS9_10device_ptrIiEEEEPS5_jNS0_19identity_decomposerEEE10hipError_tT1_T2_PT3_SK_jT4_jjP12ihipStream_tbEUlT_E_NS1_11comp_targetILNS1_3genE9ELNS1_11target_archE1100ELNS1_3gpuE3ELNS1_3repE0EEENS1_52radix_sort_onesweep_histogram_config_static_selectorELNS0_4arch9wavefront6targetE0EEEvSI_
; %bb.0:
	.section	.rodata,"a",@progbits
	.p2align	6, 0x0
	.amdhsa_kernel _ZN7rocprim17ROCPRIM_400000_NS6detail17trampoline_kernelINS0_14default_configENS1_35radix_sort_onesweep_config_selectorIiNS0_10empty_typeEEEZNS1_34radix_sort_onesweep_global_offsetsIS3_Lb0EN6thrust23THRUST_200600_302600_NS6detail15normal_iteratorINS9_10device_ptrIiEEEEPS5_jNS0_19identity_decomposerEEE10hipError_tT1_T2_PT3_SK_jT4_jjP12ihipStream_tbEUlT_E_NS1_11comp_targetILNS1_3genE9ELNS1_11target_archE1100ELNS1_3gpuE3ELNS1_3repE0EEENS1_52radix_sort_onesweep_histogram_config_static_selectorELNS0_4arch9wavefront6targetE0EEEvSI_
		.amdhsa_group_segment_fixed_size 0
		.amdhsa_private_segment_fixed_size 0
		.amdhsa_kernarg_size 40
		.amdhsa_user_sgpr_count 6
		.amdhsa_user_sgpr_private_segment_buffer 1
		.amdhsa_user_sgpr_dispatch_ptr 0
		.amdhsa_user_sgpr_queue_ptr 0
		.amdhsa_user_sgpr_kernarg_segment_ptr 1
		.amdhsa_user_sgpr_dispatch_id 0
		.amdhsa_user_sgpr_flat_scratch_init 0
		.amdhsa_user_sgpr_private_segment_size 0
		.amdhsa_wavefront_size32 1
		.amdhsa_uses_dynamic_stack 0
		.amdhsa_system_sgpr_private_segment_wavefront_offset 0
		.amdhsa_system_sgpr_workgroup_id_x 1
		.amdhsa_system_sgpr_workgroup_id_y 0
		.amdhsa_system_sgpr_workgroup_id_z 0
		.amdhsa_system_sgpr_workgroup_info 0
		.amdhsa_system_vgpr_workitem_id 0
		.amdhsa_next_free_vgpr 1
		.amdhsa_next_free_sgpr 1
		.amdhsa_reserve_vcc 0
		.amdhsa_reserve_flat_scratch 0
		.amdhsa_float_round_mode_32 0
		.amdhsa_float_round_mode_16_64 0
		.amdhsa_float_denorm_mode_32 3
		.amdhsa_float_denorm_mode_16_64 3
		.amdhsa_dx10_clamp 1
		.amdhsa_ieee_mode 1
		.amdhsa_fp16_overflow 0
		.amdhsa_workgroup_processor_mode 1
		.amdhsa_memory_ordered 1
		.amdhsa_forward_progress 1
		.amdhsa_shared_vgpr_count 0
		.amdhsa_exception_fp_ieee_invalid_op 0
		.amdhsa_exception_fp_denorm_src 0
		.amdhsa_exception_fp_ieee_div_zero 0
		.amdhsa_exception_fp_ieee_overflow 0
		.amdhsa_exception_fp_ieee_underflow 0
		.amdhsa_exception_fp_ieee_inexact 0
		.amdhsa_exception_int_div_zero 0
	.end_amdhsa_kernel
	.section	.text._ZN7rocprim17ROCPRIM_400000_NS6detail17trampoline_kernelINS0_14default_configENS1_35radix_sort_onesweep_config_selectorIiNS0_10empty_typeEEEZNS1_34radix_sort_onesweep_global_offsetsIS3_Lb0EN6thrust23THRUST_200600_302600_NS6detail15normal_iteratorINS9_10device_ptrIiEEEEPS5_jNS0_19identity_decomposerEEE10hipError_tT1_T2_PT3_SK_jT4_jjP12ihipStream_tbEUlT_E_NS1_11comp_targetILNS1_3genE9ELNS1_11target_archE1100ELNS1_3gpuE3ELNS1_3repE0EEENS1_52radix_sort_onesweep_histogram_config_static_selectorELNS0_4arch9wavefront6targetE0EEEvSI_,"axG",@progbits,_ZN7rocprim17ROCPRIM_400000_NS6detail17trampoline_kernelINS0_14default_configENS1_35radix_sort_onesweep_config_selectorIiNS0_10empty_typeEEEZNS1_34radix_sort_onesweep_global_offsetsIS3_Lb0EN6thrust23THRUST_200600_302600_NS6detail15normal_iteratorINS9_10device_ptrIiEEEEPS5_jNS0_19identity_decomposerEEE10hipError_tT1_T2_PT3_SK_jT4_jjP12ihipStream_tbEUlT_E_NS1_11comp_targetILNS1_3genE9ELNS1_11target_archE1100ELNS1_3gpuE3ELNS1_3repE0EEENS1_52radix_sort_onesweep_histogram_config_static_selectorELNS0_4arch9wavefront6targetE0EEEvSI_,comdat
.Lfunc_end139:
	.size	_ZN7rocprim17ROCPRIM_400000_NS6detail17trampoline_kernelINS0_14default_configENS1_35radix_sort_onesweep_config_selectorIiNS0_10empty_typeEEEZNS1_34radix_sort_onesweep_global_offsetsIS3_Lb0EN6thrust23THRUST_200600_302600_NS6detail15normal_iteratorINS9_10device_ptrIiEEEEPS5_jNS0_19identity_decomposerEEE10hipError_tT1_T2_PT3_SK_jT4_jjP12ihipStream_tbEUlT_E_NS1_11comp_targetILNS1_3genE9ELNS1_11target_archE1100ELNS1_3gpuE3ELNS1_3repE0EEENS1_52radix_sort_onesweep_histogram_config_static_selectorELNS0_4arch9wavefront6targetE0EEEvSI_, .Lfunc_end139-_ZN7rocprim17ROCPRIM_400000_NS6detail17trampoline_kernelINS0_14default_configENS1_35radix_sort_onesweep_config_selectorIiNS0_10empty_typeEEEZNS1_34radix_sort_onesweep_global_offsetsIS3_Lb0EN6thrust23THRUST_200600_302600_NS6detail15normal_iteratorINS9_10device_ptrIiEEEEPS5_jNS0_19identity_decomposerEEE10hipError_tT1_T2_PT3_SK_jT4_jjP12ihipStream_tbEUlT_E_NS1_11comp_targetILNS1_3genE9ELNS1_11target_archE1100ELNS1_3gpuE3ELNS1_3repE0EEENS1_52radix_sort_onesweep_histogram_config_static_selectorELNS0_4arch9wavefront6targetE0EEEvSI_
                                        ; -- End function
	.set _ZN7rocprim17ROCPRIM_400000_NS6detail17trampoline_kernelINS0_14default_configENS1_35radix_sort_onesweep_config_selectorIiNS0_10empty_typeEEEZNS1_34radix_sort_onesweep_global_offsetsIS3_Lb0EN6thrust23THRUST_200600_302600_NS6detail15normal_iteratorINS9_10device_ptrIiEEEEPS5_jNS0_19identity_decomposerEEE10hipError_tT1_T2_PT3_SK_jT4_jjP12ihipStream_tbEUlT_E_NS1_11comp_targetILNS1_3genE9ELNS1_11target_archE1100ELNS1_3gpuE3ELNS1_3repE0EEENS1_52radix_sort_onesweep_histogram_config_static_selectorELNS0_4arch9wavefront6targetE0EEEvSI_.num_vgpr, 0
	.set _ZN7rocprim17ROCPRIM_400000_NS6detail17trampoline_kernelINS0_14default_configENS1_35radix_sort_onesweep_config_selectorIiNS0_10empty_typeEEEZNS1_34radix_sort_onesweep_global_offsetsIS3_Lb0EN6thrust23THRUST_200600_302600_NS6detail15normal_iteratorINS9_10device_ptrIiEEEEPS5_jNS0_19identity_decomposerEEE10hipError_tT1_T2_PT3_SK_jT4_jjP12ihipStream_tbEUlT_E_NS1_11comp_targetILNS1_3genE9ELNS1_11target_archE1100ELNS1_3gpuE3ELNS1_3repE0EEENS1_52radix_sort_onesweep_histogram_config_static_selectorELNS0_4arch9wavefront6targetE0EEEvSI_.num_agpr, 0
	.set _ZN7rocprim17ROCPRIM_400000_NS6detail17trampoline_kernelINS0_14default_configENS1_35radix_sort_onesweep_config_selectorIiNS0_10empty_typeEEEZNS1_34radix_sort_onesweep_global_offsetsIS3_Lb0EN6thrust23THRUST_200600_302600_NS6detail15normal_iteratorINS9_10device_ptrIiEEEEPS5_jNS0_19identity_decomposerEEE10hipError_tT1_T2_PT3_SK_jT4_jjP12ihipStream_tbEUlT_E_NS1_11comp_targetILNS1_3genE9ELNS1_11target_archE1100ELNS1_3gpuE3ELNS1_3repE0EEENS1_52radix_sort_onesweep_histogram_config_static_selectorELNS0_4arch9wavefront6targetE0EEEvSI_.numbered_sgpr, 0
	.set _ZN7rocprim17ROCPRIM_400000_NS6detail17trampoline_kernelINS0_14default_configENS1_35radix_sort_onesweep_config_selectorIiNS0_10empty_typeEEEZNS1_34radix_sort_onesweep_global_offsetsIS3_Lb0EN6thrust23THRUST_200600_302600_NS6detail15normal_iteratorINS9_10device_ptrIiEEEEPS5_jNS0_19identity_decomposerEEE10hipError_tT1_T2_PT3_SK_jT4_jjP12ihipStream_tbEUlT_E_NS1_11comp_targetILNS1_3genE9ELNS1_11target_archE1100ELNS1_3gpuE3ELNS1_3repE0EEENS1_52radix_sort_onesweep_histogram_config_static_selectorELNS0_4arch9wavefront6targetE0EEEvSI_.num_named_barrier, 0
	.set _ZN7rocprim17ROCPRIM_400000_NS6detail17trampoline_kernelINS0_14default_configENS1_35radix_sort_onesweep_config_selectorIiNS0_10empty_typeEEEZNS1_34radix_sort_onesweep_global_offsetsIS3_Lb0EN6thrust23THRUST_200600_302600_NS6detail15normal_iteratorINS9_10device_ptrIiEEEEPS5_jNS0_19identity_decomposerEEE10hipError_tT1_T2_PT3_SK_jT4_jjP12ihipStream_tbEUlT_E_NS1_11comp_targetILNS1_3genE9ELNS1_11target_archE1100ELNS1_3gpuE3ELNS1_3repE0EEENS1_52radix_sort_onesweep_histogram_config_static_selectorELNS0_4arch9wavefront6targetE0EEEvSI_.private_seg_size, 0
	.set _ZN7rocprim17ROCPRIM_400000_NS6detail17trampoline_kernelINS0_14default_configENS1_35radix_sort_onesweep_config_selectorIiNS0_10empty_typeEEEZNS1_34radix_sort_onesweep_global_offsetsIS3_Lb0EN6thrust23THRUST_200600_302600_NS6detail15normal_iteratorINS9_10device_ptrIiEEEEPS5_jNS0_19identity_decomposerEEE10hipError_tT1_T2_PT3_SK_jT4_jjP12ihipStream_tbEUlT_E_NS1_11comp_targetILNS1_3genE9ELNS1_11target_archE1100ELNS1_3gpuE3ELNS1_3repE0EEENS1_52radix_sort_onesweep_histogram_config_static_selectorELNS0_4arch9wavefront6targetE0EEEvSI_.uses_vcc, 0
	.set _ZN7rocprim17ROCPRIM_400000_NS6detail17trampoline_kernelINS0_14default_configENS1_35radix_sort_onesweep_config_selectorIiNS0_10empty_typeEEEZNS1_34radix_sort_onesweep_global_offsetsIS3_Lb0EN6thrust23THRUST_200600_302600_NS6detail15normal_iteratorINS9_10device_ptrIiEEEEPS5_jNS0_19identity_decomposerEEE10hipError_tT1_T2_PT3_SK_jT4_jjP12ihipStream_tbEUlT_E_NS1_11comp_targetILNS1_3genE9ELNS1_11target_archE1100ELNS1_3gpuE3ELNS1_3repE0EEENS1_52radix_sort_onesweep_histogram_config_static_selectorELNS0_4arch9wavefront6targetE0EEEvSI_.uses_flat_scratch, 0
	.set _ZN7rocprim17ROCPRIM_400000_NS6detail17trampoline_kernelINS0_14default_configENS1_35radix_sort_onesweep_config_selectorIiNS0_10empty_typeEEEZNS1_34radix_sort_onesweep_global_offsetsIS3_Lb0EN6thrust23THRUST_200600_302600_NS6detail15normal_iteratorINS9_10device_ptrIiEEEEPS5_jNS0_19identity_decomposerEEE10hipError_tT1_T2_PT3_SK_jT4_jjP12ihipStream_tbEUlT_E_NS1_11comp_targetILNS1_3genE9ELNS1_11target_archE1100ELNS1_3gpuE3ELNS1_3repE0EEENS1_52radix_sort_onesweep_histogram_config_static_selectorELNS0_4arch9wavefront6targetE0EEEvSI_.has_dyn_sized_stack, 0
	.set _ZN7rocprim17ROCPRIM_400000_NS6detail17trampoline_kernelINS0_14default_configENS1_35radix_sort_onesweep_config_selectorIiNS0_10empty_typeEEEZNS1_34radix_sort_onesweep_global_offsetsIS3_Lb0EN6thrust23THRUST_200600_302600_NS6detail15normal_iteratorINS9_10device_ptrIiEEEEPS5_jNS0_19identity_decomposerEEE10hipError_tT1_T2_PT3_SK_jT4_jjP12ihipStream_tbEUlT_E_NS1_11comp_targetILNS1_3genE9ELNS1_11target_archE1100ELNS1_3gpuE3ELNS1_3repE0EEENS1_52radix_sort_onesweep_histogram_config_static_selectorELNS0_4arch9wavefront6targetE0EEEvSI_.has_recursion, 0
	.set _ZN7rocprim17ROCPRIM_400000_NS6detail17trampoline_kernelINS0_14default_configENS1_35radix_sort_onesweep_config_selectorIiNS0_10empty_typeEEEZNS1_34radix_sort_onesweep_global_offsetsIS3_Lb0EN6thrust23THRUST_200600_302600_NS6detail15normal_iteratorINS9_10device_ptrIiEEEEPS5_jNS0_19identity_decomposerEEE10hipError_tT1_T2_PT3_SK_jT4_jjP12ihipStream_tbEUlT_E_NS1_11comp_targetILNS1_3genE9ELNS1_11target_archE1100ELNS1_3gpuE3ELNS1_3repE0EEENS1_52radix_sort_onesweep_histogram_config_static_selectorELNS0_4arch9wavefront6targetE0EEEvSI_.has_indirect_call, 0
	.section	.AMDGPU.csdata,"",@progbits
; Kernel info:
; codeLenInByte = 0
; TotalNumSgprs: 0
; NumVgprs: 0
; ScratchSize: 0
; MemoryBound: 0
; FloatMode: 240
; IeeeMode: 1
; LDSByteSize: 0 bytes/workgroup (compile time only)
; SGPRBlocks: 0
; VGPRBlocks: 0
; NumSGPRsForWavesPerEU: 1
; NumVGPRsForWavesPerEU: 1
; Occupancy: 16
; WaveLimiterHint : 0
; COMPUTE_PGM_RSRC2:SCRATCH_EN: 0
; COMPUTE_PGM_RSRC2:USER_SGPR: 6
; COMPUTE_PGM_RSRC2:TRAP_HANDLER: 0
; COMPUTE_PGM_RSRC2:TGID_X_EN: 1
; COMPUTE_PGM_RSRC2:TGID_Y_EN: 0
; COMPUTE_PGM_RSRC2:TGID_Z_EN: 0
; COMPUTE_PGM_RSRC2:TIDIG_COMP_CNT: 0
	.section	.text._ZN7rocprim17ROCPRIM_400000_NS6detail17trampoline_kernelINS0_14default_configENS1_35radix_sort_onesweep_config_selectorIiNS0_10empty_typeEEEZNS1_34radix_sort_onesweep_global_offsetsIS3_Lb0EN6thrust23THRUST_200600_302600_NS6detail15normal_iteratorINS9_10device_ptrIiEEEEPS5_jNS0_19identity_decomposerEEE10hipError_tT1_T2_PT3_SK_jT4_jjP12ihipStream_tbEUlT_E_NS1_11comp_targetILNS1_3genE8ELNS1_11target_archE1030ELNS1_3gpuE2ELNS1_3repE0EEENS1_52radix_sort_onesweep_histogram_config_static_selectorELNS0_4arch9wavefront6targetE0EEEvSI_,"axG",@progbits,_ZN7rocprim17ROCPRIM_400000_NS6detail17trampoline_kernelINS0_14default_configENS1_35radix_sort_onesweep_config_selectorIiNS0_10empty_typeEEEZNS1_34radix_sort_onesweep_global_offsetsIS3_Lb0EN6thrust23THRUST_200600_302600_NS6detail15normal_iteratorINS9_10device_ptrIiEEEEPS5_jNS0_19identity_decomposerEEE10hipError_tT1_T2_PT3_SK_jT4_jjP12ihipStream_tbEUlT_E_NS1_11comp_targetILNS1_3genE8ELNS1_11target_archE1030ELNS1_3gpuE2ELNS1_3repE0EEENS1_52radix_sort_onesweep_histogram_config_static_selectorELNS0_4arch9wavefront6targetE0EEEvSI_,comdat
	.protected	_ZN7rocprim17ROCPRIM_400000_NS6detail17trampoline_kernelINS0_14default_configENS1_35radix_sort_onesweep_config_selectorIiNS0_10empty_typeEEEZNS1_34radix_sort_onesweep_global_offsetsIS3_Lb0EN6thrust23THRUST_200600_302600_NS6detail15normal_iteratorINS9_10device_ptrIiEEEEPS5_jNS0_19identity_decomposerEEE10hipError_tT1_T2_PT3_SK_jT4_jjP12ihipStream_tbEUlT_E_NS1_11comp_targetILNS1_3genE8ELNS1_11target_archE1030ELNS1_3gpuE2ELNS1_3repE0EEENS1_52radix_sort_onesweep_histogram_config_static_selectorELNS0_4arch9wavefront6targetE0EEEvSI_ ; -- Begin function _ZN7rocprim17ROCPRIM_400000_NS6detail17trampoline_kernelINS0_14default_configENS1_35radix_sort_onesweep_config_selectorIiNS0_10empty_typeEEEZNS1_34radix_sort_onesweep_global_offsetsIS3_Lb0EN6thrust23THRUST_200600_302600_NS6detail15normal_iteratorINS9_10device_ptrIiEEEEPS5_jNS0_19identity_decomposerEEE10hipError_tT1_T2_PT3_SK_jT4_jjP12ihipStream_tbEUlT_E_NS1_11comp_targetILNS1_3genE8ELNS1_11target_archE1030ELNS1_3gpuE2ELNS1_3repE0EEENS1_52radix_sort_onesweep_histogram_config_static_selectorELNS0_4arch9wavefront6targetE0EEEvSI_
	.globl	_ZN7rocprim17ROCPRIM_400000_NS6detail17trampoline_kernelINS0_14default_configENS1_35radix_sort_onesweep_config_selectorIiNS0_10empty_typeEEEZNS1_34radix_sort_onesweep_global_offsetsIS3_Lb0EN6thrust23THRUST_200600_302600_NS6detail15normal_iteratorINS9_10device_ptrIiEEEEPS5_jNS0_19identity_decomposerEEE10hipError_tT1_T2_PT3_SK_jT4_jjP12ihipStream_tbEUlT_E_NS1_11comp_targetILNS1_3genE8ELNS1_11target_archE1030ELNS1_3gpuE2ELNS1_3repE0EEENS1_52radix_sort_onesweep_histogram_config_static_selectorELNS0_4arch9wavefront6targetE0EEEvSI_
	.p2align	8
	.type	_ZN7rocprim17ROCPRIM_400000_NS6detail17trampoline_kernelINS0_14default_configENS1_35radix_sort_onesweep_config_selectorIiNS0_10empty_typeEEEZNS1_34radix_sort_onesweep_global_offsetsIS3_Lb0EN6thrust23THRUST_200600_302600_NS6detail15normal_iteratorINS9_10device_ptrIiEEEEPS5_jNS0_19identity_decomposerEEE10hipError_tT1_T2_PT3_SK_jT4_jjP12ihipStream_tbEUlT_E_NS1_11comp_targetILNS1_3genE8ELNS1_11target_archE1030ELNS1_3gpuE2ELNS1_3repE0EEENS1_52radix_sort_onesweep_histogram_config_static_selectorELNS0_4arch9wavefront6targetE0EEEvSI_,@function
_ZN7rocprim17ROCPRIM_400000_NS6detail17trampoline_kernelINS0_14default_configENS1_35radix_sort_onesweep_config_selectorIiNS0_10empty_typeEEEZNS1_34radix_sort_onesweep_global_offsetsIS3_Lb0EN6thrust23THRUST_200600_302600_NS6detail15normal_iteratorINS9_10device_ptrIiEEEEPS5_jNS0_19identity_decomposerEEE10hipError_tT1_T2_PT3_SK_jT4_jjP12ihipStream_tbEUlT_E_NS1_11comp_targetILNS1_3genE8ELNS1_11target_archE1030ELNS1_3gpuE2ELNS1_3repE0EEENS1_52radix_sort_onesweep_histogram_config_static_selectorELNS0_4arch9wavefront6targetE0EEEvSI_: ; @_ZN7rocprim17ROCPRIM_400000_NS6detail17trampoline_kernelINS0_14default_configENS1_35radix_sort_onesweep_config_selectorIiNS0_10empty_typeEEEZNS1_34radix_sort_onesweep_global_offsetsIS3_Lb0EN6thrust23THRUST_200600_302600_NS6detail15normal_iteratorINS9_10device_ptrIiEEEEPS5_jNS0_19identity_decomposerEEE10hipError_tT1_T2_PT3_SK_jT4_jjP12ihipStream_tbEUlT_E_NS1_11comp_targetILNS1_3genE8ELNS1_11target_archE1030ELNS1_3gpuE2ELNS1_3repE0EEENS1_52radix_sort_onesweep_histogram_config_static_selectorELNS0_4arch9wavefront6targetE0EEEvSI_
; %bb.0:
	s_clause 0x2
	s_load_dword s0, s[4:5], 0x14
	s_load_dwordx4 s[8:11], s[4:5], 0x0
	s_load_dwordx2 s[2:3], s[4:5], 0x1c
	s_lshl_b32 s12, s6, 12
	s_mov_b32 s1, -1
	s_waitcnt lgkmcnt(0)
	s_cmp_ge_u32 s6, s0
	s_cbranch_scc0 .LBB140_85
; %bb.1:
	s_load_dword s4, s[4:5], 0x10
	v_mov_b32_e32 v1, 0
	s_mov_b32 s13, 0
	s_lshl_b32 s5, s0, 12
	s_lshl_b64 s[0:1], s[12:13], 2
	v_mov_b32_e32 v2, v1
	v_mov_b32_e32 v3, v1
	;; [unrolled: 1-line block ×3, first 2 shown]
	s_waitcnt lgkmcnt(0)
	s_sub_i32 s4, s4, s5
	s_add_u32 s0, s8, s0
	s_addc_u32 s1, s9, s1
	s_mov_b32 s5, exec_lo
	v_cmpx_gt_u32_e64 s4, v0
	s_cbranch_execz .LBB140_3
; %bb.2:
	v_lshlrev_b32_e32 v2, 2, v0
	v_mov_b32_e32 v5, v1
	v_mov_b32_e32 v3, v1
	;; [unrolled: 1-line block ×3, first 2 shown]
	global_load_dword v2, v2, s[0:1]
	s_waitcnt vmcnt(0)
	v_mov_b32_e32 v1, v2
	v_mov_b32_e32 v2, v3
	;; [unrolled: 1-line block ×4, first 2 shown]
.LBB140_3:
	s_or_b32 exec_lo, exec_lo, s5
	v_or_b32_e32 v8, 0x400, v0
	s_mov_b32 s5, exec_lo
	v_cmpx_gt_u32_e64 s4, v8
	s_cbranch_execz .LBB140_5
; %bb.4:
	v_lshlrev_b32_e32 v2, 2, v8
	global_load_dword v2, v2, s[0:1]
.LBB140_5:
	s_or_b32 exec_lo, exec_lo, s5
	v_or_b32_e32 v7, 0x800, v0
	s_mov_b32 s5, exec_lo
	v_cmpx_gt_u32_e64 s4, v7
	s_cbranch_execz .LBB140_7
; %bb.6:
	v_lshlrev_b32_e32 v3, 2, v7
	global_load_dword v3, v3, s[0:1]
.LBB140_7:
	;; [unrolled: 9-line block ×3, first 2 shown]
	s_or_b32 exec_lo, exec_lo, s5
	v_or_b32_e32 v5, 0xfffffc00, v0
	v_lshlrev_b32_e32 v9, 2, v0
	v_mov_b32_e32 v10, 0
	s_mov_b32 s0, 0
.LBB140_10:                             ; =>This Inner Loop Header: Depth=1
	v_add_nc_u32_e32 v5, 0x400, v5
	ds_write_b32 v9, v10
	v_add_nc_u32_e32 v9, 0x1000, v9
	v_cmp_lt_u32_e32 vcc_lo, 0xbff, v5
	s_or_b32 s0, vcc_lo, s0
	s_andn2_b32 exec_lo, exec_lo, s0
	s_cbranch_execnz .LBB140_10
; %bb.11:
	s_or_b32 exec_lo, exec_lo, s0
	s_cmp_le_u32 s3, s2
	v_cmp_le_u32_e32 vcc_lo, s4, v0
	s_cselect_b32 s1, -1, 0
	v_and_b32_e32 v5, 3, v0
	s_and_b32 s0, s1, exec_lo
	s_cselect_b32 s5, 8, 10
	v_xor_b32_e32 v1, 0x80000000, v1
	v_mov_b32_e32 v9, s5
	s_nor_b32 s6, s1, vcc_lo
	s_waitcnt vmcnt(0) lgkmcnt(0)
	s_barrier
	buffer_gl0_inv
	s_and_saveexec_b32 s0, s6
	s_cbranch_execz .LBB140_13
; %bb.12:
	v_lshrrev_b32_e32 v9, s2, v1
	s_sub_i32 s6, s3, s2
	v_lshlrev_b32_e32 v10, 2, v5
	s_min_u32 s6, s6, 8
	v_bfe_u32 v9, v9, 0, s6
	v_lshl_or_b32 v9, v9, 4, v10
	v_mov_b32_e32 v10, 1
	ds_add_u32 v9, v10
	v_mov_b32_e32 v9, 0
.LBB140_13:
	s_or_b32 exec_lo, exec_lo, s0
	s_mov_b32 s7, -1
	s_mov_b32 s6, exec_lo
	v_cmpx_gt_i32_e32 10, v9
; %bb.14:
	v_cmp_eq_u32_e64 s0, 0, v9
	s_orn2_b32 s7, s0, exec_lo
; %bb.15:
	s_or_b32 exec_lo, exec_lo, s6
	s_and_saveexec_b32 s6, s7
	s_cbranch_execz .LBB140_28
; %bb.16:
	s_add_i32 s7, s2, 8
	s_cmp_le_u32 s3, s7
	s_cselect_b32 s0, -1, 0
	s_and_b32 s13, s0, exec_lo
	s_cselect_b32 s13, 8, 10
	v_mov_b32_e32 v9, s13
	s_nor_b32 s13, s0, vcc_lo
	s_and_saveexec_b32 s0, s13
	s_cbranch_execz .LBB140_18
; %bb.17:
	v_lshrrev_b32_e32 v9, s7, v1
	s_sub_i32 s7, s3, s7
	v_lshlrev_b32_e32 v10, 2, v5
	s_min_u32 s7, s7, 8
	v_bfe_u32 v9, v9, 0, s7
	v_lshl_or_b32 v9, v9, 4, v10
	v_mov_b32_e32 v10, 1
	ds_add_u32 v9, v10 offset:4096
	v_mov_b32_e32 v9, 0
.LBB140_18:
	s_or_b32 exec_lo, exec_lo, s0
	s_mov_b32 s7, -1
	s_mov_b32 s13, exec_lo
	v_cmpx_gt_i32_e32 10, v9
; %bb.19:
	v_cmp_eq_u32_e64 s0, 0, v9
	s_orn2_b32 s7, s0, exec_lo
; %bb.20:
	s_or_b32 exec_lo, exec_lo, s13
	s_and_b32 exec_lo, exec_lo, s7
	s_cbranch_execz .LBB140_28
; %bb.21:
	s_add_i32 s7, s2, 16
	s_cmp_le_u32 s3, s7
	s_cselect_b32 s0, -1, 0
	s_and_b32 s13, s0, exec_lo
	s_cselect_b32 s13, 8, 10
	v_mov_b32_e32 v9, s13
	s_nor_b32 s13, s0, vcc_lo
	s_and_saveexec_b32 s0, s13
	s_cbranch_execz .LBB140_23
; %bb.22:
	v_lshrrev_b32_e32 v9, s7, v1
	s_sub_i32 s7, s3, s7
	v_lshlrev_b32_e32 v10, 2, v5
	s_min_u32 s7, s7, 8
	v_bfe_u32 v9, v9, 0, s7
	v_lshl_or_b32 v9, v9, 4, v10
	v_mov_b32_e32 v10, 1
	ds_add_u32 v9, v10 offset:8192
	v_mov_b32_e32 v9, 0
.LBB140_23:
	s_or_b32 exec_lo, exec_lo, s0
	s_mov_b32 s7, -1
	s_mov_b32 s13, exec_lo
	v_cmpx_gt_i32_e32 10, v9
; %bb.24:
	v_cmp_eq_u32_e64 s0, 0, v9
	s_orn2_b32 s7, s0, exec_lo
; %bb.25:
	s_or_b32 exec_lo, exec_lo, s13
	s_and_b32 exec_lo, exec_lo, s7
	s_cbranch_execz .LBB140_28
; %bb.26:
	s_add_i32 s0, s2, 24
	s_cmp_gt_u32 s3, s0
	s_cselect_b32 s7, -1, 0
	s_xor_b32 s13, vcc_lo, -1
	s_and_b32 s7, s7, s13
	s_and_b32 exec_lo, exec_lo, s7
	s_cbranch_execz .LBB140_28
; %bb.27:
	v_lshrrev_b32_e32 v1, s0, v1
	s_sub_i32 s0, s3, s0
	v_lshlrev_b32_e32 v9, 2, v5
	s_min_u32 s0, s0, 8
	v_bfe_u32 v1, v1, 0, s0
	v_lshl_or_b32 v1, v1, 4, v9
	v_mov_b32_e32 v9, 1
	ds_add_u32 v1, v9 offset:12288
.LBB140_28:
	s_or_b32 exec_lo, exec_lo, s6
	v_cmp_le_u32_e32 vcc_lo, s4, v8
	v_xor_b32_e32 v1, 0x80000000, v2
	v_mov_b32_e32 v2, s5
	s_nor_b32 s6, s1, vcc_lo
	s_and_saveexec_b32 s0, s6
	s_cbranch_execz .LBB140_30
; %bb.29:
	v_lshrrev_b32_e32 v2, s2, v1
	s_sub_i32 s6, s3, s2
	v_lshlrev_b32_e32 v8, 2, v5
	s_min_u32 s6, s6, 8
	v_bfe_u32 v2, v2, 0, s6
	v_lshl_or_b32 v2, v2, 4, v8
	v_mov_b32_e32 v8, 1
	ds_add_u32 v2, v8
	v_mov_b32_e32 v2, 0
.LBB140_30:
	s_or_b32 exec_lo, exec_lo, s0
	s_mov_b32 s7, -1
	s_mov_b32 s6, exec_lo
	v_cmpx_gt_i32_e32 10, v2
; %bb.31:
	v_cmp_eq_u32_e64 s0, 0, v2
	s_orn2_b32 s7, s0, exec_lo
; %bb.32:
	s_or_b32 exec_lo, exec_lo, s6
	s_and_saveexec_b32 s6, s7
	s_cbranch_execz .LBB140_45
; %bb.33:
	s_add_i32 s7, s2, 8
	s_cmp_le_u32 s3, s7
	s_cselect_b32 s0, -1, 0
	s_and_b32 s13, s0, exec_lo
	s_cselect_b32 s13, 8, 10
	v_mov_b32_e32 v2, s13
	s_nor_b32 s13, s0, vcc_lo
	s_and_saveexec_b32 s0, s13
	s_cbranch_execz .LBB140_35
; %bb.34:
	v_lshrrev_b32_e32 v2, s7, v1
	s_sub_i32 s7, s3, s7
	v_lshlrev_b32_e32 v8, 2, v5
	s_min_u32 s7, s7, 8
	v_bfe_u32 v2, v2, 0, s7
	v_lshl_or_b32 v2, v2, 4, v8
	v_mov_b32_e32 v8, 1
	ds_add_u32 v2, v8 offset:4096
	v_mov_b32_e32 v2, 0
.LBB140_35:
	s_or_b32 exec_lo, exec_lo, s0
	s_mov_b32 s7, -1
	s_mov_b32 s13, exec_lo
	v_cmpx_gt_i32_e32 10, v2
; %bb.36:
	v_cmp_eq_u32_e64 s0, 0, v2
	s_orn2_b32 s7, s0, exec_lo
; %bb.37:
	s_or_b32 exec_lo, exec_lo, s13
	s_and_b32 exec_lo, exec_lo, s7
	s_cbranch_execz .LBB140_45
; %bb.38:
	s_add_i32 s7, s2, 16
	s_cmp_le_u32 s3, s7
	s_cselect_b32 s0, -1, 0
	s_and_b32 s13, s0, exec_lo
	s_cselect_b32 s13, 8, 10
	v_mov_b32_e32 v2, s13
	s_nor_b32 s13, s0, vcc_lo
	s_and_saveexec_b32 s0, s13
	s_cbranch_execz .LBB140_40
; %bb.39:
	v_lshrrev_b32_e32 v2, s7, v1
	s_sub_i32 s7, s3, s7
	v_lshlrev_b32_e32 v8, 2, v5
	s_min_u32 s7, s7, 8
	v_bfe_u32 v2, v2, 0, s7
	v_lshl_or_b32 v2, v2, 4, v8
	v_mov_b32_e32 v8, 1
	ds_add_u32 v2, v8 offset:8192
	v_mov_b32_e32 v2, 0
.LBB140_40:
	s_or_b32 exec_lo, exec_lo, s0
	s_mov_b32 s7, -1
	s_mov_b32 s13, exec_lo
	v_cmpx_gt_i32_e32 10, v2
; %bb.41:
	v_cmp_eq_u32_e64 s0, 0, v2
	s_orn2_b32 s7, s0, exec_lo
; %bb.42:
	s_or_b32 exec_lo, exec_lo, s13
	s_and_b32 exec_lo, exec_lo, s7
	s_cbranch_execz .LBB140_45
; %bb.43:
	s_add_i32 s0, s2, 24
	s_cmp_gt_u32 s3, s0
	s_cselect_b32 s7, -1, 0
	s_xor_b32 s13, vcc_lo, -1
	s_and_b32 s7, s7, s13
	s_and_b32 exec_lo, exec_lo, s7
	s_cbranch_execz .LBB140_45
; %bb.44:
	v_lshrrev_b32_e32 v1, s0, v1
	s_sub_i32 s0, s3, s0
	v_lshlrev_b32_e32 v2, 2, v5
	s_min_u32 s0, s0, 8
	v_bfe_u32 v1, v1, 0, s0
	v_lshl_or_b32 v1, v1, 4, v2
	v_mov_b32_e32 v2, 1
	ds_add_u32 v1, v2 offset:12288
.LBB140_45:
	s_or_b32 exec_lo, exec_lo, s6
	v_cmp_le_u32_e32 vcc_lo, s4, v7
	v_xor_b32_e32 v1, 0x80000000, v3
	v_mov_b32_e32 v2, s5
	s_nor_b32 s6, s1, vcc_lo
	s_and_saveexec_b32 s0, s6
	s_cbranch_execz .LBB140_47
; %bb.46:
	v_lshrrev_b32_e32 v2, s2, v1
	s_sub_i32 s6, s3, s2
	v_lshlrev_b32_e32 v3, 2, v5
	s_min_u32 s6, s6, 8
	v_bfe_u32 v2, v2, 0, s6
	v_lshl_or_b32 v2, v2, 4, v3
	v_mov_b32_e32 v3, 1
	ds_add_u32 v2, v3
	v_mov_b32_e32 v2, 0
.LBB140_47:
	s_or_b32 exec_lo, exec_lo, s0
	s_mov_b32 s7, -1
	s_mov_b32 s6, exec_lo
	v_cmpx_gt_i32_e32 10, v2
; %bb.48:
	v_cmp_eq_u32_e64 s0, 0, v2
	s_orn2_b32 s7, s0, exec_lo
; %bb.49:
	s_or_b32 exec_lo, exec_lo, s6
	s_and_saveexec_b32 s6, s7
	s_cbranch_execz .LBB140_62
; %bb.50:
	s_add_i32 s7, s2, 8
	s_cmp_le_u32 s3, s7
	s_cselect_b32 s0, -1, 0
	s_and_b32 s13, s0, exec_lo
	s_cselect_b32 s13, 8, 10
	v_mov_b32_e32 v2, s13
	s_nor_b32 s13, s0, vcc_lo
	s_and_saveexec_b32 s0, s13
	s_cbranch_execz .LBB140_52
; %bb.51:
	v_lshrrev_b32_e32 v2, s7, v1
	s_sub_i32 s7, s3, s7
	v_lshlrev_b32_e32 v3, 2, v5
	s_min_u32 s7, s7, 8
	v_bfe_u32 v2, v2, 0, s7
	v_lshl_or_b32 v2, v2, 4, v3
	v_mov_b32_e32 v3, 1
	ds_add_u32 v2, v3 offset:4096
	v_mov_b32_e32 v2, 0
.LBB140_52:
	s_or_b32 exec_lo, exec_lo, s0
	s_mov_b32 s7, -1
	s_mov_b32 s13, exec_lo
	v_cmpx_gt_i32_e32 10, v2
; %bb.53:
	v_cmp_eq_u32_e64 s0, 0, v2
	s_orn2_b32 s7, s0, exec_lo
; %bb.54:
	s_or_b32 exec_lo, exec_lo, s13
	s_and_b32 exec_lo, exec_lo, s7
	s_cbranch_execz .LBB140_62
; %bb.55:
	s_add_i32 s7, s2, 16
	s_cmp_le_u32 s3, s7
	s_cselect_b32 s0, -1, 0
	s_and_b32 s13, s0, exec_lo
	s_cselect_b32 s13, 8, 10
	v_mov_b32_e32 v2, s13
	s_nor_b32 s13, s0, vcc_lo
	s_and_saveexec_b32 s0, s13
	s_cbranch_execz .LBB140_57
; %bb.56:
	v_lshrrev_b32_e32 v2, s7, v1
	s_sub_i32 s7, s3, s7
	v_lshlrev_b32_e32 v3, 2, v5
	s_min_u32 s7, s7, 8
	v_bfe_u32 v2, v2, 0, s7
	v_lshl_or_b32 v2, v2, 4, v3
	v_mov_b32_e32 v3, 1
	ds_add_u32 v2, v3 offset:8192
	v_mov_b32_e32 v2, 0
.LBB140_57:
	s_or_b32 exec_lo, exec_lo, s0
	s_mov_b32 s7, -1
	s_mov_b32 s13, exec_lo
	v_cmpx_gt_i32_e32 10, v2
; %bb.58:
	v_cmp_eq_u32_e64 s0, 0, v2
	s_orn2_b32 s7, s0, exec_lo
; %bb.59:
	s_or_b32 exec_lo, exec_lo, s13
	s_and_b32 exec_lo, exec_lo, s7
	s_cbranch_execz .LBB140_62
; %bb.60:
	s_add_i32 s0, s2, 24
	s_cmp_gt_u32 s3, s0
	s_cselect_b32 s7, -1, 0
	s_xor_b32 s13, vcc_lo, -1
	s_and_b32 s7, s7, s13
	s_and_b32 exec_lo, exec_lo, s7
	s_cbranch_execz .LBB140_62
; %bb.61:
	v_lshrrev_b32_e32 v1, s0, v1
	s_sub_i32 s0, s3, s0
	v_lshlrev_b32_e32 v2, 2, v5
	s_min_u32 s0, s0, 8
	v_bfe_u32 v1, v1, 0, s0
	v_lshl_or_b32 v1, v1, 4, v2
	v_mov_b32_e32 v2, 1
	ds_add_u32 v1, v2 offset:12288
.LBB140_62:
	s_or_b32 exec_lo, exec_lo, s6
	v_cmp_le_u32_e32 vcc_lo, s4, v6
	v_xor_b32_e32 v1, 0x80000000, v4
	v_mov_b32_e32 v2, s5
	s_nor_b32 s1, s1, vcc_lo
	s_and_saveexec_b32 s0, s1
	s_cbranch_execz .LBB140_64
; %bb.63:
	v_lshrrev_b32_e32 v2, s2, v1
	s_sub_i32 s1, s3, s2
	v_lshlrev_b32_e32 v3, 2, v5
	s_min_u32 s1, s1, 8
	v_bfe_u32 v2, v2, 0, s1
	v_lshl_or_b32 v2, v2, 4, v3
	v_mov_b32_e32 v3, 1
	ds_add_u32 v2, v3
	v_mov_b32_e32 v2, 0
.LBB140_64:
	s_or_b32 exec_lo, exec_lo, s0
	s_mov_b32 s4, -1
	s_mov_b32 s1, exec_lo
	v_cmpx_gt_i32_e32 10, v2
; %bb.65:
	v_cmp_eq_u32_e64 s0, 0, v2
	s_orn2_b32 s4, s0, exec_lo
; %bb.66:
	s_or_b32 exec_lo, exec_lo, s1
	s_and_saveexec_b32 s1, s4
	s_cbranch_execz .LBB140_79
; %bb.67:
	s_add_i32 s4, s2, 8
	s_cmp_le_u32 s3, s4
	s_cselect_b32 s0, -1, 0
	s_and_b32 s5, s0, exec_lo
	s_cselect_b32 s5, 8, 10
	v_mov_b32_e32 v2, s5
	s_nor_b32 s5, s0, vcc_lo
	s_and_saveexec_b32 s0, s5
	s_cbranch_execz .LBB140_69
; %bb.68:
	v_lshrrev_b32_e32 v2, s4, v1
	s_sub_i32 s4, s3, s4
	v_lshlrev_b32_e32 v3, 2, v5
	s_min_u32 s4, s4, 8
	v_bfe_u32 v2, v2, 0, s4
	v_lshl_or_b32 v2, v2, 4, v3
	v_mov_b32_e32 v3, 1
	ds_add_u32 v2, v3 offset:4096
	v_mov_b32_e32 v2, 0
.LBB140_69:
	s_or_b32 exec_lo, exec_lo, s0
	s_mov_b32 s4, -1
	s_mov_b32 s5, exec_lo
	v_cmpx_gt_i32_e32 10, v2
; %bb.70:
	v_cmp_eq_u32_e64 s0, 0, v2
	s_orn2_b32 s4, s0, exec_lo
; %bb.71:
	s_or_b32 exec_lo, exec_lo, s5
	s_and_b32 exec_lo, exec_lo, s4
	s_cbranch_execz .LBB140_79
; %bb.72:
	s_add_i32 s4, s2, 16
	s_cmp_le_u32 s3, s4
	s_cselect_b32 s0, -1, 0
	s_and_b32 s5, s0, exec_lo
	s_cselect_b32 s5, 8, 10
	v_mov_b32_e32 v2, s5
	s_nor_b32 s5, s0, vcc_lo
	s_and_saveexec_b32 s0, s5
	s_cbranch_execz .LBB140_74
; %bb.73:
	v_lshrrev_b32_e32 v2, s4, v1
	s_sub_i32 s4, s3, s4
	v_lshlrev_b32_e32 v3, 2, v5
	s_min_u32 s4, s4, 8
	v_bfe_u32 v2, v2, 0, s4
	v_lshl_or_b32 v2, v2, 4, v3
	v_mov_b32_e32 v3, 1
	ds_add_u32 v2, v3 offset:8192
	v_mov_b32_e32 v2, 0
.LBB140_74:
	s_or_b32 exec_lo, exec_lo, s0
	s_mov_b32 s4, -1
	s_mov_b32 s5, exec_lo
	v_cmpx_gt_i32_e32 10, v2
; %bb.75:
	v_cmp_eq_u32_e64 s0, 0, v2
	s_orn2_b32 s4, s0, exec_lo
; %bb.76:
	s_or_b32 exec_lo, exec_lo, s5
	s_and_b32 exec_lo, exec_lo, s4
	s_cbranch_execz .LBB140_79
; %bb.77:
	s_add_i32 s0, s2, 24
	s_cmp_gt_u32 s3, s0
	s_cselect_b32 s4, -1, 0
	s_xor_b32 s5, vcc_lo, -1
	s_and_b32 s4, s4, s5
	s_and_b32 exec_lo, exec_lo, s4
	s_cbranch_execz .LBB140_79
; %bb.78:
	v_lshrrev_b32_e32 v1, s0, v1
	s_sub_i32 s0, s3, s0
	v_lshlrev_b32_e32 v2, 2, v5
	s_min_u32 s0, s0, 8
	v_bfe_u32 v1, v1, 0, s0
	v_lshl_or_b32 v1, v1, 4, v2
	v_mov_b32_e32 v2, 1
	ds_add_u32 v1, v2 offset:12288
.LBB140_79:
	s_or_b32 exec_lo, exec_lo, s1
	s_cmp_gt_u32 s3, s2
	s_waitcnt lgkmcnt(0)
	s_barrier
	buffer_gl0_inv
	s_cbranch_scc0 .LBB140_84
; %bb.80:
	v_lshlrev_b32_e32 v3, 4, v0
	v_mov_b32_e32 v2, 0
	v_mov_b32_e32 v1, v0
	s_mov_b32 s1, s2
	v_cmp_gt_u32_e32 vcc_lo, 0x100, v0
	s_inst_prefetch 0x1
	s_branch .LBB140_82
	.p2align	6
.LBB140_81:                             ;   in Loop: Header=BB140_82 Depth=1
	s_or_b32 exec_lo, exec_lo, s4
	v_add_nc_u32_e32 v1, 0x100, v1
	v_add_nc_u32_e32 v3, 0x1000, v3
	s_add_i32 s1, s1, 8
	s_cmp_lt_u32 s1, s3
	s_cbranch_scc0 .LBB140_84
.LBB140_82:                             ; =>This Inner Loop Header: Depth=1
	s_and_saveexec_b32 s4, vcc_lo
	s_cbranch_execz .LBB140_81
; %bb.83:                               ;   in Loop: Header=BB140_82 Depth=1
	ds_read2_b32 v[4:5], v3 offset1:1
	ds_read2_b32 v[6:7], v3 offset0:2 offset1:3
	s_waitcnt lgkmcnt(1)
	v_add_nc_u32_e32 v8, v5, v4
	v_lshlrev_b64 v[4:5], 2, v[1:2]
	s_waitcnt lgkmcnt(0)
	v_add3_u32 v6, v8, v6, v7
	v_add_co_u32 v4, s0, s10, v4
	v_add_co_ci_u32_e64 v5, null, s11, v5, s0
	global_atomic_add v[4:5], v6, off
	s_branch .LBB140_81
.LBB140_84:
	s_inst_prefetch 0x2
	s_mov_b32 s1, 0
.LBB140_85:
	s_and_b32 vcc_lo, exec_lo, s1
	s_cbranch_vccz .LBB140_125
; %bb.86:
	s_cmp_eq_u32 s2, 0
	s_mov_b32 s13, 0
	s_cselect_b32 s4, -1, 0
	s_cmp_eq_u32 s3, 32
	v_lshlrev_b32_e32 v1, 2, v0
	s_cselect_b32 s5, -1, 0
	s_lshl_b64 s[0:1], s[12:13], 2
	s_and_b32 s4, s4, s5
	s_add_u32 s0, s8, s0
	s_addc_u32 s1, s9, s1
	v_add_co_u32 v4, s5, s0, v1
	v_add_co_ci_u32_e64 v5, null, s1, 0, s5
	v_add_co_u32 v2, vcc_lo, 0x1000, v4
	v_add_co_ci_u32_e64 v3, null, 0, v5, vcc_lo
	v_add_co_u32 v7, vcc_lo, 0x2000, v4
	v_add_co_ci_u32_e64 v8, null, 0, v5, vcc_lo
	;; [unrolled: 2-line block ×3, first 2 shown]
	s_clause 0x3
	global_load_dword v6, v1, s[0:1]
	global_load_dword v5, v[2:3], off
	global_load_dword v4, v[7:8], off
	;; [unrolled: 1-line block ×3, first 2 shown]
	v_mov_b32_e32 v2, 0
	v_or_b32_e32 v7, 0xfffffc00, v0
	s_and_b32 vcc_lo, exec_lo, s4
	s_mov_b32 s0, -1
	s_cbranch_vccnz .LBB140_120
; %bb.87:
	v_or_b32_e32 v8, 0xfffffc00, v0
.LBB140_88:                             ; =>This Inner Loop Header: Depth=1
	v_add_nc_u32_e32 v8, 0x400, v8
	ds_write_b32 v1, v2
	v_add_nc_u32_e32 v1, 0x1000, v1
	v_cmp_lt_u32_e32 vcc_lo, 0xbff, v8
	s_or_b32 s13, vcc_lo, s13
	s_andn2_b32 exec_lo, exec_lo, s13
	s_cbranch_execnz .LBB140_88
; %bb.89:
	s_or_b32 exec_lo, exec_lo, s13
	s_cmp_gt_u32 s3, s2
	s_waitcnt vmcnt(0) lgkmcnt(0)
	s_waitcnt_vscnt null, 0x0
	s_cselect_b32 s0, -1, 0
	s_barrier
	s_and_b32 vcc_lo, exec_lo, s0
	buffer_gl0_inv
	s_cbranch_vccz .LBB140_114
; %bb.90:
	v_xor_b32_e32 v9, 0x80000000, v6
	s_sub_i32 s1, s3, s2
	v_and_b32_e32 v1, 3, v0
	s_min_u32 s1, s1, 8
	v_mov_b32_e32 v10, 1
	v_lshrrev_b32_e32 v8, s2, v9
	s_lshl_b32 s1, -1, s1
	v_lshlrev_b32_e32 v2, 2, v1
	s_not_b32 s4, s1
	s_add_i32 s1, s2, 8
	v_and_b32_e32 v8, s4, v8
	s_cmp_le_u32 s3, s1
	s_mov_b32 s7, -1
	s_cselect_b32 s5, -1, 0
	s_and_b32 vcc_lo, exec_lo, s5
	v_lshl_or_b32 v8, v8, 4, v2
	ds_add_u32 v8, v10
	v_xor_b32_e32 v8, 0x80000000, v5
	v_lshrrev_b32_e32 v10, s2, v8
	v_and_b32_e32 v10, s4, v10
	s_cbranch_vccz .LBB140_92
; %bb.91:
	v_lshlrev_b32_e32 v11, 4, v10
	s_mov_b32 s6, -1
	s_cbranch_execz .LBB140_93
	s_branch .LBB140_100
.LBB140_92:
	s_mov_b32 s6, 0
                                        ; implicit-def: $vgpr11
	s_andn2_b32 vcc_lo, exec_lo, s7
	s_cbranch_vccnz .LBB140_100
.LBB140_93:
	s_sub_i32 s7, s3, s1
	v_lshrrev_b32_e32 v11, s1, v9
	s_min_u32 s7, s7, 8
	s_lshl_b32 s7, -1, s7
	s_not_b32 s8, s7
	s_add_i32 s7, s2, 16
	v_and_b32_e32 v11, s8, v11
	s_cmp_gt_u32 s3, s7
	s_cselect_b32 s9, -1, 0
	s_cmp_le_u32 s3, s7
	v_lshl_or_b32 v12, v11, 4, v2
	v_mov_b32_e32 v11, 1
	ds_add_u32 v12, v11 offset:4096
	s_cbranch_scc1 .LBB140_96
; %bb.94:
	v_lshrrev_b32_e32 v12, s7, v9
	s_sub_i32 s12, s3, s7
	s_min_u32 s12, s12, 8
	v_bfe_u32 v12, v12, 0, s12
	s_add_i32 s12, s2, 24
	s_cmp_le_u32 s3, s12
	v_lshl_or_b32 v12, v12, 4, v2
	ds_add_u32 v12, v11 offset:8192
	s_cbranch_scc1 .LBB140_96
; %bb.95:
	v_lshrrev_b32_e32 v9, s12, v9
	s_sub_i32 s12, s3, s12
	v_mov_b32_e32 v12, 1
	s_min_u32 s12, s12, 8
	v_bfe_u32 v9, v9, 0, s12
	v_lshl_or_b32 v9, v9, 4, v2
	ds_add_u32 v9, v12 offset:12288
.LBB140_96:
	v_lshrrev_b32_e32 v9, s1, v8
	v_lshl_or_b32 v10, v10, 4, v2
	s_andn2_b32 vcc_lo, exec_lo, s9
	v_and_b32_e32 v9, s8, v9
	v_lshl_or_b32 v9, v9, 4, v2
	ds_add_u32 v10, v11
	ds_add_u32 v9, v11 offset:4096
	s_cbranch_vccnz .LBB140_99
; %bb.97:
	v_lshrrev_b32_e32 v9, s7, v8
	s_sub_i32 s7, s3, s7
	v_mov_b32_e32 v10, 1
	s_min_u32 s7, s7, 8
                                        ; implicit-def: $vgpr11
	v_bfe_u32 v9, v9, 0, s7
	s_add_i32 s7, s2, 24
	s_cmp_gt_u32 s3, s7
	v_lshl_or_b32 v9, v9, 4, v2
	ds_add_u32 v9, v10 offset:8192
	s_cbranch_scc0 .LBB140_100
; %bb.98:
	v_lshrrev_b32_e32 v8, s7, v8
	s_sub_i32 s6, s3, s7
	s_min_u32 s6, s6, 8
	v_bfe_u32 v8, v8, 0, s6
	s_mov_b32 s6, -1
	v_lshl_add_u32 v11, v8, 4, 0x3000
	s_branch .LBB140_100
.LBB140_99:
                                        ; implicit-def: $vgpr11
.LBB140_100:
	s_and_b32 vcc_lo, exec_lo, s6
	s_cbranch_vccz .LBB140_102
; %bb.101:
	v_lshl_add_u32 v8, v1, 2, v11
	v_mov_b32_e32 v9, 1
	ds_add_u32 v8, v9
.LBB140_102:
	v_xor_b32_e32 v10, 0x80000000, v4
	v_mov_b32_e32 v9, 1
	s_and_b32 vcc_lo, exec_lo, s5
	v_lshrrev_b32_e32 v8, s2, v10
	v_and_b32_e32 v8, s4, v8
	v_lshl_or_b32 v8, v8, 4, v2
	ds_add_u32 v8, v9
	v_xor_b32_e32 v8, 0x80000000, v3
	v_lshrrev_b32_e32 v9, s2, v8
	v_and_b32_e32 v9, s4, v9
	s_cbranch_vccz .LBB140_104
; %bb.103:
	v_lshlrev_b32_e32 v11, 4, v9
	s_mov_b32 s4, -1
	s_cbranch_execz .LBB140_105
	s_branch .LBB140_112
.LBB140_104:
	s_mov_b32 s4, 0
                                        ; implicit-def: $vgpr11
.LBB140_105:
	s_sub_i32 s5, s3, s1
	v_lshrrev_b32_e32 v11, s1, v10
	s_min_u32 s5, s5, 8
	s_lshl_b32 s5, -1, s5
	s_not_b32 s6, s5
	s_add_i32 s5, s2, 16
	v_and_b32_e32 v11, s6, v11
	s_cmp_gt_u32 s3, s5
	s_cselect_b32 s7, -1, 0
	s_cmp_le_u32 s3, s5
	v_lshl_or_b32 v12, v11, 4, v2
	v_mov_b32_e32 v11, 1
	ds_add_u32 v12, v11 offset:4096
	s_cbranch_scc1 .LBB140_108
; %bb.106:
	v_lshrrev_b32_e32 v12, s5, v10
	s_sub_i32 s8, s3, s5
	s_min_u32 s8, s8, 8
	v_bfe_u32 v12, v12, 0, s8
	s_add_i32 s8, s2, 24
	s_cmp_le_u32 s3, s8
	v_lshl_or_b32 v12, v12, 4, v2
	ds_add_u32 v12, v11 offset:8192
	s_cbranch_scc1 .LBB140_108
; %bb.107:
	v_lshrrev_b32_e32 v10, s8, v10
	s_sub_i32 s8, s3, s8
	v_mov_b32_e32 v12, 1
	s_min_u32 s8, s8, 8
	v_bfe_u32 v10, v10, 0, s8
	v_lshl_or_b32 v10, v10, 4, v2
	ds_add_u32 v10, v12 offset:12288
.LBB140_108:
	v_lshrrev_b32_e32 v10, s1, v8
	v_lshl_or_b32 v9, v9, 4, v2
	s_andn2_b32 vcc_lo, exec_lo, s7
	v_and_b32_e32 v10, s6, v10
	v_lshl_or_b32 v10, v10, 4, v2
	ds_add_u32 v9, v11
	ds_add_u32 v10, v11 offset:4096
	s_cbranch_vccnz .LBB140_111
; %bb.109:
	v_lshrrev_b32_e32 v9, s5, v8
	s_sub_i32 s1, s3, s5
                                        ; implicit-def: $vgpr11
	s_min_u32 s1, s1, 8
	v_bfe_u32 v9, v9, 0, s1
	s_add_i32 s1, s2, 24
	s_cmp_gt_u32 s3, s1
	v_lshl_or_b32 v2, v9, 4, v2
	v_mov_b32_e32 v9, 1
	ds_add_u32 v2, v9 offset:8192
	s_cbranch_scc0 .LBB140_112
; %bb.110:
	v_lshrrev_b32_e32 v2, s1, v8
	s_sub_i32 s1, s3, s1
	s_mov_b32 s4, -1
	s_min_u32 s1, s1, 8
	v_bfe_u32 v2, v2, 0, s1
	v_lshl_add_u32 v11, v2, 4, 0x3000
	s_branch .LBB140_112
.LBB140_111:
                                        ; implicit-def: $vgpr11
.LBB140_112:
	s_and_b32 vcc_lo, exec_lo, s4
	s_cbranch_vccz .LBB140_114
; %bb.113:
	v_lshl_add_u32 v1, v1, 2, v11
	v_mov_b32_e32 v2, 1
	ds_add_u32 v1, v2
.LBB140_114:
	s_and_b32 vcc_lo, exec_lo, s0
	s_waitcnt lgkmcnt(0)
	s_barrier
	buffer_gl0_inv
	s_cbranch_vccz .LBB140_119
; %bb.115:
	v_lshlrev_b32_e32 v8, 4, v0
	v_mov_b32_e32 v2, 0
	v_mov_b32_e32 v1, v0
	v_cmp_gt_u32_e32 vcc_lo, 0x100, v0
	s_inst_prefetch 0x1
	s_branch .LBB140_117
	.p2align	6
.LBB140_116:                            ;   in Loop: Header=BB140_117 Depth=1
	s_or_b32 exec_lo, exec_lo, s1
	v_add_nc_u32_e32 v1, 0x100, v1
	v_add_nc_u32_e32 v8, 0x1000, v8
	s_add_i32 s2, s2, 8
	s_cmp_ge_u32 s2, s3
	s_cbranch_scc1 .LBB140_119
.LBB140_117:                            ; =>This Inner Loop Header: Depth=1
	s_and_saveexec_b32 s1, vcc_lo
	s_cbranch_execz .LBB140_116
; %bb.118:                              ;   in Loop: Header=BB140_117 Depth=1
	ds_read2_b32 v[9:10], v8 offset1:1
	ds_read2_b32 v[11:12], v8 offset0:2 offset1:3
	s_waitcnt lgkmcnt(1)
	v_add_nc_u32_e32 v13, v10, v9
	v_lshlrev_b64 v[9:10], 2, v[1:2]
	s_waitcnt lgkmcnt(0)
	v_add3_u32 v11, v13, v11, v12
	v_add_co_u32 v9, s0, s10, v9
	v_add_co_ci_u32_e64 v10, null, s11, v10, s0
	global_atomic_add v[9:10], v11, off
	s_branch .LBB140_116
.LBB140_119:
	s_inst_prefetch 0x2
	s_mov_b32 s0, 0
.LBB140_120:
	s_and_b32 vcc_lo, exec_lo, s0
	s_cbranch_vccz .LBB140_125
; %bb.121:
	v_lshlrev_b32_e32 v1, 2, v0
	v_mov_b32_e32 v2, 0
	s_mov_b32 s0, 0
.LBB140_122:                            ; =>This Inner Loop Header: Depth=1
	v_add_nc_u32_e32 v7, 0x400, v7
	ds_write_b32 v1, v2
	v_add_nc_u32_e32 v1, 0x1000, v1
	v_cmp_lt_u32_e32 vcc_lo, 0xbff, v7
	s_or_b32 s0, vcc_lo, s0
	s_andn2_b32 exec_lo, exec_lo, s0
	s_cbranch_execnz .LBB140_122
; %bb.123:
	s_or_b32 exec_lo, exec_lo, s0
	v_and_b32_e32 v1, 3, v0
	v_mov_b32_e32 v7, 2
	s_waitcnt vmcnt(3)
	v_lshlrev_b32_e32 v2, 4, v6
	v_bfe_u32 v9, v6, 8, 8
	v_bfe_u32 v10, v6, 16, 8
	v_lshlrev_b32_e32 v1, 2, v1
	v_lshlrev_b32_sdwa v6, v7, v6 dst_sel:DWORD dst_unused:UNUSED_PAD src0_sel:DWORD src1_sel:BYTE_3
	v_mov_b32_e32 v8, 1
	s_waitcnt vmcnt(0) lgkmcnt(0)
	s_waitcnt_vscnt null, 0x0
	s_barrier
	v_and_or_b32 v2, 0xff0, v2, v1
	v_lshl_or_b32 v9, v9, 4, v1
	v_xor_b32_e32 v6, 0x200, v6
	buffer_gl0_inv
	v_lshl_or_b32 v10, v10, 4, v1
	ds_add_u32 v2, v8
	v_lshlrev_b32_e32 v2, 4, v5
	v_bfe_u32 v11, v5, 8, 8
	ds_add_u32 v9, v8 offset:4096
	ds_add_u32 v10, v8 offset:8192
	v_lshl_or_b32 v6, v6, 2, v1
	v_lshlrev_b32_sdwa v10, v7, v5 dst_sel:DWORD dst_unused:UNUSED_PAD src0_sel:DWORD src1_sel:BYTE_3
	v_and_or_b32 v2, 0xff0, v2, v1
	v_lshl_or_b32 v9, v11, 4, v1
	v_bfe_u32 v5, v5, 16, 8
	ds_add_u32 v6, v8 offset:12288
	ds_add_u32 v2, v8
	ds_add_u32 v9, v8 offset:4096
	v_xor_b32_e32 v2, 0x200, v10
	v_lshlrev_b32_e32 v6, 4, v4
	v_lshl_or_b32 v5, v5, 4, v1
	v_bfe_u32 v9, v4, 8, 8
	v_bfe_u32 v10, v4, 16, 8
	v_lshl_or_b32 v2, v2, 2, v1
	s_mov_b32 s0, exec_lo
	ds_add_u32 v5, v8 offset:8192
	v_and_or_b32 v5, 0xff0, v6, v1
	v_lshl_or_b32 v6, v9, 4, v1
	ds_add_u32 v2, v8 offset:12288
	v_lshlrev_b32_sdwa v2, v7, v4 dst_sel:DWORD dst_unused:UNUSED_PAD src0_sel:DWORD src1_sel:BYTE_3
	v_lshl_or_b32 v9, v10, 4, v1
	v_lshlrev_b32_sdwa v4, v7, v3 dst_sel:DWORD dst_unused:UNUSED_PAD src0_sel:DWORD src1_sel:BYTE_3
	ds_add_u32 v5, v8
	ds_add_u32 v6, v8 offset:4096
	ds_add_u32 v9, v8 offset:8192
	v_xor_b32_e32 v2, 0x200, v2
	v_lshlrev_b32_e32 v5, 4, v3
	v_bfe_u32 v6, v3, 8, 8
	v_bfe_u32 v3, v3, 16, 8
	v_xor_b32_e32 v4, 0x200, v4
	v_lshl_or_b32 v2, v2, 2, v1
	v_and_or_b32 v5, 0xff0, v5, v1
	v_lshl_or_b32 v6, v6, 4, v1
	v_lshl_or_b32 v3, v3, 4, v1
	v_lshl_or_b32 v1, v4, 2, v1
	ds_add_u32 v2, v8 offset:12288
	ds_add_u32 v5, v8
	ds_add_u32 v6, v8 offset:4096
	ds_add_u32 v3, v8 offset:8192
	ds_add_u32 v1, v8 offset:12288
	s_waitcnt lgkmcnt(0)
	s_barrier
	buffer_gl0_inv
	v_cmpx_gt_u32_e32 0x100, v0
	s_cbranch_execz .LBB140_125
; %bb.124:
	v_lshlrev_b32_e32 v5, 4, v0
	v_lshlrev_b32_e32 v6, 2, v0
	ds_read2_b32 v[1:2], v5 offset1:1
	ds_read2_b32 v[3:4], v5 offset0:2 offset1:3
	s_waitcnt lgkmcnt(1)
	v_add_nc_u32_e32 v1, v2, v1
	v_add_nc_u32_e32 v2, 0x1008, v5
	s_waitcnt lgkmcnt(0)
	v_add3_u32 v0, v1, v3, v4
	v_add_nc_u32_e32 v1, 0x1000, v5
	v_add_co_u32 v4, s0, s10, v6
	global_atomic_add v6, v0, s[10:11]
	ds_read2_b32 v[0:1], v1 offset1:1
	ds_read2_b32 v[2:3], v2 offset1:1
	s_waitcnt lgkmcnt(1)
	v_add_nc_u32_e32 v0, v1, v0
	v_add_nc_u32_e32 v1, 0x2000, v5
	s_waitcnt lgkmcnt(0)
	v_add3_u32 v0, v0, v2, v3
	v_add_nc_u32_e32 v2, 0x2008, v5
	global_atomic_add v6, v0, s[10:11] offset:1024
	ds_read2_b32 v[0:1], v1 offset1:1
	ds_read2_b32 v[2:3], v2 offset1:1
	v_add_co_ci_u32_e64 v6, null, s11, 0, s0
	s_waitcnt lgkmcnt(1)
	v_add_nc_u32_e32 v7, v1, v0
	v_add_co_u32 v0, vcc_lo, 0x800, v4
	v_add_co_ci_u32_e64 v1, null, 0, v6, vcc_lo
	s_waitcnt lgkmcnt(0)
	v_add3_u32 v2, v7, v2, v3
	v_add_nc_u32_e32 v3, 0x3000, v5
	v_add_nc_u32_e32 v4, 0x3008, v5
	global_atomic_add v[0:1], v2, off
	ds_read2_b32 v[2:3], v3 offset1:1
	ds_read2_b32 v[4:5], v4 offset1:1
	s_waitcnt lgkmcnt(1)
	v_add_nc_u32_e32 v2, v3, v2
	s_waitcnt lgkmcnt(0)
	v_add3_u32 v2, v2, v4, v5
	global_atomic_add v[0:1], v2, off offset:1024
.LBB140_125:
	s_endpgm
	.section	.rodata,"a",@progbits
	.p2align	6, 0x0
	.amdhsa_kernel _ZN7rocprim17ROCPRIM_400000_NS6detail17trampoline_kernelINS0_14default_configENS1_35radix_sort_onesweep_config_selectorIiNS0_10empty_typeEEEZNS1_34radix_sort_onesweep_global_offsetsIS3_Lb0EN6thrust23THRUST_200600_302600_NS6detail15normal_iteratorINS9_10device_ptrIiEEEEPS5_jNS0_19identity_decomposerEEE10hipError_tT1_T2_PT3_SK_jT4_jjP12ihipStream_tbEUlT_E_NS1_11comp_targetILNS1_3genE8ELNS1_11target_archE1030ELNS1_3gpuE2ELNS1_3repE0EEENS1_52radix_sort_onesweep_histogram_config_static_selectorELNS0_4arch9wavefront6targetE0EEEvSI_
		.amdhsa_group_segment_fixed_size 16384
		.amdhsa_private_segment_fixed_size 0
		.amdhsa_kernarg_size 40
		.amdhsa_user_sgpr_count 6
		.amdhsa_user_sgpr_private_segment_buffer 1
		.amdhsa_user_sgpr_dispatch_ptr 0
		.amdhsa_user_sgpr_queue_ptr 0
		.amdhsa_user_sgpr_kernarg_segment_ptr 1
		.amdhsa_user_sgpr_dispatch_id 0
		.amdhsa_user_sgpr_flat_scratch_init 0
		.amdhsa_user_sgpr_private_segment_size 0
		.amdhsa_wavefront_size32 1
		.amdhsa_uses_dynamic_stack 0
		.amdhsa_system_sgpr_private_segment_wavefront_offset 0
		.amdhsa_system_sgpr_workgroup_id_x 1
		.amdhsa_system_sgpr_workgroup_id_y 0
		.amdhsa_system_sgpr_workgroup_id_z 0
		.amdhsa_system_sgpr_workgroup_info 0
		.amdhsa_system_vgpr_workitem_id 0
		.amdhsa_next_free_vgpr 14
		.amdhsa_next_free_sgpr 14
		.amdhsa_reserve_vcc 1
		.amdhsa_reserve_flat_scratch 0
		.amdhsa_float_round_mode_32 0
		.amdhsa_float_round_mode_16_64 0
		.amdhsa_float_denorm_mode_32 3
		.amdhsa_float_denorm_mode_16_64 3
		.amdhsa_dx10_clamp 1
		.amdhsa_ieee_mode 1
		.amdhsa_fp16_overflow 0
		.amdhsa_workgroup_processor_mode 1
		.amdhsa_memory_ordered 1
		.amdhsa_forward_progress 1
		.amdhsa_shared_vgpr_count 0
		.amdhsa_exception_fp_ieee_invalid_op 0
		.amdhsa_exception_fp_denorm_src 0
		.amdhsa_exception_fp_ieee_div_zero 0
		.amdhsa_exception_fp_ieee_overflow 0
		.amdhsa_exception_fp_ieee_underflow 0
		.amdhsa_exception_fp_ieee_inexact 0
		.amdhsa_exception_int_div_zero 0
	.end_amdhsa_kernel
	.section	.text._ZN7rocprim17ROCPRIM_400000_NS6detail17trampoline_kernelINS0_14default_configENS1_35radix_sort_onesweep_config_selectorIiNS0_10empty_typeEEEZNS1_34radix_sort_onesweep_global_offsetsIS3_Lb0EN6thrust23THRUST_200600_302600_NS6detail15normal_iteratorINS9_10device_ptrIiEEEEPS5_jNS0_19identity_decomposerEEE10hipError_tT1_T2_PT3_SK_jT4_jjP12ihipStream_tbEUlT_E_NS1_11comp_targetILNS1_3genE8ELNS1_11target_archE1030ELNS1_3gpuE2ELNS1_3repE0EEENS1_52radix_sort_onesweep_histogram_config_static_selectorELNS0_4arch9wavefront6targetE0EEEvSI_,"axG",@progbits,_ZN7rocprim17ROCPRIM_400000_NS6detail17trampoline_kernelINS0_14default_configENS1_35radix_sort_onesweep_config_selectorIiNS0_10empty_typeEEEZNS1_34radix_sort_onesweep_global_offsetsIS3_Lb0EN6thrust23THRUST_200600_302600_NS6detail15normal_iteratorINS9_10device_ptrIiEEEEPS5_jNS0_19identity_decomposerEEE10hipError_tT1_T2_PT3_SK_jT4_jjP12ihipStream_tbEUlT_E_NS1_11comp_targetILNS1_3genE8ELNS1_11target_archE1030ELNS1_3gpuE2ELNS1_3repE0EEENS1_52radix_sort_onesweep_histogram_config_static_selectorELNS0_4arch9wavefront6targetE0EEEvSI_,comdat
.Lfunc_end140:
	.size	_ZN7rocprim17ROCPRIM_400000_NS6detail17trampoline_kernelINS0_14default_configENS1_35radix_sort_onesweep_config_selectorIiNS0_10empty_typeEEEZNS1_34radix_sort_onesweep_global_offsetsIS3_Lb0EN6thrust23THRUST_200600_302600_NS6detail15normal_iteratorINS9_10device_ptrIiEEEEPS5_jNS0_19identity_decomposerEEE10hipError_tT1_T2_PT3_SK_jT4_jjP12ihipStream_tbEUlT_E_NS1_11comp_targetILNS1_3genE8ELNS1_11target_archE1030ELNS1_3gpuE2ELNS1_3repE0EEENS1_52radix_sort_onesweep_histogram_config_static_selectorELNS0_4arch9wavefront6targetE0EEEvSI_, .Lfunc_end140-_ZN7rocprim17ROCPRIM_400000_NS6detail17trampoline_kernelINS0_14default_configENS1_35radix_sort_onesweep_config_selectorIiNS0_10empty_typeEEEZNS1_34radix_sort_onesweep_global_offsetsIS3_Lb0EN6thrust23THRUST_200600_302600_NS6detail15normal_iteratorINS9_10device_ptrIiEEEEPS5_jNS0_19identity_decomposerEEE10hipError_tT1_T2_PT3_SK_jT4_jjP12ihipStream_tbEUlT_E_NS1_11comp_targetILNS1_3genE8ELNS1_11target_archE1030ELNS1_3gpuE2ELNS1_3repE0EEENS1_52radix_sort_onesweep_histogram_config_static_selectorELNS0_4arch9wavefront6targetE0EEEvSI_
                                        ; -- End function
	.set _ZN7rocprim17ROCPRIM_400000_NS6detail17trampoline_kernelINS0_14default_configENS1_35radix_sort_onesweep_config_selectorIiNS0_10empty_typeEEEZNS1_34radix_sort_onesweep_global_offsetsIS3_Lb0EN6thrust23THRUST_200600_302600_NS6detail15normal_iteratorINS9_10device_ptrIiEEEEPS5_jNS0_19identity_decomposerEEE10hipError_tT1_T2_PT3_SK_jT4_jjP12ihipStream_tbEUlT_E_NS1_11comp_targetILNS1_3genE8ELNS1_11target_archE1030ELNS1_3gpuE2ELNS1_3repE0EEENS1_52radix_sort_onesweep_histogram_config_static_selectorELNS0_4arch9wavefront6targetE0EEEvSI_.num_vgpr, 14
	.set _ZN7rocprim17ROCPRIM_400000_NS6detail17trampoline_kernelINS0_14default_configENS1_35radix_sort_onesweep_config_selectorIiNS0_10empty_typeEEEZNS1_34radix_sort_onesweep_global_offsetsIS3_Lb0EN6thrust23THRUST_200600_302600_NS6detail15normal_iteratorINS9_10device_ptrIiEEEEPS5_jNS0_19identity_decomposerEEE10hipError_tT1_T2_PT3_SK_jT4_jjP12ihipStream_tbEUlT_E_NS1_11comp_targetILNS1_3genE8ELNS1_11target_archE1030ELNS1_3gpuE2ELNS1_3repE0EEENS1_52radix_sort_onesweep_histogram_config_static_selectorELNS0_4arch9wavefront6targetE0EEEvSI_.num_agpr, 0
	.set _ZN7rocprim17ROCPRIM_400000_NS6detail17trampoline_kernelINS0_14default_configENS1_35radix_sort_onesweep_config_selectorIiNS0_10empty_typeEEEZNS1_34radix_sort_onesweep_global_offsetsIS3_Lb0EN6thrust23THRUST_200600_302600_NS6detail15normal_iteratorINS9_10device_ptrIiEEEEPS5_jNS0_19identity_decomposerEEE10hipError_tT1_T2_PT3_SK_jT4_jjP12ihipStream_tbEUlT_E_NS1_11comp_targetILNS1_3genE8ELNS1_11target_archE1030ELNS1_3gpuE2ELNS1_3repE0EEENS1_52radix_sort_onesweep_histogram_config_static_selectorELNS0_4arch9wavefront6targetE0EEEvSI_.numbered_sgpr, 14
	.set _ZN7rocprim17ROCPRIM_400000_NS6detail17trampoline_kernelINS0_14default_configENS1_35radix_sort_onesweep_config_selectorIiNS0_10empty_typeEEEZNS1_34radix_sort_onesweep_global_offsetsIS3_Lb0EN6thrust23THRUST_200600_302600_NS6detail15normal_iteratorINS9_10device_ptrIiEEEEPS5_jNS0_19identity_decomposerEEE10hipError_tT1_T2_PT3_SK_jT4_jjP12ihipStream_tbEUlT_E_NS1_11comp_targetILNS1_3genE8ELNS1_11target_archE1030ELNS1_3gpuE2ELNS1_3repE0EEENS1_52radix_sort_onesweep_histogram_config_static_selectorELNS0_4arch9wavefront6targetE0EEEvSI_.num_named_barrier, 0
	.set _ZN7rocprim17ROCPRIM_400000_NS6detail17trampoline_kernelINS0_14default_configENS1_35radix_sort_onesweep_config_selectorIiNS0_10empty_typeEEEZNS1_34radix_sort_onesweep_global_offsetsIS3_Lb0EN6thrust23THRUST_200600_302600_NS6detail15normal_iteratorINS9_10device_ptrIiEEEEPS5_jNS0_19identity_decomposerEEE10hipError_tT1_T2_PT3_SK_jT4_jjP12ihipStream_tbEUlT_E_NS1_11comp_targetILNS1_3genE8ELNS1_11target_archE1030ELNS1_3gpuE2ELNS1_3repE0EEENS1_52radix_sort_onesweep_histogram_config_static_selectorELNS0_4arch9wavefront6targetE0EEEvSI_.private_seg_size, 0
	.set _ZN7rocprim17ROCPRIM_400000_NS6detail17trampoline_kernelINS0_14default_configENS1_35radix_sort_onesweep_config_selectorIiNS0_10empty_typeEEEZNS1_34radix_sort_onesweep_global_offsetsIS3_Lb0EN6thrust23THRUST_200600_302600_NS6detail15normal_iteratorINS9_10device_ptrIiEEEEPS5_jNS0_19identity_decomposerEEE10hipError_tT1_T2_PT3_SK_jT4_jjP12ihipStream_tbEUlT_E_NS1_11comp_targetILNS1_3genE8ELNS1_11target_archE1030ELNS1_3gpuE2ELNS1_3repE0EEENS1_52radix_sort_onesweep_histogram_config_static_selectorELNS0_4arch9wavefront6targetE0EEEvSI_.uses_vcc, 1
	.set _ZN7rocprim17ROCPRIM_400000_NS6detail17trampoline_kernelINS0_14default_configENS1_35radix_sort_onesweep_config_selectorIiNS0_10empty_typeEEEZNS1_34radix_sort_onesweep_global_offsetsIS3_Lb0EN6thrust23THRUST_200600_302600_NS6detail15normal_iteratorINS9_10device_ptrIiEEEEPS5_jNS0_19identity_decomposerEEE10hipError_tT1_T2_PT3_SK_jT4_jjP12ihipStream_tbEUlT_E_NS1_11comp_targetILNS1_3genE8ELNS1_11target_archE1030ELNS1_3gpuE2ELNS1_3repE0EEENS1_52radix_sort_onesweep_histogram_config_static_selectorELNS0_4arch9wavefront6targetE0EEEvSI_.uses_flat_scratch, 0
	.set _ZN7rocprim17ROCPRIM_400000_NS6detail17trampoline_kernelINS0_14default_configENS1_35radix_sort_onesweep_config_selectorIiNS0_10empty_typeEEEZNS1_34radix_sort_onesweep_global_offsetsIS3_Lb0EN6thrust23THRUST_200600_302600_NS6detail15normal_iteratorINS9_10device_ptrIiEEEEPS5_jNS0_19identity_decomposerEEE10hipError_tT1_T2_PT3_SK_jT4_jjP12ihipStream_tbEUlT_E_NS1_11comp_targetILNS1_3genE8ELNS1_11target_archE1030ELNS1_3gpuE2ELNS1_3repE0EEENS1_52radix_sort_onesweep_histogram_config_static_selectorELNS0_4arch9wavefront6targetE0EEEvSI_.has_dyn_sized_stack, 0
	.set _ZN7rocprim17ROCPRIM_400000_NS6detail17trampoline_kernelINS0_14default_configENS1_35radix_sort_onesweep_config_selectorIiNS0_10empty_typeEEEZNS1_34radix_sort_onesweep_global_offsetsIS3_Lb0EN6thrust23THRUST_200600_302600_NS6detail15normal_iteratorINS9_10device_ptrIiEEEEPS5_jNS0_19identity_decomposerEEE10hipError_tT1_T2_PT3_SK_jT4_jjP12ihipStream_tbEUlT_E_NS1_11comp_targetILNS1_3genE8ELNS1_11target_archE1030ELNS1_3gpuE2ELNS1_3repE0EEENS1_52radix_sort_onesweep_histogram_config_static_selectorELNS0_4arch9wavefront6targetE0EEEvSI_.has_recursion, 0
	.set _ZN7rocprim17ROCPRIM_400000_NS6detail17trampoline_kernelINS0_14default_configENS1_35radix_sort_onesweep_config_selectorIiNS0_10empty_typeEEEZNS1_34radix_sort_onesweep_global_offsetsIS3_Lb0EN6thrust23THRUST_200600_302600_NS6detail15normal_iteratorINS9_10device_ptrIiEEEEPS5_jNS0_19identity_decomposerEEE10hipError_tT1_T2_PT3_SK_jT4_jjP12ihipStream_tbEUlT_E_NS1_11comp_targetILNS1_3genE8ELNS1_11target_archE1030ELNS1_3gpuE2ELNS1_3repE0EEENS1_52radix_sort_onesweep_histogram_config_static_selectorELNS0_4arch9wavefront6targetE0EEEvSI_.has_indirect_call, 0
	.section	.AMDGPU.csdata,"",@progbits
; Kernel info:
; codeLenInByte = 4532
; TotalNumSgprs: 16
; NumVgprs: 14
; ScratchSize: 0
; MemoryBound: 0
; FloatMode: 240
; IeeeMode: 1
; LDSByteSize: 16384 bytes/workgroup (compile time only)
; SGPRBlocks: 0
; VGPRBlocks: 1
; NumSGPRsForWavesPerEU: 16
; NumVGPRsForWavesPerEU: 14
; Occupancy: 16
; WaveLimiterHint : 1
; COMPUTE_PGM_RSRC2:SCRATCH_EN: 0
; COMPUTE_PGM_RSRC2:USER_SGPR: 6
; COMPUTE_PGM_RSRC2:TRAP_HANDLER: 0
; COMPUTE_PGM_RSRC2:TGID_X_EN: 1
; COMPUTE_PGM_RSRC2:TGID_Y_EN: 0
; COMPUTE_PGM_RSRC2:TGID_Z_EN: 0
; COMPUTE_PGM_RSRC2:TIDIG_COMP_CNT: 0
	.section	.text._ZN7rocprim17ROCPRIM_400000_NS6detail17trampoline_kernelINS0_14default_configENS1_35radix_sort_onesweep_config_selectorIiNS0_10empty_typeEEEZNS1_34radix_sort_onesweep_global_offsetsIS3_Lb0EN6thrust23THRUST_200600_302600_NS6detail15normal_iteratorINS9_10device_ptrIiEEEEPS5_jNS0_19identity_decomposerEEE10hipError_tT1_T2_PT3_SK_jT4_jjP12ihipStream_tbEUlT_E0_NS1_11comp_targetILNS1_3genE0ELNS1_11target_archE4294967295ELNS1_3gpuE0ELNS1_3repE0EEENS1_52radix_sort_onesweep_histogram_config_static_selectorELNS0_4arch9wavefront6targetE0EEEvSI_,"axG",@progbits,_ZN7rocprim17ROCPRIM_400000_NS6detail17trampoline_kernelINS0_14default_configENS1_35radix_sort_onesweep_config_selectorIiNS0_10empty_typeEEEZNS1_34radix_sort_onesweep_global_offsetsIS3_Lb0EN6thrust23THRUST_200600_302600_NS6detail15normal_iteratorINS9_10device_ptrIiEEEEPS5_jNS0_19identity_decomposerEEE10hipError_tT1_T2_PT3_SK_jT4_jjP12ihipStream_tbEUlT_E0_NS1_11comp_targetILNS1_3genE0ELNS1_11target_archE4294967295ELNS1_3gpuE0ELNS1_3repE0EEENS1_52radix_sort_onesweep_histogram_config_static_selectorELNS0_4arch9wavefront6targetE0EEEvSI_,comdat
	.protected	_ZN7rocprim17ROCPRIM_400000_NS6detail17trampoline_kernelINS0_14default_configENS1_35radix_sort_onesweep_config_selectorIiNS0_10empty_typeEEEZNS1_34radix_sort_onesweep_global_offsetsIS3_Lb0EN6thrust23THRUST_200600_302600_NS6detail15normal_iteratorINS9_10device_ptrIiEEEEPS5_jNS0_19identity_decomposerEEE10hipError_tT1_T2_PT3_SK_jT4_jjP12ihipStream_tbEUlT_E0_NS1_11comp_targetILNS1_3genE0ELNS1_11target_archE4294967295ELNS1_3gpuE0ELNS1_3repE0EEENS1_52radix_sort_onesweep_histogram_config_static_selectorELNS0_4arch9wavefront6targetE0EEEvSI_ ; -- Begin function _ZN7rocprim17ROCPRIM_400000_NS6detail17trampoline_kernelINS0_14default_configENS1_35radix_sort_onesweep_config_selectorIiNS0_10empty_typeEEEZNS1_34radix_sort_onesweep_global_offsetsIS3_Lb0EN6thrust23THRUST_200600_302600_NS6detail15normal_iteratorINS9_10device_ptrIiEEEEPS5_jNS0_19identity_decomposerEEE10hipError_tT1_T2_PT3_SK_jT4_jjP12ihipStream_tbEUlT_E0_NS1_11comp_targetILNS1_3genE0ELNS1_11target_archE4294967295ELNS1_3gpuE0ELNS1_3repE0EEENS1_52radix_sort_onesweep_histogram_config_static_selectorELNS0_4arch9wavefront6targetE0EEEvSI_
	.globl	_ZN7rocprim17ROCPRIM_400000_NS6detail17trampoline_kernelINS0_14default_configENS1_35radix_sort_onesweep_config_selectorIiNS0_10empty_typeEEEZNS1_34radix_sort_onesweep_global_offsetsIS3_Lb0EN6thrust23THRUST_200600_302600_NS6detail15normal_iteratorINS9_10device_ptrIiEEEEPS5_jNS0_19identity_decomposerEEE10hipError_tT1_T2_PT3_SK_jT4_jjP12ihipStream_tbEUlT_E0_NS1_11comp_targetILNS1_3genE0ELNS1_11target_archE4294967295ELNS1_3gpuE0ELNS1_3repE0EEENS1_52radix_sort_onesweep_histogram_config_static_selectorELNS0_4arch9wavefront6targetE0EEEvSI_
	.p2align	8
	.type	_ZN7rocprim17ROCPRIM_400000_NS6detail17trampoline_kernelINS0_14default_configENS1_35radix_sort_onesweep_config_selectorIiNS0_10empty_typeEEEZNS1_34radix_sort_onesweep_global_offsetsIS3_Lb0EN6thrust23THRUST_200600_302600_NS6detail15normal_iteratorINS9_10device_ptrIiEEEEPS5_jNS0_19identity_decomposerEEE10hipError_tT1_T2_PT3_SK_jT4_jjP12ihipStream_tbEUlT_E0_NS1_11comp_targetILNS1_3genE0ELNS1_11target_archE4294967295ELNS1_3gpuE0ELNS1_3repE0EEENS1_52radix_sort_onesweep_histogram_config_static_selectorELNS0_4arch9wavefront6targetE0EEEvSI_,@function
_ZN7rocprim17ROCPRIM_400000_NS6detail17trampoline_kernelINS0_14default_configENS1_35radix_sort_onesweep_config_selectorIiNS0_10empty_typeEEEZNS1_34radix_sort_onesweep_global_offsetsIS3_Lb0EN6thrust23THRUST_200600_302600_NS6detail15normal_iteratorINS9_10device_ptrIiEEEEPS5_jNS0_19identity_decomposerEEE10hipError_tT1_T2_PT3_SK_jT4_jjP12ihipStream_tbEUlT_E0_NS1_11comp_targetILNS1_3genE0ELNS1_11target_archE4294967295ELNS1_3gpuE0ELNS1_3repE0EEENS1_52radix_sort_onesweep_histogram_config_static_selectorELNS0_4arch9wavefront6targetE0EEEvSI_: ; @_ZN7rocprim17ROCPRIM_400000_NS6detail17trampoline_kernelINS0_14default_configENS1_35radix_sort_onesweep_config_selectorIiNS0_10empty_typeEEEZNS1_34radix_sort_onesweep_global_offsetsIS3_Lb0EN6thrust23THRUST_200600_302600_NS6detail15normal_iteratorINS9_10device_ptrIiEEEEPS5_jNS0_19identity_decomposerEEE10hipError_tT1_T2_PT3_SK_jT4_jjP12ihipStream_tbEUlT_E0_NS1_11comp_targetILNS1_3genE0ELNS1_11target_archE4294967295ELNS1_3gpuE0ELNS1_3repE0EEENS1_52radix_sort_onesweep_histogram_config_static_selectorELNS0_4arch9wavefront6targetE0EEEvSI_
; %bb.0:
	.section	.rodata,"a",@progbits
	.p2align	6, 0x0
	.amdhsa_kernel _ZN7rocprim17ROCPRIM_400000_NS6detail17trampoline_kernelINS0_14default_configENS1_35radix_sort_onesweep_config_selectorIiNS0_10empty_typeEEEZNS1_34radix_sort_onesweep_global_offsetsIS3_Lb0EN6thrust23THRUST_200600_302600_NS6detail15normal_iteratorINS9_10device_ptrIiEEEEPS5_jNS0_19identity_decomposerEEE10hipError_tT1_T2_PT3_SK_jT4_jjP12ihipStream_tbEUlT_E0_NS1_11comp_targetILNS1_3genE0ELNS1_11target_archE4294967295ELNS1_3gpuE0ELNS1_3repE0EEENS1_52radix_sort_onesweep_histogram_config_static_selectorELNS0_4arch9wavefront6targetE0EEEvSI_
		.amdhsa_group_segment_fixed_size 0
		.amdhsa_private_segment_fixed_size 0
		.amdhsa_kernarg_size 8
		.amdhsa_user_sgpr_count 6
		.amdhsa_user_sgpr_private_segment_buffer 1
		.amdhsa_user_sgpr_dispatch_ptr 0
		.amdhsa_user_sgpr_queue_ptr 0
		.amdhsa_user_sgpr_kernarg_segment_ptr 1
		.amdhsa_user_sgpr_dispatch_id 0
		.amdhsa_user_sgpr_flat_scratch_init 0
		.amdhsa_user_sgpr_private_segment_size 0
		.amdhsa_wavefront_size32 1
		.amdhsa_uses_dynamic_stack 0
		.amdhsa_system_sgpr_private_segment_wavefront_offset 0
		.amdhsa_system_sgpr_workgroup_id_x 1
		.amdhsa_system_sgpr_workgroup_id_y 0
		.amdhsa_system_sgpr_workgroup_id_z 0
		.amdhsa_system_sgpr_workgroup_info 0
		.amdhsa_system_vgpr_workitem_id 0
		.amdhsa_next_free_vgpr 1
		.amdhsa_next_free_sgpr 1
		.amdhsa_reserve_vcc 0
		.amdhsa_reserve_flat_scratch 0
		.amdhsa_float_round_mode_32 0
		.amdhsa_float_round_mode_16_64 0
		.amdhsa_float_denorm_mode_32 3
		.amdhsa_float_denorm_mode_16_64 3
		.amdhsa_dx10_clamp 1
		.amdhsa_ieee_mode 1
		.amdhsa_fp16_overflow 0
		.amdhsa_workgroup_processor_mode 1
		.amdhsa_memory_ordered 1
		.amdhsa_forward_progress 1
		.amdhsa_shared_vgpr_count 0
		.amdhsa_exception_fp_ieee_invalid_op 0
		.amdhsa_exception_fp_denorm_src 0
		.amdhsa_exception_fp_ieee_div_zero 0
		.amdhsa_exception_fp_ieee_overflow 0
		.amdhsa_exception_fp_ieee_underflow 0
		.amdhsa_exception_fp_ieee_inexact 0
		.amdhsa_exception_int_div_zero 0
	.end_amdhsa_kernel
	.section	.text._ZN7rocprim17ROCPRIM_400000_NS6detail17trampoline_kernelINS0_14default_configENS1_35radix_sort_onesweep_config_selectorIiNS0_10empty_typeEEEZNS1_34radix_sort_onesweep_global_offsetsIS3_Lb0EN6thrust23THRUST_200600_302600_NS6detail15normal_iteratorINS9_10device_ptrIiEEEEPS5_jNS0_19identity_decomposerEEE10hipError_tT1_T2_PT3_SK_jT4_jjP12ihipStream_tbEUlT_E0_NS1_11comp_targetILNS1_3genE0ELNS1_11target_archE4294967295ELNS1_3gpuE0ELNS1_3repE0EEENS1_52radix_sort_onesweep_histogram_config_static_selectorELNS0_4arch9wavefront6targetE0EEEvSI_,"axG",@progbits,_ZN7rocprim17ROCPRIM_400000_NS6detail17trampoline_kernelINS0_14default_configENS1_35radix_sort_onesweep_config_selectorIiNS0_10empty_typeEEEZNS1_34radix_sort_onesweep_global_offsetsIS3_Lb0EN6thrust23THRUST_200600_302600_NS6detail15normal_iteratorINS9_10device_ptrIiEEEEPS5_jNS0_19identity_decomposerEEE10hipError_tT1_T2_PT3_SK_jT4_jjP12ihipStream_tbEUlT_E0_NS1_11comp_targetILNS1_3genE0ELNS1_11target_archE4294967295ELNS1_3gpuE0ELNS1_3repE0EEENS1_52radix_sort_onesweep_histogram_config_static_selectorELNS0_4arch9wavefront6targetE0EEEvSI_,comdat
.Lfunc_end141:
	.size	_ZN7rocprim17ROCPRIM_400000_NS6detail17trampoline_kernelINS0_14default_configENS1_35radix_sort_onesweep_config_selectorIiNS0_10empty_typeEEEZNS1_34radix_sort_onesweep_global_offsetsIS3_Lb0EN6thrust23THRUST_200600_302600_NS6detail15normal_iteratorINS9_10device_ptrIiEEEEPS5_jNS0_19identity_decomposerEEE10hipError_tT1_T2_PT3_SK_jT4_jjP12ihipStream_tbEUlT_E0_NS1_11comp_targetILNS1_3genE0ELNS1_11target_archE4294967295ELNS1_3gpuE0ELNS1_3repE0EEENS1_52radix_sort_onesweep_histogram_config_static_selectorELNS0_4arch9wavefront6targetE0EEEvSI_, .Lfunc_end141-_ZN7rocprim17ROCPRIM_400000_NS6detail17trampoline_kernelINS0_14default_configENS1_35radix_sort_onesweep_config_selectorIiNS0_10empty_typeEEEZNS1_34radix_sort_onesweep_global_offsetsIS3_Lb0EN6thrust23THRUST_200600_302600_NS6detail15normal_iteratorINS9_10device_ptrIiEEEEPS5_jNS0_19identity_decomposerEEE10hipError_tT1_T2_PT3_SK_jT4_jjP12ihipStream_tbEUlT_E0_NS1_11comp_targetILNS1_3genE0ELNS1_11target_archE4294967295ELNS1_3gpuE0ELNS1_3repE0EEENS1_52radix_sort_onesweep_histogram_config_static_selectorELNS0_4arch9wavefront6targetE0EEEvSI_
                                        ; -- End function
	.set _ZN7rocprim17ROCPRIM_400000_NS6detail17trampoline_kernelINS0_14default_configENS1_35radix_sort_onesweep_config_selectorIiNS0_10empty_typeEEEZNS1_34radix_sort_onesweep_global_offsetsIS3_Lb0EN6thrust23THRUST_200600_302600_NS6detail15normal_iteratorINS9_10device_ptrIiEEEEPS5_jNS0_19identity_decomposerEEE10hipError_tT1_T2_PT3_SK_jT4_jjP12ihipStream_tbEUlT_E0_NS1_11comp_targetILNS1_3genE0ELNS1_11target_archE4294967295ELNS1_3gpuE0ELNS1_3repE0EEENS1_52radix_sort_onesweep_histogram_config_static_selectorELNS0_4arch9wavefront6targetE0EEEvSI_.num_vgpr, 0
	.set _ZN7rocprim17ROCPRIM_400000_NS6detail17trampoline_kernelINS0_14default_configENS1_35radix_sort_onesweep_config_selectorIiNS0_10empty_typeEEEZNS1_34radix_sort_onesweep_global_offsetsIS3_Lb0EN6thrust23THRUST_200600_302600_NS6detail15normal_iteratorINS9_10device_ptrIiEEEEPS5_jNS0_19identity_decomposerEEE10hipError_tT1_T2_PT3_SK_jT4_jjP12ihipStream_tbEUlT_E0_NS1_11comp_targetILNS1_3genE0ELNS1_11target_archE4294967295ELNS1_3gpuE0ELNS1_3repE0EEENS1_52radix_sort_onesweep_histogram_config_static_selectorELNS0_4arch9wavefront6targetE0EEEvSI_.num_agpr, 0
	.set _ZN7rocprim17ROCPRIM_400000_NS6detail17trampoline_kernelINS0_14default_configENS1_35radix_sort_onesweep_config_selectorIiNS0_10empty_typeEEEZNS1_34radix_sort_onesweep_global_offsetsIS3_Lb0EN6thrust23THRUST_200600_302600_NS6detail15normal_iteratorINS9_10device_ptrIiEEEEPS5_jNS0_19identity_decomposerEEE10hipError_tT1_T2_PT3_SK_jT4_jjP12ihipStream_tbEUlT_E0_NS1_11comp_targetILNS1_3genE0ELNS1_11target_archE4294967295ELNS1_3gpuE0ELNS1_3repE0EEENS1_52radix_sort_onesweep_histogram_config_static_selectorELNS0_4arch9wavefront6targetE0EEEvSI_.numbered_sgpr, 0
	.set _ZN7rocprim17ROCPRIM_400000_NS6detail17trampoline_kernelINS0_14default_configENS1_35radix_sort_onesweep_config_selectorIiNS0_10empty_typeEEEZNS1_34radix_sort_onesweep_global_offsetsIS3_Lb0EN6thrust23THRUST_200600_302600_NS6detail15normal_iteratorINS9_10device_ptrIiEEEEPS5_jNS0_19identity_decomposerEEE10hipError_tT1_T2_PT3_SK_jT4_jjP12ihipStream_tbEUlT_E0_NS1_11comp_targetILNS1_3genE0ELNS1_11target_archE4294967295ELNS1_3gpuE0ELNS1_3repE0EEENS1_52radix_sort_onesweep_histogram_config_static_selectorELNS0_4arch9wavefront6targetE0EEEvSI_.num_named_barrier, 0
	.set _ZN7rocprim17ROCPRIM_400000_NS6detail17trampoline_kernelINS0_14default_configENS1_35radix_sort_onesweep_config_selectorIiNS0_10empty_typeEEEZNS1_34radix_sort_onesweep_global_offsetsIS3_Lb0EN6thrust23THRUST_200600_302600_NS6detail15normal_iteratorINS9_10device_ptrIiEEEEPS5_jNS0_19identity_decomposerEEE10hipError_tT1_T2_PT3_SK_jT4_jjP12ihipStream_tbEUlT_E0_NS1_11comp_targetILNS1_3genE0ELNS1_11target_archE4294967295ELNS1_3gpuE0ELNS1_3repE0EEENS1_52radix_sort_onesweep_histogram_config_static_selectorELNS0_4arch9wavefront6targetE0EEEvSI_.private_seg_size, 0
	.set _ZN7rocprim17ROCPRIM_400000_NS6detail17trampoline_kernelINS0_14default_configENS1_35radix_sort_onesweep_config_selectorIiNS0_10empty_typeEEEZNS1_34radix_sort_onesweep_global_offsetsIS3_Lb0EN6thrust23THRUST_200600_302600_NS6detail15normal_iteratorINS9_10device_ptrIiEEEEPS5_jNS0_19identity_decomposerEEE10hipError_tT1_T2_PT3_SK_jT4_jjP12ihipStream_tbEUlT_E0_NS1_11comp_targetILNS1_3genE0ELNS1_11target_archE4294967295ELNS1_3gpuE0ELNS1_3repE0EEENS1_52radix_sort_onesweep_histogram_config_static_selectorELNS0_4arch9wavefront6targetE0EEEvSI_.uses_vcc, 0
	.set _ZN7rocprim17ROCPRIM_400000_NS6detail17trampoline_kernelINS0_14default_configENS1_35radix_sort_onesweep_config_selectorIiNS0_10empty_typeEEEZNS1_34radix_sort_onesweep_global_offsetsIS3_Lb0EN6thrust23THRUST_200600_302600_NS6detail15normal_iteratorINS9_10device_ptrIiEEEEPS5_jNS0_19identity_decomposerEEE10hipError_tT1_T2_PT3_SK_jT4_jjP12ihipStream_tbEUlT_E0_NS1_11comp_targetILNS1_3genE0ELNS1_11target_archE4294967295ELNS1_3gpuE0ELNS1_3repE0EEENS1_52radix_sort_onesweep_histogram_config_static_selectorELNS0_4arch9wavefront6targetE0EEEvSI_.uses_flat_scratch, 0
	.set _ZN7rocprim17ROCPRIM_400000_NS6detail17trampoline_kernelINS0_14default_configENS1_35radix_sort_onesweep_config_selectorIiNS0_10empty_typeEEEZNS1_34radix_sort_onesweep_global_offsetsIS3_Lb0EN6thrust23THRUST_200600_302600_NS6detail15normal_iteratorINS9_10device_ptrIiEEEEPS5_jNS0_19identity_decomposerEEE10hipError_tT1_T2_PT3_SK_jT4_jjP12ihipStream_tbEUlT_E0_NS1_11comp_targetILNS1_3genE0ELNS1_11target_archE4294967295ELNS1_3gpuE0ELNS1_3repE0EEENS1_52radix_sort_onesweep_histogram_config_static_selectorELNS0_4arch9wavefront6targetE0EEEvSI_.has_dyn_sized_stack, 0
	.set _ZN7rocprim17ROCPRIM_400000_NS6detail17trampoline_kernelINS0_14default_configENS1_35radix_sort_onesweep_config_selectorIiNS0_10empty_typeEEEZNS1_34radix_sort_onesweep_global_offsetsIS3_Lb0EN6thrust23THRUST_200600_302600_NS6detail15normal_iteratorINS9_10device_ptrIiEEEEPS5_jNS0_19identity_decomposerEEE10hipError_tT1_T2_PT3_SK_jT4_jjP12ihipStream_tbEUlT_E0_NS1_11comp_targetILNS1_3genE0ELNS1_11target_archE4294967295ELNS1_3gpuE0ELNS1_3repE0EEENS1_52radix_sort_onesweep_histogram_config_static_selectorELNS0_4arch9wavefront6targetE0EEEvSI_.has_recursion, 0
	.set _ZN7rocprim17ROCPRIM_400000_NS6detail17trampoline_kernelINS0_14default_configENS1_35radix_sort_onesweep_config_selectorIiNS0_10empty_typeEEEZNS1_34radix_sort_onesweep_global_offsetsIS3_Lb0EN6thrust23THRUST_200600_302600_NS6detail15normal_iteratorINS9_10device_ptrIiEEEEPS5_jNS0_19identity_decomposerEEE10hipError_tT1_T2_PT3_SK_jT4_jjP12ihipStream_tbEUlT_E0_NS1_11comp_targetILNS1_3genE0ELNS1_11target_archE4294967295ELNS1_3gpuE0ELNS1_3repE0EEENS1_52radix_sort_onesweep_histogram_config_static_selectorELNS0_4arch9wavefront6targetE0EEEvSI_.has_indirect_call, 0
	.section	.AMDGPU.csdata,"",@progbits
; Kernel info:
; codeLenInByte = 0
; TotalNumSgprs: 0
; NumVgprs: 0
; ScratchSize: 0
; MemoryBound: 0
; FloatMode: 240
; IeeeMode: 1
; LDSByteSize: 0 bytes/workgroup (compile time only)
; SGPRBlocks: 0
; VGPRBlocks: 0
; NumSGPRsForWavesPerEU: 1
; NumVGPRsForWavesPerEU: 1
; Occupancy: 16
; WaveLimiterHint : 0
; COMPUTE_PGM_RSRC2:SCRATCH_EN: 0
; COMPUTE_PGM_RSRC2:USER_SGPR: 6
; COMPUTE_PGM_RSRC2:TRAP_HANDLER: 0
; COMPUTE_PGM_RSRC2:TGID_X_EN: 1
; COMPUTE_PGM_RSRC2:TGID_Y_EN: 0
; COMPUTE_PGM_RSRC2:TGID_Z_EN: 0
; COMPUTE_PGM_RSRC2:TIDIG_COMP_CNT: 0
	.section	.text._ZN7rocprim17ROCPRIM_400000_NS6detail17trampoline_kernelINS0_14default_configENS1_35radix_sort_onesweep_config_selectorIiNS0_10empty_typeEEEZNS1_34radix_sort_onesweep_global_offsetsIS3_Lb0EN6thrust23THRUST_200600_302600_NS6detail15normal_iteratorINS9_10device_ptrIiEEEEPS5_jNS0_19identity_decomposerEEE10hipError_tT1_T2_PT3_SK_jT4_jjP12ihipStream_tbEUlT_E0_NS1_11comp_targetILNS1_3genE6ELNS1_11target_archE950ELNS1_3gpuE13ELNS1_3repE0EEENS1_52radix_sort_onesweep_histogram_config_static_selectorELNS0_4arch9wavefront6targetE0EEEvSI_,"axG",@progbits,_ZN7rocprim17ROCPRIM_400000_NS6detail17trampoline_kernelINS0_14default_configENS1_35radix_sort_onesweep_config_selectorIiNS0_10empty_typeEEEZNS1_34radix_sort_onesweep_global_offsetsIS3_Lb0EN6thrust23THRUST_200600_302600_NS6detail15normal_iteratorINS9_10device_ptrIiEEEEPS5_jNS0_19identity_decomposerEEE10hipError_tT1_T2_PT3_SK_jT4_jjP12ihipStream_tbEUlT_E0_NS1_11comp_targetILNS1_3genE6ELNS1_11target_archE950ELNS1_3gpuE13ELNS1_3repE0EEENS1_52radix_sort_onesweep_histogram_config_static_selectorELNS0_4arch9wavefront6targetE0EEEvSI_,comdat
	.protected	_ZN7rocprim17ROCPRIM_400000_NS6detail17trampoline_kernelINS0_14default_configENS1_35radix_sort_onesweep_config_selectorIiNS0_10empty_typeEEEZNS1_34radix_sort_onesweep_global_offsetsIS3_Lb0EN6thrust23THRUST_200600_302600_NS6detail15normal_iteratorINS9_10device_ptrIiEEEEPS5_jNS0_19identity_decomposerEEE10hipError_tT1_T2_PT3_SK_jT4_jjP12ihipStream_tbEUlT_E0_NS1_11comp_targetILNS1_3genE6ELNS1_11target_archE950ELNS1_3gpuE13ELNS1_3repE0EEENS1_52radix_sort_onesweep_histogram_config_static_selectorELNS0_4arch9wavefront6targetE0EEEvSI_ ; -- Begin function _ZN7rocprim17ROCPRIM_400000_NS6detail17trampoline_kernelINS0_14default_configENS1_35radix_sort_onesweep_config_selectorIiNS0_10empty_typeEEEZNS1_34radix_sort_onesweep_global_offsetsIS3_Lb0EN6thrust23THRUST_200600_302600_NS6detail15normal_iteratorINS9_10device_ptrIiEEEEPS5_jNS0_19identity_decomposerEEE10hipError_tT1_T2_PT3_SK_jT4_jjP12ihipStream_tbEUlT_E0_NS1_11comp_targetILNS1_3genE6ELNS1_11target_archE950ELNS1_3gpuE13ELNS1_3repE0EEENS1_52radix_sort_onesweep_histogram_config_static_selectorELNS0_4arch9wavefront6targetE0EEEvSI_
	.globl	_ZN7rocprim17ROCPRIM_400000_NS6detail17trampoline_kernelINS0_14default_configENS1_35radix_sort_onesweep_config_selectorIiNS0_10empty_typeEEEZNS1_34radix_sort_onesweep_global_offsetsIS3_Lb0EN6thrust23THRUST_200600_302600_NS6detail15normal_iteratorINS9_10device_ptrIiEEEEPS5_jNS0_19identity_decomposerEEE10hipError_tT1_T2_PT3_SK_jT4_jjP12ihipStream_tbEUlT_E0_NS1_11comp_targetILNS1_3genE6ELNS1_11target_archE950ELNS1_3gpuE13ELNS1_3repE0EEENS1_52radix_sort_onesweep_histogram_config_static_selectorELNS0_4arch9wavefront6targetE0EEEvSI_
	.p2align	8
	.type	_ZN7rocprim17ROCPRIM_400000_NS6detail17trampoline_kernelINS0_14default_configENS1_35radix_sort_onesweep_config_selectorIiNS0_10empty_typeEEEZNS1_34radix_sort_onesweep_global_offsetsIS3_Lb0EN6thrust23THRUST_200600_302600_NS6detail15normal_iteratorINS9_10device_ptrIiEEEEPS5_jNS0_19identity_decomposerEEE10hipError_tT1_T2_PT3_SK_jT4_jjP12ihipStream_tbEUlT_E0_NS1_11comp_targetILNS1_3genE6ELNS1_11target_archE950ELNS1_3gpuE13ELNS1_3repE0EEENS1_52radix_sort_onesweep_histogram_config_static_selectorELNS0_4arch9wavefront6targetE0EEEvSI_,@function
_ZN7rocprim17ROCPRIM_400000_NS6detail17trampoline_kernelINS0_14default_configENS1_35radix_sort_onesweep_config_selectorIiNS0_10empty_typeEEEZNS1_34radix_sort_onesweep_global_offsetsIS3_Lb0EN6thrust23THRUST_200600_302600_NS6detail15normal_iteratorINS9_10device_ptrIiEEEEPS5_jNS0_19identity_decomposerEEE10hipError_tT1_T2_PT3_SK_jT4_jjP12ihipStream_tbEUlT_E0_NS1_11comp_targetILNS1_3genE6ELNS1_11target_archE950ELNS1_3gpuE13ELNS1_3repE0EEENS1_52radix_sort_onesweep_histogram_config_static_selectorELNS0_4arch9wavefront6targetE0EEEvSI_: ; @_ZN7rocprim17ROCPRIM_400000_NS6detail17trampoline_kernelINS0_14default_configENS1_35radix_sort_onesweep_config_selectorIiNS0_10empty_typeEEEZNS1_34radix_sort_onesweep_global_offsetsIS3_Lb0EN6thrust23THRUST_200600_302600_NS6detail15normal_iteratorINS9_10device_ptrIiEEEEPS5_jNS0_19identity_decomposerEEE10hipError_tT1_T2_PT3_SK_jT4_jjP12ihipStream_tbEUlT_E0_NS1_11comp_targetILNS1_3genE6ELNS1_11target_archE950ELNS1_3gpuE13ELNS1_3repE0EEENS1_52radix_sort_onesweep_histogram_config_static_selectorELNS0_4arch9wavefront6targetE0EEEvSI_
; %bb.0:
	.section	.rodata,"a",@progbits
	.p2align	6, 0x0
	.amdhsa_kernel _ZN7rocprim17ROCPRIM_400000_NS6detail17trampoline_kernelINS0_14default_configENS1_35radix_sort_onesweep_config_selectorIiNS0_10empty_typeEEEZNS1_34radix_sort_onesweep_global_offsetsIS3_Lb0EN6thrust23THRUST_200600_302600_NS6detail15normal_iteratorINS9_10device_ptrIiEEEEPS5_jNS0_19identity_decomposerEEE10hipError_tT1_T2_PT3_SK_jT4_jjP12ihipStream_tbEUlT_E0_NS1_11comp_targetILNS1_3genE6ELNS1_11target_archE950ELNS1_3gpuE13ELNS1_3repE0EEENS1_52radix_sort_onesweep_histogram_config_static_selectorELNS0_4arch9wavefront6targetE0EEEvSI_
		.amdhsa_group_segment_fixed_size 0
		.amdhsa_private_segment_fixed_size 0
		.amdhsa_kernarg_size 8
		.amdhsa_user_sgpr_count 6
		.amdhsa_user_sgpr_private_segment_buffer 1
		.amdhsa_user_sgpr_dispatch_ptr 0
		.amdhsa_user_sgpr_queue_ptr 0
		.amdhsa_user_sgpr_kernarg_segment_ptr 1
		.amdhsa_user_sgpr_dispatch_id 0
		.amdhsa_user_sgpr_flat_scratch_init 0
		.amdhsa_user_sgpr_private_segment_size 0
		.amdhsa_wavefront_size32 1
		.amdhsa_uses_dynamic_stack 0
		.amdhsa_system_sgpr_private_segment_wavefront_offset 0
		.amdhsa_system_sgpr_workgroup_id_x 1
		.amdhsa_system_sgpr_workgroup_id_y 0
		.amdhsa_system_sgpr_workgroup_id_z 0
		.amdhsa_system_sgpr_workgroup_info 0
		.amdhsa_system_vgpr_workitem_id 0
		.amdhsa_next_free_vgpr 1
		.amdhsa_next_free_sgpr 1
		.amdhsa_reserve_vcc 0
		.amdhsa_reserve_flat_scratch 0
		.amdhsa_float_round_mode_32 0
		.amdhsa_float_round_mode_16_64 0
		.amdhsa_float_denorm_mode_32 3
		.amdhsa_float_denorm_mode_16_64 3
		.amdhsa_dx10_clamp 1
		.amdhsa_ieee_mode 1
		.amdhsa_fp16_overflow 0
		.amdhsa_workgroup_processor_mode 1
		.amdhsa_memory_ordered 1
		.amdhsa_forward_progress 1
		.amdhsa_shared_vgpr_count 0
		.amdhsa_exception_fp_ieee_invalid_op 0
		.amdhsa_exception_fp_denorm_src 0
		.amdhsa_exception_fp_ieee_div_zero 0
		.amdhsa_exception_fp_ieee_overflow 0
		.amdhsa_exception_fp_ieee_underflow 0
		.amdhsa_exception_fp_ieee_inexact 0
		.amdhsa_exception_int_div_zero 0
	.end_amdhsa_kernel
	.section	.text._ZN7rocprim17ROCPRIM_400000_NS6detail17trampoline_kernelINS0_14default_configENS1_35radix_sort_onesweep_config_selectorIiNS0_10empty_typeEEEZNS1_34radix_sort_onesweep_global_offsetsIS3_Lb0EN6thrust23THRUST_200600_302600_NS6detail15normal_iteratorINS9_10device_ptrIiEEEEPS5_jNS0_19identity_decomposerEEE10hipError_tT1_T2_PT3_SK_jT4_jjP12ihipStream_tbEUlT_E0_NS1_11comp_targetILNS1_3genE6ELNS1_11target_archE950ELNS1_3gpuE13ELNS1_3repE0EEENS1_52radix_sort_onesweep_histogram_config_static_selectorELNS0_4arch9wavefront6targetE0EEEvSI_,"axG",@progbits,_ZN7rocprim17ROCPRIM_400000_NS6detail17trampoline_kernelINS0_14default_configENS1_35radix_sort_onesweep_config_selectorIiNS0_10empty_typeEEEZNS1_34radix_sort_onesweep_global_offsetsIS3_Lb0EN6thrust23THRUST_200600_302600_NS6detail15normal_iteratorINS9_10device_ptrIiEEEEPS5_jNS0_19identity_decomposerEEE10hipError_tT1_T2_PT3_SK_jT4_jjP12ihipStream_tbEUlT_E0_NS1_11comp_targetILNS1_3genE6ELNS1_11target_archE950ELNS1_3gpuE13ELNS1_3repE0EEENS1_52radix_sort_onesweep_histogram_config_static_selectorELNS0_4arch9wavefront6targetE0EEEvSI_,comdat
.Lfunc_end142:
	.size	_ZN7rocprim17ROCPRIM_400000_NS6detail17trampoline_kernelINS0_14default_configENS1_35radix_sort_onesweep_config_selectorIiNS0_10empty_typeEEEZNS1_34radix_sort_onesweep_global_offsetsIS3_Lb0EN6thrust23THRUST_200600_302600_NS6detail15normal_iteratorINS9_10device_ptrIiEEEEPS5_jNS0_19identity_decomposerEEE10hipError_tT1_T2_PT3_SK_jT4_jjP12ihipStream_tbEUlT_E0_NS1_11comp_targetILNS1_3genE6ELNS1_11target_archE950ELNS1_3gpuE13ELNS1_3repE0EEENS1_52radix_sort_onesweep_histogram_config_static_selectorELNS0_4arch9wavefront6targetE0EEEvSI_, .Lfunc_end142-_ZN7rocprim17ROCPRIM_400000_NS6detail17trampoline_kernelINS0_14default_configENS1_35radix_sort_onesweep_config_selectorIiNS0_10empty_typeEEEZNS1_34radix_sort_onesweep_global_offsetsIS3_Lb0EN6thrust23THRUST_200600_302600_NS6detail15normal_iteratorINS9_10device_ptrIiEEEEPS5_jNS0_19identity_decomposerEEE10hipError_tT1_T2_PT3_SK_jT4_jjP12ihipStream_tbEUlT_E0_NS1_11comp_targetILNS1_3genE6ELNS1_11target_archE950ELNS1_3gpuE13ELNS1_3repE0EEENS1_52radix_sort_onesweep_histogram_config_static_selectorELNS0_4arch9wavefront6targetE0EEEvSI_
                                        ; -- End function
	.set _ZN7rocprim17ROCPRIM_400000_NS6detail17trampoline_kernelINS0_14default_configENS1_35radix_sort_onesweep_config_selectorIiNS0_10empty_typeEEEZNS1_34radix_sort_onesweep_global_offsetsIS3_Lb0EN6thrust23THRUST_200600_302600_NS6detail15normal_iteratorINS9_10device_ptrIiEEEEPS5_jNS0_19identity_decomposerEEE10hipError_tT1_T2_PT3_SK_jT4_jjP12ihipStream_tbEUlT_E0_NS1_11comp_targetILNS1_3genE6ELNS1_11target_archE950ELNS1_3gpuE13ELNS1_3repE0EEENS1_52radix_sort_onesweep_histogram_config_static_selectorELNS0_4arch9wavefront6targetE0EEEvSI_.num_vgpr, 0
	.set _ZN7rocprim17ROCPRIM_400000_NS6detail17trampoline_kernelINS0_14default_configENS1_35radix_sort_onesweep_config_selectorIiNS0_10empty_typeEEEZNS1_34radix_sort_onesweep_global_offsetsIS3_Lb0EN6thrust23THRUST_200600_302600_NS6detail15normal_iteratorINS9_10device_ptrIiEEEEPS5_jNS0_19identity_decomposerEEE10hipError_tT1_T2_PT3_SK_jT4_jjP12ihipStream_tbEUlT_E0_NS1_11comp_targetILNS1_3genE6ELNS1_11target_archE950ELNS1_3gpuE13ELNS1_3repE0EEENS1_52radix_sort_onesweep_histogram_config_static_selectorELNS0_4arch9wavefront6targetE0EEEvSI_.num_agpr, 0
	.set _ZN7rocprim17ROCPRIM_400000_NS6detail17trampoline_kernelINS0_14default_configENS1_35radix_sort_onesweep_config_selectorIiNS0_10empty_typeEEEZNS1_34radix_sort_onesweep_global_offsetsIS3_Lb0EN6thrust23THRUST_200600_302600_NS6detail15normal_iteratorINS9_10device_ptrIiEEEEPS5_jNS0_19identity_decomposerEEE10hipError_tT1_T2_PT3_SK_jT4_jjP12ihipStream_tbEUlT_E0_NS1_11comp_targetILNS1_3genE6ELNS1_11target_archE950ELNS1_3gpuE13ELNS1_3repE0EEENS1_52radix_sort_onesweep_histogram_config_static_selectorELNS0_4arch9wavefront6targetE0EEEvSI_.numbered_sgpr, 0
	.set _ZN7rocprim17ROCPRIM_400000_NS6detail17trampoline_kernelINS0_14default_configENS1_35radix_sort_onesweep_config_selectorIiNS0_10empty_typeEEEZNS1_34radix_sort_onesweep_global_offsetsIS3_Lb0EN6thrust23THRUST_200600_302600_NS6detail15normal_iteratorINS9_10device_ptrIiEEEEPS5_jNS0_19identity_decomposerEEE10hipError_tT1_T2_PT3_SK_jT4_jjP12ihipStream_tbEUlT_E0_NS1_11comp_targetILNS1_3genE6ELNS1_11target_archE950ELNS1_3gpuE13ELNS1_3repE0EEENS1_52radix_sort_onesweep_histogram_config_static_selectorELNS0_4arch9wavefront6targetE0EEEvSI_.num_named_barrier, 0
	.set _ZN7rocprim17ROCPRIM_400000_NS6detail17trampoline_kernelINS0_14default_configENS1_35radix_sort_onesweep_config_selectorIiNS0_10empty_typeEEEZNS1_34radix_sort_onesweep_global_offsetsIS3_Lb0EN6thrust23THRUST_200600_302600_NS6detail15normal_iteratorINS9_10device_ptrIiEEEEPS5_jNS0_19identity_decomposerEEE10hipError_tT1_T2_PT3_SK_jT4_jjP12ihipStream_tbEUlT_E0_NS1_11comp_targetILNS1_3genE6ELNS1_11target_archE950ELNS1_3gpuE13ELNS1_3repE0EEENS1_52radix_sort_onesweep_histogram_config_static_selectorELNS0_4arch9wavefront6targetE0EEEvSI_.private_seg_size, 0
	.set _ZN7rocprim17ROCPRIM_400000_NS6detail17trampoline_kernelINS0_14default_configENS1_35radix_sort_onesweep_config_selectorIiNS0_10empty_typeEEEZNS1_34radix_sort_onesweep_global_offsetsIS3_Lb0EN6thrust23THRUST_200600_302600_NS6detail15normal_iteratorINS9_10device_ptrIiEEEEPS5_jNS0_19identity_decomposerEEE10hipError_tT1_T2_PT3_SK_jT4_jjP12ihipStream_tbEUlT_E0_NS1_11comp_targetILNS1_3genE6ELNS1_11target_archE950ELNS1_3gpuE13ELNS1_3repE0EEENS1_52radix_sort_onesweep_histogram_config_static_selectorELNS0_4arch9wavefront6targetE0EEEvSI_.uses_vcc, 0
	.set _ZN7rocprim17ROCPRIM_400000_NS6detail17trampoline_kernelINS0_14default_configENS1_35radix_sort_onesweep_config_selectorIiNS0_10empty_typeEEEZNS1_34radix_sort_onesweep_global_offsetsIS3_Lb0EN6thrust23THRUST_200600_302600_NS6detail15normal_iteratorINS9_10device_ptrIiEEEEPS5_jNS0_19identity_decomposerEEE10hipError_tT1_T2_PT3_SK_jT4_jjP12ihipStream_tbEUlT_E0_NS1_11comp_targetILNS1_3genE6ELNS1_11target_archE950ELNS1_3gpuE13ELNS1_3repE0EEENS1_52radix_sort_onesweep_histogram_config_static_selectorELNS0_4arch9wavefront6targetE0EEEvSI_.uses_flat_scratch, 0
	.set _ZN7rocprim17ROCPRIM_400000_NS6detail17trampoline_kernelINS0_14default_configENS1_35radix_sort_onesweep_config_selectorIiNS0_10empty_typeEEEZNS1_34radix_sort_onesweep_global_offsetsIS3_Lb0EN6thrust23THRUST_200600_302600_NS6detail15normal_iteratorINS9_10device_ptrIiEEEEPS5_jNS0_19identity_decomposerEEE10hipError_tT1_T2_PT3_SK_jT4_jjP12ihipStream_tbEUlT_E0_NS1_11comp_targetILNS1_3genE6ELNS1_11target_archE950ELNS1_3gpuE13ELNS1_3repE0EEENS1_52radix_sort_onesweep_histogram_config_static_selectorELNS0_4arch9wavefront6targetE0EEEvSI_.has_dyn_sized_stack, 0
	.set _ZN7rocprim17ROCPRIM_400000_NS6detail17trampoline_kernelINS0_14default_configENS1_35radix_sort_onesweep_config_selectorIiNS0_10empty_typeEEEZNS1_34radix_sort_onesweep_global_offsetsIS3_Lb0EN6thrust23THRUST_200600_302600_NS6detail15normal_iteratorINS9_10device_ptrIiEEEEPS5_jNS0_19identity_decomposerEEE10hipError_tT1_T2_PT3_SK_jT4_jjP12ihipStream_tbEUlT_E0_NS1_11comp_targetILNS1_3genE6ELNS1_11target_archE950ELNS1_3gpuE13ELNS1_3repE0EEENS1_52radix_sort_onesweep_histogram_config_static_selectorELNS0_4arch9wavefront6targetE0EEEvSI_.has_recursion, 0
	.set _ZN7rocprim17ROCPRIM_400000_NS6detail17trampoline_kernelINS0_14default_configENS1_35radix_sort_onesweep_config_selectorIiNS0_10empty_typeEEEZNS1_34radix_sort_onesweep_global_offsetsIS3_Lb0EN6thrust23THRUST_200600_302600_NS6detail15normal_iteratorINS9_10device_ptrIiEEEEPS5_jNS0_19identity_decomposerEEE10hipError_tT1_T2_PT3_SK_jT4_jjP12ihipStream_tbEUlT_E0_NS1_11comp_targetILNS1_3genE6ELNS1_11target_archE950ELNS1_3gpuE13ELNS1_3repE0EEENS1_52radix_sort_onesweep_histogram_config_static_selectorELNS0_4arch9wavefront6targetE0EEEvSI_.has_indirect_call, 0
	.section	.AMDGPU.csdata,"",@progbits
; Kernel info:
; codeLenInByte = 0
; TotalNumSgprs: 0
; NumVgprs: 0
; ScratchSize: 0
; MemoryBound: 0
; FloatMode: 240
; IeeeMode: 1
; LDSByteSize: 0 bytes/workgroup (compile time only)
; SGPRBlocks: 0
; VGPRBlocks: 0
; NumSGPRsForWavesPerEU: 1
; NumVGPRsForWavesPerEU: 1
; Occupancy: 16
; WaveLimiterHint : 0
; COMPUTE_PGM_RSRC2:SCRATCH_EN: 0
; COMPUTE_PGM_RSRC2:USER_SGPR: 6
; COMPUTE_PGM_RSRC2:TRAP_HANDLER: 0
; COMPUTE_PGM_RSRC2:TGID_X_EN: 1
; COMPUTE_PGM_RSRC2:TGID_Y_EN: 0
; COMPUTE_PGM_RSRC2:TGID_Z_EN: 0
; COMPUTE_PGM_RSRC2:TIDIG_COMP_CNT: 0
	.section	.text._ZN7rocprim17ROCPRIM_400000_NS6detail17trampoline_kernelINS0_14default_configENS1_35radix_sort_onesweep_config_selectorIiNS0_10empty_typeEEEZNS1_34radix_sort_onesweep_global_offsetsIS3_Lb0EN6thrust23THRUST_200600_302600_NS6detail15normal_iteratorINS9_10device_ptrIiEEEEPS5_jNS0_19identity_decomposerEEE10hipError_tT1_T2_PT3_SK_jT4_jjP12ihipStream_tbEUlT_E0_NS1_11comp_targetILNS1_3genE5ELNS1_11target_archE942ELNS1_3gpuE9ELNS1_3repE0EEENS1_52radix_sort_onesweep_histogram_config_static_selectorELNS0_4arch9wavefront6targetE0EEEvSI_,"axG",@progbits,_ZN7rocprim17ROCPRIM_400000_NS6detail17trampoline_kernelINS0_14default_configENS1_35radix_sort_onesweep_config_selectorIiNS0_10empty_typeEEEZNS1_34radix_sort_onesweep_global_offsetsIS3_Lb0EN6thrust23THRUST_200600_302600_NS6detail15normal_iteratorINS9_10device_ptrIiEEEEPS5_jNS0_19identity_decomposerEEE10hipError_tT1_T2_PT3_SK_jT4_jjP12ihipStream_tbEUlT_E0_NS1_11comp_targetILNS1_3genE5ELNS1_11target_archE942ELNS1_3gpuE9ELNS1_3repE0EEENS1_52radix_sort_onesweep_histogram_config_static_selectorELNS0_4arch9wavefront6targetE0EEEvSI_,comdat
	.protected	_ZN7rocprim17ROCPRIM_400000_NS6detail17trampoline_kernelINS0_14default_configENS1_35radix_sort_onesweep_config_selectorIiNS0_10empty_typeEEEZNS1_34radix_sort_onesweep_global_offsetsIS3_Lb0EN6thrust23THRUST_200600_302600_NS6detail15normal_iteratorINS9_10device_ptrIiEEEEPS5_jNS0_19identity_decomposerEEE10hipError_tT1_T2_PT3_SK_jT4_jjP12ihipStream_tbEUlT_E0_NS1_11comp_targetILNS1_3genE5ELNS1_11target_archE942ELNS1_3gpuE9ELNS1_3repE0EEENS1_52radix_sort_onesweep_histogram_config_static_selectorELNS0_4arch9wavefront6targetE0EEEvSI_ ; -- Begin function _ZN7rocprim17ROCPRIM_400000_NS6detail17trampoline_kernelINS0_14default_configENS1_35radix_sort_onesweep_config_selectorIiNS0_10empty_typeEEEZNS1_34radix_sort_onesweep_global_offsetsIS3_Lb0EN6thrust23THRUST_200600_302600_NS6detail15normal_iteratorINS9_10device_ptrIiEEEEPS5_jNS0_19identity_decomposerEEE10hipError_tT1_T2_PT3_SK_jT4_jjP12ihipStream_tbEUlT_E0_NS1_11comp_targetILNS1_3genE5ELNS1_11target_archE942ELNS1_3gpuE9ELNS1_3repE0EEENS1_52radix_sort_onesweep_histogram_config_static_selectorELNS0_4arch9wavefront6targetE0EEEvSI_
	.globl	_ZN7rocprim17ROCPRIM_400000_NS6detail17trampoline_kernelINS0_14default_configENS1_35radix_sort_onesweep_config_selectorIiNS0_10empty_typeEEEZNS1_34radix_sort_onesweep_global_offsetsIS3_Lb0EN6thrust23THRUST_200600_302600_NS6detail15normal_iteratorINS9_10device_ptrIiEEEEPS5_jNS0_19identity_decomposerEEE10hipError_tT1_T2_PT3_SK_jT4_jjP12ihipStream_tbEUlT_E0_NS1_11comp_targetILNS1_3genE5ELNS1_11target_archE942ELNS1_3gpuE9ELNS1_3repE0EEENS1_52radix_sort_onesweep_histogram_config_static_selectorELNS0_4arch9wavefront6targetE0EEEvSI_
	.p2align	8
	.type	_ZN7rocprim17ROCPRIM_400000_NS6detail17trampoline_kernelINS0_14default_configENS1_35radix_sort_onesweep_config_selectorIiNS0_10empty_typeEEEZNS1_34radix_sort_onesweep_global_offsetsIS3_Lb0EN6thrust23THRUST_200600_302600_NS6detail15normal_iteratorINS9_10device_ptrIiEEEEPS5_jNS0_19identity_decomposerEEE10hipError_tT1_T2_PT3_SK_jT4_jjP12ihipStream_tbEUlT_E0_NS1_11comp_targetILNS1_3genE5ELNS1_11target_archE942ELNS1_3gpuE9ELNS1_3repE0EEENS1_52radix_sort_onesweep_histogram_config_static_selectorELNS0_4arch9wavefront6targetE0EEEvSI_,@function
_ZN7rocprim17ROCPRIM_400000_NS6detail17trampoline_kernelINS0_14default_configENS1_35radix_sort_onesweep_config_selectorIiNS0_10empty_typeEEEZNS1_34radix_sort_onesweep_global_offsetsIS3_Lb0EN6thrust23THRUST_200600_302600_NS6detail15normal_iteratorINS9_10device_ptrIiEEEEPS5_jNS0_19identity_decomposerEEE10hipError_tT1_T2_PT3_SK_jT4_jjP12ihipStream_tbEUlT_E0_NS1_11comp_targetILNS1_3genE5ELNS1_11target_archE942ELNS1_3gpuE9ELNS1_3repE0EEENS1_52radix_sort_onesweep_histogram_config_static_selectorELNS0_4arch9wavefront6targetE0EEEvSI_: ; @_ZN7rocprim17ROCPRIM_400000_NS6detail17trampoline_kernelINS0_14default_configENS1_35radix_sort_onesweep_config_selectorIiNS0_10empty_typeEEEZNS1_34radix_sort_onesweep_global_offsetsIS3_Lb0EN6thrust23THRUST_200600_302600_NS6detail15normal_iteratorINS9_10device_ptrIiEEEEPS5_jNS0_19identity_decomposerEEE10hipError_tT1_T2_PT3_SK_jT4_jjP12ihipStream_tbEUlT_E0_NS1_11comp_targetILNS1_3genE5ELNS1_11target_archE942ELNS1_3gpuE9ELNS1_3repE0EEENS1_52radix_sort_onesweep_histogram_config_static_selectorELNS0_4arch9wavefront6targetE0EEEvSI_
; %bb.0:
	.section	.rodata,"a",@progbits
	.p2align	6, 0x0
	.amdhsa_kernel _ZN7rocprim17ROCPRIM_400000_NS6detail17trampoline_kernelINS0_14default_configENS1_35radix_sort_onesweep_config_selectorIiNS0_10empty_typeEEEZNS1_34radix_sort_onesweep_global_offsetsIS3_Lb0EN6thrust23THRUST_200600_302600_NS6detail15normal_iteratorINS9_10device_ptrIiEEEEPS5_jNS0_19identity_decomposerEEE10hipError_tT1_T2_PT3_SK_jT4_jjP12ihipStream_tbEUlT_E0_NS1_11comp_targetILNS1_3genE5ELNS1_11target_archE942ELNS1_3gpuE9ELNS1_3repE0EEENS1_52radix_sort_onesweep_histogram_config_static_selectorELNS0_4arch9wavefront6targetE0EEEvSI_
		.amdhsa_group_segment_fixed_size 0
		.amdhsa_private_segment_fixed_size 0
		.amdhsa_kernarg_size 8
		.amdhsa_user_sgpr_count 6
		.amdhsa_user_sgpr_private_segment_buffer 1
		.amdhsa_user_sgpr_dispatch_ptr 0
		.amdhsa_user_sgpr_queue_ptr 0
		.amdhsa_user_sgpr_kernarg_segment_ptr 1
		.amdhsa_user_sgpr_dispatch_id 0
		.amdhsa_user_sgpr_flat_scratch_init 0
		.amdhsa_user_sgpr_private_segment_size 0
		.amdhsa_wavefront_size32 1
		.amdhsa_uses_dynamic_stack 0
		.amdhsa_system_sgpr_private_segment_wavefront_offset 0
		.amdhsa_system_sgpr_workgroup_id_x 1
		.amdhsa_system_sgpr_workgroup_id_y 0
		.amdhsa_system_sgpr_workgroup_id_z 0
		.amdhsa_system_sgpr_workgroup_info 0
		.amdhsa_system_vgpr_workitem_id 0
		.amdhsa_next_free_vgpr 1
		.amdhsa_next_free_sgpr 1
		.amdhsa_reserve_vcc 0
		.amdhsa_reserve_flat_scratch 0
		.amdhsa_float_round_mode_32 0
		.amdhsa_float_round_mode_16_64 0
		.amdhsa_float_denorm_mode_32 3
		.amdhsa_float_denorm_mode_16_64 3
		.amdhsa_dx10_clamp 1
		.amdhsa_ieee_mode 1
		.amdhsa_fp16_overflow 0
		.amdhsa_workgroup_processor_mode 1
		.amdhsa_memory_ordered 1
		.amdhsa_forward_progress 1
		.amdhsa_shared_vgpr_count 0
		.amdhsa_exception_fp_ieee_invalid_op 0
		.amdhsa_exception_fp_denorm_src 0
		.amdhsa_exception_fp_ieee_div_zero 0
		.amdhsa_exception_fp_ieee_overflow 0
		.amdhsa_exception_fp_ieee_underflow 0
		.amdhsa_exception_fp_ieee_inexact 0
		.amdhsa_exception_int_div_zero 0
	.end_amdhsa_kernel
	.section	.text._ZN7rocprim17ROCPRIM_400000_NS6detail17trampoline_kernelINS0_14default_configENS1_35radix_sort_onesweep_config_selectorIiNS0_10empty_typeEEEZNS1_34radix_sort_onesweep_global_offsetsIS3_Lb0EN6thrust23THRUST_200600_302600_NS6detail15normal_iteratorINS9_10device_ptrIiEEEEPS5_jNS0_19identity_decomposerEEE10hipError_tT1_T2_PT3_SK_jT4_jjP12ihipStream_tbEUlT_E0_NS1_11comp_targetILNS1_3genE5ELNS1_11target_archE942ELNS1_3gpuE9ELNS1_3repE0EEENS1_52radix_sort_onesweep_histogram_config_static_selectorELNS0_4arch9wavefront6targetE0EEEvSI_,"axG",@progbits,_ZN7rocprim17ROCPRIM_400000_NS6detail17trampoline_kernelINS0_14default_configENS1_35radix_sort_onesweep_config_selectorIiNS0_10empty_typeEEEZNS1_34radix_sort_onesweep_global_offsetsIS3_Lb0EN6thrust23THRUST_200600_302600_NS6detail15normal_iteratorINS9_10device_ptrIiEEEEPS5_jNS0_19identity_decomposerEEE10hipError_tT1_T2_PT3_SK_jT4_jjP12ihipStream_tbEUlT_E0_NS1_11comp_targetILNS1_3genE5ELNS1_11target_archE942ELNS1_3gpuE9ELNS1_3repE0EEENS1_52radix_sort_onesweep_histogram_config_static_selectorELNS0_4arch9wavefront6targetE0EEEvSI_,comdat
.Lfunc_end143:
	.size	_ZN7rocprim17ROCPRIM_400000_NS6detail17trampoline_kernelINS0_14default_configENS1_35radix_sort_onesweep_config_selectorIiNS0_10empty_typeEEEZNS1_34radix_sort_onesweep_global_offsetsIS3_Lb0EN6thrust23THRUST_200600_302600_NS6detail15normal_iteratorINS9_10device_ptrIiEEEEPS5_jNS0_19identity_decomposerEEE10hipError_tT1_T2_PT3_SK_jT4_jjP12ihipStream_tbEUlT_E0_NS1_11comp_targetILNS1_3genE5ELNS1_11target_archE942ELNS1_3gpuE9ELNS1_3repE0EEENS1_52radix_sort_onesweep_histogram_config_static_selectorELNS0_4arch9wavefront6targetE0EEEvSI_, .Lfunc_end143-_ZN7rocprim17ROCPRIM_400000_NS6detail17trampoline_kernelINS0_14default_configENS1_35radix_sort_onesweep_config_selectorIiNS0_10empty_typeEEEZNS1_34radix_sort_onesweep_global_offsetsIS3_Lb0EN6thrust23THRUST_200600_302600_NS6detail15normal_iteratorINS9_10device_ptrIiEEEEPS5_jNS0_19identity_decomposerEEE10hipError_tT1_T2_PT3_SK_jT4_jjP12ihipStream_tbEUlT_E0_NS1_11comp_targetILNS1_3genE5ELNS1_11target_archE942ELNS1_3gpuE9ELNS1_3repE0EEENS1_52radix_sort_onesweep_histogram_config_static_selectorELNS0_4arch9wavefront6targetE0EEEvSI_
                                        ; -- End function
	.set _ZN7rocprim17ROCPRIM_400000_NS6detail17trampoline_kernelINS0_14default_configENS1_35radix_sort_onesweep_config_selectorIiNS0_10empty_typeEEEZNS1_34radix_sort_onesweep_global_offsetsIS3_Lb0EN6thrust23THRUST_200600_302600_NS6detail15normal_iteratorINS9_10device_ptrIiEEEEPS5_jNS0_19identity_decomposerEEE10hipError_tT1_T2_PT3_SK_jT4_jjP12ihipStream_tbEUlT_E0_NS1_11comp_targetILNS1_3genE5ELNS1_11target_archE942ELNS1_3gpuE9ELNS1_3repE0EEENS1_52radix_sort_onesweep_histogram_config_static_selectorELNS0_4arch9wavefront6targetE0EEEvSI_.num_vgpr, 0
	.set _ZN7rocprim17ROCPRIM_400000_NS6detail17trampoline_kernelINS0_14default_configENS1_35radix_sort_onesweep_config_selectorIiNS0_10empty_typeEEEZNS1_34radix_sort_onesweep_global_offsetsIS3_Lb0EN6thrust23THRUST_200600_302600_NS6detail15normal_iteratorINS9_10device_ptrIiEEEEPS5_jNS0_19identity_decomposerEEE10hipError_tT1_T2_PT3_SK_jT4_jjP12ihipStream_tbEUlT_E0_NS1_11comp_targetILNS1_3genE5ELNS1_11target_archE942ELNS1_3gpuE9ELNS1_3repE0EEENS1_52radix_sort_onesweep_histogram_config_static_selectorELNS0_4arch9wavefront6targetE0EEEvSI_.num_agpr, 0
	.set _ZN7rocprim17ROCPRIM_400000_NS6detail17trampoline_kernelINS0_14default_configENS1_35radix_sort_onesweep_config_selectorIiNS0_10empty_typeEEEZNS1_34radix_sort_onesweep_global_offsetsIS3_Lb0EN6thrust23THRUST_200600_302600_NS6detail15normal_iteratorINS9_10device_ptrIiEEEEPS5_jNS0_19identity_decomposerEEE10hipError_tT1_T2_PT3_SK_jT4_jjP12ihipStream_tbEUlT_E0_NS1_11comp_targetILNS1_3genE5ELNS1_11target_archE942ELNS1_3gpuE9ELNS1_3repE0EEENS1_52radix_sort_onesweep_histogram_config_static_selectorELNS0_4arch9wavefront6targetE0EEEvSI_.numbered_sgpr, 0
	.set _ZN7rocprim17ROCPRIM_400000_NS6detail17trampoline_kernelINS0_14default_configENS1_35radix_sort_onesweep_config_selectorIiNS0_10empty_typeEEEZNS1_34radix_sort_onesweep_global_offsetsIS3_Lb0EN6thrust23THRUST_200600_302600_NS6detail15normal_iteratorINS9_10device_ptrIiEEEEPS5_jNS0_19identity_decomposerEEE10hipError_tT1_T2_PT3_SK_jT4_jjP12ihipStream_tbEUlT_E0_NS1_11comp_targetILNS1_3genE5ELNS1_11target_archE942ELNS1_3gpuE9ELNS1_3repE0EEENS1_52radix_sort_onesweep_histogram_config_static_selectorELNS0_4arch9wavefront6targetE0EEEvSI_.num_named_barrier, 0
	.set _ZN7rocprim17ROCPRIM_400000_NS6detail17trampoline_kernelINS0_14default_configENS1_35radix_sort_onesweep_config_selectorIiNS0_10empty_typeEEEZNS1_34radix_sort_onesweep_global_offsetsIS3_Lb0EN6thrust23THRUST_200600_302600_NS6detail15normal_iteratorINS9_10device_ptrIiEEEEPS5_jNS0_19identity_decomposerEEE10hipError_tT1_T2_PT3_SK_jT4_jjP12ihipStream_tbEUlT_E0_NS1_11comp_targetILNS1_3genE5ELNS1_11target_archE942ELNS1_3gpuE9ELNS1_3repE0EEENS1_52radix_sort_onesweep_histogram_config_static_selectorELNS0_4arch9wavefront6targetE0EEEvSI_.private_seg_size, 0
	.set _ZN7rocprim17ROCPRIM_400000_NS6detail17trampoline_kernelINS0_14default_configENS1_35radix_sort_onesweep_config_selectorIiNS0_10empty_typeEEEZNS1_34radix_sort_onesweep_global_offsetsIS3_Lb0EN6thrust23THRUST_200600_302600_NS6detail15normal_iteratorINS9_10device_ptrIiEEEEPS5_jNS0_19identity_decomposerEEE10hipError_tT1_T2_PT3_SK_jT4_jjP12ihipStream_tbEUlT_E0_NS1_11comp_targetILNS1_3genE5ELNS1_11target_archE942ELNS1_3gpuE9ELNS1_3repE0EEENS1_52radix_sort_onesweep_histogram_config_static_selectorELNS0_4arch9wavefront6targetE0EEEvSI_.uses_vcc, 0
	.set _ZN7rocprim17ROCPRIM_400000_NS6detail17trampoline_kernelINS0_14default_configENS1_35radix_sort_onesweep_config_selectorIiNS0_10empty_typeEEEZNS1_34radix_sort_onesweep_global_offsetsIS3_Lb0EN6thrust23THRUST_200600_302600_NS6detail15normal_iteratorINS9_10device_ptrIiEEEEPS5_jNS0_19identity_decomposerEEE10hipError_tT1_T2_PT3_SK_jT4_jjP12ihipStream_tbEUlT_E0_NS1_11comp_targetILNS1_3genE5ELNS1_11target_archE942ELNS1_3gpuE9ELNS1_3repE0EEENS1_52radix_sort_onesweep_histogram_config_static_selectorELNS0_4arch9wavefront6targetE0EEEvSI_.uses_flat_scratch, 0
	.set _ZN7rocprim17ROCPRIM_400000_NS6detail17trampoline_kernelINS0_14default_configENS1_35radix_sort_onesweep_config_selectorIiNS0_10empty_typeEEEZNS1_34radix_sort_onesweep_global_offsetsIS3_Lb0EN6thrust23THRUST_200600_302600_NS6detail15normal_iteratorINS9_10device_ptrIiEEEEPS5_jNS0_19identity_decomposerEEE10hipError_tT1_T2_PT3_SK_jT4_jjP12ihipStream_tbEUlT_E0_NS1_11comp_targetILNS1_3genE5ELNS1_11target_archE942ELNS1_3gpuE9ELNS1_3repE0EEENS1_52radix_sort_onesweep_histogram_config_static_selectorELNS0_4arch9wavefront6targetE0EEEvSI_.has_dyn_sized_stack, 0
	.set _ZN7rocprim17ROCPRIM_400000_NS6detail17trampoline_kernelINS0_14default_configENS1_35radix_sort_onesweep_config_selectorIiNS0_10empty_typeEEEZNS1_34radix_sort_onesweep_global_offsetsIS3_Lb0EN6thrust23THRUST_200600_302600_NS6detail15normal_iteratorINS9_10device_ptrIiEEEEPS5_jNS0_19identity_decomposerEEE10hipError_tT1_T2_PT3_SK_jT4_jjP12ihipStream_tbEUlT_E0_NS1_11comp_targetILNS1_3genE5ELNS1_11target_archE942ELNS1_3gpuE9ELNS1_3repE0EEENS1_52radix_sort_onesweep_histogram_config_static_selectorELNS0_4arch9wavefront6targetE0EEEvSI_.has_recursion, 0
	.set _ZN7rocprim17ROCPRIM_400000_NS6detail17trampoline_kernelINS0_14default_configENS1_35radix_sort_onesweep_config_selectorIiNS0_10empty_typeEEEZNS1_34radix_sort_onesweep_global_offsetsIS3_Lb0EN6thrust23THRUST_200600_302600_NS6detail15normal_iteratorINS9_10device_ptrIiEEEEPS5_jNS0_19identity_decomposerEEE10hipError_tT1_T2_PT3_SK_jT4_jjP12ihipStream_tbEUlT_E0_NS1_11comp_targetILNS1_3genE5ELNS1_11target_archE942ELNS1_3gpuE9ELNS1_3repE0EEENS1_52radix_sort_onesweep_histogram_config_static_selectorELNS0_4arch9wavefront6targetE0EEEvSI_.has_indirect_call, 0
	.section	.AMDGPU.csdata,"",@progbits
; Kernel info:
; codeLenInByte = 0
; TotalNumSgprs: 0
; NumVgprs: 0
; ScratchSize: 0
; MemoryBound: 0
; FloatMode: 240
; IeeeMode: 1
; LDSByteSize: 0 bytes/workgroup (compile time only)
; SGPRBlocks: 0
; VGPRBlocks: 0
; NumSGPRsForWavesPerEU: 1
; NumVGPRsForWavesPerEU: 1
; Occupancy: 16
; WaveLimiterHint : 0
; COMPUTE_PGM_RSRC2:SCRATCH_EN: 0
; COMPUTE_PGM_RSRC2:USER_SGPR: 6
; COMPUTE_PGM_RSRC2:TRAP_HANDLER: 0
; COMPUTE_PGM_RSRC2:TGID_X_EN: 1
; COMPUTE_PGM_RSRC2:TGID_Y_EN: 0
; COMPUTE_PGM_RSRC2:TGID_Z_EN: 0
; COMPUTE_PGM_RSRC2:TIDIG_COMP_CNT: 0
	.section	.text._ZN7rocprim17ROCPRIM_400000_NS6detail17trampoline_kernelINS0_14default_configENS1_35radix_sort_onesweep_config_selectorIiNS0_10empty_typeEEEZNS1_34radix_sort_onesweep_global_offsetsIS3_Lb0EN6thrust23THRUST_200600_302600_NS6detail15normal_iteratorINS9_10device_ptrIiEEEEPS5_jNS0_19identity_decomposerEEE10hipError_tT1_T2_PT3_SK_jT4_jjP12ihipStream_tbEUlT_E0_NS1_11comp_targetILNS1_3genE2ELNS1_11target_archE906ELNS1_3gpuE6ELNS1_3repE0EEENS1_52radix_sort_onesweep_histogram_config_static_selectorELNS0_4arch9wavefront6targetE0EEEvSI_,"axG",@progbits,_ZN7rocprim17ROCPRIM_400000_NS6detail17trampoline_kernelINS0_14default_configENS1_35radix_sort_onesweep_config_selectorIiNS0_10empty_typeEEEZNS1_34radix_sort_onesweep_global_offsetsIS3_Lb0EN6thrust23THRUST_200600_302600_NS6detail15normal_iteratorINS9_10device_ptrIiEEEEPS5_jNS0_19identity_decomposerEEE10hipError_tT1_T2_PT3_SK_jT4_jjP12ihipStream_tbEUlT_E0_NS1_11comp_targetILNS1_3genE2ELNS1_11target_archE906ELNS1_3gpuE6ELNS1_3repE0EEENS1_52radix_sort_onesweep_histogram_config_static_selectorELNS0_4arch9wavefront6targetE0EEEvSI_,comdat
	.protected	_ZN7rocprim17ROCPRIM_400000_NS6detail17trampoline_kernelINS0_14default_configENS1_35radix_sort_onesweep_config_selectorIiNS0_10empty_typeEEEZNS1_34radix_sort_onesweep_global_offsetsIS3_Lb0EN6thrust23THRUST_200600_302600_NS6detail15normal_iteratorINS9_10device_ptrIiEEEEPS5_jNS0_19identity_decomposerEEE10hipError_tT1_T2_PT3_SK_jT4_jjP12ihipStream_tbEUlT_E0_NS1_11comp_targetILNS1_3genE2ELNS1_11target_archE906ELNS1_3gpuE6ELNS1_3repE0EEENS1_52radix_sort_onesweep_histogram_config_static_selectorELNS0_4arch9wavefront6targetE0EEEvSI_ ; -- Begin function _ZN7rocprim17ROCPRIM_400000_NS6detail17trampoline_kernelINS0_14default_configENS1_35radix_sort_onesweep_config_selectorIiNS0_10empty_typeEEEZNS1_34radix_sort_onesweep_global_offsetsIS3_Lb0EN6thrust23THRUST_200600_302600_NS6detail15normal_iteratorINS9_10device_ptrIiEEEEPS5_jNS0_19identity_decomposerEEE10hipError_tT1_T2_PT3_SK_jT4_jjP12ihipStream_tbEUlT_E0_NS1_11comp_targetILNS1_3genE2ELNS1_11target_archE906ELNS1_3gpuE6ELNS1_3repE0EEENS1_52radix_sort_onesweep_histogram_config_static_selectorELNS0_4arch9wavefront6targetE0EEEvSI_
	.globl	_ZN7rocprim17ROCPRIM_400000_NS6detail17trampoline_kernelINS0_14default_configENS1_35radix_sort_onesweep_config_selectorIiNS0_10empty_typeEEEZNS1_34radix_sort_onesweep_global_offsetsIS3_Lb0EN6thrust23THRUST_200600_302600_NS6detail15normal_iteratorINS9_10device_ptrIiEEEEPS5_jNS0_19identity_decomposerEEE10hipError_tT1_T2_PT3_SK_jT4_jjP12ihipStream_tbEUlT_E0_NS1_11comp_targetILNS1_3genE2ELNS1_11target_archE906ELNS1_3gpuE6ELNS1_3repE0EEENS1_52radix_sort_onesweep_histogram_config_static_selectorELNS0_4arch9wavefront6targetE0EEEvSI_
	.p2align	8
	.type	_ZN7rocprim17ROCPRIM_400000_NS6detail17trampoline_kernelINS0_14default_configENS1_35radix_sort_onesweep_config_selectorIiNS0_10empty_typeEEEZNS1_34radix_sort_onesweep_global_offsetsIS3_Lb0EN6thrust23THRUST_200600_302600_NS6detail15normal_iteratorINS9_10device_ptrIiEEEEPS5_jNS0_19identity_decomposerEEE10hipError_tT1_T2_PT3_SK_jT4_jjP12ihipStream_tbEUlT_E0_NS1_11comp_targetILNS1_3genE2ELNS1_11target_archE906ELNS1_3gpuE6ELNS1_3repE0EEENS1_52radix_sort_onesweep_histogram_config_static_selectorELNS0_4arch9wavefront6targetE0EEEvSI_,@function
_ZN7rocprim17ROCPRIM_400000_NS6detail17trampoline_kernelINS0_14default_configENS1_35radix_sort_onesweep_config_selectorIiNS0_10empty_typeEEEZNS1_34radix_sort_onesweep_global_offsetsIS3_Lb0EN6thrust23THRUST_200600_302600_NS6detail15normal_iteratorINS9_10device_ptrIiEEEEPS5_jNS0_19identity_decomposerEEE10hipError_tT1_T2_PT3_SK_jT4_jjP12ihipStream_tbEUlT_E0_NS1_11comp_targetILNS1_3genE2ELNS1_11target_archE906ELNS1_3gpuE6ELNS1_3repE0EEENS1_52radix_sort_onesweep_histogram_config_static_selectorELNS0_4arch9wavefront6targetE0EEEvSI_: ; @_ZN7rocprim17ROCPRIM_400000_NS6detail17trampoline_kernelINS0_14default_configENS1_35radix_sort_onesweep_config_selectorIiNS0_10empty_typeEEEZNS1_34radix_sort_onesweep_global_offsetsIS3_Lb0EN6thrust23THRUST_200600_302600_NS6detail15normal_iteratorINS9_10device_ptrIiEEEEPS5_jNS0_19identity_decomposerEEE10hipError_tT1_T2_PT3_SK_jT4_jjP12ihipStream_tbEUlT_E0_NS1_11comp_targetILNS1_3genE2ELNS1_11target_archE906ELNS1_3gpuE6ELNS1_3repE0EEENS1_52radix_sort_onesweep_histogram_config_static_selectorELNS0_4arch9wavefront6targetE0EEEvSI_
; %bb.0:
	.section	.rodata,"a",@progbits
	.p2align	6, 0x0
	.amdhsa_kernel _ZN7rocprim17ROCPRIM_400000_NS6detail17trampoline_kernelINS0_14default_configENS1_35radix_sort_onesweep_config_selectorIiNS0_10empty_typeEEEZNS1_34radix_sort_onesweep_global_offsetsIS3_Lb0EN6thrust23THRUST_200600_302600_NS6detail15normal_iteratorINS9_10device_ptrIiEEEEPS5_jNS0_19identity_decomposerEEE10hipError_tT1_T2_PT3_SK_jT4_jjP12ihipStream_tbEUlT_E0_NS1_11comp_targetILNS1_3genE2ELNS1_11target_archE906ELNS1_3gpuE6ELNS1_3repE0EEENS1_52radix_sort_onesweep_histogram_config_static_selectorELNS0_4arch9wavefront6targetE0EEEvSI_
		.amdhsa_group_segment_fixed_size 0
		.amdhsa_private_segment_fixed_size 0
		.amdhsa_kernarg_size 8
		.amdhsa_user_sgpr_count 6
		.amdhsa_user_sgpr_private_segment_buffer 1
		.amdhsa_user_sgpr_dispatch_ptr 0
		.amdhsa_user_sgpr_queue_ptr 0
		.amdhsa_user_sgpr_kernarg_segment_ptr 1
		.amdhsa_user_sgpr_dispatch_id 0
		.amdhsa_user_sgpr_flat_scratch_init 0
		.amdhsa_user_sgpr_private_segment_size 0
		.amdhsa_wavefront_size32 1
		.amdhsa_uses_dynamic_stack 0
		.amdhsa_system_sgpr_private_segment_wavefront_offset 0
		.amdhsa_system_sgpr_workgroup_id_x 1
		.amdhsa_system_sgpr_workgroup_id_y 0
		.amdhsa_system_sgpr_workgroup_id_z 0
		.amdhsa_system_sgpr_workgroup_info 0
		.amdhsa_system_vgpr_workitem_id 0
		.amdhsa_next_free_vgpr 1
		.amdhsa_next_free_sgpr 1
		.amdhsa_reserve_vcc 0
		.amdhsa_reserve_flat_scratch 0
		.amdhsa_float_round_mode_32 0
		.amdhsa_float_round_mode_16_64 0
		.amdhsa_float_denorm_mode_32 3
		.amdhsa_float_denorm_mode_16_64 3
		.amdhsa_dx10_clamp 1
		.amdhsa_ieee_mode 1
		.amdhsa_fp16_overflow 0
		.amdhsa_workgroup_processor_mode 1
		.amdhsa_memory_ordered 1
		.amdhsa_forward_progress 1
		.amdhsa_shared_vgpr_count 0
		.amdhsa_exception_fp_ieee_invalid_op 0
		.amdhsa_exception_fp_denorm_src 0
		.amdhsa_exception_fp_ieee_div_zero 0
		.amdhsa_exception_fp_ieee_overflow 0
		.amdhsa_exception_fp_ieee_underflow 0
		.amdhsa_exception_fp_ieee_inexact 0
		.amdhsa_exception_int_div_zero 0
	.end_amdhsa_kernel
	.section	.text._ZN7rocprim17ROCPRIM_400000_NS6detail17trampoline_kernelINS0_14default_configENS1_35radix_sort_onesweep_config_selectorIiNS0_10empty_typeEEEZNS1_34radix_sort_onesweep_global_offsetsIS3_Lb0EN6thrust23THRUST_200600_302600_NS6detail15normal_iteratorINS9_10device_ptrIiEEEEPS5_jNS0_19identity_decomposerEEE10hipError_tT1_T2_PT3_SK_jT4_jjP12ihipStream_tbEUlT_E0_NS1_11comp_targetILNS1_3genE2ELNS1_11target_archE906ELNS1_3gpuE6ELNS1_3repE0EEENS1_52radix_sort_onesweep_histogram_config_static_selectorELNS0_4arch9wavefront6targetE0EEEvSI_,"axG",@progbits,_ZN7rocprim17ROCPRIM_400000_NS6detail17trampoline_kernelINS0_14default_configENS1_35radix_sort_onesweep_config_selectorIiNS0_10empty_typeEEEZNS1_34radix_sort_onesweep_global_offsetsIS3_Lb0EN6thrust23THRUST_200600_302600_NS6detail15normal_iteratorINS9_10device_ptrIiEEEEPS5_jNS0_19identity_decomposerEEE10hipError_tT1_T2_PT3_SK_jT4_jjP12ihipStream_tbEUlT_E0_NS1_11comp_targetILNS1_3genE2ELNS1_11target_archE906ELNS1_3gpuE6ELNS1_3repE0EEENS1_52radix_sort_onesweep_histogram_config_static_selectorELNS0_4arch9wavefront6targetE0EEEvSI_,comdat
.Lfunc_end144:
	.size	_ZN7rocprim17ROCPRIM_400000_NS6detail17trampoline_kernelINS0_14default_configENS1_35radix_sort_onesweep_config_selectorIiNS0_10empty_typeEEEZNS1_34radix_sort_onesweep_global_offsetsIS3_Lb0EN6thrust23THRUST_200600_302600_NS6detail15normal_iteratorINS9_10device_ptrIiEEEEPS5_jNS0_19identity_decomposerEEE10hipError_tT1_T2_PT3_SK_jT4_jjP12ihipStream_tbEUlT_E0_NS1_11comp_targetILNS1_3genE2ELNS1_11target_archE906ELNS1_3gpuE6ELNS1_3repE0EEENS1_52radix_sort_onesweep_histogram_config_static_selectorELNS0_4arch9wavefront6targetE0EEEvSI_, .Lfunc_end144-_ZN7rocprim17ROCPRIM_400000_NS6detail17trampoline_kernelINS0_14default_configENS1_35radix_sort_onesweep_config_selectorIiNS0_10empty_typeEEEZNS1_34radix_sort_onesweep_global_offsetsIS3_Lb0EN6thrust23THRUST_200600_302600_NS6detail15normal_iteratorINS9_10device_ptrIiEEEEPS5_jNS0_19identity_decomposerEEE10hipError_tT1_T2_PT3_SK_jT4_jjP12ihipStream_tbEUlT_E0_NS1_11comp_targetILNS1_3genE2ELNS1_11target_archE906ELNS1_3gpuE6ELNS1_3repE0EEENS1_52radix_sort_onesweep_histogram_config_static_selectorELNS0_4arch9wavefront6targetE0EEEvSI_
                                        ; -- End function
	.set _ZN7rocprim17ROCPRIM_400000_NS6detail17trampoline_kernelINS0_14default_configENS1_35radix_sort_onesweep_config_selectorIiNS0_10empty_typeEEEZNS1_34radix_sort_onesweep_global_offsetsIS3_Lb0EN6thrust23THRUST_200600_302600_NS6detail15normal_iteratorINS9_10device_ptrIiEEEEPS5_jNS0_19identity_decomposerEEE10hipError_tT1_T2_PT3_SK_jT4_jjP12ihipStream_tbEUlT_E0_NS1_11comp_targetILNS1_3genE2ELNS1_11target_archE906ELNS1_3gpuE6ELNS1_3repE0EEENS1_52radix_sort_onesweep_histogram_config_static_selectorELNS0_4arch9wavefront6targetE0EEEvSI_.num_vgpr, 0
	.set _ZN7rocprim17ROCPRIM_400000_NS6detail17trampoline_kernelINS0_14default_configENS1_35radix_sort_onesweep_config_selectorIiNS0_10empty_typeEEEZNS1_34radix_sort_onesweep_global_offsetsIS3_Lb0EN6thrust23THRUST_200600_302600_NS6detail15normal_iteratorINS9_10device_ptrIiEEEEPS5_jNS0_19identity_decomposerEEE10hipError_tT1_T2_PT3_SK_jT4_jjP12ihipStream_tbEUlT_E0_NS1_11comp_targetILNS1_3genE2ELNS1_11target_archE906ELNS1_3gpuE6ELNS1_3repE0EEENS1_52radix_sort_onesweep_histogram_config_static_selectorELNS0_4arch9wavefront6targetE0EEEvSI_.num_agpr, 0
	.set _ZN7rocprim17ROCPRIM_400000_NS6detail17trampoline_kernelINS0_14default_configENS1_35radix_sort_onesweep_config_selectorIiNS0_10empty_typeEEEZNS1_34radix_sort_onesweep_global_offsetsIS3_Lb0EN6thrust23THRUST_200600_302600_NS6detail15normal_iteratorINS9_10device_ptrIiEEEEPS5_jNS0_19identity_decomposerEEE10hipError_tT1_T2_PT3_SK_jT4_jjP12ihipStream_tbEUlT_E0_NS1_11comp_targetILNS1_3genE2ELNS1_11target_archE906ELNS1_3gpuE6ELNS1_3repE0EEENS1_52radix_sort_onesweep_histogram_config_static_selectorELNS0_4arch9wavefront6targetE0EEEvSI_.numbered_sgpr, 0
	.set _ZN7rocprim17ROCPRIM_400000_NS6detail17trampoline_kernelINS0_14default_configENS1_35radix_sort_onesweep_config_selectorIiNS0_10empty_typeEEEZNS1_34radix_sort_onesweep_global_offsetsIS3_Lb0EN6thrust23THRUST_200600_302600_NS6detail15normal_iteratorINS9_10device_ptrIiEEEEPS5_jNS0_19identity_decomposerEEE10hipError_tT1_T2_PT3_SK_jT4_jjP12ihipStream_tbEUlT_E0_NS1_11comp_targetILNS1_3genE2ELNS1_11target_archE906ELNS1_3gpuE6ELNS1_3repE0EEENS1_52radix_sort_onesweep_histogram_config_static_selectorELNS0_4arch9wavefront6targetE0EEEvSI_.num_named_barrier, 0
	.set _ZN7rocprim17ROCPRIM_400000_NS6detail17trampoline_kernelINS0_14default_configENS1_35radix_sort_onesweep_config_selectorIiNS0_10empty_typeEEEZNS1_34radix_sort_onesweep_global_offsetsIS3_Lb0EN6thrust23THRUST_200600_302600_NS6detail15normal_iteratorINS9_10device_ptrIiEEEEPS5_jNS0_19identity_decomposerEEE10hipError_tT1_T2_PT3_SK_jT4_jjP12ihipStream_tbEUlT_E0_NS1_11comp_targetILNS1_3genE2ELNS1_11target_archE906ELNS1_3gpuE6ELNS1_3repE0EEENS1_52radix_sort_onesweep_histogram_config_static_selectorELNS0_4arch9wavefront6targetE0EEEvSI_.private_seg_size, 0
	.set _ZN7rocprim17ROCPRIM_400000_NS6detail17trampoline_kernelINS0_14default_configENS1_35radix_sort_onesweep_config_selectorIiNS0_10empty_typeEEEZNS1_34radix_sort_onesweep_global_offsetsIS3_Lb0EN6thrust23THRUST_200600_302600_NS6detail15normal_iteratorINS9_10device_ptrIiEEEEPS5_jNS0_19identity_decomposerEEE10hipError_tT1_T2_PT3_SK_jT4_jjP12ihipStream_tbEUlT_E0_NS1_11comp_targetILNS1_3genE2ELNS1_11target_archE906ELNS1_3gpuE6ELNS1_3repE0EEENS1_52radix_sort_onesweep_histogram_config_static_selectorELNS0_4arch9wavefront6targetE0EEEvSI_.uses_vcc, 0
	.set _ZN7rocprim17ROCPRIM_400000_NS6detail17trampoline_kernelINS0_14default_configENS1_35radix_sort_onesweep_config_selectorIiNS0_10empty_typeEEEZNS1_34radix_sort_onesweep_global_offsetsIS3_Lb0EN6thrust23THRUST_200600_302600_NS6detail15normal_iteratorINS9_10device_ptrIiEEEEPS5_jNS0_19identity_decomposerEEE10hipError_tT1_T2_PT3_SK_jT4_jjP12ihipStream_tbEUlT_E0_NS1_11comp_targetILNS1_3genE2ELNS1_11target_archE906ELNS1_3gpuE6ELNS1_3repE0EEENS1_52radix_sort_onesweep_histogram_config_static_selectorELNS0_4arch9wavefront6targetE0EEEvSI_.uses_flat_scratch, 0
	.set _ZN7rocprim17ROCPRIM_400000_NS6detail17trampoline_kernelINS0_14default_configENS1_35radix_sort_onesweep_config_selectorIiNS0_10empty_typeEEEZNS1_34radix_sort_onesweep_global_offsetsIS3_Lb0EN6thrust23THRUST_200600_302600_NS6detail15normal_iteratorINS9_10device_ptrIiEEEEPS5_jNS0_19identity_decomposerEEE10hipError_tT1_T2_PT3_SK_jT4_jjP12ihipStream_tbEUlT_E0_NS1_11comp_targetILNS1_3genE2ELNS1_11target_archE906ELNS1_3gpuE6ELNS1_3repE0EEENS1_52radix_sort_onesweep_histogram_config_static_selectorELNS0_4arch9wavefront6targetE0EEEvSI_.has_dyn_sized_stack, 0
	.set _ZN7rocprim17ROCPRIM_400000_NS6detail17trampoline_kernelINS0_14default_configENS1_35radix_sort_onesweep_config_selectorIiNS0_10empty_typeEEEZNS1_34radix_sort_onesweep_global_offsetsIS3_Lb0EN6thrust23THRUST_200600_302600_NS6detail15normal_iteratorINS9_10device_ptrIiEEEEPS5_jNS0_19identity_decomposerEEE10hipError_tT1_T2_PT3_SK_jT4_jjP12ihipStream_tbEUlT_E0_NS1_11comp_targetILNS1_3genE2ELNS1_11target_archE906ELNS1_3gpuE6ELNS1_3repE0EEENS1_52radix_sort_onesweep_histogram_config_static_selectorELNS0_4arch9wavefront6targetE0EEEvSI_.has_recursion, 0
	.set _ZN7rocprim17ROCPRIM_400000_NS6detail17trampoline_kernelINS0_14default_configENS1_35radix_sort_onesweep_config_selectorIiNS0_10empty_typeEEEZNS1_34radix_sort_onesweep_global_offsetsIS3_Lb0EN6thrust23THRUST_200600_302600_NS6detail15normal_iteratorINS9_10device_ptrIiEEEEPS5_jNS0_19identity_decomposerEEE10hipError_tT1_T2_PT3_SK_jT4_jjP12ihipStream_tbEUlT_E0_NS1_11comp_targetILNS1_3genE2ELNS1_11target_archE906ELNS1_3gpuE6ELNS1_3repE0EEENS1_52radix_sort_onesweep_histogram_config_static_selectorELNS0_4arch9wavefront6targetE0EEEvSI_.has_indirect_call, 0
	.section	.AMDGPU.csdata,"",@progbits
; Kernel info:
; codeLenInByte = 0
; TotalNumSgprs: 0
; NumVgprs: 0
; ScratchSize: 0
; MemoryBound: 0
; FloatMode: 240
; IeeeMode: 1
; LDSByteSize: 0 bytes/workgroup (compile time only)
; SGPRBlocks: 0
; VGPRBlocks: 0
; NumSGPRsForWavesPerEU: 1
; NumVGPRsForWavesPerEU: 1
; Occupancy: 16
; WaveLimiterHint : 0
; COMPUTE_PGM_RSRC2:SCRATCH_EN: 0
; COMPUTE_PGM_RSRC2:USER_SGPR: 6
; COMPUTE_PGM_RSRC2:TRAP_HANDLER: 0
; COMPUTE_PGM_RSRC2:TGID_X_EN: 1
; COMPUTE_PGM_RSRC2:TGID_Y_EN: 0
; COMPUTE_PGM_RSRC2:TGID_Z_EN: 0
; COMPUTE_PGM_RSRC2:TIDIG_COMP_CNT: 0
	.section	.text._ZN7rocprim17ROCPRIM_400000_NS6detail17trampoline_kernelINS0_14default_configENS1_35radix_sort_onesweep_config_selectorIiNS0_10empty_typeEEEZNS1_34radix_sort_onesweep_global_offsetsIS3_Lb0EN6thrust23THRUST_200600_302600_NS6detail15normal_iteratorINS9_10device_ptrIiEEEEPS5_jNS0_19identity_decomposerEEE10hipError_tT1_T2_PT3_SK_jT4_jjP12ihipStream_tbEUlT_E0_NS1_11comp_targetILNS1_3genE4ELNS1_11target_archE910ELNS1_3gpuE8ELNS1_3repE0EEENS1_52radix_sort_onesweep_histogram_config_static_selectorELNS0_4arch9wavefront6targetE0EEEvSI_,"axG",@progbits,_ZN7rocprim17ROCPRIM_400000_NS6detail17trampoline_kernelINS0_14default_configENS1_35radix_sort_onesweep_config_selectorIiNS0_10empty_typeEEEZNS1_34radix_sort_onesweep_global_offsetsIS3_Lb0EN6thrust23THRUST_200600_302600_NS6detail15normal_iteratorINS9_10device_ptrIiEEEEPS5_jNS0_19identity_decomposerEEE10hipError_tT1_T2_PT3_SK_jT4_jjP12ihipStream_tbEUlT_E0_NS1_11comp_targetILNS1_3genE4ELNS1_11target_archE910ELNS1_3gpuE8ELNS1_3repE0EEENS1_52radix_sort_onesweep_histogram_config_static_selectorELNS0_4arch9wavefront6targetE0EEEvSI_,comdat
	.protected	_ZN7rocprim17ROCPRIM_400000_NS6detail17trampoline_kernelINS0_14default_configENS1_35radix_sort_onesweep_config_selectorIiNS0_10empty_typeEEEZNS1_34radix_sort_onesweep_global_offsetsIS3_Lb0EN6thrust23THRUST_200600_302600_NS6detail15normal_iteratorINS9_10device_ptrIiEEEEPS5_jNS0_19identity_decomposerEEE10hipError_tT1_T2_PT3_SK_jT4_jjP12ihipStream_tbEUlT_E0_NS1_11comp_targetILNS1_3genE4ELNS1_11target_archE910ELNS1_3gpuE8ELNS1_3repE0EEENS1_52radix_sort_onesweep_histogram_config_static_selectorELNS0_4arch9wavefront6targetE0EEEvSI_ ; -- Begin function _ZN7rocprim17ROCPRIM_400000_NS6detail17trampoline_kernelINS0_14default_configENS1_35radix_sort_onesweep_config_selectorIiNS0_10empty_typeEEEZNS1_34radix_sort_onesweep_global_offsetsIS3_Lb0EN6thrust23THRUST_200600_302600_NS6detail15normal_iteratorINS9_10device_ptrIiEEEEPS5_jNS0_19identity_decomposerEEE10hipError_tT1_T2_PT3_SK_jT4_jjP12ihipStream_tbEUlT_E0_NS1_11comp_targetILNS1_3genE4ELNS1_11target_archE910ELNS1_3gpuE8ELNS1_3repE0EEENS1_52radix_sort_onesweep_histogram_config_static_selectorELNS0_4arch9wavefront6targetE0EEEvSI_
	.globl	_ZN7rocprim17ROCPRIM_400000_NS6detail17trampoline_kernelINS0_14default_configENS1_35radix_sort_onesweep_config_selectorIiNS0_10empty_typeEEEZNS1_34radix_sort_onesweep_global_offsetsIS3_Lb0EN6thrust23THRUST_200600_302600_NS6detail15normal_iteratorINS9_10device_ptrIiEEEEPS5_jNS0_19identity_decomposerEEE10hipError_tT1_T2_PT3_SK_jT4_jjP12ihipStream_tbEUlT_E0_NS1_11comp_targetILNS1_3genE4ELNS1_11target_archE910ELNS1_3gpuE8ELNS1_3repE0EEENS1_52radix_sort_onesweep_histogram_config_static_selectorELNS0_4arch9wavefront6targetE0EEEvSI_
	.p2align	8
	.type	_ZN7rocprim17ROCPRIM_400000_NS6detail17trampoline_kernelINS0_14default_configENS1_35radix_sort_onesweep_config_selectorIiNS0_10empty_typeEEEZNS1_34radix_sort_onesweep_global_offsetsIS3_Lb0EN6thrust23THRUST_200600_302600_NS6detail15normal_iteratorINS9_10device_ptrIiEEEEPS5_jNS0_19identity_decomposerEEE10hipError_tT1_T2_PT3_SK_jT4_jjP12ihipStream_tbEUlT_E0_NS1_11comp_targetILNS1_3genE4ELNS1_11target_archE910ELNS1_3gpuE8ELNS1_3repE0EEENS1_52radix_sort_onesweep_histogram_config_static_selectorELNS0_4arch9wavefront6targetE0EEEvSI_,@function
_ZN7rocprim17ROCPRIM_400000_NS6detail17trampoline_kernelINS0_14default_configENS1_35radix_sort_onesweep_config_selectorIiNS0_10empty_typeEEEZNS1_34radix_sort_onesweep_global_offsetsIS3_Lb0EN6thrust23THRUST_200600_302600_NS6detail15normal_iteratorINS9_10device_ptrIiEEEEPS5_jNS0_19identity_decomposerEEE10hipError_tT1_T2_PT3_SK_jT4_jjP12ihipStream_tbEUlT_E0_NS1_11comp_targetILNS1_3genE4ELNS1_11target_archE910ELNS1_3gpuE8ELNS1_3repE0EEENS1_52radix_sort_onesweep_histogram_config_static_selectorELNS0_4arch9wavefront6targetE0EEEvSI_: ; @_ZN7rocprim17ROCPRIM_400000_NS6detail17trampoline_kernelINS0_14default_configENS1_35radix_sort_onesweep_config_selectorIiNS0_10empty_typeEEEZNS1_34radix_sort_onesweep_global_offsetsIS3_Lb0EN6thrust23THRUST_200600_302600_NS6detail15normal_iteratorINS9_10device_ptrIiEEEEPS5_jNS0_19identity_decomposerEEE10hipError_tT1_T2_PT3_SK_jT4_jjP12ihipStream_tbEUlT_E0_NS1_11comp_targetILNS1_3genE4ELNS1_11target_archE910ELNS1_3gpuE8ELNS1_3repE0EEENS1_52radix_sort_onesweep_histogram_config_static_selectorELNS0_4arch9wavefront6targetE0EEEvSI_
; %bb.0:
	.section	.rodata,"a",@progbits
	.p2align	6, 0x0
	.amdhsa_kernel _ZN7rocprim17ROCPRIM_400000_NS6detail17trampoline_kernelINS0_14default_configENS1_35radix_sort_onesweep_config_selectorIiNS0_10empty_typeEEEZNS1_34radix_sort_onesweep_global_offsetsIS3_Lb0EN6thrust23THRUST_200600_302600_NS6detail15normal_iteratorINS9_10device_ptrIiEEEEPS5_jNS0_19identity_decomposerEEE10hipError_tT1_T2_PT3_SK_jT4_jjP12ihipStream_tbEUlT_E0_NS1_11comp_targetILNS1_3genE4ELNS1_11target_archE910ELNS1_3gpuE8ELNS1_3repE0EEENS1_52radix_sort_onesweep_histogram_config_static_selectorELNS0_4arch9wavefront6targetE0EEEvSI_
		.amdhsa_group_segment_fixed_size 0
		.amdhsa_private_segment_fixed_size 0
		.amdhsa_kernarg_size 8
		.amdhsa_user_sgpr_count 6
		.amdhsa_user_sgpr_private_segment_buffer 1
		.amdhsa_user_sgpr_dispatch_ptr 0
		.amdhsa_user_sgpr_queue_ptr 0
		.amdhsa_user_sgpr_kernarg_segment_ptr 1
		.amdhsa_user_sgpr_dispatch_id 0
		.amdhsa_user_sgpr_flat_scratch_init 0
		.amdhsa_user_sgpr_private_segment_size 0
		.amdhsa_wavefront_size32 1
		.amdhsa_uses_dynamic_stack 0
		.amdhsa_system_sgpr_private_segment_wavefront_offset 0
		.amdhsa_system_sgpr_workgroup_id_x 1
		.amdhsa_system_sgpr_workgroup_id_y 0
		.amdhsa_system_sgpr_workgroup_id_z 0
		.amdhsa_system_sgpr_workgroup_info 0
		.amdhsa_system_vgpr_workitem_id 0
		.amdhsa_next_free_vgpr 1
		.amdhsa_next_free_sgpr 1
		.amdhsa_reserve_vcc 0
		.amdhsa_reserve_flat_scratch 0
		.amdhsa_float_round_mode_32 0
		.amdhsa_float_round_mode_16_64 0
		.amdhsa_float_denorm_mode_32 3
		.amdhsa_float_denorm_mode_16_64 3
		.amdhsa_dx10_clamp 1
		.amdhsa_ieee_mode 1
		.amdhsa_fp16_overflow 0
		.amdhsa_workgroup_processor_mode 1
		.amdhsa_memory_ordered 1
		.amdhsa_forward_progress 1
		.amdhsa_shared_vgpr_count 0
		.amdhsa_exception_fp_ieee_invalid_op 0
		.amdhsa_exception_fp_denorm_src 0
		.amdhsa_exception_fp_ieee_div_zero 0
		.amdhsa_exception_fp_ieee_overflow 0
		.amdhsa_exception_fp_ieee_underflow 0
		.amdhsa_exception_fp_ieee_inexact 0
		.amdhsa_exception_int_div_zero 0
	.end_amdhsa_kernel
	.section	.text._ZN7rocprim17ROCPRIM_400000_NS6detail17trampoline_kernelINS0_14default_configENS1_35radix_sort_onesweep_config_selectorIiNS0_10empty_typeEEEZNS1_34radix_sort_onesweep_global_offsetsIS3_Lb0EN6thrust23THRUST_200600_302600_NS6detail15normal_iteratorINS9_10device_ptrIiEEEEPS5_jNS0_19identity_decomposerEEE10hipError_tT1_T2_PT3_SK_jT4_jjP12ihipStream_tbEUlT_E0_NS1_11comp_targetILNS1_3genE4ELNS1_11target_archE910ELNS1_3gpuE8ELNS1_3repE0EEENS1_52radix_sort_onesweep_histogram_config_static_selectorELNS0_4arch9wavefront6targetE0EEEvSI_,"axG",@progbits,_ZN7rocprim17ROCPRIM_400000_NS6detail17trampoline_kernelINS0_14default_configENS1_35radix_sort_onesweep_config_selectorIiNS0_10empty_typeEEEZNS1_34radix_sort_onesweep_global_offsetsIS3_Lb0EN6thrust23THRUST_200600_302600_NS6detail15normal_iteratorINS9_10device_ptrIiEEEEPS5_jNS0_19identity_decomposerEEE10hipError_tT1_T2_PT3_SK_jT4_jjP12ihipStream_tbEUlT_E0_NS1_11comp_targetILNS1_3genE4ELNS1_11target_archE910ELNS1_3gpuE8ELNS1_3repE0EEENS1_52radix_sort_onesweep_histogram_config_static_selectorELNS0_4arch9wavefront6targetE0EEEvSI_,comdat
.Lfunc_end145:
	.size	_ZN7rocprim17ROCPRIM_400000_NS6detail17trampoline_kernelINS0_14default_configENS1_35radix_sort_onesweep_config_selectorIiNS0_10empty_typeEEEZNS1_34radix_sort_onesweep_global_offsetsIS3_Lb0EN6thrust23THRUST_200600_302600_NS6detail15normal_iteratorINS9_10device_ptrIiEEEEPS5_jNS0_19identity_decomposerEEE10hipError_tT1_T2_PT3_SK_jT4_jjP12ihipStream_tbEUlT_E0_NS1_11comp_targetILNS1_3genE4ELNS1_11target_archE910ELNS1_3gpuE8ELNS1_3repE0EEENS1_52radix_sort_onesweep_histogram_config_static_selectorELNS0_4arch9wavefront6targetE0EEEvSI_, .Lfunc_end145-_ZN7rocprim17ROCPRIM_400000_NS6detail17trampoline_kernelINS0_14default_configENS1_35radix_sort_onesweep_config_selectorIiNS0_10empty_typeEEEZNS1_34radix_sort_onesweep_global_offsetsIS3_Lb0EN6thrust23THRUST_200600_302600_NS6detail15normal_iteratorINS9_10device_ptrIiEEEEPS5_jNS0_19identity_decomposerEEE10hipError_tT1_T2_PT3_SK_jT4_jjP12ihipStream_tbEUlT_E0_NS1_11comp_targetILNS1_3genE4ELNS1_11target_archE910ELNS1_3gpuE8ELNS1_3repE0EEENS1_52radix_sort_onesweep_histogram_config_static_selectorELNS0_4arch9wavefront6targetE0EEEvSI_
                                        ; -- End function
	.set _ZN7rocprim17ROCPRIM_400000_NS6detail17trampoline_kernelINS0_14default_configENS1_35radix_sort_onesweep_config_selectorIiNS0_10empty_typeEEEZNS1_34radix_sort_onesweep_global_offsetsIS3_Lb0EN6thrust23THRUST_200600_302600_NS6detail15normal_iteratorINS9_10device_ptrIiEEEEPS5_jNS0_19identity_decomposerEEE10hipError_tT1_T2_PT3_SK_jT4_jjP12ihipStream_tbEUlT_E0_NS1_11comp_targetILNS1_3genE4ELNS1_11target_archE910ELNS1_3gpuE8ELNS1_3repE0EEENS1_52radix_sort_onesweep_histogram_config_static_selectorELNS0_4arch9wavefront6targetE0EEEvSI_.num_vgpr, 0
	.set _ZN7rocprim17ROCPRIM_400000_NS6detail17trampoline_kernelINS0_14default_configENS1_35radix_sort_onesweep_config_selectorIiNS0_10empty_typeEEEZNS1_34radix_sort_onesweep_global_offsetsIS3_Lb0EN6thrust23THRUST_200600_302600_NS6detail15normal_iteratorINS9_10device_ptrIiEEEEPS5_jNS0_19identity_decomposerEEE10hipError_tT1_T2_PT3_SK_jT4_jjP12ihipStream_tbEUlT_E0_NS1_11comp_targetILNS1_3genE4ELNS1_11target_archE910ELNS1_3gpuE8ELNS1_3repE0EEENS1_52radix_sort_onesweep_histogram_config_static_selectorELNS0_4arch9wavefront6targetE0EEEvSI_.num_agpr, 0
	.set _ZN7rocprim17ROCPRIM_400000_NS6detail17trampoline_kernelINS0_14default_configENS1_35radix_sort_onesweep_config_selectorIiNS0_10empty_typeEEEZNS1_34radix_sort_onesweep_global_offsetsIS3_Lb0EN6thrust23THRUST_200600_302600_NS6detail15normal_iteratorINS9_10device_ptrIiEEEEPS5_jNS0_19identity_decomposerEEE10hipError_tT1_T2_PT3_SK_jT4_jjP12ihipStream_tbEUlT_E0_NS1_11comp_targetILNS1_3genE4ELNS1_11target_archE910ELNS1_3gpuE8ELNS1_3repE0EEENS1_52radix_sort_onesweep_histogram_config_static_selectorELNS0_4arch9wavefront6targetE0EEEvSI_.numbered_sgpr, 0
	.set _ZN7rocprim17ROCPRIM_400000_NS6detail17trampoline_kernelINS0_14default_configENS1_35radix_sort_onesweep_config_selectorIiNS0_10empty_typeEEEZNS1_34radix_sort_onesweep_global_offsetsIS3_Lb0EN6thrust23THRUST_200600_302600_NS6detail15normal_iteratorINS9_10device_ptrIiEEEEPS5_jNS0_19identity_decomposerEEE10hipError_tT1_T2_PT3_SK_jT4_jjP12ihipStream_tbEUlT_E0_NS1_11comp_targetILNS1_3genE4ELNS1_11target_archE910ELNS1_3gpuE8ELNS1_3repE0EEENS1_52radix_sort_onesweep_histogram_config_static_selectorELNS0_4arch9wavefront6targetE0EEEvSI_.num_named_barrier, 0
	.set _ZN7rocprim17ROCPRIM_400000_NS6detail17trampoline_kernelINS0_14default_configENS1_35radix_sort_onesweep_config_selectorIiNS0_10empty_typeEEEZNS1_34radix_sort_onesweep_global_offsetsIS3_Lb0EN6thrust23THRUST_200600_302600_NS6detail15normal_iteratorINS9_10device_ptrIiEEEEPS5_jNS0_19identity_decomposerEEE10hipError_tT1_T2_PT3_SK_jT4_jjP12ihipStream_tbEUlT_E0_NS1_11comp_targetILNS1_3genE4ELNS1_11target_archE910ELNS1_3gpuE8ELNS1_3repE0EEENS1_52radix_sort_onesweep_histogram_config_static_selectorELNS0_4arch9wavefront6targetE0EEEvSI_.private_seg_size, 0
	.set _ZN7rocprim17ROCPRIM_400000_NS6detail17trampoline_kernelINS0_14default_configENS1_35radix_sort_onesweep_config_selectorIiNS0_10empty_typeEEEZNS1_34radix_sort_onesweep_global_offsetsIS3_Lb0EN6thrust23THRUST_200600_302600_NS6detail15normal_iteratorINS9_10device_ptrIiEEEEPS5_jNS0_19identity_decomposerEEE10hipError_tT1_T2_PT3_SK_jT4_jjP12ihipStream_tbEUlT_E0_NS1_11comp_targetILNS1_3genE4ELNS1_11target_archE910ELNS1_3gpuE8ELNS1_3repE0EEENS1_52radix_sort_onesweep_histogram_config_static_selectorELNS0_4arch9wavefront6targetE0EEEvSI_.uses_vcc, 0
	.set _ZN7rocprim17ROCPRIM_400000_NS6detail17trampoline_kernelINS0_14default_configENS1_35radix_sort_onesweep_config_selectorIiNS0_10empty_typeEEEZNS1_34radix_sort_onesweep_global_offsetsIS3_Lb0EN6thrust23THRUST_200600_302600_NS6detail15normal_iteratorINS9_10device_ptrIiEEEEPS5_jNS0_19identity_decomposerEEE10hipError_tT1_T2_PT3_SK_jT4_jjP12ihipStream_tbEUlT_E0_NS1_11comp_targetILNS1_3genE4ELNS1_11target_archE910ELNS1_3gpuE8ELNS1_3repE0EEENS1_52radix_sort_onesweep_histogram_config_static_selectorELNS0_4arch9wavefront6targetE0EEEvSI_.uses_flat_scratch, 0
	.set _ZN7rocprim17ROCPRIM_400000_NS6detail17trampoline_kernelINS0_14default_configENS1_35radix_sort_onesweep_config_selectorIiNS0_10empty_typeEEEZNS1_34radix_sort_onesweep_global_offsetsIS3_Lb0EN6thrust23THRUST_200600_302600_NS6detail15normal_iteratorINS9_10device_ptrIiEEEEPS5_jNS0_19identity_decomposerEEE10hipError_tT1_T2_PT3_SK_jT4_jjP12ihipStream_tbEUlT_E0_NS1_11comp_targetILNS1_3genE4ELNS1_11target_archE910ELNS1_3gpuE8ELNS1_3repE0EEENS1_52radix_sort_onesweep_histogram_config_static_selectorELNS0_4arch9wavefront6targetE0EEEvSI_.has_dyn_sized_stack, 0
	.set _ZN7rocprim17ROCPRIM_400000_NS6detail17trampoline_kernelINS0_14default_configENS1_35radix_sort_onesweep_config_selectorIiNS0_10empty_typeEEEZNS1_34radix_sort_onesweep_global_offsetsIS3_Lb0EN6thrust23THRUST_200600_302600_NS6detail15normal_iteratorINS9_10device_ptrIiEEEEPS5_jNS0_19identity_decomposerEEE10hipError_tT1_T2_PT3_SK_jT4_jjP12ihipStream_tbEUlT_E0_NS1_11comp_targetILNS1_3genE4ELNS1_11target_archE910ELNS1_3gpuE8ELNS1_3repE0EEENS1_52radix_sort_onesweep_histogram_config_static_selectorELNS0_4arch9wavefront6targetE0EEEvSI_.has_recursion, 0
	.set _ZN7rocprim17ROCPRIM_400000_NS6detail17trampoline_kernelINS0_14default_configENS1_35radix_sort_onesweep_config_selectorIiNS0_10empty_typeEEEZNS1_34radix_sort_onesweep_global_offsetsIS3_Lb0EN6thrust23THRUST_200600_302600_NS6detail15normal_iteratorINS9_10device_ptrIiEEEEPS5_jNS0_19identity_decomposerEEE10hipError_tT1_T2_PT3_SK_jT4_jjP12ihipStream_tbEUlT_E0_NS1_11comp_targetILNS1_3genE4ELNS1_11target_archE910ELNS1_3gpuE8ELNS1_3repE0EEENS1_52radix_sort_onesweep_histogram_config_static_selectorELNS0_4arch9wavefront6targetE0EEEvSI_.has_indirect_call, 0
	.section	.AMDGPU.csdata,"",@progbits
; Kernel info:
; codeLenInByte = 0
; TotalNumSgprs: 0
; NumVgprs: 0
; ScratchSize: 0
; MemoryBound: 0
; FloatMode: 240
; IeeeMode: 1
; LDSByteSize: 0 bytes/workgroup (compile time only)
; SGPRBlocks: 0
; VGPRBlocks: 0
; NumSGPRsForWavesPerEU: 1
; NumVGPRsForWavesPerEU: 1
; Occupancy: 16
; WaveLimiterHint : 0
; COMPUTE_PGM_RSRC2:SCRATCH_EN: 0
; COMPUTE_PGM_RSRC2:USER_SGPR: 6
; COMPUTE_PGM_RSRC2:TRAP_HANDLER: 0
; COMPUTE_PGM_RSRC2:TGID_X_EN: 1
; COMPUTE_PGM_RSRC2:TGID_Y_EN: 0
; COMPUTE_PGM_RSRC2:TGID_Z_EN: 0
; COMPUTE_PGM_RSRC2:TIDIG_COMP_CNT: 0
	.section	.text._ZN7rocprim17ROCPRIM_400000_NS6detail17trampoline_kernelINS0_14default_configENS1_35radix_sort_onesweep_config_selectorIiNS0_10empty_typeEEEZNS1_34radix_sort_onesweep_global_offsetsIS3_Lb0EN6thrust23THRUST_200600_302600_NS6detail15normal_iteratorINS9_10device_ptrIiEEEEPS5_jNS0_19identity_decomposerEEE10hipError_tT1_T2_PT3_SK_jT4_jjP12ihipStream_tbEUlT_E0_NS1_11comp_targetILNS1_3genE3ELNS1_11target_archE908ELNS1_3gpuE7ELNS1_3repE0EEENS1_52radix_sort_onesweep_histogram_config_static_selectorELNS0_4arch9wavefront6targetE0EEEvSI_,"axG",@progbits,_ZN7rocprim17ROCPRIM_400000_NS6detail17trampoline_kernelINS0_14default_configENS1_35radix_sort_onesweep_config_selectorIiNS0_10empty_typeEEEZNS1_34radix_sort_onesweep_global_offsetsIS3_Lb0EN6thrust23THRUST_200600_302600_NS6detail15normal_iteratorINS9_10device_ptrIiEEEEPS5_jNS0_19identity_decomposerEEE10hipError_tT1_T2_PT3_SK_jT4_jjP12ihipStream_tbEUlT_E0_NS1_11comp_targetILNS1_3genE3ELNS1_11target_archE908ELNS1_3gpuE7ELNS1_3repE0EEENS1_52radix_sort_onesweep_histogram_config_static_selectorELNS0_4arch9wavefront6targetE0EEEvSI_,comdat
	.protected	_ZN7rocprim17ROCPRIM_400000_NS6detail17trampoline_kernelINS0_14default_configENS1_35radix_sort_onesweep_config_selectorIiNS0_10empty_typeEEEZNS1_34radix_sort_onesweep_global_offsetsIS3_Lb0EN6thrust23THRUST_200600_302600_NS6detail15normal_iteratorINS9_10device_ptrIiEEEEPS5_jNS0_19identity_decomposerEEE10hipError_tT1_T2_PT3_SK_jT4_jjP12ihipStream_tbEUlT_E0_NS1_11comp_targetILNS1_3genE3ELNS1_11target_archE908ELNS1_3gpuE7ELNS1_3repE0EEENS1_52radix_sort_onesweep_histogram_config_static_selectorELNS0_4arch9wavefront6targetE0EEEvSI_ ; -- Begin function _ZN7rocprim17ROCPRIM_400000_NS6detail17trampoline_kernelINS0_14default_configENS1_35radix_sort_onesweep_config_selectorIiNS0_10empty_typeEEEZNS1_34radix_sort_onesweep_global_offsetsIS3_Lb0EN6thrust23THRUST_200600_302600_NS6detail15normal_iteratorINS9_10device_ptrIiEEEEPS5_jNS0_19identity_decomposerEEE10hipError_tT1_T2_PT3_SK_jT4_jjP12ihipStream_tbEUlT_E0_NS1_11comp_targetILNS1_3genE3ELNS1_11target_archE908ELNS1_3gpuE7ELNS1_3repE0EEENS1_52radix_sort_onesweep_histogram_config_static_selectorELNS0_4arch9wavefront6targetE0EEEvSI_
	.globl	_ZN7rocprim17ROCPRIM_400000_NS6detail17trampoline_kernelINS0_14default_configENS1_35radix_sort_onesweep_config_selectorIiNS0_10empty_typeEEEZNS1_34radix_sort_onesweep_global_offsetsIS3_Lb0EN6thrust23THRUST_200600_302600_NS6detail15normal_iteratorINS9_10device_ptrIiEEEEPS5_jNS0_19identity_decomposerEEE10hipError_tT1_T2_PT3_SK_jT4_jjP12ihipStream_tbEUlT_E0_NS1_11comp_targetILNS1_3genE3ELNS1_11target_archE908ELNS1_3gpuE7ELNS1_3repE0EEENS1_52radix_sort_onesweep_histogram_config_static_selectorELNS0_4arch9wavefront6targetE0EEEvSI_
	.p2align	8
	.type	_ZN7rocprim17ROCPRIM_400000_NS6detail17trampoline_kernelINS0_14default_configENS1_35radix_sort_onesweep_config_selectorIiNS0_10empty_typeEEEZNS1_34radix_sort_onesweep_global_offsetsIS3_Lb0EN6thrust23THRUST_200600_302600_NS6detail15normal_iteratorINS9_10device_ptrIiEEEEPS5_jNS0_19identity_decomposerEEE10hipError_tT1_T2_PT3_SK_jT4_jjP12ihipStream_tbEUlT_E0_NS1_11comp_targetILNS1_3genE3ELNS1_11target_archE908ELNS1_3gpuE7ELNS1_3repE0EEENS1_52radix_sort_onesweep_histogram_config_static_selectorELNS0_4arch9wavefront6targetE0EEEvSI_,@function
_ZN7rocprim17ROCPRIM_400000_NS6detail17trampoline_kernelINS0_14default_configENS1_35radix_sort_onesweep_config_selectorIiNS0_10empty_typeEEEZNS1_34radix_sort_onesweep_global_offsetsIS3_Lb0EN6thrust23THRUST_200600_302600_NS6detail15normal_iteratorINS9_10device_ptrIiEEEEPS5_jNS0_19identity_decomposerEEE10hipError_tT1_T2_PT3_SK_jT4_jjP12ihipStream_tbEUlT_E0_NS1_11comp_targetILNS1_3genE3ELNS1_11target_archE908ELNS1_3gpuE7ELNS1_3repE0EEENS1_52radix_sort_onesweep_histogram_config_static_selectorELNS0_4arch9wavefront6targetE0EEEvSI_: ; @_ZN7rocprim17ROCPRIM_400000_NS6detail17trampoline_kernelINS0_14default_configENS1_35radix_sort_onesweep_config_selectorIiNS0_10empty_typeEEEZNS1_34radix_sort_onesweep_global_offsetsIS3_Lb0EN6thrust23THRUST_200600_302600_NS6detail15normal_iteratorINS9_10device_ptrIiEEEEPS5_jNS0_19identity_decomposerEEE10hipError_tT1_T2_PT3_SK_jT4_jjP12ihipStream_tbEUlT_E0_NS1_11comp_targetILNS1_3genE3ELNS1_11target_archE908ELNS1_3gpuE7ELNS1_3repE0EEENS1_52radix_sort_onesweep_histogram_config_static_selectorELNS0_4arch9wavefront6targetE0EEEvSI_
; %bb.0:
	.section	.rodata,"a",@progbits
	.p2align	6, 0x0
	.amdhsa_kernel _ZN7rocprim17ROCPRIM_400000_NS6detail17trampoline_kernelINS0_14default_configENS1_35radix_sort_onesweep_config_selectorIiNS0_10empty_typeEEEZNS1_34radix_sort_onesweep_global_offsetsIS3_Lb0EN6thrust23THRUST_200600_302600_NS6detail15normal_iteratorINS9_10device_ptrIiEEEEPS5_jNS0_19identity_decomposerEEE10hipError_tT1_T2_PT3_SK_jT4_jjP12ihipStream_tbEUlT_E0_NS1_11comp_targetILNS1_3genE3ELNS1_11target_archE908ELNS1_3gpuE7ELNS1_3repE0EEENS1_52radix_sort_onesweep_histogram_config_static_selectorELNS0_4arch9wavefront6targetE0EEEvSI_
		.amdhsa_group_segment_fixed_size 0
		.amdhsa_private_segment_fixed_size 0
		.amdhsa_kernarg_size 8
		.amdhsa_user_sgpr_count 6
		.amdhsa_user_sgpr_private_segment_buffer 1
		.amdhsa_user_sgpr_dispatch_ptr 0
		.amdhsa_user_sgpr_queue_ptr 0
		.amdhsa_user_sgpr_kernarg_segment_ptr 1
		.amdhsa_user_sgpr_dispatch_id 0
		.amdhsa_user_sgpr_flat_scratch_init 0
		.amdhsa_user_sgpr_private_segment_size 0
		.amdhsa_wavefront_size32 1
		.amdhsa_uses_dynamic_stack 0
		.amdhsa_system_sgpr_private_segment_wavefront_offset 0
		.amdhsa_system_sgpr_workgroup_id_x 1
		.amdhsa_system_sgpr_workgroup_id_y 0
		.amdhsa_system_sgpr_workgroup_id_z 0
		.amdhsa_system_sgpr_workgroup_info 0
		.amdhsa_system_vgpr_workitem_id 0
		.amdhsa_next_free_vgpr 1
		.amdhsa_next_free_sgpr 1
		.amdhsa_reserve_vcc 0
		.amdhsa_reserve_flat_scratch 0
		.amdhsa_float_round_mode_32 0
		.amdhsa_float_round_mode_16_64 0
		.amdhsa_float_denorm_mode_32 3
		.amdhsa_float_denorm_mode_16_64 3
		.amdhsa_dx10_clamp 1
		.amdhsa_ieee_mode 1
		.amdhsa_fp16_overflow 0
		.amdhsa_workgroup_processor_mode 1
		.amdhsa_memory_ordered 1
		.amdhsa_forward_progress 1
		.amdhsa_shared_vgpr_count 0
		.amdhsa_exception_fp_ieee_invalid_op 0
		.amdhsa_exception_fp_denorm_src 0
		.amdhsa_exception_fp_ieee_div_zero 0
		.amdhsa_exception_fp_ieee_overflow 0
		.amdhsa_exception_fp_ieee_underflow 0
		.amdhsa_exception_fp_ieee_inexact 0
		.amdhsa_exception_int_div_zero 0
	.end_amdhsa_kernel
	.section	.text._ZN7rocprim17ROCPRIM_400000_NS6detail17trampoline_kernelINS0_14default_configENS1_35radix_sort_onesweep_config_selectorIiNS0_10empty_typeEEEZNS1_34radix_sort_onesweep_global_offsetsIS3_Lb0EN6thrust23THRUST_200600_302600_NS6detail15normal_iteratorINS9_10device_ptrIiEEEEPS5_jNS0_19identity_decomposerEEE10hipError_tT1_T2_PT3_SK_jT4_jjP12ihipStream_tbEUlT_E0_NS1_11comp_targetILNS1_3genE3ELNS1_11target_archE908ELNS1_3gpuE7ELNS1_3repE0EEENS1_52radix_sort_onesweep_histogram_config_static_selectorELNS0_4arch9wavefront6targetE0EEEvSI_,"axG",@progbits,_ZN7rocprim17ROCPRIM_400000_NS6detail17trampoline_kernelINS0_14default_configENS1_35radix_sort_onesweep_config_selectorIiNS0_10empty_typeEEEZNS1_34radix_sort_onesweep_global_offsetsIS3_Lb0EN6thrust23THRUST_200600_302600_NS6detail15normal_iteratorINS9_10device_ptrIiEEEEPS5_jNS0_19identity_decomposerEEE10hipError_tT1_T2_PT3_SK_jT4_jjP12ihipStream_tbEUlT_E0_NS1_11comp_targetILNS1_3genE3ELNS1_11target_archE908ELNS1_3gpuE7ELNS1_3repE0EEENS1_52radix_sort_onesweep_histogram_config_static_selectorELNS0_4arch9wavefront6targetE0EEEvSI_,comdat
.Lfunc_end146:
	.size	_ZN7rocprim17ROCPRIM_400000_NS6detail17trampoline_kernelINS0_14default_configENS1_35radix_sort_onesweep_config_selectorIiNS0_10empty_typeEEEZNS1_34radix_sort_onesweep_global_offsetsIS3_Lb0EN6thrust23THRUST_200600_302600_NS6detail15normal_iteratorINS9_10device_ptrIiEEEEPS5_jNS0_19identity_decomposerEEE10hipError_tT1_T2_PT3_SK_jT4_jjP12ihipStream_tbEUlT_E0_NS1_11comp_targetILNS1_3genE3ELNS1_11target_archE908ELNS1_3gpuE7ELNS1_3repE0EEENS1_52radix_sort_onesweep_histogram_config_static_selectorELNS0_4arch9wavefront6targetE0EEEvSI_, .Lfunc_end146-_ZN7rocprim17ROCPRIM_400000_NS6detail17trampoline_kernelINS0_14default_configENS1_35radix_sort_onesweep_config_selectorIiNS0_10empty_typeEEEZNS1_34radix_sort_onesweep_global_offsetsIS3_Lb0EN6thrust23THRUST_200600_302600_NS6detail15normal_iteratorINS9_10device_ptrIiEEEEPS5_jNS0_19identity_decomposerEEE10hipError_tT1_T2_PT3_SK_jT4_jjP12ihipStream_tbEUlT_E0_NS1_11comp_targetILNS1_3genE3ELNS1_11target_archE908ELNS1_3gpuE7ELNS1_3repE0EEENS1_52radix_sort_onesweep_histogram_config_static_selectorELNS0_4arch9wavefront6targetE0EEEvSI_
                                        ; -- End function
	.set _ZN7rocprim17ROCPRIM_400000_NS6detail17trampoline_kernelINS0_14default_configENS1_35radix_sort_onesweep_config_selectorIiNS0_10empty_typeEEEZNS1_34radix_sort_onesweep_global_offsetsIS3_Lb0EN6thrust23THRUST_200600_302600_NS6detail15normal_iteratorINS9_10device_ptrIiEEEEPS5_jNS0_19identity_decomposerEEE10hipError_tT1_T2_PT3_SK_jT4_jjP12ihipStream_tbEUlT_E0_NS1_11comp_targetILNS1_3genE3ELNS1_11target_archE908ELNS1_3gpuE7ELNS1_3repE0EEENS1_52radix_sort_onesweep_histogram_config_static_selectorELNS0_4arch9wavefront6targetE0EEEvSI_.num_vgpr, 0
	.set _ZN7rocprim17ROCPRIM_400000_NS6detail17trampoline_kernelINS0_14default_configENS1_35radix_sort_onesweep_config_selectorIiNS0_10empty_typeEEEZNS1_34radix_sort_onesweep_global_offsetsIS3_Lb0EN6thrust23THRUST_200600_302600_NS6detail15normal_iteratorINS9_10device_ptrIiEEEEPS5_jNS0_19identity_decomposerEEE10hipError_tT1_T2_PT3_SK_jT4_jjP12ihipStream_tbEUlT_E0_NS1_11comp_targetILNS1_3genE3ELNS1_11target_archE908ELNS1_3gpuE7ELNS1_3repE0EEENS1_52radix_sort_onesweep_histogram_config_static_selectorELNS0_4arch9wavefront6targetE0EEEvSI_.num_agpr, 0
	.set _ZN7rocprim17ROCPRIM_400000_NS6detail17trampoline_kernelINS0_14default_configENS1_35radix_sort_onesweep_config_selectorIiNS0_10empty_typeEEEZNS1_34radix_sort_onesweep_global_offsetsIS3_Lb0EN6thrust23THRUST_200600_302600_NS6detail15normal_iteratorINS9_10device_ptrIiEEEEPS5_jNS0_19identity_decomposerEEE10hipError_tT1_T2_PT3_SK_jT4_jjP12ihipStream_tbEUlT_E0_NS1_11comp_targetILNS1_3genE3ELNS1_11target_archE908ELNS1_3gpuE7ELNS1_3repE0EEENS1_52radix_sort_onesweep_histogram_config_static_selectorELNS0_4arch9wavefront6targetE0EEEvSI_.numbered_sgpr, 0
	.set _ZN7rocprim17ROCPRIM_400000_NS6detail17trampoline_kernelINS0_14default_configENS1_35radix_sort_onesweep_config_selectorIiNS0_10empty_typeEEEZNS1_34radix_sort_onesweep_global_offsetsIS3_Lb0EN6thrust23THRUST_200600_302600_NS6detail15normal_iteratorINS9_10device_ptrIiEEEEPS5_jNS0_19identity_decomposerEEE10hipError_tT1_T2_PT3_SK_jT4_jjP12ihipStream_tbEUlT_E0_NS1_11comp_targetILNS1_3genE3ELNS1_11target_archE908ELNS1_3gpuE7ELNS1_3repE0EEENS1_52radix_sort_onesweep_histogram_config_static_selectorELNS0_4arch9wavefront6targetE0EEEvSI_.num_named_barrier, 0
	.set _ZN7rocprim17ROCPRIM_400000_NS6detail17trampoline_kernelINS0_14default_configENS1_35radix_sort_onesweep_config_selectorIiNS0_10empty_typeEEEZNS1_34radix_sort_onesweep_global_offsetsIS3_Lb0EN6thrust23THRUST_200600_302600_NS6detail15normal_iteratorINS9_10device_ptrIiEEEEPS5_jNS0_19identity_decomposerEEE10hipError_tT1_T2_PT3_SK_jT4_jjP12ihipStream_tbEUlT_E0_NS1_11comp_targetILNS1_3genE3ELNS1_11target_archE908ELNS1_3gpuE7ELNS1_3repE0EEENS1_52radix_sort_onesweep_histogram_config_static_selectorELNS0_4arch9wavefront6targetE0EEEvSI_.private_seg_size, 0
	.set _ZN7rocprim17ROCPRIM_400000_NS6detail17trampoline_kernelINS0_14default_configENS1_35radix_sort_onesweep_config_selectorIiNS0_10empty_typeEEEZNS1_34radix_sort_onesweep_global_offsetsIS3_Lb0EN6thrust23THRUST_200600_302600_NS6detail15normal_iteratorINS9_10device_ptrIiEEEEPS5_jNS0_19identity_decomposerEEE10hipError_tT1_T2_PT3_SK_jT4_jjP12ihipStream_tbEUlT_E0_NS1_11comp_targetILNS1_3genE3ELNS1_11target_archE908ELNS1_3gpuE7ELNS1_3repE0EEENS1_52radix_sort_onesweep_histogram_config_static_selectorELNS0_4arch9wavefront6targetE0EEEvSI_.uses_vcc, 0
	.set _ZN7rocprim17ROCPRIM_400000_NS6detail17trampoline_kernelINS0_14default_configENS1_35radix_sort_onesweep_config_selectorIiNS0_10empty_typeEEEZNS1_34radix_sort_onesweep_global_offsetsIS3_Lb0EN6thrust23THRUST_200600_302600_NS6detail15normal_iteratorINS9_10device_ptrIiEEEEPS5_jNS0_19identity_decomposerEEE10hipError_tT1_T2_PT3_SK_jT4_jjP12ihipStream_tbEUlT_E0_NS1_11comp_targetILNS1_3genE3ELNS1_11target_archE908ELNS1_3gpuE7ELNS1_3repE0EEENS1_52radix_sort_onesweep_histogram_config_static_selectorELNS0_4arch9wavefront6targetE0EEEvSI_.uses_flat_scratch, 0
	.set _ZN7rocprim17ROCPRIM_400000_NS6detail17trampoline_kernelINS0_14default_configENS1_35radix_sort_onesweep_config_selectorIiNS0_10empty_typeEEEZNS1_34radix_sort_onesweep_global_offsetsIS3_Lb0EN6thrust23THRUST_200600_302600_NS6detail15normal_iteratorINS9_10device_ptrIiEEEEPS5_jNS0_19identity_decomposerEEE10hipError_tT1_T2_PT3_SK_jT4_jjP12ihipStream_tbEUlT_E0_NS1_11comp_targetILNS1_3genE3ELNS1_11target_archE908ELNS1_3gpuE7ELNS1_3repE0EEENS1_52radix_sort_onesweep_histogram_config_static_selectorELNS0_4arch9wavefront6targetE0EEEvSI_.has_dyn_sized_stack, 0
	.set _ZN7rocprim17ROCPRIM_400000_NS6detail17trampoline_kernelINS0_14default_configENS1_35radix_sort_onesweep_config_selectorIiNS0_10empty_typeEEEZNS1_34radix_sort_onesweep_global_offsetsIS3_Lb0EN6thrust23THRUST_200600_302600_NS6detail15normal_iteratorINS9_10device_ptrIiEEEEPS5_jNS0_19identity_decomposerEEE10hipError_tT1_T2_PT3_SK_jT4_jjP12ihipStream_tbEUlT_E0_NS1_11comp_targetILNS1_3genE3ELNS1_11target_archE908ELNS1_3gpuE7ELNS1_3repE0EEENS1_52radix_sort_onesweep_histogram_config_static_selectorELNS0_4arch9wavefront6targetE0EEEvSI_.has_recursion, 0
	.set _ZN7rocprim17ROCPRIM_400000_NS6detail17trampoline_kernelINS0_14default_configENS1_35radix_sort_onesweep_config_selectorIiNS0_10empty_typeEEEZNS1_34radix_sort_onesweep_global_offsetsIS3_Lb0EN6thrust23THRUST_200600_302600_NS6detail15normal_iteratorINS9_10device_ptrIiEEEEPS5_jNS0_19identity_decomposerEEE10hipError_tT1_T2_PT3_SK_jT4_jjP12ihipStream_tbEUlT_E0_NS1_11comp_targetILNS1_3genE3ELNS1_11target_archE908ELNS1_3gpuE7ELNS1_3repE0EEENS1_52radix_sort_onesweep_histogram_config_static_selectorELNS0_4arch9wavefront6targetE0EEEvSI_.has_indirect_call, 0
	.section	.AMDGPU.csdata,"",@progbits
; Kernel info:
; codeLenInByte = 0
; TotalNumSgprs: 0
; NumVgprs: 0
; ScratchSize: 0
; MemoryBound: 0
; FloatMode: 240
; IeeeMode: 1
; LDSByteSize: 0 bytes/workgroup (compile time only)
; SGPRBlocks: 0
; VGPRBlocks: 0
; NumSGPRsForWavesPerEU: 1
; NumVGPRsForWavesPerEU: 1
; Occupancy: 16
; WaveLimiterHint : 0
; COMPUTE_PGM_RSRC2:SCRATCH_EN: 0
; COMPUTE_PGM_RSRC2:USER_SGPR: 6
; COMPUTE_PGM_RSRC2:TRAP_HANDLER: 0
; COMPUTE_PGM_RSRC2:TGID_X_EN: 1
; COMPUTE_PGM_RSRC2:TGID_Y_EN: 0
; COMPUTE_PGM_RSRC2:TGID_Z_EN: 0
; COMPUTE_PGM_RSRC2:TIDIG_COMP_CNT: 0
	.section	.text._ZN7rocprim17ROCPRIM_400000_NS6detail17trampoline_kernelINS0_14default_configENS1_35radix_sort_onesweep_config_selectorIiNS0_10empty_typeEEEZNS1_34radix_sort_onesweep_global_offsetsIS3_Lb0EN6thrust23THRUST_200600_302600_NS6detail15normal_iteratorINS9_10device_ptrIiEEEEPS5_jNS0_19identity_decomposerEEE10hipError_tT1_T2_PT3_SK_jT4_jjP12ihipStream_tbEUlT_E0_NS1_11comp_targetILNS1_3genE10ELNS1_11target_archE1201ELNS1_3gpuE5ELNS1_3repE0EEENS1_52radix_sort_onesweep_histogram_config_static_selectorELNS0_4arch9wavefront6targetE0EEEvSI_,"axG",@progbits,_ZN7rocprim17ROCPRIM_400000_NS6detail17trampoline_kernelINS0_14default_configENS1_35radix_sort_onesweep_config_selectorIiNS0_10empty_typeEEEZNS1_34radix_sort_onesweep_global_offsetsIS3_Lb0EN6thrust23THRUST_200600_302600_NS6detail15normal_iteratorINS9_10device_ptrIiEEEEPS5_jNS0_19identity_decomposerEEE10hipError_tT1_T2_PT3_SK_jT4_jjP12ihipStream_tbEUlT_E0_NS1_11comp_targetILNS1_3genE10ELNS1_11target_archE1201ELNS1_3gpuE5ELNS1_3repE0EEENS1_52radix_sort_onesweep_histogram_config_static_selectorELNS0_4arch9wavefront6targetE0EEEvSI_,comdat
	.protected	_ZN7rocprim17ROCPRIM_400000_NS6detail17trampoline_kernelINS0_14default_configENS1_35radix_sort_onesweep_config_selectorIiNS0_10empty_typeEEEZNS1_34radix_sort_onesweep_global_offsetsIS3_Lb0EN6thrust23THRUST_200600_302600_NS6detail15normal_iteratorINS9_10device_ptrIiEEEEPS5_jNS0_19identity_decomposerEEE10hipError_tT1_T2_PT3_SK_jT4_jjP12ihipStream_tbEUlT_E0_NS1_11comp_targetILNS1_3genE10ELNS1_11target_archE1201ELNS1_3gpuE5ELNS1_3repE0EEENS1_52radix_sort_onesweep_histogram_config_static_selectorELNS0_4arch9wavefront6targetE0EEEvSI_ ; -- Begin function _ZN7rocprim17ROCPRIM_400000_NS6detail17trampoline_kernelINS0_14default_configENS1_35radix_sort_onesweep_config_selectorIiNS0_10empty_typeEEEZNS1_34radix_sort_onesweep_global_offsetsIS3_Lb0EN6thrust23THRUST_200600_302600_NS6detail15normal_iteratorINS9_10device_ptrIiEEEEPS5_jNS0_19identity_decomposerEEE10hipError_tT1_T2_PT3_SK_jT4_jjP12ihipStream_tbEUlT_E0_NS1_11comp_targetILNS1_3genE10ELNS1_11target_archE1201ELNS1_3gpuE5ELNS1_3repE0EEENS1_52radix_sort_onesweep_histogram_config_static_selectorELNS0_4arch9wavefront6targetE0EEEvSI_
	.globl	_ZN7rocprim17ROCPRIM_400000_NS6detail17trampoline_kernelINS0_14default_configENS1_35radix_sort_onesweep_config_selectorIiNS0_10empty_typeEEEZNS1_34radix_sort_onesweep_global_offsetsIS3_Lb0EN6thrust23THRUST_200600_302600_NS6detail15normal_iteratorINS9_10device_ptrIiEEEEPS5_jNS0_19identity_decomposerEEE10hipError_tT1_T2_PT3_SK_jT4_jjP12ihipStream_tbEUlT_E0_NS1_11comp_targetILNS1_3genE10ELNS1_11target_archE1201ELNS1_3gpuE5ELNS1_3repE0EEENS1_52radix_sort_onesweep_histogram_config_static_selectorELNS0_4arch9wavefront6targetE0EEEvSI_
	.p2align	8
	.type	_ZN7rocprim17ROCPRIM_400000_NS6detail17trampoline_kernelINS0_14default_configENS1_35radix_sort_onesweep_config_selectorIiNS0_10empty_typeEEEZNS1_34radix_sort_onesweep_global_offsetsIS3_Lb0EN6thrust23THRUST_200600_302600_NS6detail15normal_iteratorINS9_10device_ptrIiEEEEPS5_jNS0_19identity_decomposerEEE10hipError_tT1_T2_PT3_SK_jT4_jjP12ihipStream_tbEUlT_E0_NS1_11comp_targetILNS1_3genE10ELNS1_11target_archE1201ELNS1_3gpuE5ELNS1_3repE0EEENS1_52radix_sort_onesweep_histogram_config_static_selectorELNS0_4arch9wavefront6targetE0EEEvSI_,@function
_ZN7rocprim17ROCPRIM_400000_NS6detail17trampoline_kernelINS0_14default_configENS1_35radix_sort_onesweep_config_selectorIiNS0_10empty_typeEEEZNS1_34radix_sort_onesweep_global_offsetsIS3_Lb0EN6thrust23THRUST_200600_302600_NS6detail15normal_iteratorINS9_10device_ptrIiEEEEPS5_jNS0_19identity_decomposerEEE10hipError_tT1_T2_PT3_SK_jT4_jjP12ihipStream_tbEUlT_E0_NS1_11comp_targetILNS1_3genE10ELNS1_11target_archE1201ELNS1_3gpuE5ELNS1_3repE0EEENS1_52radix_sort_onesweep_histogram_config_static_selectorELNS0_4arch9wavefront6targetE0EEEvSI_: ; @_ZN7rocprim17ROCPRIM_400000_NS6detail17trampoline_kernelINS0_14default_configENS1_35radix_sort_onesweep_config_selectorIiNS0_10empty_typeEEEZNS1_34radix_sort_onesweep_global_offsetsIS3_Lb0EN6thrust23THRUST_200600_302600_NS6detail15normal_iteratorINS9_10device_ptrIiEEEEPS5_jNS0_19identity_decomposerEEE10hipError_tT1_T2_PT3_SK_jT4_jjP12ihipStream_tbEUlT_E0_NS1_11comp_targetILNS1_3genE10ELNS1_11target_archE1201ELNS1_3gpuE5ELNS1_3repE0EEENS1_52radix_sort_onesweep_histogram_config_static_selectorELNS0_4arch9wavefront6targetE0EEEvSI_
; %bb.0:
	.section	.rodata,"a",@progbits
	.p2align	6, 0x0
	.amdhsa_kernel _ZN7rocprim17ROCPRIM_400000_NS6detail17trampoline_kernelINS0_14default_configENS1_35radix_sort_onesweep_config_selectorIiNS0_10empty_typeEEEZNS1_34radix_sort_onesweep_global_offsetsIS3_Lb0EN6thrust23THRUST_200600_302600_NS6detail15normal_iteratorINS9_10device_ptrIiEEEEPS5_jNS0_19identity_decomposerEEE10hipError_tT1_T2_PT3_SK_jT4_jjP12ihipStream_tbEUlT_E0_NS1_11comp_targetILNS1_3genE10ELNS1_11target_archE1201ELNS1_3gpuE5ELNS1_3repE0EEENS1_52radix_sort_onesweep_histogram_config_static_selectorELNS0_4arch9wavefront6targetE0EEEvSI_
		.amdhsa_group_segment_fixed_size 0
		.amdhsa_private_segment_fixed_size 0
		.amdhsa_kernarg_size 8
		.amdhsa_user_sgpr_count 6
		.amdhsa_user_sgpr_private_segment_buffer 1
		.amdhsa_user_sgpr_dispatch_ptr 0
		.amdhsa_user_sgpr_queue_ptr 0
		.amdhsa_user_sgpr_kernarg_segment_ptr 1
		.amdhsa_user_sgpr_dispatch_id 0
		.amdhsa_user_sgpr_flat_scratch_init 0
		.amdhsa_user_sgpr_private_segment_size 0
		.amdhsa_wavefront_size32 1
		.amdhsa_uses_dynamic_stack 0
		.amdhsa_system_sgpr_private_segment_wavefront_offset 0
		.amdhsa_system_sgpr_workgroup_id_x 1
		.amdhsa_system_sgpr_workgroup_id_y 0
		.amdhsa_system_sgpr_workgroup_id_z 0
		.amdhsa_system_sgpr_workgroup_info 0
		.amdhsa_system_vgpr_workitem_id 0
		.amdhsa_next_free_vgpr 1
		.amdhsa_next_free_sgpr 1
		.amdhsa_reserve_vcc 0
		.amdhsa_reserve_flat_scratch 0
		.amdhsa_float_round_mode_32 0
		.amdhsa_float_round_mode_16_64 0
		.amdhsa_float_denorm_mode_32 3
		.amdhsa_float_denorm_mode_16_64 3
		.amdhsa_dx10_clamp 1
		.amdhsa_ieee_mode 1
		.amdhsa_fp16_overflow 0
		.amdhsa_workgroup_processor_mode 1
		.amdhsa_memory_ordered 1
		.amdhsa_forward_progress 1
		.amdhsa_shared_vgpr_count 0
		.amdhsa_exception_fp_ieee_invalid_op 0
		.amdhsa_exception_fp_denorm_src 0
		.amdhsa_exception_fp_ieee_div_zero 0
		.amdhsa_exception_fp_ieee_overflow 0
		.amdhsa_exception_fp_ieee_underflow 0
		.amdhsa_exception_fp_ieee_inexact 0
		.amdhsa_exception_int_div_zero 0
	.end_amdhsa_kernel
	.section	.text._ZN7rocprim17ROCPRIM_400000_NS6detail17trampoline_kernelINS0_14default_configENS1_35radix_sort_onesweep_config_selectorIiNS0_10empty_typeEEEZNS1_34radix_sort_onesweep_global_offsetsIS3_Lb0EN6thrust23THRUST_200600_302600_NS6detail15normal_iteratorINS9_10device_ptrIiEEEEPS5_jNS0_19identity_decomposerEEE10hipError_tT1_T2_PT3_SK_jT4_jjP12ihipStream_tbEUlT_E0_NS1_11comp_targetILNS1_3genE10ELNS1_11target_archE1201ELNS1_3gpuE5ELNS1_3repE0EEENS1_52radix_sort_onesweep_histogram_config_static_selectorELNS0_4arch9wavefront6targetE0EEEvSI_,"axG",@progbits,_ZN7rocprim17ROCPRIM_400000_NS6detail17trampoline_kernelINS0_14default_configENS1_35radix_sort_onesweep_config_selectorIiNS0_10empty_typeEEEZNS1_34radix_sort_onesweep_global_offsetsIS3_Lb0EN6thrust23THRUST_200600_302600_NS6detail15normal_iteratorINS9_10device_ptrIiEEEEPS5_jNS0_19identity_decomposerEEE10hipError_tT1_T2_PT3_SK_jT4_jjP12ihipStream_tbEUlT_E0_NS1_11comp_targetILNS1_3genE10ELNS1_11target_archE1201ELNS1_3gpuE5ELNS1_3repE0EEENS1_52radix_sort_onesweep_histogram_config_static_selectorELNS0_4arch9wavefront6targetE0EEEvSI_,comdat
.Lfunc_end147:
	.size	_ZN7rocprim17ROCPRIM_400000_NS6detail17trampoline_kernelINS0_14default_configENS1_35radix_sort_onesweep_config_selectorIiNS0_10empty_typeEEEZNS1_34radix_sort_onesweep_global_offsetsIS3_Lb0EN6thrust23THRUST_200600_302600_NS6detail15normal_iteratorINS9_10device_ptrIiEEEEPS5_jNS0_19identity_decomposerEEE10hipError_tT1_T2_PT3_SK_jT4_jjP12ihipStream_tbEUlT_E0_NS1_11comp_targetILNS1_3genE10ELNS1_11target_archE1201ELNS1_3gpuE5ELNS1_3repE0EEENS1_52radix_sort_onesweep_histogram_config_static_selectorELNS0_4arch9wavefront6targetE0EEEvSI_, .Lfunc_end147-_ZN7rocprim17ROCPRIM_400000_NS6detail17trampoline_kernelINS0_14default_configENS1_35radix_sort_onesweep_config_selectorIiNS0_10empty_typeEEEZNS1_34radix_sort_onesweep_global_offsetsIS3_Lb0EN6thrust23THRUST_200600_302600_NS6detail15normal_iteratorINS9_10device_ptrIiEEEEPS5_jNS0_19identity_decomposerEEE10hipError_tT1_T2_PT3_SK_jT4_jjP12ihipStream_tbEUlT_E0_NS1_11comp_targetILNS1_3genE10ELNS1_11target_archE1201ELNS1_3gpuE5ELNS1_3repE0EEENS1_52radix_sort_onesweep_histogram_config_static_selectorELNS0_4arch9wavefront6targetE0EEEvSI_
                                        ; -- End function
	.set _ZN7rocprim17ROCPRIM_400000_NS6detail17trampoline_kernelINS0_14default_configENS1_35radix_sort_onesweep_config_selectorIiNS0_10empty_typeEEEZNS1_34radix_sort_onesweep_global_offsetsIS3_Lb0EN6thrust23THRUST_200600_302600_NS6detail15normal_iteratorINS9_10device_ptrIiEEEEPS5_jNS0_19identity_decomposerEEE10hipError_tT1_T2_PT3_SK_jT4_jjP12ihipStream_tbEUlT_E0_NS1_11comp_targetILNS1_3genE10ELNS1_11target_archE1201ELNS1_3gpuE5ELNS1_3repE0EEENS1_52radix_sort_onesweep_histogram_config_static_selectorELNS0_4arch9wavefront6targetE0EEEvSI_.num_vgpr, 0
	.set _ZN7rocprim17ROCPRIM_400000_NS6detail17trampoline_kernelINS0_14default_configENS1_35radix_sort_onesweep_config_selectorIiNS0_10empty_typeEEEZNS1_34radix_sort_onesweep_global_offsetsIS3_Lb0EN6thrust23THRUST_200600_302600_NS6detail15normal_iteratorINS9_10device_ptrIiEEEEPS5_jNS0_19identity_decomposerEEE10hipError_tT1_T2_PT3_SK_jT4_jjP12ihipStream_tbEUlT_E0_NS1_11comp_targetILNS1_3genE10ELNS1_11target_archE1201ELNS1_3gpuE5ELNS1_3repE0EEENS1_52radix_sort_onesweep_histogram_config_static_selectorELNS0_4arch9wavefront6targetE0EEEvSI_.num_agpr, 0
	.set _ZN7rocprim17ROCPRIM_400000_NS6detail17trampoline_kernelINS0_14default_configENS1_35radix_sort_onesweep_config_selectorIiNS0_10empty_typeEEEZNS1_34radix_sort_onesweep_global_offsetsIS3_Lb0EN6thrust23THRUST_200600_302600_NS6detail15normal_iteratorINS9_10device_ptrIiEEEEPS5_jNS0_19identity_decomposerEEE10hipError_tT1_T2_PT3_SK_jT4_jjP12ihipStream_tbEUlT_E0_NS1_11comp_targetILNS1_3genE10ELNS1_11target_archE1201ELNS1_3gpuE5ELNS1_3repE0EEENS1_52radix_sort_onesweep_histogram_config_static_selectorELNS0_4arch9wavefront6targetE0EEEvSI_.numbered_sgpr, 0
	.set _ZN7rocprim17ROCPRIM_400000_NS6detail17trampoline_kernelINS0_14default_configENS1_35radix_sort_onesweep_config_selectorIiNS0_10empty_typeEEEZNS1_34radix_sort_onesweep_global_offsetsIS3_Lb0EN6thrust23THRUST_200600_302600_NS6detail15normal_iteratorINS9_10device_ptrIiEEEEPS5_jNS0_19identity_decomposerEEE10hipError_tT1_T2_PT3_SK_jT4_jjP12ihipStream_tbEUlT_E0_NS1_11comp_targetILNS1_3genE10ELNS1_11target_archE1201ELNS1_3gpuE5ELNS1_3repE0EEENS1_52radix_sort_onesweep_histogram_config_static_selectorELNS0_4arch9wavefront6targetE0EEEvSI_.num_named_barrier, 0
	.set _ZN7rocprim17ROCPRIM_400000_NS6detail17trampoline_kernelINS0_14default_configENS1_35radix_sort_onesweep_config_selectorIiNS0_10empty_typeEEEZNS1_34radix_sort_onesweep_global_offsetsIS3_Lb0EN6thrust23THRUST_200600_302600_NS6detail15normal_iteratorINS9_10device_ptrIiEEEEPS5_jNS0_19identity_decomposerEEE10hipError_tT1_T2_PT3_SK_jT4_jjP12ihipStream_tbEUlT_E0_NS1_11comp_targetILNS1_3genE10ELNS1_11target_archE1201ELNS1_3gpuE5ELNS1_3repE0EEENS1_52radix_sort_onesweep_histogram_config_static_selectorELNS0_4arch9wavefront6targetE0EEEvSI_.private_seg_size, 0
	.set _ZN7rocprim17ROCPRIM_400000_NS6detail17trampoline_kernelINS0_14default_configENS1_35radix_sort_onesweep_config_selectorIiNS0_10empty_typeEEEZNS1_34radix_sort_onesweep_global_offsetsIS3_Lb0EN6thrust23THRUST_200600_302600_NS6detail15normal_iteratorINS9_10device_ptrIiEEEEPS5_jNS0_19identity_decomposerEEE10hipError_tT1_T2_PT3_SK_jT4_jjP12ihipStream_tbEUlT_E0_NS1_11comp_targetILNS1_3genE10ELNS1_11target_archE1201ELNS1_3gpuE5ELNS1_3repE0EEENS1_52radix_sort_onesweep_histogram_config_static_selectorELNS0_4arch9wavefront6targetE0EEEvSI_.uses_vcc, 0
	.set _ZN7rocprim17ROCPRIM_400000_NS6detail17trampoline_kernelINS0_14default_configENS1_35radix_sort_onesweep_config_selectorIiNS0_10empty_typeEEEZNS1_34radix_sort_onesweep_global_offsetsIS3_Lb0EN6thrust23THRUST_200600_302600_NS6detail15normal_iteratorINS9_10device_ptrIiEEEEPS5_jNS0_19identity_decomposerEEE10hipError_tT1_T2_PT3_SK_jT4_jjP12ihipStream_tbEUlT_E0_NS1_11comp_targetILNS1_3genE10ELNS1_11target_archE1201ELNS1_3gpuE5ELNS1_3repE0EEENS1_52radix_sort_onesweep_histogram_config_static_selectorELNS0_4arch9wavefront6targetE0EEEvSI_.uses_flat_scratch, 0
	.set _ZN7rocprim17ROCPRIM_400000_NS6detail17trampoline_kernelINS0_14default_configENS1_35radix_sort_onesweep_config_selectorIiNS0_10empty_typeEEEZNS1_34radix_sort_onesweep_global_offsetsIS3_Lb0EN6thrust23THRUST_200600_302600_NS6detail15normal_iteratorINS9_10device_ptrIiEEEEPS5_jNS0_19identity_decomposerEEE10hipError_tT1_T2_PT3_SK_jT4_jjP12ihipStream_tbEUlT_E0_NS1_11comp_targetILNS1_3genE10ELNS1_11target_archE1201ELNS1_3gpuE5ELNS1_3repE0EEENS1_52radix_sort_onesweep_histogram_config_static_selectorELNS0_4arch9wavefront6targetE0EEEvSI_.has_dyn_sized_stack, 0
	.set _ZN7rocprim17ROCPRIM_400000_NS6detail17trampoline_kernelINS0_14default_configENS1_35radix_sort_onesweep_config_selectorIiNS0_10empty_typeEEEZNS1_34radix_sort_onesweep_global_offsetsIS3_Lb0EN6thrust23THRUST_200600_302600_NS6detail15normal_iteratorINS9_10device_ptrIiEEEEPS5_jNS0_19identity_decomposerEEE10hipError_tT1_T2_PT3_SK_jT4_jjP12ihipStream_tbEUlT_E0_NS1_11comp_targetILNS1_3genE10ELNS1_11target_archE1201ELNS1_3gpuE5ELNS1_3repE0EEENS1_52radix_sort_onesweep_histogram_config_static_selectorELNS0_4arch9wavefront6targetE0EEEvSI_.has_recursion, 0
	.set _ZN7rocprim17ROCPRIM_400000_NS6detail17trampoline_kernelINS0_14default_configENS1_35radix_sort_onesweep_config_selectorIiNS0_10empty_typeEEEZNS1_34radix_sort_onesweep_global_offsetsIS3_Lb0EN6thrust23THRUST_200600_302600_NS6detail15normal_iteratorINS9_10device_ptrIiEEEEPS5_jNS0_19identity_decomposerEEE10hipError_tT1_T2_PT3_SK_jT4_jjP12ihipStream_tbEUlT_E0_NS1_11comp_targetILNS1_3genE10ELNS1_11target_archE1201ELNS1_3gpuE5ELNS1_3repE0EEENS1_52radix_sort_onesweep_histogram_config_static_selectorELNS0_4arch9wavefront6targetE0EEEvSI_.has_indirect_call, 0
	.section	.AMDGPU.csdata,"",@progbits
; Kernel info:
; codeLenInByte = 0
; TotalNumSgprs: 0
; NumVgprs: 0
; ScratchSize: 0
; MemoryBound: 0
; FloatMode: 240
; IeeeMode: 1
; LDSByteSize: 0 bytes/workgroup (compile time only)
; SGPRBlocks: 0
; VGPRBlocks: 0
; NumSGPRsForWavesPerEU: 1
; NumVGPRsForWavesPerEU: 1
; Occupancy: 16
; WaveLimiterHint : 0
; COMPUTE_PGM_RSRC2:SCRATCH_EN: 0
; COMPUTE_PGM_RSRC2:USER_SGPR: 6
; COMPUTE_PGM_RSRC2:TRAP_HANDLER: 0
; COMPUTE_PGM_RSRC2:TGID_X_EN: 1
; COMPUTE_PGM_RSRC2:TGID_Y_EN: 0
; COMPUTE_PGM_RSRC2:TGID_Z_EN: 0
; COMPUTE_PGM_RSRC2:TIDIG_COMP_CNT: 0
	.section	.text._ZN7rocprim17ROCPRIM_400000_NS6detail17trampoline_kernelINS0_14default_configENS1_35radix_sort_onesweep_config_selectorIiNS0_10empty_typeEEEZNS1_34radix_sort_onesweep_global_offsetsIS3_Lb0EN6thrust23THRUST_200600_302600_NS6detail15normal_iteratorINS9_10device_ptrIiEEEEPS5_jNS0_19identity_decomposerEEE10hipError_tT1_T2_PT3_SK_jT4_jjP12ihipStream_tbEUlT_E0_NS1_11comp_targetILNS1_3genE9ELNS1_11target_archE1100ELNS1_3gpuE3ELNS1_3repE0EEENS1_52radix_sort_onesweep_histogram_config_static_selectorELNS0_4arch9wavefront6targetE0EEEvSI_,"axG",@progbits,_ZN7rocprim17ROCPRIM_400000_NS6detail17trampoline_kernelINS0_14default_configENS1_35radix_sort_onesweep_config_selectorIiNS0_10empty_typeEEEZNS1_34radix_sort_onesweep_global_offsetsIS3_Lb0EN6thrust23THRUST_200600_302600_NS6detail15normal_iteratorINS9_10device_ptrIiEEEEPS5_jNS0_19identity_decomposerEEE10hipError_tT1_T2_PT3_SK_jT4_jjP12ihipStream_tbEUlT_E0_NS1_11comp_targetILNS1_3genE9ELNS1_11target_archE1100ELNS1_3gpuE3ELNS1_3repE0EEENS1_52radix_sort_onesweep_histogram_config_static_selectorELNS0_4arch9wavefront6targetE0EEEvSI_,comdat
	.protected	_ZN7rocprim17ROCPRIM_400000_NS6detail17trampoline_kernelINS0_14default_configENS1_35radix_sort_onesweep_config_selectorIiNS0_10empty_typeEEEZNS1_34radix_sort_onesweep_global_offsetsIS3_Lb0EN6thrust23THRUST_200600_302600_NS6detail15normal_iteratorINS9_10device_ptrIiEEEEPS5_jNS0_19identity_decomposerEEE10hipError_tT1_T2_PT3_SK_jT4_jjP12ihipStream_tbEUlT_E0_NS1_11comp_targetILNS1_3genE9ELNS1_11target_archE1100ELNS1_3gpuE3ELNS1_3repE0EEENS1_52radix_sort_onesweep_histogram_config_static_selectorELNS0_4arch9wavefront6targetE0EEEvSI_ ; -- Begin function _ZN7rocprim17ROCPRIM_400000_NS6detail17trampoline_kernelINS0_14default_configENS1_35radix_sort_onesweep_config_selectorIiNS0_10empty_typeEEEZNS1_34radix_sort_onesweep_global_offsetsIS3_Lb0EN6thrust23THRUST_200600_302600_NS6detail15normal_iteratorINS9_10device_ptrIiEEEEPS5_jNS0_19identity_decomposerEEE10hipError_tT1_T2_PT3_SK_jT4_jjP12ihipStream_tbEUlT_E0_NS1_11comp_targetILNS1_3genE9ELNS1_11target_archE1100ELNS1_3gpuE3ELNS1_3repE0EEENS1_52radix_sort_onesweep_histogram_config_static_selectorELNS0_4arch9wavefront6targetE0EEEvSI_
	.globl	_ZN7rocprim17ROCPRIM_400000_NS6detail17trampoline_kernelINS0_14default_configENS1_35radix_sort_onesweep_config_selectorIiNS0_10empty_typeEEEZNS1_34radix_sort_onesweep_global_offsetsIS3_Lb0EN6thrust23THRUST_200600_302600_NS6detail15normal_iteratorINS9_10device_ptrIiEEEEPS5_jNS0_19identity_decomposerEEE10hipError_tT1_T2_PT3_SK_jT4_jjP12ihipStream_tbEUlT_E0_NS1_11comp_targetILNS1_3genE9ELNS1_11target_archE1100ELNS1_3gpuE3ELNS1_3repE0EEENS1_52radix_sort_onesweep_histogram_config_static_selectorELNS0_4arch9wavefront6targetE0EEEvSI_
	.p2align	8
	.type	_ZN7rocprim17ROCPRIM_400000_NS6detail17trampoline_kernelINS0_14default_configENS1_35radix_sort_onesweep_config_selectorIiNS0_10empty_typeEEEZNS1_34radix_sort_onesweep_global_offsetsIS3_Lb0EN6thrust23THRUST_200600_302600_NS6detail15normal_iteratorINS9_10device_ptrIiEEEEPS5_jNS0_19identity_decomposerEEE10hipError_tT1_T2_PT3_SK_jT4_jjP12ihipStream_tbEUlT_E0_NS1_11comp_targetILNS1_3genE9ELNS1_11target_archE1100ELNS1_3gpuE3ELNS1_3repE0EEENS1_52radix_sort_onesweep_histogram_config_static_selectorELNS0_4arch9wavefront6targetE0EEEvSI_,@function
_ZN7rocprim17ROCPRIM_400000_NS6detail17trampoline_kernelINS0_14default_configENS1_35radix_sort_onesweep_config_selectorIiNS0_10empty_typeEEEZNS1_34radix_sort_onesweep_global_offsetsIS3_Lb0EN6thrust23THRUST_200600_302600_NS6detail15normal_iteratorINS9_10device_ptrIiEEEEPS5_jNS0_19identity_decomposerEEE10hipError_tT1_T2_PT3_SK_jT4_jjP12ihipStream_tbEUlT_E0_NS1_11comp_targetILNS1_3genE9ELNS1_11target_archE1100ELNS1_3gpuE3ELNS1_3repE0EEENS1_52radix_sort_onesweep_histogram_config_static_selectorELNS0_4arch9wavefront6targetE0EEEvSI_: ; @_ZN7rocprim17ROCPRIM_400000_NS6detail17trampoline_kernelINS0_14default_configENS1_35radix_sort_onesweep_config_selectorIiNS0_10empty_typeEEEZNS1_34radix_sort_onesweep_global_offsetsIS3_Lb0EN6thrust23THRUST_200600_302600_NS6detail15normal_iteratorINS9_10device_ptrIiEEEEPS5_jNS0_19identity_decomposerEEE10hipError_tT1_T2_PT3_SK_jT4_jjP12ihipStream_tbEUlT_E0_NS1_11comp_targetILNS1_3genE9ELNS1_11target_archE1100ELNS1_3gpuE3ELNS1_3repE0EEENS1_52radix_sort_onesweep_histogram_config_static_selectorELNS0_4arch9wavefront6targetE0EEEvSI_
; %bb.0:
	.section	.rodata,"a",@progbits
	.p2align	6, 0x0
	.amdhsa_kernel _ZN7rocprim17ROCPRIM_400000_NS6detail17trampoline_kernelINS0_14default_configENS1_35radix_sort_onesweep_config_selectorIiNS0_10empty_typeEEEZNS1_34radix_sort_onesweep_global_offsetsIS3_Lb0EN6thrust23THRUST_200600_302600_NS6detail15normal_iteratorINS9_10device_ptrIiEEEEPS5_jNS0_19identity_decomposerEEE10hipError_tT1_T2_PT3_SK_jT4_jjP12ihipStream_tbEUlT_E0_NS1_11comp_targetILNS1_3genE9ELNS1_11target_archE1100ELNS1_3gpuE3ELNS1_3repE0EEENS1_52radix_sort_onesweep_histogram_config_static_selectorELNS0_4arch9wavefront6targetE0EEEvSI_
		.amdhsa_group_segment_fixed_size 0
		.amdhsa_private_segment_fixed_size 0
		.amdhsa_kernarg_size 8
		.amdhsa_user_sgpr_count 6
		.amdhsa_user_sgpr_private_segment_buffer 1
		.amdhsa_user_sgpr_dispatch_ptr 0
		.amdhsa_user_sgpr_queue_ptr 0
		.amdhsa_user_sgpr_kernarg_segment_ptr 1
		.amdhsa_user_sgpr_dispatch_id 0
		.amdhsa_user_sgpr_flat_scratch_init 0
		.amdhsa_user_sgpr_private_segment_size 0
		.amdhsa_wavefront_size32 1
		.amdhsa_uses_dynamic_stack 0
		.amdhsa_system_sgpr_private_segment_wavefront_offset 0
		.amdhsa_system_sgpr_workgroup_id_x 1
		.amdhsa_system_sgpr_workgroup_id_y 0
		.amdhsa_system_sgpr_workgroup_id_z 0
		.amdhsa_system_sgpr_workgroup_info 0
		.amdhsa_system_vgpr_workitem_id 0
		.amdhsa_next_free_vgpr 1
		.amdhsa_next_free_sgpr 1
		.amdhsa_reserve_vcc 0
		.amdhsa_reserve_flat_scratch 0
		.amdhsa_float_round_mode_32 0
		.amdhsa_float_round_mode_16_64 0
		.amdhsa_float_denorm_mode_32 3
		.amdhsa_float_denorm_mode_16_64 3
		.amdhsa_dx10_clamp 1
		.amdhsa_ieee_mode 1
		.amdhsa_fp16_overflow 0
		.amdhsa_workgroup_processor_mode 1
		.amdhsa_memory_ordered 1
		.amdhsa_forward_progress 1
		.amdhsa_shared_vgpr_count 0
		.amdhsa_exception_fp_ieee_invalid_op 0
		.amdhsa_exception_fp_denorm_src 0
		.amdhsa_exception_fp_ieee_div_zero 0
		.amdhsa_exception_fp_ieee_overflow 0
		.amdhsa_exception_fp_ieee_underflow 0
		.amdhsa_exception_fp_ieee_inexact 0
		.amdhsa_exception_int_div_zero 0
	.end_amdhsa_kernel
	.section	.text._ZN7rocprim17ROCPRIM_400000_NS6detail17trampoline_kernelINS0_14default_configENS1_35radix_sort_onesweep_config_selectorIiNS0_10empty_typeEEEZNS1_34radix_sort_onesweep_global_offsetsIS3_Lb0EN6thrust23THRUST_200600_302600_NS6detail15normal_iteratorINS9_10device_ptrIiEEEEPS5_jNS0_19identity_decomposerEEE10hipError_tT1_T2_PT3_SK_jT4_jjP12ihipStream_tbEUlT_E0_NS1_11comp_targetILNS1_3genE9ELNS1_11target_archE1100ELNS1_3gpuE3ELNS1_3repE0EEENS1_52radix_sort_onesweep_histogram_config_static_selectorELNS0_4arch9wavefront6targetE0EEEvSI_,"axG",@progbits,_ZN7rocprim17ROCPRIM_400000_NS6detail17trampoline_kernelINS0_14default_configENS1_35radix_sort_onesweep_config_selectorIiNS0_10empty_typeEEEZNS1_34radix_sort_onesweep_global_offsetsIS3_Lb0EN6thrust23THRUST_200600_302600_NS6detail15normal_iteratorINS9_10device_ptrIiEEEEPS5_jNS0_19identity_decomposerEEE10hipError_tT1_T2_PT3_SK_jT4_jjP12ihipStream_tbEUlT_E0_NS1_11comp_targetILNS1_3genE9ELNS1_11target_archE1100ELNS1_3gpuE3ELNS1_3repE0EEENS1_52radix_sort_onesweep_histogram_config_static_selectorELNS0_4arch9wavefront6targetE0EEEvSI_,comdat
.Lfunc_end148:
	.size	_ZN7rocprim17ROCPRIM_400000_NS6detail17trampoline_kernelINS0_14default_configENS1_35radix_sort_onesweep_config_selectorIiNS0_10empty_typeEEEZNS1_34radix_sort_onesweep_global_offsetsIS3_Lb0EN6thrust23THRUST_200600_302600_NS6detail15normal_iteratorINS9_10device_ptrIiEEEEPS5_jNS0_19identity_decomposerEEE10hipError_tT1_T2_PT3_SK_jT4_jjP12ihipStream_tbEUlT_E0_NS1_11comp_targetILNS1_3genE9ELNS1_11target_archE1100ELNS1_3gpuE3ELNS1_3repE0EEENS1_52radix_sort_onesweep_histogram_config_static_selectorELNS0_4arch9wavefront6targetE0EEEvSI_, .Lfunc_end148-_ZN7rocprim17ROCPRIM_400000_NS6detail17trampoline_kernelINS0_14default_configENS1_35radix_sort_onesweep_config_selectorIiNS0_10empty_typeEEEZNS1_34radix_sort_onesweep_global_offsetsIS3_Lb0EN6thrust23THRUST_200600_302600_NS6detail15normal_iteratorINS9_10device_ptrIiEEEEPS5_jNS0_19identity_decomposerEEE10hipError_tT1_T2_PT3_SK_jT4_jjP12ihipStream_tbEUlT_E0_NS1_11comp_targetILNS1_3genE9ELNS1_11target_archE1100ELNS1_3gpuE3ELNS1_3repE0EEENS1_52radix_sort_onesweep_histogram_config_static_selectorELNS0_4arch9wavefront6targetE0EEEvSI_
                                        ; -- End function
	.set _ZN7rocprim17ROCPRIM_400000_NS6detail17trampoline_kernelINS0_14default_configENS1_35radix_sort_onesweep_config_selectorIiNS0_10empty_typeEEEZNS1_34radix_sort_onesweep_global_offsetsIS3_Lb0EN6thrust23THRUST_200600_302600_NS6detail15normal_iteratorINS9_10device_ptrIiEEEEPS5_jNS0_19identity_decomposerEEE10hipError_tT1_T2_PT3_SK_jT4_jjP12ihipStream_tbEUlT_E0_NS1_11comp_targetILNS1_3genE9ELNS1_11target_archE1100ELNS1_3gpuE3ELNS1_3repE0EEENS1_52radix_sort_onesweep_histogram_config_static_selectorELNS0_4arch9wavefront6targetE0EEEvSI_.num_vgpr, 0
	.set _ZN7rocprim17ROCPRIM_400000_NS6detail17trampoline_kernelINS0_14default_configENS1_35radix_sort_onesweep_config_selectorIiNS0_10empty_typeEEEZNS1_34radix_sort_onesweep_global_offsetsIS3_Lb0EN6thrust23THRUST_200600_302600_NS6detail15normal_iteratorINS9_10device_ptrIiEEEEPS5_jNS0_19identity_decomposerEEE10hipError_tT1_T2_PT3_SK_jT4_jjP12ihipStream_tbEUlT_E0_NS1_11comp_targetILNS1_3genE9ELNS1_11target_archE1100ELNS1_3gpuE3ELNS1_3repE0EEENS1_52radix_sort_onesweep_histogram_config_static_selectorELNS0_4arch9wavefront6targetE0EEEvSI_.num_agpr, 0
	.set _ZN7rocprim17ROCPRIM_400000_NS6detail17trampoline_kernelINS0_14default_configENS1_35radix_sort_onesweep_config_selectorIiNS0_10empty_typeEEEZNS1_34radix_sort_onesweep_global_offsetsIS3_Lb0EN6thrust23THRUST_200600_302600_NS6detail15normal_iteratorINS9_10device_ptrIiEEEEPS5_jNS0_19identity_decomposerEEE10hipError_tT1_T2_PT3_SK_jT4_jjP12ihipStream_tbEUlT_E0_NS1_11comp_targetILNS1_3genE9ELNS1_11target_archE1100ELNS1_3gpuE3ELNS1_3repE0EEENS1_52radix_sort_onesweep_histogram_config_static_selectorELNS0_4arch9wavefront6targetE0EEEvSI_.numbered_sgpr, 0
	.set _ZN7rocprim17ROCPRIM_400000_NS6detail17trampoline_kernelINS0_14default_configENS1_35radix_sort_onesweep_config_selectorIiNS0_10empty_typeEEEZNS1_34radix_sort_onesweep_global_offsetsIS3_Lb0EN6thrust23THRUST_200600_302600_NS6detail15normal_iteratorINS9_10device_ptrIiEEEEPS5_jNS0_19identity_decomposerEEE10hipError_tT1_T2_PT3_SK_jT4_jjP12ihipStream_tbEUlT_E0_NS1_11comp_targetILNS1_3genE9ELNS1_11target_archE1100ELNS1_3gpuE3ELNS1_3repE0EEENS1_52radix_sort_onesweep_histogram_config_static_selectorELNS0_4arch9wavefront6targetE0EEEvSI_.num_named_barrier, 0
	.set _ZN7rocprim17ROCPRIM_400000_NS6detail17trampoline_kernelINS0_14default_configENS1_35radix_sort_onesweep_config_selectorIiNS0_10empty_typeEEEZNS1_34radix_sort_onesweep_global_offsetsIS3_Lb0EN6thrust23THRUST_200600_302600_NS6detail15normal_iteratorINS9_10device_ptrIiEEEEPS5_jNS0_19identity_decomposerEEE10hipError_tT1_T2_PT3_SK_jT4_jjP12ihipStream_tbEUlT_E0_NS1_11comp_targetILNS1_3genE9ELNS1_11target_archE1100ELNS1_3gpuE3ELNS1_3repE0EEENS1_52radix_sort_onesweep_histogram_config_static_selectorELNS0_4arch9wavefront6targetE0EEEvSI_.private_seg_size, 0
	.set _ZN7rocprim17ROCPRIM_400000_NS6detail17trampoline_kernelINS0_14default_configENS1_35radix_sort_onesweep_config_selectorIiNS0_10empty_typeEEEZNS1_34radix_sort_onesweep_global_offsetsIS3_Lb0EN6thrust23THRUST_200600_302600_NS6detail15normal_iteratorINS9_10device_ptrIiEEEEPS5_jNS0_19identity_decomposerEEE10hipError_tT1_T2_PT3_SK_jT4_jjP12ihipStream_tbEUlT_E0_NS1_11comp_targetILNS1_3genE9ELNS1_11target_archE1100ELNS1_3gpuE3ELNS1_3repE0EEENS1_52radix_sort_onesweep_histogram_config_static_selectorELNS0_4arch9wavefront6targetE0EEEvSI_.uses_vcc, 0
	.set _ZN7rocprim17ROCPRIM_400000_NS6detail17trampoline_kernelINS0_14default_configENS1_35radix_sort_onesweep_config_selectorIiNS0_10empty_typeEEEZNS1_34radix_sort_onesweep_global_offsetsIS3_Lb0EN6thrust23THRUST_200600_302600_NS6detail15normal_iteratorINS9_10device_ptrIiEEEEPS5_jNS0_19identity_decomposerEEE10hipError_tT1_T2_PT3_SK_jT4_jjP12ihipStream_tbEUlT_E0_NS1_11comp_targetILNS1_3genE9ELNS1_11target_archE1100ELNS1_3gpuE3ELNS1_3repE0EEENS1_52radix_sort_onesweep_histogram_config_static_selectorELNS0_4arch9wavefront6targetE0EEEvSI_.uses_flat_scratch, 0
	.set _ZN7rocprim17ROCPRIM_400000_NS6detail17trampoline_kernelINS0_14default_configENS1_35radix_sort_onesweep_config_selectorIiNS0_10empty_typeEEEZNS1_34radix_sort_onesweep_global_offsetsIS3_Lb0EN6thrust23THRUST_200600_302600_NS6detail15normal_iteratorINS9_10device_ptrIiEEEEPS5_jNS0_19identity_decomposerEEE10hipError_tT1_T2_PT3_SK_jT4_jjP12ihipStream_tbEUlT_E0_NS1_11comp_targetILNS1_3genE9ELNS1_11target_archE1100ELNS1_3gpuE3ELNS1_3repE0EEENS1_52radix_sort_onesweep_histogram_config_static_selectorELNS0_4arch9wavefront6targetE0EEEvSI_.has_dyn_sized_stack, 0
	.set _ZN7rocprim17ROCPRIM_400000_NS6detail17trampoline_kernelINS0_14default_configENS1_35radix_sort_onesweep_config_selectorIiNS0_10empty_typeEEEZNS1_34radix_sort_onesweep_global_offsetsIS3_Lb0EN6thrust23THRUST_200600_302600_NS6detail15normal_iteratorINS9_10device_ptrIiEEEEPS5_jNS0_19identity_decomposerEEE10hipError_tT1_T2_PT3_SK_jT4_jjP12ihipStream_tbEUlT_E0_NS1_11comp_targetILNS1_3genE9ELNS1_11target_archE1100ELNS1_3gpuE3ELNS1_3repE0EEENS1_52radix_sort_onesweep_histogram_config_static_selectorELNS0_4arch9wavefront6targetE0EEEvSI_.has_recursion, 0
	.set _ZN7rocprim17ROCPRIM_400000_NS6detail17trampoline_kernelINS0_14default_configENS1_35radix_sort_onesweep_config_selectorIiNS0_10empty_typeEEEZNS1_34radix_sort_onesweep_global_offsetsIS3_Lb0EN6thrust23THRUST_200600_302600_NS6detail15normal_iteratorINS9_10device_ptrIiEEEEPS5_jNS0_19identity_decomposerEEE10hipError_tT1_T2_PT3_SK_jT4_jjP12ihipStream_tbEUlT_E0_NS1_11comp_targetILNS1_3genE9ELNS1_11target_archE1100ELNS1_3gpuE3ELNS1_3repE0EEENS1_52radix_sort_onesweep_histogram_config_static_selectorELNS0_4arch9wavefront6targetE0EEEvSI_.has_indirect_call, 0
	.section	.AMDGPU.csdata,"",@progbits
; Kernel info:
; codeLenInByte = 0
; TotalNumSgprs: 0
; NumVgprs: 0
; ScratchSize: 0
; MemoryBound: 0
; FloatMode: 240
; IeeeMode: 1
; LDSByteSize: 0 bytes/workgroup (compile time only)
; SGPRBlocks: 0
; VGPRBlocks: 0
; NumSGPRsForWavesPerEU: 1
; NumVGPRsForWavesPerEU: 1
; Occupancy: 16
; WaveLimiterHint : 0
; COMPUTE_PGM_RSRC2:SCRATCH_EN: 0
; COMPUTE_PGM_RSRC2:USER_SGPR: 6
; COMPUTE_PGM_RSRC2:TRAP_HANDLER: 0
; COMPUTE_PGM_RSRC2:TGID_X_EN: 1
; COMPUTE_PGM_RSRC2:TGID_Y_EN: 0
; COMPUTE_PGM_RSRC2:TGID_Z_EN: 0
; COMPUTE_PGM_RSRC2:TIDIG_COMP_CNT: 0
	.section	.text._ZN7rocprim17ROCPRIM_400000_NS6detail17trampoline_kernelINS0_14default_configENS1_35radix_sort_onesweep_config_selectorIiNS0_10empty_typeEEEZNS1_34radix_sort_onesweep_global_offsetsIS3_Lb0EN6thrust23THRUST_200600_302600_NS6detail15normal_iteratorINS9_10device_ptrIiEEEEPS5_jNS0_19identity_decomposerEEE10hipError_tT1_T2_PT3_SK_jT4_jjP12ihipStream_tbEUlT_E0_NS1_11comp_targetILNS1_3genE8ELNS1_11target_archE1030ELNS1_3gpuE2ELNS1_3repE0EEENS1_52radix_sort_onesweep_histogram_config_static_selectorELNS0_4arch9wavefront6targetE0EEEvSI_,"axG",@progbits,_ZN7rocprim17ROCPRIM_400000_NS6detail17trampoline_kernelINS0_14default_configENS1_35radix_sort_onesweep_config_selectorIiNS0_10empty_typeEEEZNS1_34radix_sort_onesweep_global_offsetsIS3_Lb0EN6thrust23THRUST_200600_302600_NS6detail15normal_iteratorINS9_10device_ptrIiEEEEPS5_jNS0_19identity_decomposerEEE10hipError_tT1_T2_PT3_SK_jT4_jjP12ihipStream_tbEUlT_E0_NS1_11comp_targetILNS1_3genE8ELNS1_11target_archE1030ELNS1_3gpuE2ELNS1_3repE0EEENS1_52radix_sort_onesweep_histogram_config_static_selectorELNS0_4arch9wavefront6targetE0EEEvSI_,comdat
	.protected	_ZN7rocprim17ROCPRIM_400000_NS6detail17trampoline_kernelINS0_14default_configENS1_35radix_sort_onesweep_config_selectorIiNS0_10empty_typeEEEZNS1_34radix_sort_onesweep_global_offsetsIS3_Lb0EN6thrust23THRUST_200600_302600_NS6detail15normal_iteratorINS9_10device_ptrIiEEEEPS5_jNS0_19identity_decomposerEEE10hipError_tT1_T2_PT3_SK_jT4_jjP12ihipStream_tbEUlT_E0_NS1_11comp_targetILNS1_3genE8ELNS1_11target_archE1030ELNS1_3gpuE2ELNS1_3repE0EEENS1_52radix_sort_onesweep_histogram_config_static_selectorELNS0_4arch9wavefront6targetE0EEEvSI_ ; -- Begin function _ZN7rocprim17ROCPRIM_400000_NS6detail17trampoline_kernelINS0_14default_configENS1_35radix_sort_onesweep_config_selectorIiNS0_10empty_typeEEEZNS1_34radix_sort_onesweep_global_offsetsIS3_Lb0EN6thrust23THRUST_200600_302600_NS6detail15normal_iteratorINS9_10device_ptrIiEEEEPS5_jNS0_19identity_decomposerEEE10hipError_tT1_T2_PT3_SK_jT4_jjP12ihipStream_tbEUlT_E0_NS1_11comp_targetILNS1_3genE8ELNS1_11target_archE1030ELNS1_3gpuE2ELNS1_3repE0EEENS1_52radix_sort_onesweep_histogram_config_static_selectorELNS0_4arch9wavefront6targetE0EEEvSI_
	.globl	_ZN7rocprim17ROCPRIM_400000_NS6detail17trampoline_kernelINS0_14default_configENS1_35radix_sort_onesweep_config_selectorIiNS0_10empty_typeEEEZNS1_34radix_sort_onesweep_global_offsetsIS3_Lb0EN6thrust23THRUST_200600_302600_NS6detail15normal_iteratorINS9_10device_ptrIiEEEEPS5_jNS0_19identity_decomposerEEE10hipError_tT1_T2_PT3_SK_jT4_jjP12ihipStream_tbEUlT_E0_NS1_11comp_targetILNS1_3genE8ELNS1_11target_archE1030ELNS1_3gpuE2ELNS1_3repE0EEENS1_52radix_sort_onesweep_histogram_config_static_selectorELNS0_4arch9wavefront6targetE0EEEvSI_
	.p2align	8
	.type	_ZN7rocprim17ROCPRIM_400000_NS6detail17trampoline_kernelINS0_14default_configENS1_35radix_sort_onesweep_config_selectorIiNS0_10empty_typeEEEZNS1_34radix_sort_onesweep_global_offsetsIS3_Lb0EN6thrust23THRUST_200600_302600_NS6detail15normal_iteratorINS9_10device_ptrIiEEEEPS5_jNS0_19identity_decomposerEEE10hipError_tT1_T2_PT3_SK_jT4_jjP12ihipStream_tbEUlT_E0_NS1_11comp_targetILNS1_3genE8ELNS1_11target_archE1030ELNS1_3gpuE2ELNS1_3repE0EEENS1_52radix_sort_onesweep_histogram_config_static_selectorELNS0_4arch9wavefront6targetE0EEEvSI_,@function
_ZN7rocprim17ROCPRIM_400000_NS6detail17trampoline_kernelINS0_14default_configENS1_35radix_sort_onesweep_config_selectorIiNS0_10empty_typeEEEZNS1_34radix_sort_onesweep_global_offsetsIS3_Lb0EN6thrust23THRUST_200600_302600_NS6detail15normal_iteratorINS9_10device_ptrIiEEEEPS5_jNS0_19identity_decomposerEEE10hipError_tT1_T2_PT3_SK_jT4_jjP12ihipStream_tbEUlT_E0_NS1_11comp_targetILNS1_3genE8ELNS1_11target_archE1030ELNS1_3gpuE2ELNS1_3repE0EEENS1_52radix_sort_onesweep_histogram_config_static_selectorELNS0_4arch9wavefront6targetE0EEEvSI_: ; @_ZN7rocprim17ROCPRIM_400000_NS6detail17trampoline_kernelINS0_14default_configENS1_35radix_sort_onesweep_config_selectorIiNS0_10empty_typeEEEZNS1_34radix_sort_onesweep_global_offsetsIS3_Lb0EN6thrust23THRUST_200600_302600_NS6detail15normal_iteratorINS9_10device_ptrIiEEEEPS5_jNS0_19identity_decomposerEEE10hipError_tT1_T2_PT3_SK_jT4_jjP12ihipStream_tbEUlT_E0_NS1_11comp_targetILNS1_3genE8ELNS1_11target_archE1030ELNS1_3gpuE2ELNS1_3repE0EEENS1_52radix_sort_onesweep_histogram_config_static_selectorELNS0_4arch9wavefront6targetE0EEEvSI_
; %bb.0:
	s_load_dwordx2 s[0:1], s[4:5], 0x0
	s_lshl_b32 s2, s6, 8
	s_mov_b32 s3, 0
	v_cmp_gt_u32_e32 vcc_lo, 0x100, v0
	s_lshl_b64 s[2:3], s[2:3], 2
	v_lshlrev_b32_e32 v1, 2, v0
                                        ; implicit-def: $vgpr3
	s_waitcnt lgkmcnt(0)
	s_add_u32 s8, s0, s2
	s_addc_u32 s9, s1, s3
	s_and_saveexec_b32 s0, vcc_lo
	s_cbranch_execz .LBB149_2
; %bb.1:
	global_load_dword v3, v1, s[8:9]
.LBB149_2:
	s_or_b32 exec_lo, exec_lo, s0
	v_mbcnt_lo_u32_b32 v2, -1, 0
	s_waitcnt vmcnt(0)
	v_mov_b32_dpp v5, v3 row_shr:1 row_mask:0xf bank_mask:0xf
	v_and_b32_e32 v7, 31, v0
	s_mov_b32 s6, exec_lo
	v_and_b32_e32 v4, 15, v2
	v_and_b32_e32 v6, 16, v2
	v_cmp_eq_u32_e64 s0, 0, v4
	v_cmp_lt_u32_e64 s1, 1, v4
	v_cmp_lt_u32_e64 s2, 3, v4
	v_cmp_lt_u32_e64 s3, 7, v4
	v_cmp_eq_u32_e64 s4, 0, v6
	v_cndmask_b32_e64 v5, v5, 0, s0
	v_add_nc_u32_e32 v3, v5, v3
	v_mov_b32_dpp v5, v3 row_shr:2 row_mask:0xf bank_mask:0xf
	v_cndmask_b32_e64 v5, 0, v5, s1
	v_add_nc_u32_e32 v3, v3, v5
	v_mov_b32_dpp v5, v3 row_shr:4 row_mask:0xf bank_mask:0xf
	;; [unrolled: 3-line block ×3, first 2 shown]
	v_cndmask_b32_e64 v4, 0, v5, s3
	v_bfe_i32 v5, v2, 4, 1
	v_add_nc_u32_e32 v3, v3, v4
	ds_swizzle_b32 v4, v3 offset:swizzle(BROADCAST,32,15)
	s_waitcnt lgkmcnt(0)
	v_and_b32_e32 v5, v5, v4
	v_lshrrev_b32_e32 v4, 5, v0
	v_add_nc_u32_e32 v3, v3, v5
	v_cmpx_eq_u32_e32 31, v7
; %bb.3:
	v_lshlrev_b32_e32 v5, 2, v4
	ds_write_b32 v5, v3
; %bb.4:
	s_or_b32 exec_lo, exec_lo, s6
	v_cmp_lt_u32_e64 s5, 31, v0
	s_mov_b32 s7, exec_lo
	s_waitcnt lgkmcnt(0)
	s_barrier
	buffer_gl0_inv
	v_cmpx_gt_u32_e32 32, v0
	s_cbranch_execz .LBB149_6
; %bb.5:
	ds_read_b32 v0, v1
	s_waitcnt lgkmcnt(0)
	v_mov_b32_dpp v5, v0 row_shr:1 row_mask:0xf bank_mask:0xf
	v_cndmask_b32_e64 v5, v5, 0, s0
	v_add_nc_u32_e32 v0, v5, v0
	v_mov_b32_dpp v5, v0 row_shr:2 row_mask:0xf bank_mask:0xf
	v_cndmask_b32_e64 v5, 0, v5, s1
	v_add_nc_u32_e32 v0, v0, v5
	;; [unrolled: 3-line block ×4, first 2 shown]
	ds_swizzle_b32 v5, v0 offset:swizzle(BROADCAST,32,15)
	s_waitcnt lgkmcnt(0)
	v_cndmask_b32_e64 v5, v5, 0, s4
	v_add_nc_u32_e32 v0, v0, v5
	ds_write_b32 v1, v0
.LBB149_6:
	s_or_b32 exec_lo, exec_lo, s7
	v_mov_b32_e32 v0, 0
	s_waitcnt lgkmcnt(0)
	s_barrier
	buffer_gl0_inv
	s_and_saveexec_b32 s0, s5
; %bb.7:
	v_lshl_add_u32 v0, v4, 2, -4
	ds_read_b32 v0, v0
; %bb.8:
	s_or_b32 exec_lo, exec_lo, s0
	v_add_nc_u32_e32 v4, -1, v2
	s_waitcnt lgkmcnt(0)
	v_add_nc_u32_e32 v3, v0, v3
	v_cmp_gt_i32_e64 s0, 0, v4
	v_cndmask_b32_e64 v4, v4, v2, s0
	v_lshlrev_b32_e32 v4, 2, v4
	ds_bpermute_b32 v3, v4, v3
	s_and_saveexec_b32 s0, vcc_lo
	s_cbranch_execz .LBB149_10
; %bb.9:
	v_cmp_eq_u32_e32 vcc_lo, 0, v2
	s_waitcnt lgkmcnt(0)
	v_cndmask_b32_e32 v0, v3, v0, vcc_lo
	global_store_dword v1, v0, s[8:9]
.LBB149_10:
	s_endpgm
	.section	.rodata,"a",@progbits
	.p2align	6, 0x0
	.amdhsa_kernel _ZN7rocprim17ROCPRIM_400000_NS6detail17trampoline_kernelINS0_14default_configENS1_35radix_sort_onesweep_config_selectorIiNS0_10empty_typeEEEZNS1_34radix_sort_onesweep_global_offsetsIS3_Lb0EN6thrust23THRUST_200600_302600_NS6detail15normal_iteratorINS9_10device_ptrIiEEEEPS5_jNS0_19identity_decomposerEEE10hipError_tT1_T2_PT3_SK_jT4_jjP12ihipStream_tbEUlT_E0_NS1_11comp_targetILNS1_3genE8ELNS1_11target_archE1030ELNS1_3gpuE2ELNS1_3repE0EEENS1_52radix_sort_onesweep_histogram_config_static_selectorELNS0_4arch9wavefront6targetE0EEEvSI_
		.amdhsa_group_segment_fixed_size 128
		.amdhsa_private_segment_fixed_size 0
		.amdhsa_kernarg_size 8
		.amdhsa_user_sgpr_count 6
		.amdhsa_user_sgpr_private_segment_buffer 1
		.amdhsa_user_sgpr_dispatch_ptr 0
		.amdhsa_user_sgpr_queue_ptr 0
		.amdhsa_user_sgpr_kernarg_segment_ptr 1
		.amdhsa_user_sgpr_dispatch_id 0
		.amdhsa_user_sgpr_flat_scratch_init 0
		.amdhsa_user_sgpr_private_segment_size 0
		.amdhsa_wavefront_size32 1
		.amdhsa_uses_dynamic_stack 0
		.amdhsa_system_sgpr_private_segment_wavefront_offset 0
		.amdhsa_system_sgpr_workgroup_id_x 1
		.amdhsa_system_sgpr_workgroup_id_y 0
		.amdhsa_system_sgpr_workgroup_id_z 0
		.amdhsa_system_sgpr_workgroup_info 0
		.amdhsa_system_vgpr_workitem_id 0
		.amdhsa_next_free_vgpr 8
		.amdhsa_next_free_sgpr 10
		.amdhsa_reserve_vcc 1
		.amdhsa_reserve_flat_scratch 0
		.amdhsa_float_round_mode_32 0
		.amdhsa_float_round_mode_16_64 0
		.amdhsa_float_denorm_mode_32 3
		.amdhsa_float_denorm_mode_16_64 3
		.amdhsa_dx10_clamp 1
		.amdhsa_ieee_mode 1
		.amdhsa_fp16_overflow 0
		.amdhsa_workgroup_processor_mode 1
		.amdhsa_memory_ordered 1
		.amdhsa_forward_progress 1
		.amdhsa_shared_vgpr_count 0
		.amdhsa_exception_fp_ieee_invalid_op 0
		.amdhsa_exception_fp_denorm_src 0
		.amdhsa_exception_fp_ieee_div_zero 0
		.amdhsa_exception_fp_ieee_overflow 0
		.amdhsa_exception_fp_ieee_underflow 0
		.amdhsa_exception_fp_ieee_inexact 0
		.amdhsa_exception_int_div_zero 0
	.end_amdhsa_kernel
	.section	.text._ZN7rocprim17ROCPRIM_400000_NS6detail17trampoline_kernelINS0_14default_configENS1_35radix_sort_onesweep_config_selectorIiNS0_10empty_typeEEEZNS1_34radix_sort_onesweep_global_offsetsIS3_Lb0EN6thrust23THRUST_200600_302600_NS6detail15normal_iteratorINS9_10device_ptrIiEEEEPS5_jNS0_19identity_decomposerEEE10hipError_tT1_T2_PT3_SK_jT4_jjP12ihipStream_tbEUlT_E0_NS1_11comp_targetILNS1_3genE8ELNS1_11target_archE1030ELNS1_3gpuE2ELNS1_3repE0EEENS1_52radix_sort_onesweep_histogram_config_static_selectorELNS0_4arch9wavefront6targetE0EEEvSI_,"axG",@progbits,_ZN7rocprim17ROCPRIM_400000_NS6detail17trampoline_kernelINS0_14default_configENS1_35radix_sort_onesweep_config_selectorIiNS0_10empty_typeEEEZNS1_34radix_sort_onesweep_global_offsetsIS3_Lb0EN6thrust23THRUST_200600_302600_NS6detail15normal_iteratorINS9_10device_ptrIiEEEEPS5_jNS0_19identity_decomposerEEE10hipError_tT1_T2_PT3_SK_jT4_jjP12ihipStream_tbEUlT_E0_NS1_11comp_targetILNS1_3genE8ELNS1_11target_archE1030ELNS1_3gpuE2ELNS1_3repE0EEENS1_52radix_sort_onesweep_histogram_config_static_selectorELNS0_4arch9wavefront6targetE0EEEvSI_,comdat
.Lfunc_end149:
	.size	_ZN7rocprim17ROCPRIM_400000_NS6detail17trampoline_kernelINS0_14default_configENS1_35radix_sort_onesweep_config_selectorIiNS0_10empty_typeEEEZNS1_34radix_sort_onesweep_global_offsetsIS3_Lb0EN6thrust23THRUST_200600_302600_NS6detail15normal_iteratorINS9_10device_ptrIiEEEEPS5_jNS0_19identity_decomposerEEE10hipError_tT1_T2_PT3_SK_jT4_jjP12ihipStream_tbEUlT_E0_NS1_11comp_targetILNS1_3genE8ELNS1_11target_archE1030ELNS1_3gpuE2ELNS1_3repE0EEENS1_52radix_sort_onesweep_histogram_config_static_selectorELNS0_4arch9wavefront6targetE0EEEvSI_, .Lfunc_end149-_ZN7rocprim17ROCPRIM_400000_NS6detail17trampoline_kernelINS0_14default_configENS1_35radix_sort_onesweep_config_selectorIiNS0_10empty_typeEEEZNS1_34radix_sort_onesweep_global_offsetsIS3_Lb0EN6thrust23THRUST_200600_302600_NS6detail15normal_iteratorINS9_10device_ptrIiEEEEPS5_jNS0_19identity_decomposerEEE10hipError_tT1_T2_PT3_SK_jT4_jjP12ihipStream_tbEUlT_E0_NS1_11comp_targetILNS1_3genE8ELNS1_11target_archE1030ELNS1_3gpuE2ELNS1_3repE0EEENS1_52radix_sort_onesweep_histogram_config_static_selectorELNS0_4arch9wavefront6targetE0EEEvSI_
                                        ; -- End function
	.set _ZN7rocprim17ROCPRIM_400000_NS6detail17trampoline_kernelINS0_14default_configENS1_35radix_sort_onesweep_config_selectorIiNS0_10empty_typeEEEZNS1_34radix_sort_onesweep_global_offsetsIS3_Lb0EN6thrust23THRUST_200600_302600_NS6detail15normal_iteratorINS9_10device_ptrIiEEEEPS5_jNS0_19identity_decomposerEEE10hipError_tT1_T2_PT3_SK_jT4_jjP12ihipStream_tbEUlT_E0_NS1_11comp_targetILNS1_3genE8ELNS1_11target_archE1030ELNS1_3gpuE2ELNS1_3repE0EEENS1_52radix_sort_onesweep_histogram_config_static_selectorELNS0_4arch9wavefront6targetE0EEEvSI_.num_vgpr, 8
	.set _ZN7rocprim17ROCPRIM_400000_NS6detail17trampoline_kernelINS0_14default_configENS1_35radix_sort_onesweep_config_selectorIiNS0_10empty_typeEEEZNS1_34radix_sort_onesweep_global_offsetsIS3_Lb0EN6thrust23THRUST_200600_302600_NS6detail15normal_iteratorINS9_10device_ptrIiEEEEPS5_jNS0_19identity_decomposerEEE10hipError_tT1_T2_PT3_SK_jT4_jjP12ihipStream_tbEUlT_E0_NS1_11comp_targetILNS1_3genE8ELNS1_11target_archE1030ELNS1_3gpuE2ELNS1_3repE0EEENS1_52radix_sort_onesweep_histogram_config_static_selectorELNS0_4arch9wavefront6targetE0EEEvSI_.num_agpr, 0
	.set _ZN7rocprim17ROCPRIM_400000_NS6detail17trampoline_kernelINS0_14default_configENS1_35radix_sort_onesweep_config_selectorIiNS0_10empty_typeEEEZNS1_34radix_sort_onesweep_global_offsetsIS3_Lb0EN6thrust23THRUST_200600_302600_NS6detail15normal_iteratorINS9_10device_ptrIiEEEEPS5_jNS0_19identity_decomposerEEE10hipError_tT1_T2_PT3_SK_jT4_jjP12ihipStream_tbEUlT_E0_NS1_11comp_targetILNS1_3genE8ELNS1_11target_archE1030ELNS1_3gpuE2ELNS1_3repE0EEENS1_52radix_sort_onesweep_histogram_config_static_selectorELNS0_4arch9wavefront6targetE0EEEvSI_.numbered_sgpr, 10
	.set _ZN7rocprim17ROCPRIM_400000_NS6detail17trampoline_kernelINS0_14default_configENS1_35radix_sort_onesweep_config_selectorIiNS0_10empty_typeEEEZNS1_34radix_sort_onesweep_global_offsetsIS3_Lb0EN6thrust23THRUST_200600_302600_NS6detail15normal_iteratorINS9_10device_ptrIiEEEEPS5_jNS0_19identity_decomposerEEE10hipError_tT1_T2_PT3_SK_jT4_jjP12ihipStream_tbEUlT_E0_NS1_11comp_targetILNS1_3genE8ELNS1_11target_archE1030ELNS1_3gpuE2ELNS1_3repE0EEENS1_52radix_sort_onesweep_histogram_config_static_selectorELNS0_4arch9wavefront6targetE0EEEvSI_.num_named_barrier, 0
	.set _ZN7rocprim17ROCPRIM_400000_NS6detail17trampoline_kernelINS0_14default_configENS1_35radix_sort_onesweep_config_selectorIiNS0_10empty_typeEEEZNS1_34radix_sort_onesweep_global_offsetsIS3_Lb0EN6thrust23THRUST_200600_302600_NS6detail15normal_iteratorINS9_10device_ptrIiEEEEPS5_jNS0_19identity_decomposerEEE10hipError_tT1_T2_PT3_SK_jT4_jjP12ihipStream_tbEUlT_E0_NS1_11comp_targetILNS1_3genE8ELNS1_11target_archE1030ELNS1_3gpuE2ELNS1_3repE0EEENS1_52radix_sort_onesweep_histogram_config_static_selectorELNS0_4arch9wavefront6targetE0EEEvSI_.private_seg_size, 0
	.set _ZN7rocprim17ROCPRIM_400000_NS6detail17trampoline_kernelINS0_14default_configENS1_35radix_sort_onesweep_config_selectorIiNS0_10empty_typeEEEZNS1_34radix_sort_onesweep_global_offsetsIS3_Lb0EN6thrust23THRUST_200600_302600_NS6detail15normal_iteratorINS9_10device_ptrIiEEEEPS5_jNS0_19identity_decomposerEEE10hipError_tT1_T2_PT3_SK_jT4_jjP12ihipStream_tbEUlT_E0_NS1_11comp_targetILNS1_3genE8ELNS1_11target_archE1030ELNS1_3gpuE2ELNS1_3repE0EEENS1_52radix_sort_onesweep_histogram_config_static_selectorELNS0_4arch9wavefront6targetE0EEEvSI_.uses_vcc, 1
	.set _ZN7rocprim17ROCPRIM_400000_NS6detail17trampoline_kernelINS0_14default_configENS1_35radix_sort_onesweep_config_selectorIiNS0_10empty_typeEEEZNS1_34radix_sort_onesweep_global_offsetsIS3_Lb0EN6thrust23THRUST_200600_302600_NS6detail15normal_iteratorINS9_10device_ptrIiEEEEPS5_jNS0_19identity_decomposerEEE10hipError_tT1_T2_PT3_SK_jT4_jjP12ihipStream_tbEUlT_E0_NS1_11comp_targetILNS1_3genE8ELNS1_11target_archE1030ELNS1_3gpuE2ELNS1_3repE0EEENS1_52radix_sort_onesweep_histogram_config_static_selectorELNS0_4arch9wavefront6targetE0EEEvSI_.uses_flat_scratch, 0
	.set _ZN7rocprim17ROCPRIM_400000_NS6detail17trampoline_kernelINS0_14default_configENS1_35radix_sort_onesweep_config_selectorIiNS0_10empty_typeEEEZNS1_34radix_sort_onesweep_global_offsetsIS3_Lb0EN6thrust23THRUST_200600_302600_NS6detail15normal_iteratorINS9_10device_ptrIiEEEEPS5_jNS0_19identity_decomposerEEE10hipError_tT1_T2_PT3_SK_jT4_jjP12ihipStream_tbEUlT_E0_NS1_11comp_targetILNS1_3genE8ELNS1_11target_archE1030ELNS1_3gpuE2ELNS1_3repE0EEENS1_52radix_sort_onesweep_histogram_config_static_selectorELNS0_4arch9wavefront6targetE0EEEvSI_.has_dyn_sized_stack, 0
	.set _ZN7rocprim17ROCPRIM_400000_NS6detail17trampoline_kernelINS0_14default_configENS1_35radix_sort_onesweep_config_selectorIiNS0_10empty_typeEEEZNS1_34radix_sort_onesweep_global_offsetsIS3_Lb0EN6thrust23THRUST_200600_302600_NS6detail15normal_iteratorINS9_10device_ptrIiEEEEPS5_jNS0_19identity_decomposerEEE10hipError_tT1_T2_PT3_SK_jT4_jjP12ihipStream_tbEUlT_E0_NS1_11comp_targetILNS1_3genE8ELNS1_11target_archE1030ELNS1_3gpuE2ELNS1_3repE0EEENS1_52radix_sort_onesweep_histogram_config_static_selectorELNS0_4arch9wavefront6targetE0EEEvSI_.has_recursion, 0
	.set _ZN7rocprim17ROCPRIM_400000_NS6detail17trampoline_kernelINS0_14default_configENS1_35radix_sort_onesweep_config_selectorIiNS0_10empty_typeEEEZNS1_34radix_sort_onesweep_global_offsetsIS3_Lb0EN6thrust23THRUST_200600_302600_NS6detail15normal_iteratorINS9_10device_ptrIiEEEEPS5_jNS0_19identity_decomposerEEE10hipError_tT1_T2_PT3_SK_jT4_jjP12ihipStream_tbEUlT_E0_NS1_11comp_targetILNS1_3genE8ELNS1_11target_archE1030ELNS1_3gpuE2ELNS1_3repE0EEENS1_52radix_sort_onesweep_histogram_config_static_selectorELNS0_4arch9wavefront6targetE0EEEvSI_.has_indirect_call, 0
	.section	.AMDGPU.csdata,"",@progbits
; Kernel info:
; codeLenInByte = 544
; TotalNumSgprs: 12
; NumVgprs: 8
; ScratchSize: 0
; MemoryBound: 0
; FloatMode: 240
; IeeeMode: 1
; LDSByteSize: 128 bytes/workgroup (compile time only)
; SGPRBlocks: 0
; VGPRBlocks: 0
; NumSGPRsForWavesPerEU: 12
; NumVGPRsForWavesPerEU: 8
; Occupancy: 16
; WaveLimiterHint : 0
; COMPUTE_PGM_RSRC2:SCRATCH_EN: 0
; COMPUTE_PGM_RSRC2:USER_SGPR: 6
; COMPUTE_PGM_RSRC2:TRAP_HANDLER: 0
; COMPUTE_PGM_RSRC2:TGID_X_EN: 1
; COMPUTE_PGM_RSRC2:TGID_Y_EN: 0
; COMPUTE_PGM_RSRC2:TGID_Z_EN: 0
; COMPUTE_PGM_RSRC2:TIDIG_COMP_CNT: 0
	.section	.text._ZN7rocprim17ROCPRIM_400000_NS6detail17trampoline_kernelINS0_14default_configENS1_25transform_config_selectorIiLb0EEEZNS1_14transform_implILb0ES3_S5_N6thrust23THRUST_200600_302600_NS6detail15normal_iteratorINS8_10device_ptrIiEEEEPiNS0_8identityIiEEEE10hipError_tT2_T3_mT4_P12ihipStream_tbEUlT_E_NS1_11comp_targetILNS1_3genE0ELNS1_11target_archE4294967295ELNS1_3gpuE0ELNS1_3repE0EEENS1_30default_config_static_selectorELNS0_4arch9wavefront6targetE0EEEvT1_,"axG",@progbits,_ZN7rocprim17ROCPRIM_400000_NS6detail17trampoline_kernelINS0_14default_configENS1_25transform_config_selectorIiLb0EEEZNS1_14transform_implILb0ES3_S5_N6thrust23THRUST_200600_302600_NS6detail15normal_iteratorINS8_10device_ptrIiEEEEPiNS0_8identityIiEEEE10hipError_tT2_T3_mT4_P12ihipStream_tbEUlT_E_NS1_11comp_targetILNS1_3genE0ELNS1_11target_archE4294967295ELNS1_3gpuE0ELNS1_3repE0EEENS1_30default_config_static_selectorELNS0_4arch9wavefront6targetE0EEEvT1_,comdat
	.protected	_ZN7rocprim17ROCPRIM_400000_NS6detail17trampoline_kernelINS0_14default_configENS1_25transform_config_selectorIiLb0EEEZNS1_14transform_implILb0ES3_S5_N6thrust23THRUST_200600_302600_NS6detail15normal_iteratorINS8_10device_ptrIiEEEEPiNS0_8identityIiEEEE10hipError_tT2_T3_mT4_P12ihipStream_tbEUlT_E_NS1_11comp_targetILNS1_3genE0ELNS1_11target_archE4294967295ELNS1_3gpuE0ELNS1_3repE0EEENS1_30default_config_static_selectorELNS0_4arch9wavefront6targetE0EEEvT1_ ; -- Begin function _ZN7rocprim17ROCPRIM_400000_NS6detail17trampoline_kernelINS0_14default_configENS1_25transform_config_selectorIiLb0EEEZNS1_14transform_implILb0ES3_S5_N6thrust23THRUST_200600_302600_NS6detail15normal_iteratorINS8_10device_ptrIiEEEEPiNS0_8identityIiEEEE10hipError_tT2_T3_mT4_P12ihipStream_tbEUlT_E_NS1_11comp_targetILNS1_3genE0ELNS1_11target_archE4294967295ELNS1_3gpuE0ELNS1_3repE0EEENS1_30default_config_static_selectorELNS0_4arch9wavefront6targetE0EEEvT1_
	.globl	_ZN7rocprim17ROCPRIM_400000_NS6detail17trampoline_kernelINS0_14default_configENS1_25transform_config_selectorIiLb0EEEZNS1_14transform_implILb0ES3_S5_N6thrust23THRUST_200600_302600_NS6detail15normal_iteratorINS8_10device_ptrIiEEEEPiNS0_8identityIiEEEE10hipError_tT2_T3_mT4_P12ihipStream_tbEUlT_E_NS1_11comp_targetILNS1_3genE0ELNS1_11target_archE4294967295ELNS1_3gpuE0ELNS1_3repE0EEENS1_30default_config_static_selectorELNS0_4arch9wavefront6targetE0EEEvT1_
	.p2align	8
	.type	_ZN7rocprim17ROCPRIM_400000_NS6detail17trampoline_kernelINS0_14default_configENS1_25transform_config_selectorIiLb0EEEZNS1_14transform_implILb0ES3_S5_N6thrust23THRUST_200600_302600_NS6detail15normal_iteratorINS8_10device_ptrIiEEEEPiNS0_8identityIiEEEE10hipError_tT2_T3_mT4_P12ihipStream_tbEUlT_E_NS1_11comp_targetILNS1_3genE0ELNS1_11target_archE4294967295ELNS1_3gpuE0ELNS1_3repE0EEENS1_30default_config_static_selectorELNS0_4arch9wavefront6targetE0EEEvT1_,@function
_ZN7rocprim17ROCPRIM_400000_NS6detail17trampoline_kernelINS0_14default_configENS1_25transform_config_selectorIiLb0EEEZNS1_14transform_implILb0ES3_S5_N6thrust23THRUST_200600_302600_NS6detail15normal_iteratorINS8_10device_ptrIiEEEEPiNS0_8identityIiEEEE10hipError_tT2_T3_mT4_P12ihipStream_tbEUlT_E_NS1_11comp_targetILNS1_3genE0ELNS1_11target_archE4294967295ELNS1_3gpuE0ELNS1_3repE0EEENS1_30default_config_static_selectorELNS0_4arch9wavefront6targetE0EEEvT1_: ; @_ZN7rocprim17ROCPRIM_400000_NS6detail17trampoline_kernelINS0_14default_configENS1_25transform_config_selectorIiLb0EEEZNS1_14transform_implILb0ES3_S5_N6thrust23THRUST_200600_302600_NS6detail15normal_iteratorINS8_10device_ptrIiEEEEPiNS0_8identityIiEEEE10hipError_tT2_T3_mT4_P12ihipStream_tbEUlT_E_NS1_11comp_targetILNS1_3genE0ELNS1_11target_archE4294967295ELNS1_3gpuE0ELNS1_3repE0EEENS1_30default_config_static_selectorELNS0_4arch9wavefront6targetE0EEEvT1_
; %bb.0:
	.section	.rodata,"a",@progbits
	.p2align	6, 0x0
	.amdhsa_kernel _ZN7rocprim17ROCPRIM_400000_NS6detail17trampoline_kernelINS0_14default_configENS1_25transform_config_selectorIiLb0EEEZNS1_14transform_implILb0ES3_S5_N6thrust23THRUST_200600_302600_NS6detail15normal_iteratorINS8_10device_ptrIiEEEEPiNS0_8identityIiEEEE10hipError_tT2_T3_mT4_P12ihipStream_tbEUlT_E_NS1_11comp_targetILNS1_3genE0ELNS1_11target_archE4294967295ELNS1_3gpuE0ELNS1_3repE0EEENS1_30default_config_static_selectorELNS0_4arch9wavefront6targetE0EEEvT1_
		.amdhsa_group_segment_fixed_size 0
		.amdhsa_private_segment_fixed_size 0
		.amdhsa_kernarg_size 40
		.amdhsa_user_sgpr_count 6
		.amdhsa_user_sgpr_private_segment_buffer 1
		.amdhsa_user_sgpr_dispatch_ptr 0
		.amdhsa_user_sgpr_queue_ptr 0
		.amdhsa_user_sgpr_kernarg_segment_ptr 1
		.amdhsa_user_sgpr_dispatch_id 0
		.amdhsa_user_sgpr_flat_scratch_init 0
		.amdhsa_user_sgpr_private_segment_size 0
		.amdhsa_wavefront_size32 1
		.amdhsa_uses_dynamic_stack 0
		.amdhsa_system_sgpr_private_segment_wavefront_offset 0
		.amdhsa_system_sgpr_workgroup_id_x 1
		.amdhsa_system_sgpr_workgroup_id_y 0
		.amdhsa_system_sgpr_workgroup_id_z 0
		.amdhsa_system_sgpr_workgroup_info 0
		.amdhsa_system_vgpr_workitem_id 0
		.amdhsa_next_free_vgpr 1
		.amdhsa_next_free_sgpr 1
		.amdhsa_reserve_vcc 0
		.amdhsa_reserve_flat_scratch 0
		.amdhsa_float_round_mode_32 0
		.amdhsa_float_round_mode_16_64 0
		.amdhsa_float_denorm_mode_32 3
		.amdhsa_float_denorm_mode_16_64 3
		.amdhsa_dx10_clamp 1
		.amdhsa_ieee_mode 1
		.amdhsa_fp16_overflow 0
		.amdhsa_workgroup_processor_mode 1
		.amdhsa_memory_ordered 1
		.amdhsa_forward_progress 1
		.amdhsa_shared_vgpr_count 0
		.amdhsa_exception_fp_ieee_invalid_op 0
		.amdhsa_exception_fp_denorm_src 0
		.amdhsa_exception_fp_ieee_div_zero 0
		.amdhsa_exception_fp_ieee_overflow 0
		.amdhsa_exception_fp_ieee_underflow 0
		.amdhsa_exception_fp_ieee_inexact 0
		.amdhsa_exception_int_div_zero 0
	.end_amdhsa_kernel
	.section	.text._ZN7rocprim17ROCPRIM_400000_NS6detail17trampoline_kernelINS0_14default_configENS1_25transform_config_selectorIiLb0EEEZNS1_14transform_implILb0ES3_S5_N6thrust23THRUST_200600_302600_NS6detail15normal_iteratorINS8_10device_ptrIiEEEEPiNS0_8identityIiEEEE10hipError_tT2_T3_mT4_P12ihipStream_tbEUlT_E_NS1_11comp_targetILNS1_3genE0ELNS1_11target_archE4294967295ELNS1_3gpuE0ELNS1_3repE0EEENS1_30default_config_static_selectorELNS0_4arch9wavefront6targetE0EEEvT1_,"axG",@progbits,_ZN7rocprim17ROCPRIM_400000_NS6detail17trampoline_kernelINS0_14default_configENS1_25transform_config_selectorIiLb0EEEZNS1_14transform_implILb0ES3_S5_N6thrust23THRUST_200600_302600_NS6detail15normal_iteratorINS8_10device_ptrIiEEEEPiNS0_8identityIiEEEE10hipError_tT2_T3_mT4_P12ihipStream_tbEUlT_E_NS1_11comp_targetILNS1_3genE0ELNS1_11target_archE4294967295ELNS1_3gpuE0ELNS1_3repE0EEENS1_30default_config_static_selectorELNS0_4arch9wavefront6targetE0EEEvT1_,comdat
.Lfunc_end150:
	.size	_ZN7rocprim17ROCPRIM_400000_NS6detail17trampoline_kernelINS0_14default_configENS1_25transform_config_selectorIiLb0EEEZNS1_14transform_implILb0ES3_S5_N6thrust23THRUST_200600_302600_NS6detail15normal_iteratorINS8_10device_ptrIiEEEEPiNS0_8identityIiEEEE10hipError_tT2_T3_mT4_P12ihipStream_tbEUlT_E_NS1_11comp_targetILNS1_3genE0ELNS1_11target_archE4294967295ELNS1_3gpuE0ELNS1_3repE0EEENS1_30default_config_static_selectorELNS0_4arch9wavefront6targetE0EEEvT1_, .Lfunc_end150-_ZN7rocprim17ROCPRIM_400000_NS6detail17trampoline_kernelINS0_14default_configENS1_25transform_config_selectorIiLb0EEEZNS1_14transform_implILb0ES3_S5_N6thrust23THRUST_200600_302600_NS6detail15normal_iteratorINS8_10device_ptrIiEEEEPiNS0_8identityIiEEEE10hipError_tT2_T3_mT4_P12ihipStream_tbEUlT_E_NS1_11comp_targetILNS1_3genE0ELNS1_11target_archE4294967295ELNS1_3gpuE0ELNS1_3repE0EEENS1_30default_config_static_selectorELNS0_4arch9wavefront6targetE0EEEvT1_
                                        ; -- End function
	.set _ZN7rocprim17ROCPRIM_400000_NS6detail17trampoline_kernelINS0_14default_configENS1_25transform_config_selectorIiLb0EEEZNS1_14transform_implILb0ES3_S5_N6thrust23THRUST_200600_302600_NS6detail15normal_iteratorINS8_10device_ptrIiEEEEPiNS0_8identityIiEEEE10hipError_tT2_T3_mT4_P12ihipStream_tbEUlT_E_NS1_11comp_targetILNS1_3genE0ELNS1_11target_archE4294967295ELNS1_3gpuE0ELNS1_3repE0EEENS1_30default_config_static_selectorELNS0_4arch9wavefront6targetE0EEEvT1_.num_vgpr, 0
	.set _ZN7rocprim17ROCPRIM_400000_NS6detail17trampoline_kernelINS0_14default_configENS1_25transform_config_selectorIiLb0EEEZNS1_14transform_implILb0ES3_S5_N6thrust23THRUST_200600_302600_NS6detail15normal_iteratorINS8_10device_ptrIiEEEEPiNS0_8identityIiEEEE10hipError_tT2_T3_mT4_P12ihipStream_tbEUlT_E_NS1_11comp_targetILNS1_3genE0ELNS1_11target_archE4294967295ELNS1_3gpuE0ELNS1_3repE0EEENS1_30default_config_static_selectorELNS0_4arch9wavefront6targetE0EEEvT1_.num_agpr, 0
	.set _ZN7rocprim17ROCPRIM_400000_NS6detail17trampoline_kernelINS0_14default_configENS1_25transform_config_selectorIiLb0EEEZNS1_14transform_implILb0ES3_S5_N6thrust23THRUST_200600_302600_NS6detail15normal_iteratorINS8_10device_ptrIiEEEEPiNS0_8identityIiEEEE10hipError_tT2_T3_mT4_P12ihipStream_tbEUlT_E_NS1_11comp_targetILNS1_3genE0ELNS1_11target_archE4294967295ELNS1_3gpuE0ELNS1_3repE0EEENS1_30default_config_static_selectorELNS0_4arch9wavefront6targetE0EEEvT1_.numbered_sgpr, 0
	.set _ZN7rocprim17ROCPRIM_400000_NS6detail17trampoline_kernelINS0_14default_configENS1_25transform_config_selectorIiLb0EEEZNS1_14transform_implILb0ES3_S5_N6thrust23THRUST_200600_302600_NS6detail15normal_iteratorINS8_10device_ptrIiEEEEPiNS0_8identityIiEEEE10hipError_tT2_T3_mT4_P12ihipStream_tbEUlT_E_NS1_11comp_targetILNS1_3genE0ELNS1_11target_archE4294967295ELNS1_3gpuE0ELNS1_3repE0EEENS1_30default_config_static_selectorELNS0_4arch9wavefront6targetE0EEEvT1_.num_named_barrier, 0
	.set _ZN7rocprim17ROCPRIM_400000_NS6detail17trampoline_kernelINS0_14default_configENS1_25transform_config_selectorIiLb0EEEZNS1_14transform_implILb0ES3_S5_N6thrust23THRUST_200600_302600_NS6detail15normal_iteratorINS8_10device_ptrIiEEEEPiNS0_8identityIiEEEE10hipError_tT2_T3_mT4_P12ihipStream_tbEUlT_E_NS1_11comp_targetILNS1_3genE0ELNS1_11target_archE4294967295ELNS1_3gpuE0ELNS1_3repE0EEENS1_30default_config_static_selectorELNS0_4arch9wavefront6targetE0EEEvT1_.private_seg_size, 0
	.set _ZN7rocprim17ROCPRIM_400000_NS6detail17trampoline_kernelINS0_14default_configENS1_25transform_config_selectorIiLb0EEEZNS1_14transform_implILb0ES3_S5_N6thrust23THRUST_200600_302600_NS6detail15normal_iteratorINS8_10device_ptrIiEEEEPiNS0_8identityIiEEEE10hipError_tT2_T3_mT4_P12ihipStream_tbEUlT_E_NS1_11comp_targetILNS1_3genE0ELNS1_11target_archE4294967295ELNS1_3gpuE0ELNS1_3repE0EEENS1_30default_config_static_selectorELNS0_4arch9wavefront6targetE0EEEvT1_.uses_vcc, 0
	.set _ZN7rocprim17ROCPRIM_400000_NS6detail17trampoline_kernelINS0_14default_configENS1_25transform_config_selectorIiLb0EEEZNS1_14transform_implILb0ES3_S5_N6thrust23THRUST_200600_302600_NS6detail15normal_iteratorINS8_10device_ptrIiEEEEPiNS0_8identityIiEEEE10hipError_tT2_T3_mT4_P12ihipStream_tbEUlT_E_NS1_11comp_targetILNS1_3genE0ELNS1_11target_archE4294967295ELNS1_3gpuE0ELNS1_3repE0EEENS1_30default_config_static_selectorELNS0_4arch9wavefront6targetE0EEEvT1_.uses_flat_scratch, 0
	.set _ZN7rocprim17ROCPRIM_400000_NS6detail17trampoline_kernelINS0_14default_configENS1_25transform_config_selectorIiLb0EEEZNS1_14transform_implILb0ES3_S5_N6thrust23THRUST_200600_302600_NS6detail15normal_iteratorINS8_10device_ptrIiEEEEPiNS0_8identityIiEEEE10hipError_tT2_T3_mT4_P12ihipStream_tbEUlT_E_NS1_11comp_targetILNS1_3genE0ELNS1_11target_archE4294967295ELNS1_3gpuE0ELNS1_3repE0EEENS1_30default_config_static_selectorELNS0_4arch9wavefront6targetE0EEEvT1_.has_dyn_sized_stack, 0
	.set _ZN7rocprim17ROCPRIM_400000_NS6detail17trampoline_kernelINS0_14default_configENS1_25transform_config_selectorIiLb0EEEZNS1_14transform_implILb0ES3_S5_N6thrust23THRUST_200600_302600_NS6detail15normal_iteratorINS8_10device_ptrIiEEEEPiNS0_8identityIiEEEE10hipError_tT2_T3_mT4_P12ihipStream_tbEUlT_E_NS1_11comp_targetILNS1_3genE0ELNS1_11target_archE4294967295ELNS1_3gpuE0ELNS1_3repE0EEENS1_30default_config_static_selectorELNS0_4arch9wavefront6targetE0EEEvT1_.has_recursion, 0
	.set _ZN7rocprim17ROCPRIM_400000_NS6detail17trampoline_kernelINS0_14default_configENS1_25transform_config_selectorIiLb0EEEZNS1_14transform_implILb0ES3_S5_N6thrust23THRUST_200600_302600_NS6detail15normal_iteratorINS8_10device_ptrIiEEEEPiNS0_8identityIiEEEE10hipError_tT2_T3_mT4_P12ihipStream_tbEUlT_E_NS1_11comp_targetILNS1_3genE0ELNS1_11target_archE4294967295ELNS1_3gpuE0ELNS1_3repE0EEENS1_30default_config_static_selectorELNS0_4arch9wavefront6targetE0EEEvT1_.has_indirect_call, 0
	.section	.AMDGPU.csdata,"",@progbits
; Kernel info:
; codeLenInByte = 0
; TotalNumSgprs: 0
; NumVgprs: 0
; ScratchSize: 0
; MemoryBound: 0
; FloatMode: 240
; IeeeMode: 1
; LDSByteSize: 0 bytes/workgroup (compile time only)
; SGPRBlocks: 0
; VGPRBlocks: 0
; NumSGPRsForWavesPerEU: 1
; NumVGPRsForWavesPerEU: 1
; Occupancy: 16
; WaveLimiterHint : 0
; COMPUTE_PGM_RSRC2:SCRATCH_EN: 0
; COMPUTE_PGM_RSRC2:USER_SGPR: 6
; COMPUTE_PGM_RSRC2:TRAP_HANDLER: 0
; COMPUTE_PGM_RSRC2:TGID_X_EN: 1
; COMPUTE_PGM_RSRC2:TGID_Y_EN: 0
; COMPUTE_PGM_RSRC2:TGID_Z_EN: 0
; COMPUTE_PGM_RSRC2:TIDIG_COMP_CNT: 0
	.section	.text._ZN7rocprim17ROCPRIM_400000_NS6detail17trampoline_kernelINS0_14default_configENS1_25transform_config_selectorIiLb0EEEZNS1_14transform_implILb0ES3_S5_N6thrust23THRUST_200600_302600_NS6detail15normal_iteratorINS8_10device_ptrIiEEEEPiNS0_8identityIiEEEE10hipError_tT2_T3_mT4_P12ihipStream_tbEUlT_E_NS1_11comp_targetILNS1_3genE5ELNS1_11target_archE942ELNS1_3gpuE9ELNS1_3repE0EEENS1_30default_config_static_selectorELNS0_4arch9wavefront6targetE0EEEvT1_,"axG",@progbits,_ZN7rocprim17ROCPRIM_400000_NS6detail17trampoline_kernelINS0_14default_configENS1_25transform_config_selectorIiLb0EEEZNS1_14transform_implILb0ES3_S5_N6thrust23THRUST_200600_302600_NS6detail15normal_iteratorINS8_10device_ptrIiEEEEPiNS0_8identityIiEEEE10hipError_tT2_T3_mT4_P12ihipStream_tbEUlT_E_NS1_11comp_targetILNS1_3genE5ELNS1_11target_archE942ELNS1_3gpuE9ELNS1_3repE0EEENS1_30default_config_static_selectorELNS0_4arch9wavefront6targetE0EEEvT1_,comdat
	.protected	_ZN7rocprim17ROCPRIM_400000_NS6detail17trampoline_kernelINS0_14default_configENS1_25transform_config_selectorIiLb0EEEZNS1_14transform_implILb0ES3_S5_N6thrust23THRUST_200600_302600_NS6detail15normal_iteratorINS8_10device_ptrIiEEEEPiNS0_8identityIiEEEE10hipError_tT2_T3_mT4_P12ihipStream_tbEUlT_E_NS1_11comp_targetILNS1_3genE5ELNS1_11target_archE942ELNS1_3gpuE9ELNS1_3repE0EEENS1_30default_config_static_selectorELNS0_4arch9wavefront6targetE0EEEvT1_ ; -- Begin function _ZN7rocprim17ROCPRIM_400000_NS6detail17trampoline_kernelINS0_14default_configENS1_25transform_config_selectorIiLb0EEEZNS1_14transform_implILb0ES3_S5_N6thrust23THRUST_200600_302600_NS6detail15normal_iteratorINS8_10device_ptrIiEEEEPiNS0_8identityIiEEEE10hipError_tT2_T3_mT4_P12ihipStream_tbEUlT_E_NS1_11comp_targetILNS1_3genE5ELNS1_11target_archE942ELNS1_3gpuE9ELNS1_3repE0EEENS1_30default_config_static_selectorELNS0_4arch9wavefront6targetE0EEEvT1_
	.globl	_ZN7rocprim17ROCPRIM_400000_NS6detail17trampoline_kernelINS0_14default_configENS1_25transform_config_selectorIiLb0EEEZNS1_14transform_implILb0ES3_S5_N6thrust23THRUST_200600_302600_NS6detail15normal_iteratorINS8_10device_ptrIiEEEEPiNS0_8identityIiEEEE10hipError_tT2_T3_mT4_P12ihipStream_tbEUlT_E_NS1_11comp_targetILNS1_3genE5ELNS1_11target_archE942ELNS1_3gpuE9ELNS1_3repE0EEENS1_30default_config_static_selectorELNS0_4arch9wavefront6targetE0EEEvT1_
	.p2align	8
	.type	_ZN7rocprim17ROCPRIM_400000_NS6detail17trampoline_kernelINS0_14default_configENS1_25transform_config_selectorIiLb0EEEZNS1_14transform_implILb0ES3_S5_N6thrust23THRUST_200600_302600_NS6detail15normal_iteratorINS8_10device_ptrIiEEEEPiNS0_8identityIiEEEE10hipError_tT2_T3_mT4_P12ihipStream_tbEUlT_E_NS1_11comp_targetILNS1_3genE5ELNS1_11target_archE942ELNS1_3gpuE9ELNS1_3repE0EEENS1_30default_config_static_selectorELNS0_4arch9wavefront6targetE0EEEvT1_,@function
_ZN7rocprim17ROCPRIM_400000_NS6detail17trampoline_kernelINS0_14default_configENS1_25transform_config_selectorIiLb0EEEZNS1_14transform_implILb0ES3_S5_N6thrust23THRUST_200600_302600_NS6detail15normal_iteratorINS8_10device_ptrIiEEEEPiNS0_8identityIiEEEE10hipError_tT2_T3_mT4_P12ihipStream_tbEUlT_E_NS1_11comp_targetILNS1_3genE5ELNS1_11target_archE942ELNS1_3gpuE9ELNS1_3repE0EEENS1_30default_config_static_selectorELNS0_4arch9wavefront6targetE0EEEvT1_: ; @_ZN7rocprim17ROCPRIM_400000_NS6detail17trampoline_kernelINS0_14default_configENS1_25transform_config_selectorIiLb0EEEZNS1_14transform_implILb0ES3_S5_N6thrust23THRUST_200600_302600_NS6detail15normal_iteratorINS8_10device_ptrIiEEEEPiNS0_8identityIiEEEE10hipError_tT2_T3_mT4_P12ihipStream_tbEUlT_E_NS1_11comp_targetILNS1_3genE5ELNS1_11target_archE942ELNS1_3gpuE9ELNS1_3repE0EEENS1_30default_config_static_selectorELNS0_4arch9wavefront6targetE0EEEvT1_
; %bb.0:
	.section	.rodata,"a",@progbits
	.p2align	6, 0x0
	.amdhsa_kernel _ZN7rocprim17ROCPRIM_400000_NS6detail17trampoline_kernelINS0_14default_configENS1_25transform_config_selectorIiLb0EEEZNS1_14transform_implILb0ES3_S5_N6thrust23THRUST_200600_302600_NS6detail15normal_iteratorINS8_10device_ptrIiEEEEPiNS0_8identityIiEEEE10hipError_tT2_T3_mT4_P12ihipStream_tbEUlT_E_NS1_11comp_targetILNS1_3genE5ELNS1_11target_archE942ELNS1_3gpuE9ELNS1_3repE0EEENS1_30default_config_static_selectorELNS0_4arch9wavefront6targetE0EEEvT1_
		.amdhsa_group_segment_fixed_size 0
		.amdhsa_private_segment_fixed_size 0
		.amdhsa_kernarg_size 40
		.amdhsa_user_sgpr_count 6
		.amdhsa_user_sgpr_private_segment_buffer 1
		.amdhsa_user_sgpr_dispatch_ptr 0
		.amdhsa_user_sgpr_queue_ptr 0
		.amdhsa_user_sgpr_kernarg_segment_ptr 1
		.amdhsa_user_sgpr_dispatch_id 0
		.amdhsa_user_sgpr_flat_scratch_init 0
		.amdhsa_user_sgpr_private_segment_size 0
		.amdhsa_wavefront_size32 1
		.amdhsa_uses_dynamic_stack 0
		.amdhsa_system_sgpr_private_segment_wavefront_offset 0
		.amdhsa_system_sgpr_workgroup_id_x 1
		.amdhsa_system_sgpr_workgroup_id_y 0
		.amdhsa_system_sgpr_workgroup_id_z 0
		.amdhsa_system_sgpr_workgroup_info 0
		.amdhsa_system_vgpr_workitem_id 0
		.amdhsa_next_free_vgpr 1
		.amdhsa_next_free_sgpr 1
		.amdhsa_reserve_vcc 0
		.amdhsa_reserve_flat_scratch 0
		.amdhsa_float_round_mode_32 0
		.amdhsa_float_round_mode_16_64 0
		.amdhsa_float_denorm_mode_32 3
		.amdhsa_float_denorm_mode_16_64 3
		.amdhsa_dx10_clamp 1
		.amdhsa_ieee_mode 1
		.amdhsa_fp16_overflow 0
		.amdhsa_workgroup_processor_mode 1
		.amdhsa_memory_ordered 1
		.amdhsa_forward_progress 1
		.amdhsa_shared_vgpr_count 0
		.amdhsa_exception_fp_ieee_invalid_op 0
		.amdhsa_exception_fp_denorm_src 0
		.amdhsa_exception_fp_ieee_div_zero 0
		.amdhsa_exception_fp_ieee_overflow 0
		.amdhsa_exception_fp_ieee_underflow 0
		.amdhsa_exception_fp_ieee_inexact 0
		.amdhsa_exception_int_div_zero 0
	.end_amdhsa_kernel
	.section	.text._ZN7rocprim17ROCPRIM_400000_NS6detail17trampoline_kernelINS0_14default_configENS1_25transform_config_selectorIiLb0EEEZNS1_14transform_implILb0ES3_S5_N6thrust23THRUST_200600_302600_NS6detail15normal_iteratorINS8_10device_ptrIiEEEEPiNS0_8identityIiEEEE10hipError_tT2_T3_mT4_P12ihipStream_tbEUlT_E_NS1_11comp_targetILNS1_3genE5ELNS1_11target_archE942ELNS1_3gpuE9ELNS1_3repE0EEENS1_30default_config_static_selectorELNS0_4arch9wavefront6targetE0EEEvT1_,"axG",@progbits,_ZN7rocprim17ROCPRIM_400000_NS6detail17trampoline_kernelINS0_14default_configENS1_25transform_config_selectorIiLb0EEEZNS1_14transform_implILb0ES3_S5_N6thrust23THRUST_200600_302600_NS6detail15normal_iteratorINS8_10device_ptrIiEEEEPiNS0_8identityIiEEEE10hipError_tT2_T3_mT4_P12ihipStream_tbEUlT_E_NS1_11comp_targetILNS1_3genE5ELNS1_11target_archE942ELNS1_3gpuE9ELNS1_3repE0EEENS1_30default_config_static_selectorELNS0_4arch9wavefront6targetE0EEEvT1_,comdat
.Lfunc_end151:
	.size	_ZN7rocprim17ROCPRIM_400000_NS6detail17trampoline_kernelINS0_14default_configENS1_25transform_config_selectorIiLb0EEEZNS1_14transform_implILb0ES3_S5_N6thrust23THRUST_200600_302600_NS6detail15normal_iteratorINS8_10device_ptrIiEEEEPiNS0_8identityIiEEEE10hipError_tT2_T3_mT4_P12ihipStream_tbEUlT_E_NS1_11comp_targetILNS1_3genE5ELNS1_11target_archE942ELNS1_3gpuE9ELNS1_3repE0EEENS1_30default_config_static_selectorELNS0_4arch9wavefront6targetE0EEEvT1_, .Lfunc_end151-_ZN7rocprim17ROCPRIM_400000_NS6detail17trampoline_kernelINS0_14default_configENS1_25transform_config_selectorIiLb0EEEZNS1_14transform_implILb0ES3_S5_N6thrust23THRUST_200600_302600_NS6detail15normal_iteratorINS8_10device_ptrIiEEEEPiNS0_8identityIiEEEE10hipError_tT2_T3_mT4_P12ihipStream_tbEUlT_E_NS1_11comp_targetILNS1_3genE5ELNS1_11target_archE942ELNS1_3gpuE9ELNS1_3repE0EEENS1_30default_config_static_selectorELNS0_4arch9wavefront6targetE0EEEvT1_
                                        ; -- End function
	.set _ZN7rocprim17ROCPRIM_400000_NS6detail17trampoline_kernelINS0_14default_configENS1_25transform_config_selectorIiLb0EEEZNS1_14transform_implILb0ES3_S5_N6thrust23THRUST_200600_302600_NS6detail15normal_iteratorINS8_10device_ptrIiEEEEPiNS0_8identityIiEEEE10hipError_tT2_T3_mT4_P12ihipStream_tbEUlT_E_NS1_11comp_targetILNS1_3genE5ELNS1_11target_archE942ELNS1_3gpuE9ELNS1_3repE0EEENS1_30default_config_static_selectorELNS0_4arch9wavefront6targetE0EEEvT1_.num_vgpr, 0
	.set _ZN7rocprim17ROCPRIM_400000_NS6detail17trampoline_kernelINS0_14default_configENS1_25transform_config_selectorIiLb0EEEZNS1_14transform_implILb0ES3_S5_N6thrust23THRUST_200600_302600_NS6detail15normal_iteratorINS8_10device_ptrIiEEEEPiNS0_8identityIiEEEE10hipError_tT2_T3_mT4_P12ihipStream_tbEUlT_E_NS1_11comp_targetILNS1_3genE5ELNS1_11target_archE942ELNS1_3gpuE9ELNS1_3repE0EEENS1_30default_config_static_selectorELNS0_4arch9wavefront6targetE0EEEvT1_.num_agpr, 0
	.set _ZN7rocprim17ROCPRIM_400000_NS6detail17trampoline_kernelINS0_14default_configENS1_25transform_config_selectorIiLb0EEEZNS1_14transform_implILb0ES3_S5_N6thrust23THRUST_200600_302600_NS6detail15normal_iteratorINS8_10device_ptrIiEEEEPiNS0_8identityIiEEEE10hipError_tT2_T3_mT4_P12ihipStream_tbEUlT_E_NS1_11comp_targetILNS1_3genE5ELNS1_11target_archE942ELNS1_3gpuE9ELNS1_3repE0EEENS1_30default_config_static_selectorELNS0_4arch9wavefront6targetE0EEEvT1_.numbered_sgpr, 0
	.set _ZN7rocprim17ROCPRIM_400000_NS6detail17trampoline_kernelINS0_14default_configENS1_25transform_config_selectorIiLb0EEEZNS1_14transform_implILb0ES3_S5_N6thrust23THRUST_200600_302600_NS6detail15normal_iteratorINS8_10device_ptrIiEEEEPiNS0_8identityIiEEEE10hipError_tT2_T3_mT4_P12ihipStream_tbEUlT_E_NS1_11comp_targetILNS1_3genE5ELNS1_11target_archE942ELNS1_3gpuE9ELNS1_3repE0EEENS1_30default_config_static_selectorELNS0_4arch9wavefront6targetE0EEEvT1_.num_named_barrier, 0
	.set _ZN7rocprim17ROCPRIM_400000_NS6detail17trampoline_kernelINS0_14default_configENS1_25transform_config_selectorIiLb0EEEZNS1_14transform_implILb0ES3_S5_N6thrust23THRUST_200600_302600_NS6detail15normal_iteratorINS8_10device_ptrIiEEEEPiNS0_8identityIiEEEE10hipError_tT2_T3_mT4_P12ihipStream_tbEUlT_E_NS1_11comp_targetILNS1_3genE5ELNS1_11target_archE942ELNS1_3gpuE9ELNS1_3repE0EEENS1_30default_config_static_selectorELNS0_4arch9wavefront6targetE0EEEvT1_.private_seg_size, 0
	.set _ZN7rocprim17ROCPRIM_400000_NS6detail17trampoline_kernelINS0_14default_configENS1_25transform_config_selectorIiLb0EEEZNS1_14transform_implILb0ES3_S5_N6thrust23THRUST_200600_302600_NS6detail15normal_iteratorINS8_10device_ptrIiEEEEPiNS0_8identityIiEEEE10hipError_tT2_T3_mT4_P12ihipStream_tbEUlT_E_NS1_11comp_targetILNS1_3genE5ELNS1_11target_archE942ELNS1_3gpuE9ELNS1_3repE0EEENS1_30default_config_static_selectorELNS0_4arch9wavefront6targetE0EEEvT1_.uses_vcc, 0
	.set _ZN7rocprim17ROCPRIM_400000_NS6detail17trampoline_kernelINS0_14default_configENS1_25transform_config_selectorIiLb0EEEZNS1_14transform_implILb0ES3_S5_N6thrust23THRUST_200600_302600_NS6detail15normal_iteratorINS8_10device_ptrIiEEEEPiNS0_8identityIiEEEE10hipError_tT2_T3_mT4_P12ihipStream_tbEUlT_E_NS1_11comp_targetILNS1_3genE5ELNS1_11target_archE942ELNS1_3gpuE9ELNS1_3repE0EEENS1_30default_config_static_selectorELNS0_4arch9wavefront6targetE0EEEvT1_.uses_flat_scratch, 0
	.set _ZN7rocprim17ROCPRIM_400000_NS6detail17trampoline_kernelINS0_14default_configENS1_25transform_config_selectorIiLb0EEEZNS1_14transform_implILb0ES3_S5_N6thrust23THRUST_200600_302600_NS6detail15normal_iteratorINS8_10device_ptrIiEEEEPiNS0_8identityIiEEEE10hipError_tT2_T3_mT4_P12ihipStream_tbEUlT_E_NS1_11comp_targetILNS1_3genE5ELNS1_11target_archE942ELNS1_3gpuE9ELNS1_3repE0EEENS1_30default_config_static_selectorELNS0_4arch9wavefront6targetE0EEEvT1_.has_dyn_sized_stack, 0
	.set _ZN7rocprim17ROCPRIM_400000_NS6detail17trampoline_kernelINS0_14default_configENS1_25transform_config_selectorIiLb0EEEZNS1_14transform_implILb0ES3_S5_N6thrust23THRUST_200600_302600_NS6detail15normal_iteratorINS8_10device_ptrIiEEEEPiNS0_8identityIiEEEE10hipError_tT2_T3_mT4_P12ihipStream_tbEUlT_E_NS1_11comp_targetILNS1_3genE5ELNS1_11target_archE942ELNS1_3gpuE9ELNS1_3repE0EEENS1_30default_config_static_selectorELNS0_4arch9wavefront6targetE0EEEvT1_.has_recursion, 0
	.set _ZN7rocprim17ROCPRIM_400000_NS6detail17trampoline_kernelINS0_14default_configENS1_25transform_config_selectorIiLb0EEEZNS1_14transform_implILb0ES3_S5_N6thrust23THRUST_200600_302600_NS6detail15normal_iteratorINS8_10device_ptrIiEEEEPiNS0_8identityIiEEEE10hipError_tT2_T3_mT4_P12ihipStream_tbEUlT_E_NS1_11comp_targetILNS1_3genE5ELNS1_11target_archE942ELNS1_3gpuE9ELNS1_3repE0EEENS1_30default_config_static_selectorELNS0_4arch9wavefront6targetE0EEEvT1_.has_indirect_call, 0
	.section	.AMDGPU.csdata,"",@progbits
; Kernel info:
; codeLenInByte = 0
; TotalNumSgprs: 0
; NumVgprs: 0
; ScratchSize: 0
; MemoryBound: 0
; FloatMode: 240
; IeeeMode: 1
; LDSByteSize: 0 bytes/workgroup (compile time only)
; SGPRBlocks: 0
; VGPRBlocks: 0
; NumSGPRsForWavesPerEU: 1
; NumVGPRsForWavesPerEU: 1
; Occupancy: 16
; WaveLimiterHint : 0
; COMPUTE_PGM_RSRC2:SCRATCH_EN: 0
; COMPUTE_PGM_RSRC2:USER_SGPR: 6
; COMPUTE_PGM_RSRC2:TRAP_HANDLER: 0
; COMPUTE_PGM_RSRC2:TGID_X_EN: 1
; COMPUTE_PGM_RSRC2:TGID_Y_EN: 0
; COMPUTE_PGM_RSRC2:TGID_Z_EN: 0
; COMPUTE_PGM_RSRC2:TIDIG_COMP_CNT: 0
	.section	.text._ZN7rocprim17ROCPRIM_400000_NS6detail17trampoline_kernelINS0_14default_configENS1_25transform_config_selectorIiLb0EEEZNS1_14transform_implILb0ES3_S5_N6thrust23THRUST_200600_302600_NS6detail15normal_iteratorINS8_10device_ptrIiEEEEPiNS0_8identityIiEEEE10hipError_tT2_T3_mT4_P12ihipStream_tbEUlT_E_NS1_11comp_targetILNS1_3genE4ELNS1_11target_archE910ELNS1_3gpuE8ELNS1_3repE0EEENS1_30default_config_static_selectorELNS0_4arch9wavefront6targetE0EEEvT1_,"axG",@progbits,_ZN7rocprim17ROCPRIM_400000_NS6detail17trampoline_kernelINS0_14default_configENS1_25transform_config_selectorIiLb0EEEZNS1_14transform_implILb0ES3_S5_N6thrust23THRUST_200600_302600_NS6detail15normal_iteratorINS8_10device_ptrIiEEEEPiNS0_8identityIiEEEE10hipError_tT2_T3_mT4_P12ihipStream_tbEUlT_E_NS1_11comp_targetILNS1_3genE4ELNS1_11target_archE910ELNS1_3gpuE8ELNS1_3repE0EEENS1_30default_config_static_selectorELNS0_4arch9wavefront6targetE0EEEvT1_,comdat
	.protected	_ZN7rocprim17ROCPRIM_400000_NS6detail17trampoline_kernelINS0_14default_configENS1_25transform_config_selectorIiLb0EEEZNS1_14transform_implILb0ES3_S5_N6thrust23THRUST_200600_302600_NS6detail15normal_iteratorINS8_10device_ptrIiEEEEPiNS0_8identityIiEEEE10hipError_tT2_T3_mT4_P12ihipStream_tbEUlT_E_NS1_11comp_targetILNS1_3genE4ELNS1_11target_archE910ELNS1_3gpuE8ELNS1_3repE0EEENS1_30default_config_static_selectorELNS0_4arch9wavefront6targetE0EEEvT1_ ; -- Begin function _ZN7rocprim17ROCPRIM_400000_NS6detail17trampoline_kernelINS0_14default_configENS1_25transform_config_selectorIiLb0EEEZNS1_14transform_implILb0ES3_S5_N6thrust23THRUST_200600_302600_NS6detail15normal_iteratorINS8_10device_ptrIiEEEEPiNS0_8identityIiEEEE10hipError_tT2_T3_mT4_P12ihipStream_tbEUlT_E_NS1_11comp_targetILNS1_3genE4ELNS1_11target_archE910ELNS1_3gpuE8ELNS1_3repE0EEENS1_30default_config_static_selectorELNS0_4arch9wavefront6targetE0EEEvT1_
	.globl	_ZN7rocprim17ROCPRIM_400000_NS6detail17trampoline_kernelINS0_14default_configENS1_25transform_config_selectorIiLb0EEEZNS1_14transform_implILb0ES3_S5_N6thrust23THRUST_200600_302600_NS6detail15normal_iteratorINS8_10device_ptrIiEEEEPiNS0_8identityIiEEEE10hipError_tT2_T3_mT4_P12ihipStream_tbEUlT_E_NS1_11comp_targetILNS1_3genE4ELNS1_11target_archE910ELNS1_3gpuE8ELNS1_3repE0EEENS1_30default_config_static_selectorELNS0_4arch9wavefront6targetE0EEEvT1_
	.p2align	8
	.type	_ZN7rocprim17ROCPRIM_400000_NS6detail17trampoline_kernelINS0_14default_configENS1_25transform_config_selectorIiLb0EEEZNS1_14transform_implILb0ES3_S5_N6thrust23THRUST_200600_302600_NS6detail15normal_iteratorINS8_10device_ptrIiEEEEPiNS0_8identityIiEEEE10hipError_tT2_T3_mT4_P12ihipStream_tbEUlT_E_NS1_11comp_targetILNS1_3genE4ELNS1_11target_archE910ELNS1_3gpuE8ELNS1_3repE0EEENS1_30default_config_static_selectorELNS0_4arch9wavefront6targetE0EEEvT1_,@function
_ZN7rocprim17ROCPRIM_400000_NS6detail17trampoline_kernelINS0_14default_configENS1_25transform_config_selectorIiLb0EEEZNS1_14transform_implILb0ES3_S5_N6thrust23THRUST_200600_302600_NS6detail15normal_iteratorINS8_10device_ptrIiEEEEPiNS0_8identityIiEEEE10hipError_tT2_T3_mT4_P12ihipStream_tbEUlT_E_NS1_11comp_targetILNS1_3genE4ELNS1_11target_archE910ELNS1_3gpuE8ELNS1_3repE0EEENS1_30default_config_static_selectorELNS0_4arch9wavefront6targetE0EEEvT1_: ; @_ZN7rocprim17ROCPRIM_400000_NS6detail17trampoline_kernelINS0_14default_configENS1_25transform_config_selectorIiLb0EEEZNS1_14transform_implILb0ES3_S5_N6thrust23THRUST_200600_302600_NS6detail15normal_iteratorINS8_10device_ptrIiEEEEPiNS0_8identityIiEEEE10hipError_tT2_T3_mT4_P12ihipStream_tbEUlT_E_NS1_11comp_targetILNS1_3genE4ELNS1_11target_archE910ELNS1_3gpuE8ELNS1_3repE0EEENS1_30default_config_static_selectorELNS0_4arch9wavefront6targetE0EEEvT1_
; %bb.0:
	.section	.rodata,"a",@progbits
	.p2align	6, 0x0
	.amdhsa_kernel _ZN7rocprim17ROCPRIM_400000_NS6detail17trampoline_kernelINS0_14default_configENS1_25transform_config_selectorIiLb0EEEZNS1_14transform_implILb0ES3_S5_N6thrust23THRUST_200600_302600_NS6detail15normal_iteratorINS8_10device_ptrIiEEEEPiNS0_8identityIiEEEE10hipError_tT2_T3_mT4_P12ihipStream_tbEUlT_E_NS1_11comp_targetILNS1_3genE4ELNS1_11target_archE910ELNS1_3gpuE8ELNS1_3repE0EEENS1_30default_config_static_selectorELNS0_4arch9wavefront6targetE0EEEvT1_
		.amdhsa_group_segment_fixed_size 0
		.amdhsa_private_segment_fixed_size 0
		.amdhsa_kernarg_size 40
		.amdhsa_user_sgpr_count 6
		.amdhsa_user_sgpr_private_segment_buffer 1
		.amdhsa_user_sgpr_dispatch_ptr 0
		.amdhsa_user_sgpr_queue_ptr 0
		.amdhsa_user_sgpr_kernarg_segment_ptr 1
		.amdhsa_user_sgpr_dispatch_id 0
		.amdhsa_user_sgpr_flat_scratch_init 0
		.amdhsa_user_sgpr_private_segment_size 0
		.amdhsa_wavefront_size32 1
		.amdhsa_uses_dynamic_stack 0
		.amdhsa_system_sgpr_private_segment_wavefront_offset 0
		.amdhsa_system_sgpr_workgroup_id_x 1
		.amdhsa_system_sgpr_workgroup_id_y 0
		.amdhsa_system_sgpr_workgroup_id_z 0
		.amdhsa_system_sgpr_workgroup_info 0
		.amdhsa_system_vgpr_workitem_id 0
		.amdhsa_next_free_vgpr 1
		.amdhsa_next_free_sgpr 1
		.amdhsa_reserve_vcc 0
		.amdhsa_reserve_flat_scratch 0
		.amdhsa_float_round_mode_32 0
		.amdhsa_float_round_mode_16_64 0
		.amdhsa_float_denorm_mode_32 3
		.amdhsa_float_denorm_mode_16_64 3
		.amdhsa_dx10_clamp 1
		.amdhsa_ieee_mode 1
		.amdhsa_fp16_overflow 0
		.amdhsa_workgroup_processor_mode 1
		.amdhsa_memory_ordered 1
		.amdhsa_forward_progress 1
		.amdhsa_shared_vgpr_count 0
		.amdhsa_exception_fp_ieee_invalid_op 0
		.amdhsa_exception_fp_denorm_src 0
		.amdhsa_exception_fp_ieee_div_zero 0
		.amdhsa_exception_fp_ieee_overflow 0
		.amdhsa_exception_fp_ieee_underflow 0
		.amdhsa_exception_fp_ieee_inexact 0
		.amdhsa_exception_int_div_zero 0
	.end_amdhsa_kernel
	.section	.text._ZN7rocprim17ROCPRIM_400000_NS6detail17trampoline_kernelINS0_14default_configENS1_25transform_config_selectorIiLb0EEEZNS1_14transform_implILb0ES3_S5_N6thrust23THRUST_200600_302600_NS6detail15normal_iteratorINS8_10device_ptrIiEEEEPiNS0_8identityIiEEEE10hipError_tT2_T3_mT4_P12ihipStream_tbEUlT_E_NS1_11comp_targetILNS1_3genE4ELNS1_11target_archE910ELNS1_3gpuE8ELNS1_3repE0EEENS1_30default_config_static_selectorELNS0_4arch9wavefront6targetE0EEEvT1_,"axG",@progbits,_ZN7rocprim17ROCPRIM_400000_NS6detail17trampoline_kernelINS0_14default_configENS1_25transform_config_selectorIiLb0EEEZNS1_14transform_implILb0ES3_S5_N6thrust23THRUST_200600_302600_NS6detail15normal_iteratorINS8_10device_ptrIiEEEEPiNS0_8identityIiEEEE10hipError_tT2_T3_mT4_P12ihipStream_tbEUlT_E_NS1_11comp_targetILNS1_3genE4ELNS1_11target_archE910ELNS1_3gpuE8ELNS1_3repE0EEENS1_30default_config_static_selectorELNS0_4arch9wavefront6targetE0EEEvT1_,comdat
.Lfunc_end152:
	.size	_ZN7rocprim17ROCPRIM_400000_NS6detail17trampoline_kernelINS0_14default_configENS1_25transform_config_selectorIiLb0EEEZNS1_14transform_implILb0ES3_S5_N6thrust23THRUST_200600_302600_NS6detail15normal_iteratorINS8_10device_ptrIiEEEEPiNS0_8identityIiEEEE10hipError_tT2_T3_mT4_P12ihipStream_tbEUlT_E_NS1_11comp_targetILNS1_3genE4ELNS1_11target_archE910ELNS1_3gpuE8ELNS1_3repE0EEENS1_30default_config_static_selectorELNS0_4arch9wavefront6targetE0EEEvT1_, .Lfunc_end152-_ZN7rocprim17ROCPRIM_400000_NS6detail17trampoline_kernelINS0_14default_configENS1_25transform_config_selectorIiLb0EEEZNS1_14transform_implILb0ES3_S5_N6thrust23THRUST_200600_302600_NS6detail15normal_iteratorINS8_10device_ptrIiEEEEPiNS0_8identityIiEEEE10hipError_tT2_T3_mT4_P12ihipStream_tbEUlT_E_NS1_11comp_targetILNS1_3genE4ELNS1_11target_archE910ELNS1_3gpuE8ELNS1_3repE0EEENS1_30default_config_static_selectorELNS0_4arch9wavefront6targetE0EEEvT1_
                                        ; -- End function
	.set _ZN7rocprim17ROCPRIM_400000_NS6detail17trampoline_kernelINS0_14default_configENS1_25transform_config_selectorIiLb0EEEZNS1_14transform_implILb0ES3_S5_N6thrust23THRUST_200600_302600_NS6detail15normal_iteratorINS8_10device_ptrIiEEEEPiNS0_8identityIiEEEE10hipError_tT2_T3_mT4_P12ihipStream_tbEUlT_E_NS1_11comp_targetILNS1_3genE4ELNS1_11target_archE910ELNS1_3gpuE8ELNS1_3repE0EEENS1_30default_config_static_selectorELNS0_4arch9wavefront6targetE0EEEvT1_.num_vgpr, 0
	.set _ZN7rocprim17ROCPRIM_400000_NS6detail17trampoline_kernelINS0_14default_configENS1_25transform_config_selectorIiLb0EEEZNS1_14transform_implILb0ES3_S5_N6thrust23THRUST_200600_302600_NS6detail15normal_iteratorINS8_10device_ptrIiEEEEPiNS0_8identityIiEEEE10hipError_tT2_T3_mT4_P12ihipStream_tbEUlT_E_NS1_11comp_targetILNS1_3genE4ELNS1_11target_archE910ELNS1_3gpuE8ELNS1_3repE0EEENS1_30default_config_static_selectorELNS0_4arch9wavefront6targetE0EEEvT1_.num_agpr, 0
	.set _ZN7rocprim17ROCPRIM_400000_NS6detail17trampoline_kernelINS0_14default_configENS1_25transform_config_selectorIiLb0EEEZNS1_14transform_implILb0ES3_S5_N6thrust23THRUST_200600_302600_NS6detail15normal_iteratorINS8_10device_ptrIiEEEEPiNS0_8identityIiEEEE10hipError_tT2_T3_mT4_P12ihipStream_tbEUlT_E_NS1_11comp_targetILNS1_3genE4ELNS1_11target_archE910ELNS1_3gpuE8ELNS1_3repE0EEENS1_30default_config_static_selectorELNS0_4arch9wavefront6targetE0EEEvT1_.numbered_sgpr, 0
	.set _ZN7rocprim17ROCPRIM_400000_NS6detail17trampoline_kernelINS0_14default_configENS1_25transform_config_selectorIiLb0EEEZNS1_14transform_implILb0ES3_S5_N6thrust23THRUST_200600_302600_NS6detail15normal_iteratorINS8_10device_ptrIiEEEEPiNS0_8identityIiEEEE10hipError_tT2_T3_mT4_P12ihipStream_tbEUlT_E_NS1_11comp_targetILNS1_3genE4ELNS1_11target_archE910ELNS1_3gpuE8ELNS1_3repE0EEENS1_30default_config_static_selectorELNS0_4arch9wavefront6targetE0EEEvT1_.num_named_barrier, 0
	.set _ZN7rocprim17ROCPRIM_400000_NS6detail17trampoline_kernelINS0_14default_configENS1_25transform_config_selectorIiLb0EEEZNS1_14transform_implILb0ES3_S5_N6thrust23THRUST_200600_302600_NS6detail15normal_iteratorINS8_10device_ptrIiEEEEPiNS0_8identityIiEEEE10hipError_tT2_T3_mT4_P12ihipStream_tbEUlT_E_NS1_11comp_targetILNS1_3genE4ELNS1_11target_archE910ELNS1_3gpuE8ELNS1_3repE0EEENS1_30default_config_static_selectorELNS0_4arch9wavefront6targetE0EEEvT1_.private_seg_size, 0
	.set _ZN7rocprim17ROCPRIM_400000_NS6detail17trampoline_kernelINS0_14default_configENS1_25transform_config_selectorIiLb0EEEZNS1_14transform_implILb0ES3_S5_N6thrust23THRUST_200600_302600_NS6detail15normal_iteratorINS8_10device_ptrIiEEEEPiNS0_8identityIiEEEE10hipError_tT2_T3_mT4_P12ihipStream_tbEUlT_E_NS1_11comp_targetILNS1_3genE4ELNS1_11target_archE910ELNS1_3gpuE8ELNS1_3repE0EEENS1_30default_config_static_selectorELNS0_4arch9wavefront6targetE0EEEvT1_.uses_vcc, 0
	.set _ZN7rocprim17ROCPRIM_400000_NS6detail17trampoline_kernelINS0_14default_configENS1_25transform_config_selectorIiLb0EEEZNS1_14transform_implILb0ES3_S5_N6thrust23THRUST_200600_302600_NS6detail15normal_iteratorINS8_10device_ptrIiEEEEPiNS0_8identityIiEEEE10hipError_tT2_T3_mT4_P12ihipStream_tbEUlT_E_NS1_11comp_targetILNS1_3genE4ELNS1_11target_archE910ELNS1_3gpuE8ELNS1_3repE0EEENS1_30default_config_static_selectorELNS0_4arch9wavefront6targetE0EEEvT1_.uses_flat_scratch, 0
	.set _ZN7rocprim17ROCPRIM_400000_NS6detail17trampoline_kernelINS0_14default_configENS1_25transform_config_selectorIiLb0EEEZNS1_14transform_implILb0ES3_S5_N6thrust23THRUST_200600_302600_NS6detail15normal_iteratorINS8_10device_ptrIiEEEEPiNS0_8identityIiEEEE10hipError_tT2_T3_mT4_P12ihipStream_tbEUlT_E_NS1_11comp_targetILNS1_3genE4ELNS1_11target_archE910ELNS1_3gpuE8ELNS1_3repE0EEENS1_30default_config_static_selectorELNS0_4arch9wavefront6targetE0EEEvT1_.has_dyn_sized_stack, 0
	.set _ZN7rocprim17ROCPRIM_400000_NS6detail17trampoline_kernelINS0_14default_configENS1_25transform_config_selectorIiLb0EEEZNS1_14transform_implILb0ES3_S5_N6thrust23THRUST_200600_302600_NS6detail15normal_iteratorINS8_10device_ptrIiEEEEPiNS0_8identityIiEEEE10hipError_tT2_T3_mT4_P12ihipStream_tbEUlT_E_NS1_11comp_targetILNS1_3genE4ELNS1_11target_archE910ELNS1_3gpuE8ELNS1_3repE0EEENS1_30default_config_static_selectorELNS0_4arch9wavefront6targetE0EEEvT1_.has_recursion, 0
	.set _ZN7rocprim17ROCPRIM_400000_NS6detail17trampoline_kernelINS0_14default_configENS1_25transform_config_selectorIiLb0EEEZNS1_14transform_implILb0ES3_S5_N6thrust23THRUST_200600_302600_NS6detail15normal_iteratorINS8_10device_ptrIiEEEEPiNS0_8identityIiEEEE10hipError_tT2_T3_mT4_P12ihipStream_tbEUlT_E_NS1_11comp_targetILNS1_3genE4ELNS1_11target_archE910ELNS1_3gpuE8ELNS1_3repE0EEENS1_30default_config_static_selectorELNS0_4arch9wavefront6targetE0EEEvT1_.has_indirect_call, 0
	.section	.AMDGPU.csdata,"",@progbits
; Kernel info:
; codeLenInByte = 0
; TotalNumSgprs: 0
; NumVgprs: 0
; ScratchSize: 0
; MemoryBound: 0
; FloatMode: 240
; IeeeMode: 1
; LDSByteSize: 0 bytes/workgroup (compile time only)
; SGPRBlocks: 0
; VGPRBlocks: 0
; NumSGPRsForWavesPerEU: 1
; NumVGPRsForWavesPerEU: 1
; Occupancy: 16
; WaveLimiterHint : 0
; COMPUTE_PGM_RSRC2:SCRATCH_EN: 0
; COMPUTE_PGM_RSRC2:USER_SGPR: 6
; COMPUTE_PGM_RSRC2:TRAP_HANDLER: 0
; COMPUTE_PGM_RSRC2:TGID_X_EN: 1
; COMPUTE_PGM_RSRC2:TGID_Y_EN: 0
; COMPUTE_PGM_RSRC2:TGID_Z_EN: 0
; COMPUTE_PGM_RSRC2:TIDIG_COMP_CNT: 0
	.section	.text._ZN7rocprim17ROCPRIM_400000_NS6detail17trampoline_kernelINS0_14default_configENS1_25transform_config_selectorIiLb0EEEZNS1_14transform_implILb0ES3_S5_N6thrust23THRUST_200600_302600_NS6detail15normal_iteratorINS8_10device_ptrIiEEEEPiNS0_8identityIiEEEE10hipError_tT2_T3_mT4_P12ihipStream_tbEUlT_E_NS1_11comp_targetILNS1_3genE3ELNS1_11target_archE908ELNS1_3gpuE7ELNS1_3repE0EEENS1_30default_config_static_selectorELNS0_4arch9wavefront6targetE0EEEvT1_,"axG",@progbits,_ZN7rocprim17ROCPRIM_400000_NS6detail17trampoline_kernelINS0_14default_configENS1_25transform_config_selectorIiLb0EEEZNS1_14transform_implILb0ES3_S5_N6thrust23THRUST_200600_302600_NS6detail15normal_iteratorINS8_10device_ptrIiEEEEPiNS0_8identityIiEEEE10hipError_tT2_T3_mT4_P12ihipStream_tbEUlT_E_NS1_11comp_targetILNS1_3genE3ELNS1_11target_archE908ELNS1_3gpuE7ELNS1_3repE0EEENS1_30default_config_static_selectorELNS0_4arch9wavefront6targetE0EEEvT1_,comdat
	.protected	_ZN7rocprim17ROCPRIM_400000_NS6detail17trampoline_kernelINS0_14default_configENS1_25transform_config_selectorIiLb0EEEZNS1_14transform_implILb0ES3_S5_N6thrust23THRUST_200600_302600_NS6detail15normal_iteratorINS8_10device_ptrIiEEEEPiNS0_8identityIiEEEE10hipError_tT2_T3_mT4_P12ihipStream_tbEUlT_E_NS1_11comp_targetILNS1_3genE3ELNS1_11target_archE908ELNS1_3gpuE7ELNS1_3repE0EEENS1_30default_config_static_selectorELNS0_4arch9wavefront6targetE0EEEvT1_ ; -- Begin function _ZN7rocprim17ROCPRIM_400000_NS6detail17trampoline_kernelINS0_14default_configENS1_25transform_config_selectorIiLb0EEEZNS1_14transform_implILb0ES3_S5_N6thrust23THRUST_200600_302600_NS6detail15normal_iteratorINS8_10device_ptrIiEEEEPiNS0_8identityIiEEEE10hipError_tT2_T3_mT4_P12ihipStream_tbEUlT_E_NS1_11comp_targetILNS1_3genE3ELNS1_11target_archE908ELNS1_3gpuE7ELNS1_3repE0EEENS1_30default_config_static_selectorELNS0_4arch9wavefront6targetE0EEEvT1_
	.globl	_ZN7rocprim17ROCPRIM_400000_NS6detail17trampoline_kernelINS0_14default_configENS1_25transform_config_selectorIiLb0EEEZNS1_14transform_implILb0ES3_S5_N6thrust23THRUST_200600_302600_NS6detail15normal_iteratorINS8_10device_ptrIiEEEEPiNS0_8identityIiEEEE10hipError_tT2_T3_mT4_P12ihipStream_tbEUlT_E_NS1_11comp_targetILNS1_3genE3ELNS1_11target_archE908ELNS1_3gpuE7ELNS1_3repE0EEENS1_30default_config_static_selectorELNS0_4arch9wavefront6targetE0EEEvT1_
	.p2align	8
	.type	_ZN7rocprim17ROCPRIM_400000_NS6detail17trampoline_kernelINS0_14default_configENS1_25transform_config_selectorIiLb0EEEZNS1_14transform_implILb0ES3_S5_N6thrust23THRUST_200600_302600_NS6detail15normal_iteratorINS8_10device_ptrIiEEEEPiNS0_8identityIiEEEE10hipError_tT2_T3_mT4_P12ihipStream_tbEUlT_E_NS1_11comp_targetILNS1_3genE3ELNS1_11target_archE908ELNS1_3gpuE7ELNS1_3repE0EEENS1_30default_config_static_selectorELNS0_4arch9wavefront6targetE0EEEvT1_,@function
_ZN7rocprim17ROCPRIM_400000_NS6detail17trampoline_kernelINS0_14default_configENS1_25transform_config_selectorIiLb0EEEZNS1_14transform_implILb0ES3_S5_N6thrust23THRUST_200600_302600_NS6detail15normal_iteratorINS8_10device_ptrIiEEEEPiNS0_8identityIiEEEE10hipError_tT2_T3_mT4_P12ihipStream_tbEUlT_E_NS1_11comp_targetILNS1_3genE3ELNS1_11target_archE908ELNS1_3gpuE7ELNS1_3repE0EEENS1_30default_config_static_selectorELNS0_4arch9wavefront6targetE0EEEvT1_: ; @_ZN7rocprim17ROCPRIM_400000_NS6detail17trampoline_kernelINS0_14default_configENS1_25transform_config_selectorIiLb0EEEZNS1_14transform_implILb0ES3_S5_N6thrust23THRUST_200600_302600_NS6detail15normal_iteratorINS8_10device_ptrIiEEEEPiNS0_8identityIiEEEE10hipError_tT2_T3_mT4_P12ihipStream_tbEUlT_E_NS1_11comp_targetILNS1_3genE3ELNS1_11target_archE908ELNS1_3gpuE7ELNS1_3repE0EEENS1_30default_config_static_selectorELNS0_4arch9wavefront6targetE0EEEvT1_
; %bb.0:
	.section	.rodata,"a",@progbits
	.p2align	6, 0x0
	.amdhsa_kernel _ZN7rocprim17ROCPRIM_400000_NS6detail17trampoline_kernelINS0_14default_configENS1_25transform_config_selectorIiLb0EEEZNS1_14transform_implILb0ES3_S5_N6thrust23THRUST_200600_302600_NS6detail15normal_iteratorINS8_10device_ptrIiEEEEPiNS0_8identityIiEEEE10hipError_tT2_T3_mT4_P12ihipStream_tbEUlT_E_NS1_11comp_targetILNS1_3genE3ELNS1_11target_archE908ELNS1_3gpuE7ELNS1_3repE0EEENS1_30default_config_static_selectorELNS0_4arch9wavefront6targetE0EEEvT1_
		.amdhsa_group_segment_fixed_size 0
		.amdhsa_private_segment_fixed_size 0
		.amdhsa_kernarg_size 40
		.amdhsa_user_sgpr_count 6
		.amdhsa_user_sgpr_private_segment_buffer 1
		.amdhsa_user_sgpr_dispatch_ptr 0
		.amdhsa_user_sgpr_queue_ptr 0
		.amdhsa_user_sgpr_kernarg_segment_ptr 1
		.amdhsa_user_sgpr_dispatch_id 0
		.amdhsa_user_sgpr_flat_scratch_init 0
		.amdhsa_user_sgpr_private_segment_size 0
		.amdhsa_wavefront_size32 1
		.amdhsa_uses_dynamic_stack 0
		.amdhsa_system_sgpr_private_segment_wavefront_offset 0
		.amdhsa_system_sgpr_workgroup_id_x 1
		.amdhsa_system_sgpr_workgroup_id_y 0
		.amdhsa_system_sgpr_workgroup_id_z 0
		.amdhsa_system_sgpr_workgroup_info 0
		.amdhsa_system_vgpr_workitem_id 0
		.amdhsa_next_free_vgpr 1
		.amdhsa_next_free_sgpr 1
		.amdhsa_reserve_vcc 0
		.amdhsa_reserve_flat_scratch 0
		.amdhsa_float_round_mode_32 0
		.amdhsa_float_round_mode_16_64 0
		.amdhsa_float_denorm_mode_32 3
		.amdhsa_float_denorm_mode_16_64 3
		.amdhsa_dx10_clamp 1
		.amdhsa_ieee_mode 1
		.amdhsa_fp16_overflow 0
		.amdhsa_workgroup_processor_mode 1
		.amdhsa_memory_ordered 1
		.amdhsa_forward_progress 1
		.amdhsa_shared_vgpr_count 0
		.amdhsa_exception_fp_ieee_invalid_op 0
		.amdhsa_exception_fp_denorm_src 0
		.amdhsa_exception_fp_ieee_div_zero 0
		.amdhsa_exception_fp_ieee_overflow 0
		.amdhsa_exception_fp_ieee_underflow 0
		.amdhsa_exception_fp_ieee_inexact 0
		.amdhsa_exception_int_div_zero 0
	.end_amdhsa_kernel
	.section	.text._ZN7rocprim17ROCPRIM_400000_NS6detail17trampoline_kernelINS0_14default_configENS1_25transform_config_selectorIiLb0EEEZNS1_14transform_implILb0ES3_S5_N6thrust23THRUST_200600_302600_NS6detail15normal_iteratorINS8_10device_ptrIiEEEEPiNS0_8identityIiEEEE10hipError_tT2_T3_mT4_P12ihipStream_tbEUlT_E_NS1_11comp_targetILNS1_3genE3ELNS1_11target_archE908ELNS1_3gpuE7ELNS1_3repE0EEENS1_30default_config_static_selectorELNS0_4arch9wavefront6targetE0EEEvT1_,"axG",@progbits,_ZN7rocprim17ROCPRIM_400000_NS6detail17trampoline_kernelINS0_14default_configENS1_25transform_config_selectorIiLb0EEEZNS1_14transform_implILb0ES3_S5_N6thrust23THRUST_200600_302600_NS6detail15normal_iteratorINS8_10device_ptrIiEEEEPiNS0_8identityIiEEEE10hipError_tT2_T3_mT4_P12ihipStream_tbEUlT_E_NS1_11comp_targetILNS1_3genE3ELNS1_11target_archE908ELNS1_3gpuE7ELNS1_3repE0EEENS1_30default_config_static_selectorELNS0_4arch9wavefront6targetE0EEEvT1_,comdat
.Lfunc_end153:
	.size	_ZN7rocprim17ROCPRIM_400000_NS6detail17trampoline_kernelINS0_14default_configENS1_25transform_config_selectorIiLb0EEEZNS1_14transform_implILb0ES3_S5_N6thrust23THRUST_200600_302600_NS6detail15normal_iteratorINS8_10device_ptrIiEEEEPiNS0_8identityIiEEEE10hipError_tT2_T3_mT4_P12ihipStream_tbEUlT_E_NS1_11comp_targetILNS1_3genE3ELNS1_11target_archE908ELNS1_3gpuE7ELNS1_3repE0EEENS1_30default_config_static_selectorELNS0_4arch9wavefront6targetE0EEEvT1_, .Lfunc_end153-_ZN7rocprim17ROCPRIM_400000_NS6detail17trampoline_kernelINS0_14default_configENS1_25transform_config_selectorIiLb0EEEZNS1_14transform_implILb0ES3_S5_N6thrust23THRUST_200600_302600_NS6detail15normal_iteratorINS8_10device_ptrIiEEEEPiNS0_8identityIiEEEE10hipError_tT2_T3_mT4_P12ihipStream_tbEUlT_E_NS1_11comp_targetILNS1_3genE3ELNS1_11target_archE908ELNS1_3gpuE7ELNS1_3repE0EEENS1_30default_config_static_selectorELNS0_4arch9wavefront6targetE0EEEvT1_
                                        ; -- End function
	.set _ZN7rocprim17ROCPRIM_400000_NS6detail17trampoline_kernelINS0_14default_configENS1_25transform_config_selectorIiLb0EEEZNS1_14transform_implILb0ES3_S5_N6thrust23THRUST_200600_302600_NS6detail15normal_iteratorINS8_10device_ptrIiEEEEPiNS0_8identityIiEEEE10hipError_tT2_T3_mT4_P12ihipStream_tbEUlT_E_NS1_11comp_targetILNS1_3genE3ELNS1_11target_archE908ELNS1_3gpuE7ELNS1_3repE0EEENS1_30default_config_static_selectorELNS0_4arch9wavefront6targetE0EEEvT1_.num_vgpr, 0
	.set _ZN7rocprim17ROCPRIM_400000_NS6detail17trampoline_kernelINS0_14default_configENS1_25transform_config_selectorIiLb0EEEZNS1_14transform_implILb0ES3_S5_N6thrust23THRUST_200600_302600_NS6detail15normal_iteratorINS8_10device_ptrIiEEEEPiNS0_8identityIiEEEE10hipError_tT2_T3_mT4_P12ihipStream_tbEUlT_E_NS1_11comp_targetILNS1_3genE3ELNS1_11target_archE908ELNS1_3gpuE7ELNS1_3repE0EEENS1_30default_config_static_selectorELNS0_4arch9wavefront6targetE0EEEvT1_.num_agpr, 0
	.set _ZN7rocprim17ROCPRIM_400000_NS6detail17trampoline_kernelINS0_14default_configENS1_25transform_config_selectorIiLb0EEEZNS1_14transform_implILb0ES3_S5_N6thrust23THRUST_200600_302600_NS6detail15normal_iteratorINS8_10device_ptrIiEEEEPiNS0_8identityIiEEEE10hipError_tT2_T3_mT4_P12ihipStream_tbEUlT_E_NS1_11comp_targetILNS1_3genE3ELNS1_11target_archE908ELNS1_3gpuE7ELNS1_3repE0EEENS1_30default_config_static_selectorELNS0_4arch9wavefront6targetE0EEEvT1_.numbered_sgpr, 0
	.set _ZN7rocprim17ROCPRIM_400000_NS6detail17trampoline_kernelINS0_14default_configENS1_25transform_config_selectorIiLb0EEEZNS1_14transform_implILb0ES3_S5_N6thrust23THRUST_200600_302600_NS6detail15normal_iteratorINS8_10device_ptrIiEEEEPiNS0_8identityIiEEEE10hipError_tT2_T3_mT4_P12ihipStream_tbEUlT_E_NS1_11comp_targetILNS1_3genE3ELNS1_11target_archE908ELNS1_3gpuE7ELNS1_3repE0EEENS1_30default_config_static_selectorELNS0_4arch9wavefront6targetE0EEEvT1_.num_named_barrier, 0
	.set _ZN7rocprim17ROCPRIM_400000_NS6detail17trampoline_kernelINS0_14default_configENS1_25transform_config_selectorIiLb0EEEZNS1_14transform_implILb0ES3_S5_N6thrust23THRUST_200600_302600_NS6detail15normal_iteratorINS8_10device_ptrIiEEEEPiNS0_8identityIiEEEE10hipError_tT2_T3_mT4_P12ihipStream_tbEUlT_E_NS1_11comp_targetILNS1_3genE3ELNS1_11target_archE908ELNS1_3gpuE7ELNS1_3repE0EEENS1_30default_config_static_selectorELNS0_4arch9wavefront6targetE0EEEvT1_.private_seg_size, 0
	.set _ZN7rocprim17ROCPRIM_400000_NS6detail17trampoline_kernelINS0_14default_configENS1_25transform_config_selectorIiLb0EEEZNS1_14transform_implILb0ES3_S5_N6thrust23THRUST_200600_302600_NS6detail15normal_iteratorINS8_10device_ptrIiEEEEPiNS0_8identityIiEEEE10hipError_tT2_T3_mT4_P12ihipStream_tbEUlT_E_NS1_11comp_targetILNS1_3genE3ELNS1_11target_archE908ELNS1_3gpuE7ELNS1_3repE0EEENS1_30default_config_static_selectorELNS0_4arch9wavefront6targetE0EEEvT1_.uses_vcc, 0
	.set _ZN7rocprim17ROCPRIM_400000_NS6detail17trampoline_kernelINS0_14default_configENS1_25transform_config_selectorIiLb0EEEZNS1_14transform_implILb0ES3_S5_N6thrust23THRUST_200600_302600_NS6detail15normal_iteratorINS8_10device_ptrIiEEEEPiNS0_8identityIiEEEE10hipError_tT2_T3_mT4_P12ihipStream_tbEUlT_E_NS1_11comp_targetILNS1_3genE3ELNS1_11target_archE908ELNS1_3gpuE7ELNS1_3repE0EEENS1_30default_config_static_selectorELNS0_4arch9wavefront6targetE0EEEvT1_.uses_flat_scratch, 0
	.set _ZN7rocprim17ROCPRIM_400000_NS6detail17trampoline_kernelINS0_14default_configENS1_25transform_config_selectorIiLb0EEEZNS1_14transform_implILb0ES3_S5_N6thrust23THRUST_200600_302600_NS6detail15normal_iteratorINS8_10device_ptrIiEEEEPiNS0_8identityIiEEEE10hipError_tT2_T3_mT4_P12ihipStream_tbEUlT_E_NS1_11comp_targetILNS1_3genE3ELNS1_11target_archE908ELNS1_3gpuE7ELNS1_3repE0EEENS1_30default_config_static_selectorELNS0_4arch9wavefront6targetE0EEEvT1_.has_dyn_sized_stack, 0
	.set _ZN7rocprim17ROCPRIM_400000_NS6detail17trampoline_kernelINS0_14default_configENS1_25transform_config_selectorIiLb0EEEZNS1_14transform_implILb0ES3_S5_N6thrust23THRUST_200600_302600_NS6detail15normal_iteratorINS8_10device_ptrIiEEEEPiNS0_8identityIiEEEE10hipError_tT2_T3_mT4_P12ihipStream_tbEUlT_E_NS1_11comp_targetILNS1_3genE3ELNS1_11target_archE908ELNS1_3gpuE7ELNS1_3repE0EEENS1_30default_config_static_selectorELNS0_4arch9wavefront6targetE0EEEvT1_.has_recursion, 0
	.set _ZN7rocprim17ROCPRIM_400000_NS6detail17trampoline_kernelINS0_14default_configENS1_25transform_config_selectorIiLb0EEEZNS1_14transform_implILb0ES3_S5_N6thrust23THRUST_200600_302600_NS6detail15normal_iteratorINS8_10device_ptrIiEEEEPiNS0_8identityIiEEEE10hipError_tT2_T3_mT4_P12ihipStream_tbEUlT_E_NS1_11comp_targetILNS1_3genE3ELNS1_11target_archE908ELNS1_3gpuE7ELNS1_3repE0EEENS1_30default_config_static_selectorELNS0_4arch9wavefront6targetE0EEEvT1_.has_indirect_call, 0
	.section	.AMDGPU.csdata,"",@progbits
; Kernel info:
; codeLenInByte = 0
; TotalNumSgprs: 0
; NumVgprs: 0
; ScratchSize: 0
; MemoryBound: 0
; FloatMode: 240
; IeeeMode: 1
; LDSByteSize: 0 bytes/workgroup (compile time only)
; SGPRBlocks: 0
; VGPRBlocks: 0
; NumSGPRsForWavesPerEU: 1
; NumVGPRsForWavesPerEU: 1
; Occupancy: 16
; WaveLimiterHint : 0
; COMPUTE_PGM_RSRC2:SCRATCH_EN: 0
; COMPUTE_PGM_RSRC2:USER_SGPR: 6
; COMPUTE_PGM_RSRC2:TRAP_HANDLER: 0
; COMPUTE_PGM_RSRC2:TGID_X_EN: 1
; COMPUTE_PGM_RSRC2:TGID_Y_EN: 0
; COMPUTE_PGM_RSRC2:TGID_Z_EN: 0
; COMPUTE_PGM_RSRC2:TIDIG_COMP_CNT: 0
	.section	.text._ZN7rocprim17ROCPRIM_400000_NS6detail17trampoline_kernelINS0_14default_configENS1_25transform_config_selectorIiLb0EEEZNS1_14transform_implILb0ES3_S5_N6thrust23THRUST_200600_302600_NS6detail15normal_iteratorINS8_10device_ptrIiEEEEPiNS0_8identityIiEEEE10hipError_tT2_T3_mT4_P12ihipStream_tbEUlT_E_NS1_11comp_targetILNS1_3genE2ELNS1_11target_archE906ELNS1_3gpuE6ELNS1_3repE0EEENS1_30default_config_static_selectorELNS0_4arch9wavefront6targetE0EEEvT1_,"axG",@progbits,_ZN7rocprim17ROCPRIM_400000_NS6detail17trampoline_kernelINS0_14default_configENS1_25transform_config_selectorIiLb0EEEZNS1_14transform_implILb0ES3_S5_N6thrust23THRUST_200600_302600_NS6detail15normal_iteratorINS8_10device_ptrIiEEEEPiNS0_8identityIiEEEE10hipError_tT2_T3_mT4_P12ihipStream_tbEUlT_E_NS1_11comp_targetILNS1_3genE2ELNS1_11target_archE906ELNS1_3gpuE6ELNS1_3repE0EEENS1_30default_config_static_selectorELNS0_4arch9wavefront6targetE0EEEvT1_,comdat
	.protected	_ZN7rocprim17ROCPRIM_400000_NS6detail17trampoline_kernelINS0_14default_configENS1_25transform_config_selectorIiLb0EEEZNS1_14transform_implILb0ES3_S5_N6thrust23THRUST_200600_302600_NS6detail15normal_iteratorINS8_10device_ptrIiEEEEPiNS0_8identityIiEEEE10hipError_tT2_T3_mT4_P12ihipStream_tbEUlT_E_NS1_11comp_targetILNS1_3genE2ELNS1_11target_archE906ELNS1_3gpuE6ELNS1_3repE0EEENS1_30default_config_static_selectorELNS0_4arch9wavefront6targetE0EEEvT1_ ; -- Begin function _ZN7rocprim17ROCPRIM_400000_NS6detail17trampoline_kernelINS0_14default_configENS1_25transform_config_selectorIiLb0EEEZNS1_14transform_implILb0ES3_S5_N6thrust23THRUST_200600_302600_NS6detail15normal_iteratorINS8_10device_ptrIiEEEEPiNS0_8identityIiEEEE10hipError_tT2_T3_mT4_P12ihipStream_tbEUlT_E_NS1_11comp_targetILNS1_3genE2ELNS1_11target_archE906ELNS1_3gpuE6ELNS1_3repE0EEENS1_30default_config_static_selectorELNS0_4arch9wavefront6targetE0EEEvT1_
	.globl	_ZN7rocprim17ROCPRIM_400000_NS6detail17trampoline_kernelINS0_14default_configENS1_25transform_config_selectorIiLb0EEEZNS1_14transform_implILb0ES3_S5_N6thrust23THRUST_200600_302600_NS6detail15normal_iteratorINS8_10device_ptrIiEEEEPiNS0_8identityIiEEEE10hipError_tT2_T3_mT4_P12ihipStream_tbEUlT_E_NS1_11comp_targetILNS1_3genE2ELNS1_11target_archE906ELNS1_3gpuE6ELNS1_3repE0EEENS1_30default_config_static_selectorELNS0_4arch9wavefront6targetE0EEEvT1_
	.p2align	8
	.type	_ZN7rocprim17ROCPRIM_400000_NS6detail17trampoline_kernelINS0_14default_configENS1_25transform_config_selectorIiLb0EEEZNS1_14transform_implILb0ES3_S5_N6thrust23THRUST_200600_302600_NS6detail15normal_iteratorINS8_10device_ptrIiEEEEPiNS0_8identityIiEEEE10hipError_tT2_T3_mT4_P12ihipStream_tbEUlT_E_NS1_11comp_targetILNS1_3genE2ELNS1_11target_archE906ELNS1_3gpuE6ELNS1_3repE0EEENS1_30default_config_static_selectorELNS0_4arch9wavefront6targetE0EEEvT1_,@function
_ZN7rocprim17ROCPRIM_400000_NS6detail17trampoline_kernelINS0_14default_configENS1_25transform_config_selectorIiLb0EEEZNS1_14transform_implILb0ES3_S5_N6thrust23THRUST_200600_302600_NS6detail15normal_iteratorINS8_10device_ptrIiEEEEPiNS0_8identityIiEEEE10hipError_tT2_T3_mT4_P12ihipStream_tbEUlT_E_NS1_11comp_targetILNS1_3genE2ELNS1_11target_archE906ELNS1_3gpuE6ELNS1_3repE0EEENS1_30default_config_static_selectorELNS0_4arch9wavefront6targetE0EEEvT1_: ; @_ZN7rocprim17ROCPRIM_400000_NS6detail17trampoline_kernelINS0_14default_configENS1_25transform_config_selectorIiLb0EEEZNS1_14transform_implILb0ES3_S5_N6thrust23THRUST_200600_302600_NS6detail15normal_iteratorINS8_10device_ptrIiEEEEPiNS0_8identityIiEEEE10hipError_tT2_T3_mT4_P12ihipStream_tbEUlT_E_NS1_11comp_targetILNS1_3genE2ELNS1_11target_archE906ELNS1_3gpuE6ELNS1_3repE0EEENS1_30default_config_static_selectorELNS0_4arch9wavefront6targetE0EEEvT1_
; %bb.0:
	.section	.rodata,"a",@progbits
	.p2align	6, 0x0
	.amdhsa_kernel _ZN7rocprim17ROCPRIM_400000_NS6detail17trampoline_kernelINS0_14default_configENS1_25transform_config_selectorIiLb0EEEZNS1_14transform_implILb0ES3_S5_N6thrust23THRUST_200600_302600_NS6detail15normal_iteratorINS8_10device_ptrIiEEEEPiNS0_8identityIiEEEE10hipError_tT2_T3_mT4_P12ihipStream_tbEUlT_E_NS1_11comp_targetILNS1_3genE2ELNS1_11target_archE906ELNS1_3gpuE6ELNS1_3repE0EEENS1_30default_config_static_selectorELNS0_4arch9wavefront6targetE0EEEvT1_
		.amdhsa_group_segment_fixed_size 0
		.amdhsa_private_segment_fixed_size 0
		.amdhsa_kernarg_size 40
		.amdhsa_user_sgpr_count 6
		.amdhsa_user_sgpr_private_segment_buffer 1
		.amdhsa_user_sgpr_dispatch_ptr 0
		.amdhsa_user_sgpr_queue_ptr 0
		.amdhsa_user_sgpr_kernarg_segment_ptr 1
		.amdhsa_user_sgpr_dispatch_id 0
		.amdhsa_user_sgpr_flat_scratch_init 0
		.amdhsa_user_sgpr_private_segment_size 0
		.amdhsa_wavefront_size32 1
		.amdhsa_uses_dynamic_stack 0
		.amdhsa_system_sgpr_private_segment_wavefront_offset 0
		.amdhsa_system_sgpr_workgroup_id_x 1
		.amdhsa_system_sgpr_workgroup_id_y 0
		.amdhsa_system_sgpr_workgroup_id_z 0
		.amdhsa_system_sgpr_workgroup_info 0
		.amdhsa_system_vgpr_workitem_id 0
		.amdhsa_next_free_vgpr 1
		.amdhsa_next_free_sgpr 1
		.amdhsa_reserve_vcc 0
		.amdhsa_reserve_flat_scratch 0
		.amdhsa_float_round_mode_32 0
		.amdhsa_float_round_mode_16_64 0
		.amdhsa_float_denorm_mode_32 3
		.amdhsa_float_denorm_mode_16_64 3
		.amdhsa_dx10_clamp 1
		.amdhsa_ieee_mode 1
		.amdhsa_fp16_overflow 0
		.amdhsa_workgroup_processor_mode 1
		.amdhsa_memory_ordered 1
		.amdhsa_forward_progress 1
		.amdhsa_shared_vgpr_count 0
		.amdhsa_exception_fp_ieee_invalid_op 0
		.amdhsa_exception_fp_denorm_src 0
		.amdhsa_exception_fp_ieee_div_zero 0
		.amdhsa_exception_fp_ieee_overflow 0
		.amdhsa_exception_fp_ieee_underflow 0
		.amdhsa_exception_fp_ieee_inexact 0
		.amdhsa_exception_int_div_zero 0
	.end_amdhsa_kernel
	.section	.text._ZN7rocprim17ROCPRIM_400000_NS6detail17trampoline_kernelINS0_14default_configENS1_25transform_config_selectorIiLb0EEEZNS1_14transform_implILb0ES3_S5_N6thrust23THRUST_200600_302600_NS6detail15normal_iteratorINS8_10device_ptrIiEEEEPiNS0_8identityIiEEEE10hipError_tT2_T3_mT4_P12ihipStream_tbEUlT_E_NS1_11comp_targetILNS1_3genE2ELNS1_11target_archE906ELNS1_3gpuE6ELNS1_3repE0EEENS1_30default_config_static_selectorELNS0_4arch9wavefront6targetE0EEEvT1_,"axG",@progbits,_ZN7rocprim17ROCPRIM_400000_NS6detail17trampoline_kernelINS0_14default_configENS1_25transform_config_selectorIiLb0EEEZNS1_14transform_implILb0ES3_S5_N6thrust23THRUST_200600_302600_NS6detail15normal_iteratorINS8_10device_ptrIiEEEEPiNS0_8identityIiEEEE10hipError_tT2_T3_mT4_P12ihipStream_tbEUlT_E_NS1_11comp_targetILNS1_3genE2ELNS1_11target_archE906ELNS1_3gpuE6ELNS1_3repE0EEENS1_30default_config_static_selectorELNS0_4arch9wavefront6targetE0EEEvT1_,comdat
.Lfunc_end154:
	.size	_ZN7rocprim17ROCPRIM_400000_NS6detail17trampoline_kernelINS0_14default_configENS1_25transform_config_selectorIiLb0EEEZNS1_14transform_implILb0ES3_S5_N6thrust23THRUST_200600_302600_NS6detail15normal_iteratorINS8_10device_ptrIiEEEEPiNS0_8identityIiEEEE10hipError_tT2_T3_mT4_P12ihipStream_tbEUlT_E_NS1_11comp_targetILNS1_3genE2ELNS1_11target_archE906ELNS1_3gpuE6ELNS1_3repE0EEENS1_30default_config_static_selectorELNS0_4arch9wavefront6targetE0EEEvT1_, .Lfunc_end154-_ZN7rocprim17ROCPRIM_400000_NS6detail17trampoline_kernelINS0_14default_configENS1_25transform_config_selectorIiLb0EEEZNS1_14transform_implILb0ES3_S5_N6thrust23THRUST_200600_302600_NS6detail15normal_iteratorINS8_10device_ptrIiEEEEPiNS0_8identityIiEEEE10hipError_tT2_T3_mT4_P12ihipStream_tbEUlT_E_NS1_11comp_targetILNS1_3genE2ELNS1_11target_archE906ELNS1_3gpuE6ELNS1_3repE0EEENS1_30default_config_static_selectorELNS0_4arch9wavefront6targetE0EEEvT1_
                                        ; -- End function
	.set _ZN7rocprim17ROCPRIM_400000_NS6detail17trampoline_kernelINS0_14default_configENS1_25transform_config_selectorIiLb0EEEZNS1_14transform_implILb0ES3_S5_N6thrust23THRUST_200600_302600_NS6detail15normal_iteratorINS8_10device_ptrIiEEEEPiNS0_8identityIiEEEE10hipError_tT2_T3_mT4_P12ihipStream_tbEUlT_E_NS1_11comp_targetILNS1_3genE2ELNS1_11target_archE906ELNS1_3gpuE6ELNS1_3repE0EEENS1_30default_config_static_selectorELNS0_4arch9wavefront6targetE0EEEvT1_.num_vgpr, 0
	.set _ZN7rocprim17ROCPRIM_400000_NS6detail17trampoline_kernelINS0_14default_configENS1_25transform_config_selectorIiLb0EEEZNS1_14transform_implILb0ES3_S5_N6thrust23THRUST_200600_302600_NS6detail15normal_iteratorINS8_10device_ptrIiEEEEPiNS0_8identityIiEEEE10hipError_tT2_T3_mT4_P12ihipStream_tbEUlT_E_NS1_11comp_targetILNS1_3genE2ELNS1_11target_archE906ELNS1_3gpuE6ELNS1_3repE0EEENS1_30default_config_static_selectorELNS0_4arch9wavefront6targetE0EEEvT1_.num_agpr, 0
	.set _ZN7rocprim17ROCPRIM_400000_NS6detail17trampoline_kernelINS0_14default_configENS1_25transform_config_selectorIiLb0EEEZNS1_14transform_implILb0ES3_S5_N6thrust23THRUST_200600_302600_NS6detail15normal_iteratorINS8_10device_ptrIiEEEEPiNS0_8identityIiEEEE10hipError_tT2_T3_mT4_P12ihipStream_tbEUlT_E_NS1_11comp_targetILNS1_3genE2ELNS1_11target_archE906ELNS1_3gpuE6ELNS1_3repE0EEENS1_30default_config_static_selectorELNS0_4arch9wavefront6targetE0EEEvT1_.numbered_sgpr, 0
	.set _ZN7rocprim17ROCPRIM_400000_NS6detail17trampoline_kernelINS0_14default_configENS1_25transform_config_selectorIiLb0EEEZNS1_14transform_implILb0ES3_S5_N6thrust23THRUST_200600_302600_NS6detail15normal_iteratorINS8_10device_ptrIiEEEEPiNS0_8identityIiEEEE10hipError_tT2_T3_mT4_P12ihipStream_tbEUlT_E_NS1_11comp_targetILNS1_3genE2ELNS1_11target_archE906ELNS1_3gpuE6ELNS1_3repE0EEENS1_30default_config_static_selectorELNS0_4arch9wavefront6targetE0EEEvT1_.num_named_barrier, 0
	.set _ZN7rocprim17ROCPRIM_400000_NS6detail17trampoline_kernelINS0_14default_configENS1_25transform_config_selectorIiLb0EEEZNS1_14transform_implILb0ES3_S5_N6thrust23THRUST_200600_302600_NS6detail15normal_iteratorINS8_10device_ptrIiEEEEPiNS0_8identityIiEEEE10hipError_tT2_T3_mT4_P12ihipStream_tbEUlT_E_NS1_11comp_targetILNS1_3genE2ELNS1_11target_archE906ELNS1_3gpuE6ELNS1_3repE0EEENS1_30default_config_static_selectorELNS0_4arch9wavefront6targetE0EEEvT1_.private_seg_size, 0
	.set _ZN7rocprim17ROCPRIM_400000_NS6detail17trampoline_kernelINS0_14default_configENS1_25transform_config_selectorIiLb0EEEZNS1_14transform_implILb0ES3_S5_N6thrust23THRUST_200600_302600_NS6detail15normal_iteratorINS8_10device_ptrIiEEEEPiNS0_8identityIiEEEE10hipError_tT2_T3_mT4_P12ihipStream_tbEUlT_E_NS1_11comp_targetILNS1_3genE2ELNS1_11target_archE906ELNS1_3gpuE6ELNS1_3repE0EEENS1_30default_config_static_selectorELNS0_4arch9wavefront6targetE0EEEvT1_.uses_vcc, 0
	.set _ZN7rocprim17ROCPRIM_400000_NS6detail17trampoline_kernelINS0_14default_configENS1_25transform_config_selectorIiLb0EEEZNS1_14transform_implILb0ES3_S5_N6thrust23THRUST_200600_302600_NS6detail15normal_iteratorINS8_10device_ptrIiEEEEPiNS0_8identityIiEEEE10hipError_tT2_T3_mT4_P12ihipStream_tbEUlT_E_NS1_11comp_targetILNS1_3genE2ELNS1_11target_archE906ELNS1_3gpuE6ELNS1_3repE0EEENS1_30default_config_static_selectorELNS0_4arch9wavefront6targetE0EEEvT1_.uses_flat_scratch, 0
	.set _ZN7rocprim17ROCPRIM_400000_NS6detail17trampoline_kernelINS0_14default_configENS1_25transform_config_selectorIiLb0EEEZNS1_14transform_implILb0ES3_S5_N6thrust23THRUST_200600_302600_NS6detail15normal_iteratorINS8_10device_ptrIiEEEEPiNS0_8identityIiEEEE10hipError_tT2_T3_mT4_P12ihipStream_tbEUlT_E_NS1_11comp_targetILNS1_3genE2ELNS1_11target_archE906ELNS1_3gpuE6ELNS1_3repE0EEENS1_30default_config_static_selectorELNS0_4arch9wavefront6targetE0EEEvT1_.has_dyn_sized_stack, 0
	.set _ZN7rocprim17ROCPRIM_400000_NS6detail17trampoline_kernelINS0_14default_configENS1_25transform_config_selectorIiLb0EEEZNS1_14transform_implILb0ES3_S5_N6thrust23THRUST_200600_302600_NS6detail15normal_iteratorINS8_10device_ptrIiEEEEPiNS0_8identityIiEEEE10hipError_tT2_T3_mT4_P12ihipStream_tbEUlT_E_NS1_11comp_targetILNS1_3genE2ELNS1_11target_archE906ELNS1_3gpuE6ELNS1_3repE0EEENS1_30default_config_static_selectorELNS0_4arch9wavefront6targetE0EEEvT1_.has_recursion, 0
	.set _ZN7rocprim17ROCPRIM_400000_NS6detail17trampoline_kernelINS0_14default_configENS1_25transform_config_selectorIiLb0EEEZNS1_14transform_implILb0ES3_S5_N6thrust23THRUST_200600_302600_NS6detail15normal_iteratorINS8_10device_ptrIiEEEEPiNS0_8identityIiEEEE10hipError_tT2_T3_mT4_P12ihipStream_tbEUlT_E_NS1_11comp_targetILNS1_3genE2ELNS1_11target_archE906ELNS1_3gpuE6ELNS1_3repE0EEENS1_30default_config_static_selectorELNS0_4arch9wavefront6targetE0EEEvT1_.has_indirect_call, 0
	.section	.AMDGPU.csdata,"",@progbits
; Kernel info:
; codeLenInByte = 0
; TotalNumSgprs: 0
; NumVgprs: 0
; ScratchSize: 0
; MemoryBound: 0
; FloatMode: 240
; IeeeMode: 1
; LDSByteSize: 0 bytes/workgroup (compile time only)
; SGPRBlocks: 0
; VGPRBlocks: 0
; NumSGPRsForWavesPerEU: 1
; NumVGPRsForWavesPerEU: 1
; Occupancy: 16
; WaveLimiterHint : 0
; COMPUTE_PGM_RSRC2:SCRATCH_EN: 0
; COMPUTE_PGM_RSRC2:USER_SGPR: 6
; COMPUTE_PGM_RSRC2:TRAP_HANDLER: 0
; COMPUTE_PGM_RSRC2:TGID_X_EN: 1
; COMPUTE_PGM_RSRC2:TGID_Y_EN: 0
; COMPUTE_PGM_RSRC2:TGID_Z_EN: 0
; COMPUTE_PGM_RSRC2:TIDIG_COMP_CNT: 0
	.section	.text._ZN7rocprim17ROCPRIM_400000_NS6detail17trampoline_kernelINS0_14default_configENS1_25transform_config_selectorIiLb0EEEZNS1_14transform_implILb0ES3_S5_N6thrust23THRUST_200600_302600_NS6detail15normal_iteratorINS8_10device_ptrIiEEEEPiNS0_8identityIiEEEE10hipError_tT2_T3_mT4_P12ihipStream_tbEUlT_E_NS1_11comp_targetILNS1_3genE10ELNS1_11target_archE1201ELNS1_3gpuE5ELNS1_3repE0EEENS1_30default_config_static_selectorELNS0_4arch9wavefront6targetE0EEEvT1_,"axG",@progbits,_ZN7rocprim17ROCPRIM_400000_NS6detail17trampoline_kernelINS0_14default_configENS1_25transform_config_selectorIiLb0EEEZNS1_14transform_implILb0ES3_S5_N6thrust23THRUST_200600_302600_NS6detail15normal_iteratorINS8_10device_ptrIiEEEEPiNS0_8identityIiEEEE10hipError_tT2_T3_mT4_P12ihipStream_tbEUlT_E_NS1_11comp_targetILNS1_3genE10ELNS1_11target_archE1201ELNS1_3gpuE5ELNS1_3repE0EEENS1_30default_config_static_selectorELNS0_4arch9wavefront6targetE0EEEvT1_,comdat
	.protected	_ZN7rocprim17ROCPRIM_400000_NS6detail17trampoline_kernelINS0_14default_configENS1_25transform_config_selectorIiLb0EEEZNS1_14transform_implILb0ES3_S5_N6thrust23THRUST_200600_302600_NS6detail15normal_iteratorINS8_10device_ptrIiEEEEPiNS0_8identityIiEEEE10hipError_tT2_T3_mT4_P12ihipStream_tbEUlT_E_NS1_11comp_targetILNS1_3genE10ELNS1_11target_archE1201ELNS1_3gpuE5ELNS1_3repE0EEENS1_30default_config_static_selectorELNS0_4arch9wavefront6targetE0EEEvT1_ ; -- Begin function _ZN7rocprim17ROCPRIM_400000_NS6detail17trampoline_kernelINS0_14default_configENS1_25transform_config_selectorIiLb0EEEZNS1_14transform_implILb0ES3_S5_N6thrust23THRUST_200600_302600_NS6detail15normal_iteratorINS8_10device_ptrIiEEEEPiNS0_8identityIiEEEE10hipError_tT2_T3_mT4_P12ihipStream_tbEUlT_E_NS1_11comp_targetILNS1_3genE10ELNS1_11target_archE1201ELNS1_3gpuE5ELNS1_3repE0EEENS1_30default_config_static_selectorELNS0_4arch9wavefront6targetE0EEEvT1_
	.globl	_ZN7rocprim17ROCPRIM_400000_NS6detail17trampoline_kernelINS0_14default_configENS1_25transform_config_selectorIiLb0EEEZNS1_14transform_implILb0ES3_S5_N6thrust23THRUST_200600_302600_NS6detail15normal_iteratorINS8_10device_ptrIiEEEEPiNS0_8identityIiEEEE10hipError_tT2_T3_mT4_P12ihipStream_tbEUlT_E_NS1_11comp_targetILNS1_3genE10ELNS1_11target_archE1201ELNS1_3gpuE5ELNS1_3repE0EEENS1_30default_config_static_selectorELNS0_4arch9wavefront6targetE0EEEvT1_
	.p2align	8
	.type	_ZN7rocprim17ROCPRIM_400000_NS6detail17trampoline_kernelINS0_14default_configENS1_25transform_config_selectorIiLb0EEEZNS1_14transform_implILb0ES3_S5_N6thrust23THRUST_200600_302600_NS6detail15normal_iteratorINS8_10device_ptrIiEEEEPiNS0_8identityIiEEEE10hipError_tT2_T3_mT4_P12ihipStream_tbEUlT_E_NS1_11comp_targetILNS1_3genE10ELNS1_11target_archE1201ELNS1_3gpuE5ELNS1_3repE0EEENS1_30default_config_static_selectorELNS0_4arch9wavefront6targetE0EEEvT1_,@function
_ZN7rocprim17ROCPRIM_400000_NS6detail17trampoline_kernelINS0_14default_configENS1_25transform_config_selectorIiLb0EEEZNS1_14transform_implILb0ES3_S5_N6thrust23THRUST_200600_302600_NS6detail15normal_iteratorINS8_10device_ptrIiEEEEPiNS0_8identityIiEEEE10hipError_tT2_T3_mT4_P12ihipStream_tbEUlT_E_NS1_11comp_targetILNS1_3genE10ELNS1_11target_archE1201ELNS1_3gpuE5ELNS1_3repE0EEENS1_30default_config_static_selectorELNS0_4arch9wavefront6targetE0EEEvT1_: ; @_ZN7rocprim17ROCPRIM_400000_NS6detail17trampoline_kernelINS0_14default_configENS1_25transform_config_selectorIiLb0EEEZNS1_14transform_implILb0ES3_S5_N6thrust23THRUST_200600_302600_NS6detail15normal_iteratorINS8_10device_ptrIiEEEEPiNS0_8identityIiEEEE10hipError_tT2_T3_mT4_P12ihipStream_tbEUlT_E_NS1_11comp_targetILNS1_3genE10ELNS1_11target_archE1201ELNS1_3gpuE5ELNS1_3repE0EEENS1_30default_config_static_selectorELNS0_4arch9wavefront6targetE0EEEvT1_
; %bb.0:
	.section	.rodata,"a",@progbits
	.p2align	6, 0x0
	.amdhsa_kernel _ZN7rocprim17ROCPRIM_400000_NS6detail17trampoline_kernelINS0_14default_configENS1_25transform_config_selectorIiLb0EEEZNS1_14transform_implILb0ES3_S5_N6thrust23THRUST_200600_302600_NS6detail15normal_iteratorINS8_10device_ptrIiEEEEPiNS0_8identityIiEEEE10hipError_tT2_T3_mT4_P12ihipStream_tbEUlT_E_NS1_11comp_targetILNS1_3genE10ELNS1_11target_archE1201ELNS1_3gpuE5ELNS1_3repE0EEENS1_30default_config_static_selectorELNS0_4arch9wavefront6targetE0EEEvT1_
		.amdhsa_group_segment_fixed_size 0
		.amdhsa_private_segment_fixed_size 0
		.amdhsa_kernarg_size 40
		.amdhsa_user_sgpr_count 6
		.amdhsa_user_sgpr_private_segment_buffer 1
		.amdhsa_user_sgpr_dispatch_ptr 0
		.amdhsa_user_sgpr_queue_ptr 0
		.amdhsa_user_sgpr_kernarg_segment_ptr 1
		.amdhsa_user_sgpr_dispatch_id 0
		.amdhsa_user_sgpr_flat_scratch_init 0
		.amdhsa_user_sgpr_private_segment_size 0
		.amdhsa_wavefront_size32 1
		.amdhsa_uses_dynamic_stack 0
		.amdhsa_system_sgpr_private_segment_wavefront_offset 0
		.amdhsa_system_sgpr_workgroup_id_x 1
		.amdhsa_system_sgpr_workgroup_id_y 0
		.amdhsa_system_sgpr_workgroup_id_z 0
		.amdhsa_system_sgpr_workgroup_info 0
		.amdhsa_system_vgpr_workitem_id 0
		.amdhsa_next_free_vgpr 1
		.amdhsa_next_free_sgpr 1
		.amdhsa_reserve_vcc 0
		.amdhsa_reserve_flat_scratch 0
		.amdhsa_float_round_mode_32 0
		.amdhsa_float_round_mode_16_64 0
		.amdhsa_float_denorm_mode_32 3
		.amdhsa_float_denorm_mode_16_64 3
		.amdhsa_dx10_clamp 1
		.amdhsa_ieee_mode 1
		.amdhsa_fp16_overflow 0
		.amdhsa_workgroup_processor_mode 1
		.amdhsa_memory_ordered 1
		.amdhsa_forward_progress 1
		.amdhsa_shared_vgpr_count 0
		.amdhsa_exception_fp_ieee_invalid_op 0
		.amdhsa_exception_fp_denorm_src 0
		.amdhsa_exception_fp_ieee_div_zero 0
		.amdhsa_exception_fp_ieee_overflow 0
		.amdhsa_exception_fp_ieee_underflow 0
		.amdhsa_exception_fp_ieee_inexact 0
		.amdhsa_exception_int_div_zero 0
	.end_amdhsa_kernel
	.section	.text._ZN7rocprim17ROCPRIM_400000_NS6detail17trampoline_kernelINS0_14default_configENS1_25transform_config_selectorIiLb0EEEZNS1_14transform_implILb0ES3_S5_N6thrust23THRUST_200600_302600_NS6detail15normal_iteratorINS8_10device_ptrIiEEEEPiNS0_8identityIiEEEE10hipError_tT2_T3_mT4_P12ihipStream_tbEUlT_E_NS1_11comp_targetILNS1_3genE10ELNS1_11target_archE1201ELNS1_3gpuE5ELNS1_3repE0EEENS1_30default_config_static_selectorELNS0_4arch9wavefront6targetE0EEEvT1_,"axG",@progbits,_ZN7rocprim17ROCPRIM_400000_NS6detail17trampoline_kernelINS0_14default_configENS1_25transform_config_selectorIiLb0EEEZNS1_14transform_implILb0ES3_S5_N6thrust23THRUST_200600_302600_NS6detail15normal_iteratorINS8_10device_ptrIiEEEEPiNS0_8identityIiEEEE10hipError_tT2_T3_mT4_P12ihipStream_tbEUlT_E_NS1_11comp_targetILNS1_3genE10ELNS1_11target_archE1201ELNS1_3gpuE5ELNS1_3repE0EEENS1_30default_config_static_selectorELNS0_4arch9wavefront6targetE0EEEvT1_,comdat
.Lfunc_end155:
	.size	_ZN7rocprim17ROCPRIM_400000_NS6detail17trampoline_kernelINS0_14default_configENS1_25transform_config_selectorIiLb0EEEZNS1_14transform_implILb0ES3_S5_N6thrust23THRUST_200600_302600_NS6detail15normal_iteratorINS8_10device_ptrIiEEEEPiNS0_8identityIiEEEE10hipError_tT2_T3_mT4_P12ihipStream_tbEUlT_E_NS1_11comp_targetILNS1_3genE10ELNS1_11target_archE1201ELNS1_3gpuE5ELNS1_3repE0EEENS1_30default_config_static_selectorELNS0_4arch9wavefront6targetE0EEEvT1_, .Lfunc_end155-_ZN7rocprim17ROCPRIM_400000_NS6detail17trampoline_kernelINS0_14default_configENS1_25transform_config_selectorIiLb0EEEZNS1_14transform_implILb0ES3_S5_N6thrust23THRUST_200600_302600_NS6detail15normal_iteratorINS8_10device_ptrIiEEEEPiNS0_8identityIiEEEE10hipError_tT2_T3_mT4_P12ihipStream_tbEUlT_E_NS1_11comp_targetILNS1_3genE10ELNS1_11target_archE1201ELNS1_3gpuE5ELNS1_3repE0EEENS1_30default_config_static_selectorELNS0_4arch9wavefront6targetE0EEEvT1_
                                        ; -- End function
	.set _ZN7rocprim17ROCPRIM_400000_NS6detail17trampoline_kernelINS0_14default_configENS1_25transform_config_selectorIiLb0EEEZNS1_14transform_implILb0ES3_S5_N6thrust23THRUST_200600_302600_NS6detail15normal_iteratorINS8_10device_ptrIiEEEEPiNS0_8identityIiEEEE10hipError_tT2_T3_mT4_P12ihipStream_tbEUlT_E_NS1_11comp_targetILNS1_3genE10ELNS1_11target_archE1201ELNS1_3gpuE5ELNS1_3repE0EEENS1_30default_config_static_selectorELNS0_4arch9wavefront6targetE0EEEvT1_.num_vgpr, 0
	.set _ZN7rocprim17ROCPRIM_400000_NS6detail17trampoline_kernelINS0_14default_configENS1_25transform_config_selectorIiLb0EEEZNS1_14transform_implILb0ES3_S5_N6thrust23THRUST_200600_302600_NS6detail15normal_iteratorINS8_10device_ptrIiEEEEPiNS0_8identityIiEEEE10hipError_tT2_T3_mT4_P12ihipStream_tbEUlT_E_NS1_11comp_targetILNS1_3genE10ELNS1_11target_archE1201ELNS1_3gpuE5ELNS1_3repE0EEENS1_30default_config_static_selectorELNS0_4arch9wavefront6targetE0EEEvT1_.num_agpr, 0
	.set _ZN7rocprim17ROCPRIM_400000_NS6detail17trampoline_kernelINS0_14default_configENS1_25transform_config_selectorIiLb0EEEZNS1_14transform_implILb0ES3_S5_N6thrust23THRUST_200600_302600_NS6detail15normal_iteratorINS8_10device_ptrIiEEEEPiNS0_8identityIiEEEE10hipError_tT2_T3_mT4_P12ihipStream_tbEUlT_E_NS1_11comp_targetILNS1_3genE10ELNS1_11target_archE1201ELNS1_3gpuE5ELNS1_3repE0EEENS1_30default_config_static_selectorELNS0_4arch9wavefront6targetE0EEEvT1_.numbered_sgpr, 0
	.set _ZN7rocprim17ROCPRIM_400000_NS6detail17trampoline_kernelINS0_14default_configENS1_25transform_config_selectorIiLb0EEEZNS1_14transform_implILb0ES3_S5_N6thrust23THRUST_200600_302600_NS6detail15normal_iteratorINS8_10device_ptrIiEEEEPiNS0_8identityIiEEEE10hipError_tT2_T3_mT4_P12ihipStream_tbEUlT_E_NS1_11comp_targetILNS1_3genE10ELNS1_11target_archE1201ELNS1_3gpuE5ELNS1_3repE0EEENS1_30default_config_static_selectorELNS0_4arch9wavefront6targetE0EEEvT1_.num_named_barrier, 0
	.set _ZN7rocprim17ROCPRIM_400000_NS6detail17trampoline_kernelINS0_14default_configENS1_25transform_config_selectorIiLb0EEEZNS1_14transform_implILb0ES3_S5_N6thrust23THRUST_200600_302600_NS6detail15normal_iteratorINS8_10device_ptrIiEEEEPiNS0_8identityIiEEEE10hipError_tT2_T3_mT4_P12ihipStream_tbEUlT_E_NS1_11comp_targetILNS1_3genE10ELNS1_11target_archE1201ELNS1_3gpuE5ELNS1_3repE0EEENS1_30default_config_static_selectorELNS0_4arch9wavefront6targetE0EEEvT1_.private_seg_size, 0
	.set _ZN7rocprim17ROCPRIM_400000_NS6detail17trampoline_kernelINS0_14default_configENS1_25transform_config_selectorIiLb0EEEZNS1_14transform_implILb0ES3_S5_N6thrust23THRUST_200600_302600_NS6detail15normal_iteratorINS8_10device_ptrIiEEEEPiNS0_8identityIiEEEE10hipError_tT2_T3_mT4_P12ihipStream_tbEUlT_E_NS1_11comp_targetILNS1_3genE10ELNS1_11target_archE1201ELNS1_3gpuE5ELNS1_3repE0EEENS1_30default_config_static_selectorELNS0_4arch9wavefront6targetE0EEEvT1_.uses_vcc, 0
	.set _ZN7rocprim17ROCPRIM_400000_NS6detail17trampoline_kernelINS0_14default_configENS1_25transform_config_selectorIiLb0EEEZNS1_14transform_implILb0ES3_S5_N6thrust23THRUST_200600_302600_NS6detail15normal_iteratorINS8_10device_ptrIiEEEEPiNS0_8identityIiEEEE10hipError_tT2_T3_mT4_P12ihipStream_tbEUlT_E_NS1_11comp_targetILNS1_3genE10ELNS1_11target_archE1201ELNS1_3gpuE5ELNS1_3repE0EEENS1_30default_config_static_selectorELNS0_4arch9wavefront6targetE0EEEvT1_.uses_flat_scratch, 0
	.set _ZN7rocprim17ROCPRIM_400000_NS6detail17trampoline_kernelINS0_14default_configENS1_25transform_config_selectorIiLb0EEEZNS1_14transform_implILb0ES3_S5_N6thrust23THRUST_200600_302600_NS6detail15normal_iteratorINS8_10device_ptrIiEEEEPiNS0_8identityIiEEEE10hipError_tT2_T3_mT4_P12ihipStream_tbEUlT_E_NS1_11comp_targetILNS1_3genE10ELNS1_11target_archE1201ELNS1_3gpuE5ELNS1_3repE0EEENS1_30default_config_static_selectorELNS0_4arch9wavefront6targetE0EEEvT1_.has_dyn_sized_stack, 0
	.set _ZN7rocprim17ROCPRIM_400000_NS6detail17trampoline_kernelINS0_14default_configENS1_25transform_config_selectorIiLb0EEEZNS1_14transform_implILb0ES3_S5_N6thrust23THRUST_200600_302600_NS6detail15normal_iteratorINS8_10device_ptrIiEEEEPiNS0_8identityIiEEEE10hipError_tT2_T3_mT4_P12ihipStream_tbEUlT_E_NS1_11comp_targetILNS1_3genE10ELNS1_11target_archE1201ELNS1_3gpuE5ELNS1_3repE0EEENS1_30default_config_static_selectorELNS0_4arch9wavefront6targetE0EEEvT1_.has_recursion, 0
	.set _ZN7rocprim17ROCPRIM_400000_NS6detail17trampoline_kernelINS0_14default_configENS1_25transform_config_selectorIiLb0EEEZNS1_14transform_implILb0ES3_S5_N6thrust23THRUST_200600_302600_NS6detail15normal_iteratorINS8_10device_ptrIiEEEEPiNS0_8identityIiEEEE10hipError_tT2_T3_mT4_P12ihipStream_tbEUlT_E_NS1_11comp_targetILNS1_3genE10ELNS1_11target_archE1201ELNS1_3gpuE5ELNS1_3repE0EEENS1_30default_config_static_selectorELNS0_4arch9wavefront6targetE0EEEvT1_.has_indirect_call, 0
	.section	.AMDGPU.csdata,"",@progbits
; Kernel info:
; codeLenInByte = 0
; TotalNumSgprs: 0
; NumVgprs: 0
; ScratchSize: 0
; MemoryBound: 0
; FloatMode: 240
; IeeeMode: 1
; LDSByteSize: 0 bytes/workgroup (compile time only)
; SGPRBlocks: 0
; VGPRBlocks: 0
; NumSGPRsForWavesPerEU: 1
; NumVGPRsForWavesPerEU: 1
; Occupancy: 16
; WaveLimiterHint : 0
; COMPUTE_PGM_RSRC2:SCRATCH_EN: 0
; COMPUTE_PGM_RSRC2:USER_SGPR: 6
; COMPUTE_PGM_RSRC2:TRAP_HANDLER: 0
; COMPUTE_PGM_RSRC2:TGID_X_EN: 1
; COMPUTE_PGM_RSRC2:TGID_Y_EN: 0
; COMPUTE_PGM_RSRC2:TGID_Z_EN: 0
; COMPUTE_PGM_RSRC2:TIDIG_COMP_CNT: 0
	.section	.text._ZN7rocprim17ROCPRIM_400000_NS6detail17trampoline_kernelINS0_14default_configENS1_25transform_config_selectorIiLb0EEEZNS1_14transform_implILb0ES3_S5_N6thrust23THRUST_200600_302600_NS6detail15normal_iteratorINS8_10device_ptrIiEEEEPiNS0_8identityIiEEEE10hipError_tT2_T3_mT4_P12ihipStream_tbEUlT_E_NS1_11comp_targetILNS1_3genE10ELNS1_11target_archE1200ELNS1_3gpuE4ELNS1_3repE0EEENS1_30default_config_static_selectorELNS0_4arch9wavefront6targetE0EEEvT1_,"axG",@progbits,_ZN7rocprim17ROCPRIM_400000_NS6detail17trampoline_kernelINS0_14default_configENS1_25transform_config_selectorIiLb0EEEZNS1_14transform_implILb0ES3_S5_N6thrust23THRUST_200600_302600_NS6detail15normal_iteratorINS8_10device_ptrIiEEEEPiNS0_8identityIiEEEE10hipError_tT2_T3_mT4_P12ihipStream_tbEUlT_E_NS1_11comp_targetILNS1_3genE10ELNS1_11target_archE1200ELNS1_3gpuE4ELNS1_3repE0EEENS1_30default_config_static_selectorELNS0_4arch9wavefront6targetE0EEEvT1_,comdat
	.protected	_ZN7rocprim17ROCPRIM_400000_NS6detail17trampoline_kernelINS0_14default_configENS1_25transform_config_selectorIiLb0EEEZNS1_14transform_implILb0ES3_S5_N6thrust23THRUST_200600_302600_NS6detail15normal_iteratorINS8_10device_ptrIiEEEEPiNS0_8identityIiEEEE10hipError_tT2_T3_mT4_P12ihipStream_tbEUlT_E_NS1_11comp_targetILNS1_3genE10ELNS1_11target_archE1200ELNS1_3gpuE4ELNS1_3repE0EEENS1_30default_config_static_selectorELNS0_4arch9wavefront6targetE0EEEvT1_ ; -- Begin function _ZN7rocprim17ROCPRIM_400000_NS6detail17trampoline_kernelINS0_14default_configENS1_25transform_config_selectorIiLb0EEEZNS1_14transform_implILb0ES3_S5_N6thrust23THRUST_200600_302600_NS6detail15normal_iteratorINS8_10device_ptrIiEEEEPiNS0_8identityIiEEEE10hipError_tT2_T3_mT4_P12ihipStream_tbEUlT_E_NS1_11comp_targetILNS1_3genE10ELNS1_11target_archE1200ELNS1_3gpuE4ELNS1_3repE0EEENS1_30default_config_static_selectorELNS0_4arch9wavefront6targetE0EEEvT1_
	.globl	_ZN7rocprim17ROCPRIM_400000_NS6detail17trampoline_kernelINS0_14default_configENS1_25transform_config_selectorIiLb0EEEZNS1_14transform_implILb0ES3_S5_N6thrust23THRUST_200600_302600_NS6detail15normal_iteratorINS8_10device_ptrIiEEEEPiNS0_8identityIiEEEE10hipError_tT2_T3_mT4_P12ihipStream_tbEUlT_E_NS1_11comp_targetILNS1_3genE10ELNS1_11target_archE1200ELNS1_3gpuE4ELNS1_3repE0EEENS1_30default_config_static_selectorELNS0_4arch9wavefront6targetE0EEEvT1_
	.p2align	8
	.type	_ZN7rocprim17ROCPRIM_400000_NS6detail17trampoline_kernelINS0_14default_configENS1_25transform_config_selectorIiLb0EEEZNS1_14transform_implILb0ES3_S5_N6thrust23THRUST_200600_302600_NS6detail15normal_iteratorINS8_10device_ptrIiEEEEPiNS0_8identityIiEEEE10hipError_tT2_T3_mT4_P12ihipStream_tbEUlT_E_NS1_11comp_targetILNS1_3genE10ELNS1_11target_archE1200ELNS1_3gpuE4ELNS1_3repE0EEENS1_30default_config_static_selectorELNS0_4arch9wavefront6targetE0EEEvT1_,@function
_ZN7rocprim17ROCPRIM_400000_NS6detail17trampoline_kernelINS0_14default_configENS1_25transform_config_selectorIiLb0EEEZNS1_14transform_implILb0ES3_S5_N6thrust23THRUST_200600_302600_NS6detail15normal_iteratorINS8_10device_ptrIiEEEEPiNS0_8identityIiEEEE10hipError_tT2_T3_mT4_P12ihipStream_tbEUlT_E_NS1_11comp_targetILNS1_3genE10ELNS1_11target_archE1200ELNS1_3gpuE4ELNS1_3repE0EEENS1_30default_config_static_selectorELNS0_4arch9wavefront6targetE0EEEvT1_: ; @_ZN7rocprim17ROCPRIM_400000_NS6detail17trampoline_kernelINS0_14default_configENS1_25transform_config_selectorIiLb0EEEZNS1_14transform_implILb0ES3_S5_N6thrust23THRUST_200600_302600_NS6detail15normal_iteratorINS8_10device_ptrIiEEEEPiNS0_8identityIiEEEE10hipError_tT2_T3_mT4_P12ihipStream_tbEUlT_E_NS1_11comp_targetILNS1_3genE10ELNS1_11target_archE1200ELNS1_3gpuE4ELNS1_3repE0EEENS1_30default_config_static_selectorELNS0_4arch9wavefront6targetE0EEEvT1_
; %bb.0:
	.section	.rodata,"a",@progbits
	.p2align	6, 0x0
	.amdhsa_kernel _ZN7rocprim17ROCPRIM_400000_NS6detail17trampoline_kernelINS0_14default_configENS1_25transform_config_selectorIiLb0EEEZNS1_14transform_implILb0ES3_S5_N6thrust23THRUST_200600_302600_NS6detail15normal_iteratorINS8_10device_ptrIiEEEEPiNS0_8identityIiEEEE10hipError_tT2_T3_mT4_P12ihipStream_tbEUlT_E_NS1_11comp_targetILNS1_3genE10ELNS1_11target_archE1200ELNS1_3gpuE4ELNS1_3repE0EEENS1_30default_config_static_selectorELNS0_4arch9wavefront6targetE0EEEvT1_
		.amdhsa_group_segment_fixed_size 0
		.amdhsa_private_segment_fixed_size 0
		.amdhsa_kernarg_size 40
		.amdhsa_user_sgpr_count 6
		.amdhsa_user_sgpr_private_segment_buffer 1
		.amdhsa_user_sgpr_dispatch_ptr 0
		.amdhsa_user_sgpr_queue_ptr 0
		.amdhsa_user_sgpr_kernarg_segment_ptr 1
		.amdhsa_user_sgpr_dispatch_id 0
		.amdhsa_user_sgpr_flat_scratch_init 0
		.amdhsa_user_sgpr_private_segment_size 0
		.amdhsa_wavefront_size32 1
		.amdhsa_uses_dynamic_stack 0
		.amdhsa_system_sgpr_private_segment_wavefront_offset 0
		.amdhsa_system_sgpr_workgroup_id_x 1
		.amdhsa_system_sgpr_workgroup_id_y 0
		.amdhsa_system_sgpr_workgroup_id_z 0
		.amdhsa_system_sgpr_workgroup_info 0
		.amdhsa_system_vgpr_workitem_id 0
		.amdhsa_next_free_vgpr 1
		.amdhsa_next_free_sgpr 1
		.amdhsa_reserve_vcc 0
		.amdhsa_reserve_flat_scratch 0
		.amdhsa_float_round_mode_32 0
		.amdhsa_float_round_mode_16_64 0
		.amdhsa_float_denorm_mode_32 3
		.amdhsa_float_denorm_mode_16_64 3
		.amdhsa_dx10_clamp 1
		.amdhsa_ieee_mode 1
		.amdhsa_fp16_overflow 0
		.amdhsa_workgroup_processor_mode 1
		.amdhsa_memory_ordered 1
		.amdhsa_forward_progress 1
		.amdhsa_shared_vgpr_count 0
		.amdhsa_exception_fp_ieee_invalid_op 0
		.amdhsa_exception_fp_denorm_src 0
		.amdhsa_exception_fp_ieee_div_zero 0
		.amdhsa_exception_fp_ieee_overflow 0
		.amdhsa_exception_fp_ieee_underflow 0
		.amdhsa_exception_fp_ieee_inexact 0
		.amdhsa_exception_int_div_zero 0
	.end_amdhsa_kernel
	.section	.text._ZN7rocprim17ROCPRIM_400000_NS6detail17trampoline_kernelINS0_14default_configENS1_25transform_config_selectorIiLb0EEEZNS1_14transform_implILb0ES3_S5_N6thrust23THRUST_200600_302600_NS6detail15normal_iteratorINS8_10device_ptrIiEEEEPiNS0_8identityIiEEEE10hipError_tT2_T3_mT4_P12ihipStream_tbEUlT_E_NS1_11comp_targetILNS1_3genE10ELNS1_11target_archE1200ELNS1_3gpuE4ELNS1_3repE0EEENS1_30default_config_static_selectorELNS0_4arch9wavefront6targetE0EEEvT1_,"axG",@progbits,_ZN7rocprim17ROCPRIM_400000_NS6detail17trampoline_kernelINS0_14default_configENS1_25transform_config_selectorIiLb0EEEZNS1_14transform_implILb0ES3_S5_N6thrust23THRUST_200600_302600_NS6detail15normal_iteratorINS8_10device_ptrIiEEEEPiNS0_8identityIiEEEE10hipError_tT2_T3_mT4_P12ihipStream_tbEUlT_E_NS1_11comp_targetILNS1_3genE10ELNS1_11target_archE1200ELNS1_3gpuE4ELNS1_3repE0EEENS1_30default_config_static_selectorELNS0_4arch9wavefront6targetE0EEEvT1_,comdat
.Lfunc_end156:
	.size	_ZN7rocprim17ROCPRIM_400000_NS6detail17trampoline_kernelINS0_14default_configENS1_25transform_config_selectorIiLb0EEEZNS1_14transform_implILb0ES3_S5_N6thrust23THRUST_200600_302600_NS6detail15normal_iteratorINS8_10device_ptrIiEEEEPiNS0_8identityIiEEEE10hipError_tT2_T3_mT4_P12ihipStream_tbEUlT_E_NS1_11comp_targetILNS1_3genE10ELNS1_11target_archE1200ELNS1_3gpuE4ELNS1_3repE0EEENS1_30default_config_static_selectorELNS0_4arch9wavefront6targetE0EEEvT1_, .Lfunc_end156-_ZN7rocprim17ROCPRIM_400000_NS6detail17trampoline_kernelINS0_14default_configENS1_25transform_config_selectorIiLb0EEEZNS1_14transform_implILb0ES3_S5_N6thrust23THRUST_200600_302600_NS6detail15normal_iteratorINS8_10device_ptrIiEEEEPiNS0_8identityIiEEEE10hipError_tT2_T3_mT4_P12ihipStream_tbEUlT_E_NS1_11comp_targetILNS1_3genE10ELNS1_11target_archE1200ELNS1_3gpuE4ELNS1_3repE0EEENS1_30default_config_static_selectorELNS0_4arch9wavefront6targetE0EEEvT1_
                                        ; -- End function
	.set _ZN7rocprim17ROCPRIM_400000_NS6detail17trampoline_kernelINS0_14default_configENS1_25transform_config_selectorIiLb0EEEZNS1_14transform_implILb0ES3_S5_N6thrust23THRUST_200600_302600_NS6detail15normal_iteratorINS8_10device_ptrIiEEEEPiNS0_8identityIiEEEE10hipError_tT2_T3_mT4_P12ihipStream_tbEUlT_E_NS1_11comp_targetILNS1_3genE10ELNS1_11target_archE1200ELNS1_3gpuE4ELNS1_3repE0EEENS1_30default_config_static_selectorELNS0_4arch9wavefront6targetE0EEEvT1_.num_vgpr, 0
	.set _ZN7rocprim17ROCPRIM_400000_NS6detail17trampoline_kernelINS0_14default_configENS1_25transform_config_selectorIiLb0EEEZNS1_14transform_implILb0ES3_S5_N6thrust23THRUST_200600_302600_NS6detail15normal_iteratorINS8_10device_ptrIiEEEEPiNS0_8identityIiEEEE10hipError_tT2_T3_mT4_P12ihipStream_tbEUlT_E_NS1_11comp_targetILNS1_3genE10ELNS1_11target_archE1200ELNS1_3gpuE4ELNS1_3repE0EEENS1_30default_config_static_selectorELNS0_4arch9wavefront6targetE0EEEvT1_.num_agpr, 0
	.set _ZN7rocprim17ROCPRIM_400000_NS6detail17trampoline_kernelINS0_14default_configENS1_25transform_config_selectorIiLb0EEEZNS1_14transform_implILb0ES3_S5_N6thrust23THRUST_200600_302600_NS6detail15normal_iteratorINS8_10device_ptrIiEEEEPiNS0_8identityIiEEEE10hipError_tT2_T3_mT4_P12ihipStream_tbEUlT_E_NS1_11comp_targetILNS1_3genE10ELNS1_11target_archE1200ELNS1_3gpuE4ELNS1_3repE0EEENS1_30default_config_static_selectorELNS0_4arch9wavefront6targetE0EEEvT1_.numbered_sgpr, 0
	.set _ZN7rocprim17ROCPRIM_400000_NS6detail17trampoline_kernelINS0_14default_configENS1_25transform_config_selectorIiLb0EEEZNS1_14transform_implILb0ES3_S5_N6thrust23THRUST_200600_302600_NS6detail15normal_iteratorINS8_10device_ptrIiEEEEPiNS0_8identityIiEEEE10hipError_tT2_T3_mT4_P12ihipStream_tbEUlT_E_NS1_11comp_targetILNS1_3genE10ELNS1_11target_archE1200ELNS1_3gpuE4ELNS1_3repE0EEENS1_30default_config_static_selectorELNS0_4arch9wavefront6targetE0EEEvT1_.num_named_barrier, 0
	.set _ZN7rocprim17ROCPRIM_400000_NS6detail17trampoline_kernelINS0_14default_configENS1_25transform_config_selectorIiLb0EEEZNS1_14transform_implILb0ES3_S5_N6thrust23THRUST_200600_302600_NS6detail15normal_iteratorINS8_10device_ptrIiEEEEPiNS0_8identityIiEEEE10hipError_tT2_T3_mT4_P12ihipStream_tbEUlT_E_NS1_11comp_targetILNS1_3genE10ELNS1_11target_archE1200ELNS1_3gpuE4ELNS1_3repE0EEENS1_30default_config_static_selectorELNS0_4arch9wavefront6targetE0EEEvT1_.private_seg_size, 0
	.set _ZN7rocprim17ROCPRIM_400000_NS6detail17trampoline_kernelINS0_14default_configENS1_25transform_config_selectorIiLb0EEEZNS1_14transform_implILb0ES3_S5_N6thrust23THRUST_200600_302600_NS6detail15normal_iteratorINS8_10device_ptrIiEEEEPiNS0_8identityIiEEEE10hipError_tT2_T3_mT4_P12ihipStream_tbEUlT_E_NS1_11comp_targetILNS1_3genE10ELNS1_11target_archE1200ELNS1_3gpuE4ELNS1_3repE0EEENS1_30default_config_static_selectorELNS0_4arch9wavefront6targetE0EEEvT1_.uses_vcc, 0
	.set _ZN7rocprim17ROCPRIM_400000_NS6detail17trampoline_kernelINS0_14default_configENS1_25transform_config_selectorIiLb0EEEZNS1_14transform_implILb0ES3_S5_N6thrust23THRUST_200600_302600_NS6detail15normal_iteratorINS8_10device_ptrIiEEEEPiNS0_8identityIiEEEE10hipError_tT2_T3_mT4_P12ihipStream_tbEUlT_E_NS1_11comp_targetILNS1_3genE10ELNS1_11target_archE1200ELNS1_3gpuE4ELNS1_3repE0EEENS1_30default_config_static_selectorELNS0_4arch9wavefront6targetE0EEEvT1_.uses_flat_scratch, 0
	.set _ZN7rocprim17ROCPRIM_400000_NS6detail17trampoline_kernelINS0_14default_configENS1_25transform_config_selectorIiLb0EEEZNS1_14transform_implILb0ES3_S5_N6thrust23THRUST_200600_302600_NS6detail15normal_iteratorINS8_10device_ptrIiEEEEPiNS0_8identityIiEEEE10hipError_tT2_T3_mT4_P12ihipStream_tbEUlT_E_NS1_11comp_targetILNS1_3genE10ELNS1_11target_archE1200ELNS1_3gpuE4ELNS1_3repE0EEENS1_30default_config_static_selectorELNS0_4arch9wavefront6targetE0EEEvT1_.has_dyn_sized_stack, 0
	.set _ZN7rocprim17ROCPRIM_400000_NS6detail17trampoline_kernelINS0_14default_configENS1_25transform_config_selectorIiLb0EEEZNS1_14transform_implILb0ES3_S5_N6thrust23THRUST_200600_302600_NS6detail15normal_iteratorINS8_10device_ptrIiEEEEPiNS0_8identityIiEEEE10hipError_tT2_T3_mT4_P12ihipStream_tbEUlT_E_NS1_11comp_targetILNS1_3genE10ELNS1_11target_archE1200ELNS1_3gpuE4ELNS1_3repE0EEENS1_30default_config_static_selectorELNS0_4arch9wavefront6targetE0EEEvT1_.has_recursion, 0
	.set _ZN7rocprim17ROCPRIM_400000_NS6detail17trampoline_kernelINS0_14default_configENS1_25transform_config_selectorIiLb0EEEZNS1_14transform_implILb0ES3_S5_N6thrust23THRUST_200600_302600_NS6detail15normal_iteratorINS8_10device_ptrIiEEEEPiNS0_8identityIiEEEE10hipError_tT2_T3_mT4_P12ihipStream_tbEUlT_E_NS1_11comp_targetILNS1_3genE10ELNS1_11target_archE1200ELNS1_3gpuE4ELNS1_3repE0EEENS1_30default_config_static_selectorELNS0_4arch9wavefront6targetE0EEEvT1_.has_indirect_call, 0
	.section	.AMDGPU.csdata,"",@progbits
; Kernel info:
; codeLenInByte = 0
; TotalNumSgprs: 0
; NumVgprs: 0
; ScratchSize: 0
; MemoryBound: 0
; FloatMode: 240
; IeeeMode: 1
; LDSByteSize: 0 bytes/workgroup (compile time only)
; SGPRBlocks: 0
; VGPRBlocks: 0
; NumSGPRsForWavesPerEU: 1
; NumVGPRsForWavesPerEU: 1
; Occupancy: 16
; WaveLimiterHint : 0
; COMPUTE_PGM_RSRC2:SCRATCH_EN: 0
; COMPUTE_PGM_RSRC2:USER_SGPR: 6
; COMPUTE_PGM_RSRC2:TRAP_HANDLER: 0
; COMPUTE_PGM_RSRC2:TGID_X_EN: 1
; COMPUTE_PGM_RSRC2:TGID_Y_EN: 0
; COMPUTE_PGM_RSRC2:TGID_Z_EN: 0
; COMPUTE_PGM_RSRC2:TIDIG_COMP_CNT: 0
	.section	.text._ZN7rocprim17ROCPRIM_400000_NS6detail17trampoline_kernelINS0_14default_configENS1_25transform_config_selectorIiLb0EEEZNS1_14transform_implILb0ES3_S5_N6thrust23THRUST_200600_302600_NS6detail15normal_iteratorINS8_10device_ptrIiEEEEPiNS0_8identityIiEEEE10hipError_tT2_T3_mT4_P12ihipStream_tbEUlT_E_NS1_11comp_targetILNS1_3genE9ELNS1_11target_archE1100ELNS1_3gpuE3ELNS1_3repE0EEENS1_30default_config_static_selectorELNS0_4arch9wavefront6targetE0EEEvT1_,"axG",@progbits,_ZN7rocprim17ROCPRIM_400000_NS6detail17trampoline_kernelINS0_14default_configENS1_25transform_config_selectorIiLb0EEEZNS1_14transform_implILb0ES3_S5_N6thrust23THRUST_200600_302600_NS6detail15normal_iteratorINS8_10device_ptrIiEEEEPiNS0_8identityIiEEEE10hipError_tT2_T3_mT4_P12ihipStream_tbEUlT_E_NS1_11comp_targetILNS1_3genE9ELNS1_11target_archE1100ELNS1_3gpuE3ELNS1_3repE0EEENS1_30default_config_static_selectorELNS0_4arch9wavefront6targetE0EEEvT1_,comdat
	.protected	_ZN7rocprim17ROCPRIM_400000_NS6detail17trampoline_kernelINS0_14default_configENS1_25transform_config_selectorIiLb0EEEZNS1_14transform_implILb0ES3_S5_N6thrust23THRUST_200600_302600_NS6detail15normal_iteratorINS8_10device_ptrIiEEEEPiNS0_8identityIiEEEE10hipError_tT2_T3_mT4_P12ihipStream_tbEUlT_E_NS1_11comp_targetILNS1_3genE9ELNS1_11target_archE1100ELNS1_3gpuE3ELNS1_3repE0EEENS1_30default_config_static_selectorELNS0_4arch9wavefront6targetE0EEEvT1_ ; -- Begin function _ZN7rocprim17ROCPRIM_400000_NS6detail17trampoline_kernelINS0_14default_configENS1_25transform_config_selectorIiLb0EEEZNS1_14transform_implILb0ES3_S5_N6thrust23THRUST_200600_302600_NS6detail15normal_iteratorINS8_10device_ptrIiEEEEPiNS0_8identityIiEEEE10hipError_tT2_T3_mT4_P12ihipStream_tbEUlT_E_NS1_11comp_targetILNS1_3genE9ELNS1_11target_archE1100ELNS1_3gpuE3ELNS1_3repE0EEENS1_30default_config_static_selectorELNS0_4arch9wavefront6targetE0EEEvT1_
	.globl	_ZN7rocprim17ROCPRIM_400000_NS6detail17trampoline_kernelINS0_14default_configENS1_25transform_config_selectorIiLb0EEEZNS1_14transform_implILb0ES3_S5_N6thrust23THRUST_200600_302600_NS6detail15normal_iteratorINS8_10device_ptrIiEEEEPiNS0_8identityIiEEEE10hipError_tT2_T3_mT4_P12ihipStream_tbEUlT_E_NS1_11comp_targetILNS1_3genE9ELNS1_11target_archE1100ELNS1_3gpuE3ELNS1_3repE0EEENS1_30default_config_static_selectorELNS0_4arch9wavefront6targetE0EEEvT1_
	.p2align	8
	.type	_ZN7rocprim17ROCPRIM_400000_NS6detail17trampoline_kernelINS0_14default_configENS1_25transform_config_selectorIiLb0EEEZNS1_14transform_implILb0ES3_S5_N6thrust23THRUST_200600_302600_NS6detail15normal_iteratorINS8_10device_ptrIiEEEEPiNS0_8identityIiEEEE10hipError_tT2_T3_mT4_P12ihipStream_tbEUlT_E_NS1_11comp_targetILNS1_3genE9ELNS1_11target_archE1100ELNS1_3gpuE3ELNS1_3repE0EEENS1_30default_config_static_selectorELNS0_4arch9wavefront6targetE0EEEvT1_,@function
_ZN7rocprim17ROCPRIM_400000_NS6detail17trampoline_kernelINS0_14default_configENS1_25transform_config_selectorIiLb0EEEZNS1_14transform_implILb0ES3_S5_N6thrust23THRUST_200600_302600_NS6detail15normal_iteratorINS8_10device_ptrIiEEEEPiNS0_8identityIiEEEE10hipError_tT2_T3_mT4_P12ihipStream_tbEUlT_E_NS1_11comp_targetILNS1_3genE9ELNS1_11target_archE1100ELNS1_3gpuE3ELNS1_3repE0EEENS1_30default_config_static_selectorELNS0_4arch9wavefront6targetE0EEEvT1_: ; @_ZN7rocprim17ROCPRIM_400000_NS6detail17trampoline_kernelINS0_14default_configENS1_25transform_config_selectorIiLb0EEEZNS1_14transform_implILb0ES3_S5_N6thrust23THRUST_200600_302600_NS6detail15normal_iteratorINS8_10device_ptrIiEEEEPiNS0_8identityIiEEEE10hipError_tT2_T3_mT4_P12ihipStream_tbEUlT_E_NS1_11comp_targetILNS1_3genE9ELNS1_11target_archE1100ELNS1_3gpuE3ELNS1_3repE0EEENS1_30default_config_static_selectorELNS0_4arch9wavefront6targetE0EEEvT1_
; %bb.0:
	.section	.rodata,"a",@progbits
	.p2align	6, 0x0
	.amdhsa_kernel _ZN7rocprim17ROCPRIM_400000_NS6detail17trampoline_kernelINS0_14default_configENS1_25transform_config_selectorIiLb0EEEZNS1_14transform_implILb0ES3_S5_N6thrust23THRUST_200600_302600_NS6detail15normal_iteratorINS8_10device_ptrIiEEEEPiNS0_8identityIiEEEE10hipError_tT2_T3_mT4_P12ihipStream_tbEUlT_E_NS1_11comp_targetILNS1_3genE9ELNS1_11target_archE1100ELNS1_3gpuE3ELNS1_3repE0EEENS1_30default_config_static_selectorELNS0_4arch9wavefront6targetE0EEEvT1_
		.amdhsa_group_segment_fixed_size 0
		.amdhsa_private_segment_fixed_size 0
		.amdhsa_kernarg_size 40
		.amdhsa_user_sgpr_count 6
		.amdhsa_user_sgpr_private_segment_buffer 1
		.amdhsa_user_sgpr_dispatch_ptr 0
		.amdhsa_user_sgpr_queue_ptr 0
		.amdhsa_user_sgpr_kernarg_segment_ptr 1
		.amdhsa_user_sgpr_dispatch_id 0
		.amdhsa_user_sgpr_flat_scratch_init 0
		.amdhsa_user_sgpr_private_segment_size 0
		.amdhsa_wavefront_size32 1
		.amdhsa_uses_dynamic_stack 0
		.amdhsa_system_sgpr_private_segment_wavefront_offset 0
		.amdhsa_system_sgpr_workgroup_id_x 1
		.amdhsa_system_sgpr_workgroup_id_y 0
		.amdhsa_system_sgpr_workgroup_id_z 0
		.amdhsa_system_sgpr_workgroup_info 0
		.amdhsa_system_vgpr_workitem_id 0
		.amdhsa_next_free_vgpr 1
		.amdhsa_next_free_sgpr 1
		.amdhsa_reserve_vcc 0
		.amdhsa_reserve_flat_scratch 0
		.amdhsa_float_round_mode_32 0
		.amdhsa_float_round_mode_16_64 0
		.amdhsa_float_denorm_mode_32 3
		.amdhsa_float_denorm_mode_16_64 3
		.amdhsa_dx10_clamp 1
		.amdhsa_ieee_mode 1
		.amdhsa_fp16_overflow 0
		.amdhsa_workgroup_processor_mode 1
		.amdhsa_memory_ordered 1
		.amdhsa_forward_progress 1
		.amdhsa_shared_vgpr_count 0
		.amdhsa_exception_fp_ieee_invalid_op 0
		.amdhsa_exception_fp_denorm_src 0
		.amdhsa_exception_fp_ieee_div_zero 0
		.amdhsa_exception_fp_ieee_overflow 0
		.amdhsa_exception_fp_ieee_underflow 0
		.amdhsa_exception_fp_ieee_inexact 0
		.amdhsa_exception_int_div_zero 0
	.end_amdhsa_kernel
	.section	.text._ZN7rocprim17ROCPRIM_400000_NS6detail17trampoline_kernelINS0_14default_configENS1_25transform_config_selectorIiLb0EEEZNS1_14transform_implILb0ES3_S5_N6thrust23THRUST_200600_302600_NS6detail15normal_iteratorINS8_10device_ptrIiEEEEPiNS0_8identityIiEEEE10hipError_tT2_T3_mT4_P12ihipStream_tbEUlT_E_NS1_11comp_targetILNS1_3genE9ELNS1_11target_archE1100ELNS1_3gpuE3ELNS1_3repE0EEENS1_30default_config_static_selectorELNS0_4arch9wavefront6targetE0EEEvT1_,"axG",@progbits,_ZN7rocprim17ROCPRIM_400000_NS6detail17trampoline_kernelINS0_14default_configENS1_25transform_config_selectorIiLb0EEEZNS1_14transform_implILb0ES3_S5_N6thrust23THRUST_200600_302600_NS6detail15normal_iteratorINS8_10device_ptrIiEEEEPiNS0_8identityIiEEEE10hipError_tT2_T3_mT4_P12ihipStream_tbEUlT_E_NS1_11comp_targetILNS1_3genE9ELNS1_11target_archE1100ELNS1_3gpuE3ELNS1_3repE0EEENS1_30default_config_static_selectorELNS0_4arch9wavefront6targetE0EEEvT1_,comdat
.Lfunc_end157:
	.size	_ZN7rocprim17ROCPRIM_400000_NS6detail17trampoline_kernelINS0_14default_configENS1_25transform_config_selectorIiLb0EEEZNS1_14transform_implILb0ES3_S5_N6thrust23THRUST_200600_302600_NS6detail15normal_iteratorINS8_10device_ptrIiEEEEPiNS0_8identityIiEEEE10hipError_tT2_T3_mT4_P12ihipStream_tbEUlT_E_NS1_11comp_targetILNS1_3genE9ELNS1_11target_archE1100ELNS1_3gpuE3ELNS1_3repE0EEENS1_30default_config_static_selectorELNS0_4arch9wavefront6targetE0EEEvT1_, .Lfunc_end157-_ZN7rocprim17ROCPRIM_400000_NS6detail17trampoline_kernelINS0_14default_configENS1_25transform_config_selectorIiLb0EEEZNS1_14transform_implILb0ES3_S5_N6thrust23THRUST_200600_302600_NS6detail15normal_iteratorINS8_10device_ptrIiEEEEPiNS0_8identityIiEEEE10hipError_tT2_T3_mT4_P12ihipStream_tbEUlT_E_NS1_11comp_targetILNS1_3genE9ELNS1_11target_archE1100ELNS1_3gpuE3ELNS1_3repE0EEENS1_30default_config_static_selectorELNS0_4arch9wavefront6targetE0EEEvT1_
                                        ; -- End function
	.set _ZN7rocprim17ROCPRIM_400000_NS6detail17trampoline_kernelINS0_14default_configENS1_25transform_config_selectorIiLb0EEEZNS1_14transform_implILb0ES3_S5_N6thrust23THRUST_200600_302600_NS6detail15normal_iteratorINS8_10device_ptrIiEEEEPiNS0_8identityIiEEEE10hipError_tT2_T3_mT4_P12ihipStream_tbEUlT_E_NS1_11comp_targetILNS1_3genE9ELNS1_11target_archE1100ELNS1_3gpuE3ELNS1_3repE0EEENS1_30default_config_static_selectorELNS0_4arch9wavefront6targetE0EEEvT1_.num_vgpr, 0
	.set _ZN7rocprim17ROCPRIM_400000_NS6detail17trampoline_kernelINS0_14default_configENS1_25transform_config_selectorIiLb0EEEZNS1_14transform_implILb0ES3_S5_N6thrust23THRUST_200600_302600_NS6detail15normal_iteratorINS8_10device_ptrIiEEEEPiNS0_8identityIiEEEE10hipError_tT2_T3_mT4_P12ihipStream_tbEUlT_E_NS1_11comp_targetILNS1_3genE9ELNS1_11target_archE1100ELNS1_3gpuE3ELNS1_3repE0EEENS1_30default_config_static_selectorELNS0_4arch9wavefront6targetE0EEEvT1_.num_agpr, 0
	.set _ZN7rocprim17ROCPRIM_400000_NS6detail17trampoline_kernelINS0_14default_configENS1_25transform_config_selectorIiLb0EEEZNS1_14transform_implILb0ES3_S5_N6thrust23THRUST_200600_302600_NS6detail15normal_iteratorINS8_10device_ptrIiEEEEPiNS0_8identityIiEEEE10hipError_tT2_T3_mT4_P12ihipStream_tbEUlT_E_NS1_11comp_targetILNS1_3genE9ELNS1_11target_archE1100ELNS1_3gpuE3ELNS1_3repE0EEENS1_30default_config_static_selectorELNS0_4arch9wavefront6targetE0EEEvT1_.numbered_sgpr, 0
	.set _ZN7rocprim17ROCPRIM_400000_NS6detail17trampoline_kernelINS0_14default_configENS1_25transform_config_selectorIiLb0EEEZNS1_14transform_implILb0ES3_S5_N6thrust23THRUST_200600_302600_NS6detail15normal_iteratorINS8_10device_ptrIiEEEEPiNS0_8identityIiEEEE10hipError_tT2_T3_mT4_P12ihipStream_tbEUlT_E_NS1_11comp_targetILNS1_3genE9ELNS1_11target_archE1100ELNS1_3gpuE3ELNS1_3repE0EEENS1_30default_config_static_selectorELNS0_4arch9wavefront6targetE0EEEvT1_.num_named_barrier, 0
	.set _ZN7rocprim17ROCPRIM_400000_NS6detail17trampoline_kernelINS0_14default_configENS1_25transform_config_selectorIiLb0EEEZNS1_14transform_implILb0ES3_S5_N6thrust23THRUST_200600_302600_NS6detail15normal_iteratorINS8_10device_ptrIiEEEEPiNS0_8identityIiEEEE10hipError_tT2_T3_mT4_P12ihipStream_tbEUlT_E_NS1_11comp_targetILNS1_3genE9ELNS1_11target_archE1100ELNS1_3gpuE3ELNS1_3repE0EEENS1_30default_config_static_selectorELNS0_4arch9wavefront6targetE0EEEvT1_.private_seg_size, 0
	.set _ZN7rocprim17ROCPRIM_400000_NS6detail17trampoline_kernelINS0_14default_configENS1_25transform_config_selectorIiLb0EEEZNS1_14transform_implILb0ES3_S5_N6thrust23THRUST_200600_302600_NS6detail15normal_iteratorINS8_10device_ptrIiEEEEPiNS0_8identityIiEEEE10hipError_tT2_T3_mT4_P12ihipStream_tbEUlT_E_NS1_11comp_targetILNS1_3genE9ELNS1_11target_archE1100ELNS1_3gpuE3ELNS1_3repE0EEENS1_30default_config_static_selectorELNS0_4arch9wavefront6targetE0EEEvT1_.uses_vcc, 0
	.set _ZN7rocprim17ROCPRIM_400000_NS6detail17trampoline_kernelINS0_14default_configENS1_25transform_config_selectorIiLb0EEEZNS1_14transform_implILb0ES3_S5_N6thrust23THRUST_200600_302600_NS6detail15normal_iteratorINS8_10device_ptrIiEEEEPiNS0_8identityIiEEEE10hipError_tT2_T3_mT4_P12ihipStream_tbEUlT_E_NS1_11comp_targetILNS1_3genE9ELNS1_11target_archE1100ELNS1_3gpuE3ELNS1_3repE0EEENS1_30default_config_static_selectorELNS0_4arch9wavefront6targetE0EEEvT1_.uses_flat_scratch, 0
	.set _ZN7rocprim17ROCPRIM_400000_NS6detail17trampoline_kernelINS0_14default_configENS1_25transform_config_selectorIiLb0EEEZNS1_14transform_implILb0ES3_S5_N6thrust23THRUST_200600_302600_NS6detail15normal_iteratorINS8_10device_ptrIiEEEEPiNS0_8identityIiEEEE10hipError_tT2_T3_mT4_P12ihipStream_tbEUlT_E_NS1_11comp_targetILNS1_3genE9ELNS1_11target_archE1100ELNS1_3gpuE3ELNS1_3repE0EEENS1_30default_config_static_selectorELNS0_4arch9wavefront6targetE0EEEvT1_.has_dyn_sized_stack, 0
	.set _ZN7rocprim17ROCPRIM_400000_NS6detail17trampoline_kernelINS0_14default_configENS1_25transform_config_selectorIiLb0EEEZNS1_14transform_implILb0ES3_S5_N6thrust23THRUST_200600_302600_NS6detail15normal_iteratorINS8_10device_ptrIiEEEEPiNS0_8identityIiEEEE10hipError_tT2_T3_mT4_P12ihipStream_tbEUlT_E_NS1_11comp_targetILNS1_3genE9ELNS1_11target_archE1100ELNS1_3gpuE3ELNS1_3repE0EEENS1_30default_config_static_selectorELNS0_4arch9wavefront6targetE0EEEvT1_.has_recursion, 0
	.set _ZN7rocprim17ROCPRIM_400000_NS6detail17trampoline_kernelINS0_14default_configENS1_25transform_config_selectorIiLb0EEEZNS1_14transform_implILb0ES3_S5_N6thrust23THRUST_200600_302600_NS6detail15normal_iteratorINS8_10device_ptrIiEEEEPiNS0_8identityIiEEEE10hipError_tT2_T3_mT4_P12ihipStream_tbEUlT_E_NS1_11comp_targetILNS1_3genE9ELNS1_11target_archE1100ELNS1_3gpuE3ELNS1_3repE0EEENS1_30default_config_static_selectorELNS0_4arch9wavefront6targetE0EEEvT1_.has_indirect_call, 0
	.section	.AMDGPU.csdata,"",@progbits
; Kernel info:
; codeLenInByte = 0
; TotalNumSgprs: 0
; NumVgprs: 0
; ScratchSize: 0
; MemoryBound: 0
; FloatMode: 240
; IeeeMode: 1
; LDSByteSize: 0 bytes/workgroup (compile time only)
; SGPRBlocks: 0
; VGPRBlocks: 0
; NumSGPRsForWavesPerEU: 1
; NumVGPRsForWavesPerEU: 1
; Occupancy: 16
; WaveLimiterHint : 0
; COMPUTE_PGM_RSRC2:SCRATCH_EN: 0
; COMPUTE_PGM_RSRC2:USER_SGPR: 6
; COMPUTE_PGM_RSRC2:TRAP_HANDLER: 0
; COMPUTE_PGM_RSRC2:TGID_X_EN: 1
; COMPUTE_PGM_RSRC2:TGID_Y_EN: 0
; COMPUTE_PGM_RSRC2:TGID_Z_EN: 0
; COMPUTE_PGM_RSRC2:TIDIG_COMP_CNT: 0
	.section	.text._ZN7rocprim17ROCPRIM_400000_NS6detail17trampoline_kernelINS0_14default_configENS1_25transform_config_selectorIiLb0EEEZNS1_14transform_implILb0ES3_S5_N6thrust23THRUST_200600_302600_NS6detail15normal_iteratorINS8_10device_ptrIiEEEEPiNS0_8identityIiEEEE10hipError_tT2_T3_mT4_P12ihipStream_tbEUlT_E_NS1_11comp_targetILNS1_3genE8ELNS1_11target_archE1030ELNS1_3gpuE2ELNS1_3repE0EEENS1_30default_config_static_selectorELNS0_4arch9wavefront6targetE0EEEvT1_,"axG",@progbits,_ZN7rocprim17ROCPRIM_400000_NS6detail17trampoline_kernelINS0_14default_configENS1_25transform_config_selectorIiLb0EEEZNS1_14transform_implILb0ES3_S5_N6thrust23THRUST_200600_302600_NS6detail15normal_iteratorINS8_10device_ptrIiEEEEPiNS0_8identityIiEEEE10hipError_tT2_T3_mT4_P12ihipStream_tbEUlT_E_NS1_11comp_targetILNS1_3genE8ELNS1_11target_archE1030ELNS1_3gpuE2ELNS1_3repE0EEENS1_30default_config_static_selectorELNS0_4arch9wavefront6targetE0EEEvT1_,comdat
	.protected	_ZN7rocprim17ROCPRIM_400000_NS6detail17trampoline_kernelINS0_14default_configENS1_25transform_config_selectorIiLb0EEEZNS1_14transform_implILb0ES3_S5_N6thrust23THRUST_200600_302600_NS6detail15normal_iteratorINS8_10device_ptrIiEEEEPiNS0_8identityIiEEEE10hipError_tT2_T3_mT4_P12ihipStream_tbEUlT_E_NS1_11comp_targetILNS1_3genE8ELNS1_11target_archE1030ELNS1_3gpuE2ELNS1_3repE0EEENS1_30default_config_static_selectorELNS0_4arch9wavefront6targetE0EEEvT1_ ; -- Begin function _ZN7rocprim17ROCPRIM_400000_NS6detail17trampoline_kernelINS0_14default_configENS1_25transform_config_selectorIiLb0EEEZNS1_14transform_implILb0ES3_S5_N6thrust23THRUST_200600_302600_NS6detail15normal_iteratorINS8_10device_ptrIiEEEEPiNS0_8identityIiEEEE10hipError_tT2_T3_mT4_P12ihipStream_tbEUlT_E_NS1_11comp_targetILNS1_3genE8ELNS1_11target_archE1030ELNS1_3gpuE2ELNS1_3repE0EEENS1_30default_config_static_selectorELNS0_4arch9wavefront6targetE0EEEvT1_
	.globl	_ZN7rocprim17ROCPRIM_400000_NS6detail17trampoline_kernelINS0_14default_configENS1_25transform_config_selectorIiLb0EEEZNS1_14transform_implILb0ES3_S5_N6thrust23THRUST_200600_302600_NS6detail15normal_iteratorINS8_10device_ptrIiEEEEPiNS0_8identityIiEEEE10hipError_tT2_T3_mT4_P12ihipStream_tbEUlT_E_NS1_11comp_targetILNS1_3genE8ELNS1_11target_archE1030ELNS1_3gpuE2ELNS1_3repE0EEENS1_30default_config_static_selectorELNS0_4arch9wavefront6targetE0EEEvT1_
	.p2align	8
	.type	_ZN7rocprim17ROCPRIM_400000_NS6detail17trampoline_kernelINS0_14default_configENS1_25transform_config_selectorIiLb0EEEZNS1_14transform_implILb0ES3_S5_N6thrust23THRUST_200600_302600_NS6detail15normal_iteratorINS8_10device_ptrIiEEEEPiNS0_8identityIiEEEE10hipError_tT2_T3_mT4_P12ihipStream_tbEUlT_E_NS1_11comp_targetILNS1_3genE8ELNS1_11target_archE1030ELNS1_3gpuE2ELNS1_3repE0EEENS1_30default_config_static_selectorELNS0_4arch9wavefront6targetE0EEEvT1_,@function
_ZN7rocprim17ROCPRIM_400000_NS6detail17trampoline_kernelINS0_14default_configENS1_25transform_config_selectorIiLb0EEEZNS1_14transform_implILb0ES3_S5_N6thrust23THRUST_200600_302600_NS6detail15normal_iteratorINS8_10device_ptrIiEEEEPiNS0_8identityIiEEEE10hipError_tT2_T3_mT4_P12ihipStream_tbEUlT_E_NS1_11comp_targetILNS1_3genE8ELNS1_11target_archE1030ELNS1_3gpuE2ELNS1_3repE0EEENS1_30default_config_static_selectorELNS0_4arch9wavefront6targetE0EEEvT1_: ; @_ZN7rocprim17ROCPRIM_400000_NS6detail17trampoline_kernelINS0_14default_configENS1_25transform_config_selectorIiLb0EEEZNS1_14transform_implILb0ES3_S5_N6thrust23THRUST_200600_302600_NS6detail15normal_iteratorINS8_10device_ptrIiEEEEPiNS0_8identityIiEEEE10hipError_tT2_T3_mT4_P12ihipStream_tbEUlT_E_NS1_11comp_targetILNS1_3genE8ELNS1_11target_archE1030ELNS1_3gpuE2ELNS1_3repE0EEENS1_30default_config_static_selectorELNS0_4arch9wavefront6targetE0EEEvT1_
; %bb.0:
	s_clause 0x1
	s_load_dword s0, s[4:5], 0x28
	s_load_dword s1, s[4:5], 0x10
	s_waitcnt lgkmcnt(0)
	s_add_i32 s2, s0, -1
	s_lshl_b32 s0, s6, 8
	s_cmp_lg_u32 s6, s2
	s_cselect_b32 s2, -1, 0
	s_sub_i32 s1, s1, s0
	v_cmp_gt_u32_e32 vcc_lo, s1, v0
	s_or_b32 s1, vcc_lo, s2
	s_and_saveexec_b32 s2, s1
	s_cbranch_execz .LBB158_2
; %bb.1:
	s_clause 0x1
	s_load_dwordx4 s[8:11], s[4:5], 0x0
	s_load_dwordx2 s[2:3], s[4:5], 0x18
	s_mov_b32 s1, 0
	v_lshlrev_b32_e32 v2, 2, v0
	s_waitcnt lgkmcnt(0)
	s_lshl_b64 s[4:5], s[10:11], 2
	s_add_u32 s6, s8, s4
	s_addc_u32 s7, s9, s5
	s_lshl_b64 s[0:1], s[0:1], 2
	s_add_u32 s6, s6, s0
	s_addc_u32 s7, s7, s1
	v_add_co_u32 v0, s6, s6, v2
	v_add_co_ci_u32_e64 v1, null, s7, 0, s6
	s_add_u32 s2, s2, s4
	s_addc_u32 s3, s3, s5
	s_add_u32 s0, s2, s0
	flat_load_dword v0, v[0:1]
	s_addc_u32 s1, s3, s1
	s_waitcnt vmcnt(0) lgkmcnt(0)
	global_store_dword v2, v0, s[0:1]
.LBB158_2:
	s_endpgm
	.section	.rodata,"a",@progbits
	.p2align	6, 0x0
	.amdhsa_kernel _ZN7rocprim17ROCPRIM_400000_NS6detail17trampoline_kernelINS0_14default_configENS1_25transform_config_selectorIiLb0EEEZNS1_14transform_implILb0ES3_S5_N6thrust23THRUST_200600_302600_NS6detail15normal_iteratorINS8_10device_ptrIiEEEEPiNS0_8identityIiEEEE10hipError_tT2_T3_mT4_P12ihipStream_tbEUlT_E_NS1_11comp_targetILNS1_3genE8ELNS1_11target_archE1030ELNS1_3gpuE2ELNS1_3repE0EEENS1_30default_config_static_selectorELNS0_4arch9wavefront6targetE0EEEvT1_
		.amdhsa_group_segment_fixed_size 0
		.amdhsa_private_segment_fixed_size 0
		.amdhsa_kernarg_size 296
		.amdhsa_user_sgpr_count 6
		.amdhsa_user_sgpr_private_segment_buffer 1
		.amdhsa_user_sgpr_dispatch_ptr 0
		.amdhsa_user_sgpr_queue_ptr 0
		.amdhsa_user_sgpr_kernarg_segment_ptr 1
		.amdhsa_user_sgpr_dispatch_id 0
		.amdhsa_user_sgpr_flat_scratch_init 0
		.amdhsa_user_sgpr_private_segment_size 0
		.amdhsa_wavefront_size32 1
		.amdhsa_uses_dynamic_stack 0
		.amdhsa_system_sgpr_private_segment_wavefront_offset 0
		.amdhsa_system_sgpr_workgroup_id_x 1
		.amdhsa_system_sgpr_workgroup_id_y 0
		.amdhsa_system_sgpr_workgroup_id_z 0
		.amdhsa_system_sgpr_workgroup_info 0
		.amdhsa_system_vgpr_workitem_id 0
		.amdhsa_next_free_vgpr 3
		.amdhsa_next_free_sgpr 12
		.amdhsa_reserve_vcc 1
		.amdhsa_reserve_flat_scratch 0
		.amdhsa_float_round_mode_32 0
		.amdhsa_float_round_mode_16_64 0
		.amdhsa_float_denorm_mode_32 3
		.amdhsa_float_denorm_mode_16_64 3
		.amdhsa_dx10_clamp 1
		.amdhsa_ieee_mode 1
		.amdhsa_fp16_overflow 0
		.amdhsa_workgroup_processor_mode 1
		.amdhsa_memory_ordered 1
		.amdhsa_forward_progress 1
		.amdhsa_shared_vgpr_count 0
		.amdhsa_exception_fp_ieee_invalid_op 0
		.amdhsa_exception_fp_denorm_src 0
		.amdhsa_exception_fp_ieee_div_zero 0
		.amdhsa_exception_fp_ieee_overflow 0
		.amdhsa_exception_fp_ieee_underflow 0
		.amdhsa_exception_fp_ieee_inexact 0
		.amdhsa_exception_int_div_zero 0
	.end_amdhsa_kernel
	.section	.text._ZN7rocprim17ROCPRIM_400000_NS6detail17trampoline_kernelINS0_14default_configENS1_25transform_config_selectorIiLb0EEEZNS1_14transform_implILb0ES3_S5_N6thrust23THRUST_200600_302600_NS6detail15normal_iteratorINS8_10device_ptrIiEEEEPiNS0_8identityIiEEEE10hipError_tT2_T3_mT4_P12ihipStream_tbEUlT_E_NS1_11comp_targetILNS1_3genE8ELNS1_11target_archE1030ELNS1_3gpuE2ELNS1_3repE0EEENS1_30default_config_static_selectorELNS0_4arch9wavefront6targetE0EEEvT1_,"axG",@progbits,_ZN7rocprim17ROCPRIM_400000_NS6detail17trampoline_kernelINS0_14default_configENS1_25transform_config_selectorIiLb0EEEZNS1_14transform_implILb0ES3_S5_N6thrust23THRUST_200600_302600_NS6detail15normal_iteratorINS8_10device_ptrIiEEEEPiNS0_8identityIiEEEE10hipError_tT2_T3_mT4_P12ihipStream_tbEUlT_E_NS1_11comp_targetILNS1_3genE8ELNS1_11target_archE1030ELNS1_3gpuE2ELNS1_3repE0EEENS1_30default_config_static_selectorELNS0_4arch9wavefront6targetE0EEEvT1_,comdat
.Lfunc_end158:
	.size	_ZN7rocprim17ROCPRIM_400000_NS6detail17trampoline_kernelINS0_14default_configENS1_25transform_config_selectorIiLb0EEEZNS1_14transform_implILb0ES3_S5_N6thrust23THRUST_200600_302600_NS6detail15normal_iteratorINS8_10device_ptrIiEEEEPiNS0_8identityIiEEEE10hipError_tT2_T3_mT4_P12ihipStream_tbEUlT_E_NS1_11comp_targetILNS1_3genE8ELNS1_11target_archE1030ELNS1_3gpuE2ELNS1_3repE0EEENS1_30default_config_static_selectorELNS0_4arch9wavefront6targetE0EEEvT1_, .Lfunc_end158-_ZN7rocprim17ROCPRIM_400000_NS6detail17trampoline_kernelINS0_14default_configENS1_25transform_config_selectorIiLb0EEEZNS1_14transform_implILb0ES3_S5_N6thrust23THRUST_200600_302600_NS6detail15normal_iteratorINS8_10device_ptrIiEEEEPiNS0_8identityIiEEEE10hipError_tT2_T3_mT4_P12ihipStream_tbEUlT_E_NS1_11comp_targetILNS1_3genE8ELNS1_11target_archE1030ELNS1_3gpuE2ELNS1_3repE0EEENS1_30default_config_static_selectorELNS0_4arch9wavefront6targetE0EEEvT1_
                                        ; -- End function
	.set _ZN7rocprim17ROCPRIM_400000_NS6detail17trampoline_kernelINS0_14default_configENS1_25transform_config_selectorIiLb0EEEZNS1_14transform_implILb0ES3_S5_N6thrust23THRUST_200600_302600_NS6detail15normal_iteratorINS8_10device_ptrIiEEEEPiNS0_8identityIiEEEE10hipError_tT2_T3_mT4_P12ihipStream_tbEUlT_E_NS1_11comp_targetILNS1_3genE8ELNS1_11target_archE1030ELNS1_3gpuE2ELNS1_3repE0EEENS1_30default_config_static_selectorELNS0_4arch9wavefront6targetE0EEEvT1_.num_vgpr, 3
	.set _ZN7rocprim17ROCPRIM_400000_NS6detail17trampoline_kernelINS0_14default_configENS1_25transform_config_selectorIiLb0EEEZNS1_14transform_implILb0ES3_S5_N6thrust23THRUST_200600_302600_NS6detail15normal_iteratorINS8_10device_ptrIiEEEEPiNS0_8identityIiEEEE10hipError_tT2_T3_mT4_P12ihipStream_tbEUlT_E_NS1_11comp_targetILNS1_3genE8ELNS1_11target_archE1030ELNS1_3gpuE2ELNS1_3repE0EEENS1_30default_config_static_selectorELNS0_4arch9wavefront6targetE0EEEvT1_.num_agpr, 0
	.set _ZN7rocprim17ROCPRIM_400000_NS6detail17trampoline_kernelINS0_14default_configENS1_25transform_config_selectorIiLb0EEEZNS1_14transform_implILb0ES3_S5_N6thrust23THRUST_200600_302600_NS6detail15normal_iteratorINS8_10device_ptrIiEEEEPiNS0_8identityIiEEEE10hipError_tT2_T3_mT4_P12ihipStream_tbEUlT_E_NS1_11comp_targetILNS1_3genE8ELNS1_11target_archE1030ELNS1_3gpuE2ELNS1_3repE0EEENS1_30default_config_static_selectorELNS0_4arch9wavefront6targetE0EEEvT1_.numbered_sgpr, 12
	.set _ZN7rocprim17ROCPRIM_400000_NS6detail17trampoline_kernelINS0_14default_configENS1_25transform_config_selectorIiLb0EEEZNS1_14transform_implILb0ES3_S5_N6thrust23THRUST_200600_302600_NS6detail15normal_iteratorINS8_10device_ptrIiEEEEPiNS0_8identityIiEEEE10hipError_tT2_T3_mT4_P12ihipStream_tbEUlT_E_NS1_11comp_targetILNS1_3genE8ELNS1_11target_archE1030ELNS1_3gpuE2ELNS1_3repE0EEENS1_30default_config_static_selectorELNS0_4arch9wavefront6targetE0EEEvT1_.num_named_barrier, 0
	.set _ZN7rocprim17ROCPRIM_400000_NS6detail17trampoline_kernelINS0_14default_configENS1_25transform_config_selectorIiLb0EEEZNS1_14transform_implILb0ES3_S5_N6thrust23THRUST_200600_302600_NS6detail15normal_iteratorINS8_10device_ptrIiEEEEPiNS0_8identityIiEEEE10hipError_tT2_T3_mT4_P12ihipStream_tbEUlT_E_NS1_11comp_targetILNS1_3genE8ELNS1_11target_archE1030ELNS1_3gpuE2ELNS1_3repE0EEENS1_30default_config_static_selectorELNS0_4arch9wavefront6targetE0EEEvT1_.private_seg_size, 0
	.set _ZN7rocprim17ROCPRIM_400000_NS6detail17trampoline_kernelINS0_14default_configENS1_25transform_config_selectorIiLb0EEEZNS1_14transform_implILb0ES3_S5_N6thrust23THRUST_200600_302600_NS6detail15normal_iteratorINS8_10device_ptrIiEEEEPiNS0_8identityIiEEEE10hipError_tT2_T3_mT4_P12ihipStream_tbEUlT_E_NS1_11comp_targetILNS1_3genE8ELNS1_11target_archE1030ELNS1_3gpuE2ELNS1_3repE0EEENS1_30default_config_static_selectorELNS0_4arch9wavefront6targetE0EEEvT1_.uses_vcc, 1
	.set _ZN7rocprim17ROCPRIM_400000_NS6detail17trampoline_kernelINS0_14default_configENS1_25transform_config_selectorIiLb0EEEZNS1_14transform_implILb0ES3_S5_N6thrust23THRUST_200600_302600_NS6detail15normal_iteratorINS8_10device_ptrIiEEEEPiNS0_8identityIiEEEE10hipError_tT2_T3_mT4_P12ihipStream_tbEUlT_E_NS1_11comp_targetILNS1_3genE8ELNS1_11target_archE1030ELNS1_3gpuE2ELNS1_3repE0EEENS1_30default_config_static_selectorELNS0_4arch9wavefront6targetE0EEEvT1_.uses_flat_scratch, 0
	.set _ZN7rocprim17ROCPRIM_400000_NS6detail17trampoline_kernelINS0_14default_configENS1_25transform_config_selectorIiLb0EEEZNS1_14transform_implILb0ES3_S5_N6thrust23THRUST_200600_302600_NS6detail15normal_iteratorINS8_10device_ptrIiEEEEPiNS0_8identityIiEEEE10hipError_tT2_T3_mT4_P12ihipStream_tbEUlT_E_NS1_11comp_targetILNS1_3genE8ELNS1_11target_archE1030ELNS1_3gpuE2ELNS1_3repE0EEENS1_30default_config_static_selectorELNS0_4arch9wavefront6targetE0EEEvT1_.has_dyn_sized_stack, 0
	.set _ZN7rocprim17ROCPRIM_400000_NS6detail17trampoline_kernelINS0_14default_configENS1_25transform_config_selectorIiLb0EEEZNS1_14transform_implILb0ES3_S5_N6thrust23THRUST_200600_302600_NS6detail15normal_iteratorINS8_10device_ptrIiEEEEPiNS0_8identityIiEEEE10hipError_tT2_T3_mT4_P12ihipStream_tbEUlT_E_NS1_11comp_targetILNS1_3genE8ELNS1_11target_archE1030ELNS1_3gpuE2ELNS1_3repE0EEENS1_30default_config_static_selectorELNS0_4arch9wavefront6targetE0EEEvT1_.has_recursion, 0
	.set _ZN7rocprim17ROCPRIM_400000_NS6detail17trampoline_kernelINS0_14default_configENS1_25transform_config_selectorIiLb0EEEZNS1_14transform_implILb0ES3_S5_N6thrust23THRUST_200600_302600_NS6detail15normal_iteratorINS8_10device_ptrIiEEEEPiNS0_8identityIiEEEE10hipError_tT2_T3_mT4_P12ihipStream_tbEUlT_E_NS1_11comp_targetILNS1_3genE8ELNS1_11target_archE1030ELNS1_3gpuE2ELNS1_3repE0EEENS1_30default_config_static_selectorELNS0_4arch9wavefront6targetE0EEEvT1_.has_indirect_call, 0
	.section	.AMDGPU.csdata,"",@progbits
; Kernel info:
; codeLenInByte = 172
; TotalNumSgprs: 14
; NumVgprs: 3
; ScratchSize: 0
; MemoryBound: 0
; FloatMode: 240
; IeeeMode: 1
; LDSByteSize: 0 bytes/workgroup (compile time only)
; SGPRBlocks: 0
; VGPRBlocks: 0
; NumSGPRsForWavesPerEU: 14
; NumVGPRsForWavesPerEU: 3
; Occupancy: 16
; WaveLimiterHint : 0
; COMPUTE_PGM_RSRC2:SCRATCH_EN: 0
; COMPUTE_PGM_RSRC2:USER_SGPR: 6
; COMPUTE_PGM_RSRC2:TRAP_HANDLER: 0
; COMPUTE_PGM_RSRC2:TGID_X_EN: 1
; COMPUTE_PGM_RSRC2:TGID_Y_EN: 0
; COMPUTE_PGM_RSRC2:TGID_Z_EN: 0
; COMPUTE_PGM_RSRC2:TIDIG_COMP_CNT: 0
	.section	.text._ZN7rocprim17ROCPRIM_400000_NS6detail17trampoline_kernelINS0_14default_configENS1_35radix_sort_onesweep_config_selectorIiNS0_10empty_typeEEEZZNS1_29radix_sort_onesweep_iterationIS3_Lb0EN6thrust23THRUST_200600_302600_NS6detail15normal_iteratorINS9_10device_ptrIiEEEESE_PS5_SF_jNS0_19identity_decomposerENS1_16block_id_wrapperIjLb1EEEEE10hipError_tT1_PNSt15iterator_traitsISK_E10value_typeET2_T3_PNSL_ISQ_E10value_typeET4_T5_PSV_SW_PNS1_23onesweep_lookback_stateEbbT6_jjT7_P12ihipStream_tbENKUlT_T0_SK_SP_E_clISE_SE_SF_SF_EEDaS13_S14_SK_SP_EUlS13_E_NS1_11comp_targetILNS1_3genE0ELNS1_11target_archE4294967295ELNS1_3gpuE0ELNS1_3repE0EEENS1_47radix_sort_onesweep_sort_config_static_selectorELNS0_4arch9wavefront6targetE0EEEvSK_,"axG",@progbits,_ZN7rocprim17ROCPRIM_400000_NS6detail17trampoline_kernelINS0_14default_configENS1_35radix_sort_onesweep_config_selectorIiNS0_10empty_typeEEEZZNS1_29radix_sort_onesweep_iterationIS3_Lb0EN6thrust23THRUST_200600_302600_NS6detail15normal_iteratorINS9_10device_ptrIiEEEESE_PS5_SF_jNS0_19identity_decomposerENS1_16block_id_wrapperIjLb1EEEEE10hipError_tT1_PNSt15iterator_traitsISK_E10value_typeET2_T3_PNSL_ISQ_E10value_typeET4_T5_PSV_SW_PNS1_23onesweep_lookback_stateEbbT6_jjT7_P12ihipStream_tbENKUlT_T0_SK_SP_E_clISE_SE_SF_SF_EEDaS13_S14_SK_SP_EUlS13_E_NS1_11comp_targetILNS1_3genE0ELNS1_11target_archE4294967295ELNS1_3gpuE0ELNS1_3repE0EEENS1_47radix_sort_onesweep_sort_config_static_selectorELNS0_4arch9wavefront6targetE0EEEvSK_,comdat
	.protected	_ZN7rocprim17ROCPRIM_400000_NS6detail17trampoline_kernelINS0_14default_configENS1_35radix_sort_onesweep_config_selectorIiNS0_10empty_typeEEEZZNS1_29radix_sort_onesweep_iterationIS3_Lb0EN6thrust23THRUST_200600_302600_NS6detail15normal_iteratorINS9_10device_ptrIiEEEESE_PS5_SF_jNS0_19identity_decomposerENS1_16block_id_wrapperIjLb1EEEEE10hipError_tT1_PNSt15iterator_traitsISK_E10value_typeET2_T3_PNSL_ISQ_E10value_typeET4_T5_PSV_SW_PNS1_23onesweep_lookback_stateEbbT6_jjT7_P12ihipStream_tbENKUlT_T0_SK_SP_E_clISE_SE_SF_SF_EEDaS13_S14_SK_SP_EUlS13_E_NS1_11comp_targetILNS1_3genE0ELNS1_11target_archE4294967295ELNS1_3gpuE0ELNS1_3repE0EEENS1_47radix_sort_onesweep_sort_config_static_selectorELNS0_4arch9wavefront6targetE0EEEvSK_ ; -- Begin function _ZN7rocprim17ROCPRIM_400000_NS6detail17trampoline_kernelINS0_14default_configENS1_35radix_sort_onesweep_config_selectorIiNS0_10empty_typeEEEZZNS1_29radix_sort_onesweep_iterationIS3_Lb0EN6thrust23THRUST_200600_302600_NS6detail15normal_iteratorINS9_10device_ptrIiEEEESE_PS5_SF_jNS0_19identity_decomposerENS1_16block_id_wrapperIjLb1EEEEE10hipError_tT1_PNSt15iterator_traitsISK_E10value_typeET2_T3_PNSL_ISQ_E10value_typeET4_T5_PSV_SW_PNS1_23onesweep_lookback_stateEbbT6_jjT7_P12ihipStream_tbENKUlT_T0_SK_SP_E_clISE_SE_SF_SF_EEDaS13_S14_SK_SP_EUlS13_E_NS1_11comp_targetILNS1_3genE0ELNS1_11target_archE4294967295ELNS1_3gpuE0ELNS1_3repE0EEENS1_47radix_sort_onesweep_sort_config_static_selectorELNS0_4arch9wavefront6targetE0EEEvSK_
	.globl	_ZN7rocprim17ROCPRIM_400000_NS6detail17trampoline_kernelINS0_14default_configENS1_35radix_sort_onesweep_config_selectorIiNS0_10empty_typeEEEZZNS1_29radix_sort_onesweep_iterationIS3_Lb0EN6thrust23THRUST_200600_302600_NS6detail15normal_iteratorINS9_10device_ptrIiEEEESE_PS5_SF_jNS0_19identity_decomposerENS1_16block_id_wrapperIjLb1EEEEE10hipError_tT1_PNSt15iterator_traitsISK_E10value_typeET2_T3_PNSL_ISQ_E10value_typeET4_T5_PSV_SW_PNS1_23onesweep_lookback_stateEbbT6_jjT7_P12ihipStream_tbENKUlT_T0_SK_SP_E_clISE_SE_SF_SF_EEDaS13_S14_SK_SP_EUlS13_E_NS1_11comp_targetILNS1_3genE0ELNS1_11target_archE4294967295ELNS1_3gpuE0ELNS1_3repE0EEENS1_47radix_sort_onesweep_sort_config_static_selectorELNS0_4arch9wavefront6targetE0EEEvSK_
	.p2align	8
	.type	_ZN7rocprim17ROCPRIM_400000_NS6detail17trampoline_kernelINS0_14default_configENS1_35radix_sort_onesweep_config_selectorIiNS0_10empty_typeEEEZZNS1_29radix_sort_onesweep_iterationIS3_Lb0EN6thrust23THRUST_200600_302600_NS6detail15normal_iteratorINS9_10device_ptrIiEEEESE_PS5_SF_jNS0_19identity_decomposerENS1_16block_id_wrapperIjLb1EEEEE10hipError_tT1_PNSt15iterator_traitsISK_E10value_typeET2_T3_PNSL_ISQ_E10value_typeET4_T5_PSV_SW_PNS1_23onesweep_lookback_stateEbbT6_jjT7_P12ihipStream_tbENKUlT_T0_SK_SP_E_clISE_SE_SF_SF_EEDaS13_S14_SK_SP_EUlS13_E_NS1_11comp_targetILNS1_3genE0ELNS1_11target_archE4294967295ELNS1_3gpuE0ELNS1_3repE0EEENS1_47radix_sort_onesweep_sort_config_static_selectorELNS0_4arch9wavefront6targetE0EEEvSK_,@function
_ZN7rocprim17ROCPRIM_400000_NS6detail17trampoline_kernelINS0_14default_configENS1_35radix_sort_onesweep_config_selectorIiNS0_10empty_typeEEEZZNS1_29radix_sort_onesweep_iterationIS3_Lb0EN6thrust23THRUST_200600_302600_NS6detail15normal_iteratorINS9_10device_ptrIiEEEESE_PS5_SF_jNS0_19identity_decomposerENS1_16block_id_wrapperIjLb1EEEEE10hipError_tT1_PNSt15iterator_traitsISK_E10value_typeET2_T3_PNSL_ISQ_E10value_typeET4_T5_PSV_SW_PNS1_23onesweep_lookback_stateEbbT6_jjT7_P12ihipStream_tbENKUlT_T0_SK_SP_E_clISE_SE_SF_SF_EEDaS13_S14_SK_SP_EUlS13_E_NS1_11comp_targetILNS1_3genE0ELNS1_11target_archE4294967295ELNS1_3gpuE0ELNS1_3repE0EEENS1_47radix_sort_onesweep_sort_config_static_selectorELNS0_4arch9wavefront6targetE0EEEvSK_: ; @_ZN7rocprim17ROCPRIM_400000_NS6detail17trampoline_kernelINS0_14default_configENS1_35radix_sort_onesweep_config_selectorIiNS0_10empty_typeEEEZZNS1_29radix_sort_onesweep_iterationIS3_Lb0EN6thrust23THRUST_200600_302600_NS6detail15normal_iteratorINS9_10device_ptrIiEEEESE_PS5_SF_jNS0_19identity_decomposerENS1_16block_id_wrapperIjLb1EEEEE10hipError_tT1_PNSt15iterator_traitsISK_E10value_typeET2_T3_PNSL_ISQ_E10value_typeET4_T5_PSV_SW_PNS1_23onesweep_lookback_stateEbbT6_jjT7_P12ihipStream_tbENKUlT_T0_SK_SP_E_clISE_SE_SF_SF_EEDaS13_S14_SK_SP_EUlS13_E_NS1_11comp_targetILNS1_3genE0ELNS1_11target_archE4294967295ELNS1_3gpuE0ELNS1_3repE0EEENS1_47radix_sort_onesweep_sort_config_static_selectorELNS0_4arch9wavefront6targetE0EEEvSK_
; %bb.0:
	.section	.rodata,"a",@progbits
	.p2align	6, 0x0
	.amdhsa_kernel _ZN7rocprim17ROCPRIM_400000_NS6detail17trampoline_kernelINS0_14default_configENS1_35radix_sort_onesweep_config_selectorIiNS0_10empty_typeEEEZZNS1_29radix_sort_onesweep_iterationIS3_Lb0EN6thrust23THRUST_200600_302600_NS6detail15normal_iteratorINS9_10device_ptrIiEEEESE_PS5_SF_jNS0_19identity_decomposerENS1_16block_id_wrapperIjLb1EEEEE10hipError_tT1_PNSt15iterator_traitsISK_E10value_typeET2_T3_PNSL_ISQ_E10value_typeET4_T5_PSV_SW_PNS1_23onesweep_lookback_stateEbbT6_jjT7_P12ihipStream_tbENKUlT_T0_SK_SP_E_clISE_SE_SF_SF_EEDaS13_S14_SK_SP_EUlS13_E_NS1_11comp_targetILNS1_3genE0ELNS1_11target_archE4294967295ELNS1_3gpuE0ELNS1_3repE0EEENS1_47radix_sort_onesweep_sort_config_static_selectorELNS0_4arch9wavefront6targetE0EEEvSK_
		.amdhsa_group_segment_fixed_size 0
		.amdhsa_private_segment_fixed_size 0
		.amdhsa_kernarg_size 88
		.amdhsa_user_sgpr_count 6
		.amdhsa_user_sgpr_private_segment_buffer 1
		.amdhsa_user_sgpr_dispatch_ptr 0
		.amdhsa_user_sgpr_queue_ptr 0
		.amdhsa_user_sgpr_kernarg_segment_ptr 1
		.amdhsa_user_sgpr_dispatch_id 0
		.amdhsa_user_sgpr_flat_scratch_init 0
		.amdhsa_user_sgpr_private_segment_size 0
		.amdhsa_wavefront_size32 1
		.amdhsa_uses_dynamic_stack 0
		.amdhsa_system_sgpr_private_segment_wavefront_offset 0
		.amdhsa_system_sgpr_workgroup_id_x 1
		.amdhsa_system_sgpr_workgroup_id_y 0
		.amdhsa_system_sgpr_workgroup_id_z 0
		.amdhsa_system_sgpr_workgroup_info 0
		.amdhsa_system_vgpr_workitem_id 0
		.amdhsa_next_free_vgpr 1
		.amdhsa_next_free_sgpr 1
		.amdhsa_reserve_vcc 0
		.amdhsa_reserve_flat_scratch 0
		.amdhsa_float_round_mode_32 0
		.amdhsa_float_round_mode_16_64 0
		.amdhsa_float_denorm_mode_32 3
		.amdhsa_float_denorm_mode_16_64 3
		.amdhsa_dx10_clamp 1
		.amdhsa_ieee_mode 1
		.amdhsa_fp16_overflow 0
		.amdhsa_workgroup_processor_mode 1
		.amdhsa_memory_ordered 1
		.amdhsa_forward_progress 1
		.amdhsa_shared_vgpr_count 0
		.amdhsa_exception_fp_ieee_invalid_op 0
		.amdhsa_exception_fp_denorm_src 0
		.amdhsa_exception_fp_ieee_div_zero 0
		.amdhsa_exception_fp_ieee_overflow 0
		.amdhsa_exception_fp_ieee_underflow 0
		.amdhsa_exception_fp_ieee_inexact 0
		.amdhsa_exception_int_div_zero 0
	.end_amdhsa_kernel
	.section	.text._ZN7rocprim17ROCPRIM_400000_NS6detail17trampoline_kernelINS0_14default_configENS1_35radix_sort_onesweep_config_selectorIiNS0_10empty_typeEEEZZNS1_29radix_sort_onesweep_iterationIS3_Lb0EN6thrust23THRUST_200600_302600_NS6detail15normal_iteratorINS9_10device_ptrIiEEEESE_PS5_SF_jNS0_19identity_decomposerENS1_16block_id_wrapperIjLb1EEEEE10hipError_tT1_PNSt15iterator_traitsISK_E10value_typeET2_T3_PNSL_ISQ_E10value_typeET4_T5_PSV_SW_PNS1_23onesweep_lookback_stateEbbT6_jjT7_P12ihipStream_tbENKUlT_T0_SK_SP_E_clISE_SE_SF_SF_EEDaS13_S14_SK_SP_EUlS13_E_NS1_11comp_targetILNS1_3genE0ELNS1_11target_archE4294967295ELNS1_3gpuE0ELNS1_3repE0EEENS1_47radix_sort_onesweep_sort_config_static_selectorELNS0_4arch9wavefront6targetE0EEEvSK_,"axG",@progbits,_ZN7rocprim17ROCPRIM_400000_NS6detail17trampoline_kernelINS0_14default_configENS1_35radix_sort_onesweep_config_selectorIiNS0_10empty_typeEEEZZNS1_29radix_sort_onesweep_iterationIS3_Lb0EN6thrust23THRUST_200600_302600_NS6detail15normal_iteratorINS9_10device_ptrIiEEEESE_PS5_SF_jNS0_19identity_decomposerENS1_16block_id_wrapperIjLb1EEEEE10hipError_tT1_PNSt15iterator_traitsISK_E10value_typeET2_T3_PNSL_ISQ_E10value_typeET4_T5_PSV_SW_PNS1_23onesweep_lookback_stateEbbT6_jjT7_P12ihipStream_tbENKUlT_T0_SK_SP_E_clISE_SE_SF_SF_EEDaS13_S14_SK_SP_EUlS13_E_NS1_11comp_targetILNS1_3genE0ELNS1_11target_archE4294967295ELNS1_3gpuE0ELNS1_3repE0EEENS1_47radix_sort_onesweep_sort_config_static_selectorELNS0_4arch9wavefront6targetE0EEEvSK_,comdat
.Lfunc_end159:
	.size	_ZN7rocprim17ROCPRIM_400000_NS6detail17trampoline_kernelINS0_14default_configENS1_35radix_sort_onesweep_config_selectorIiNS0_10empty_typeEEEZZNS1_29radix_sort_onesweep_iterationIS3_Lb0EN6thrust23THRUST_200600_302600_NS6detail15normal_iteratorINS9_10device_ptrIiEEEESE_PS5_SF_jNS0_19identity_decomposerENS1_16block_id_wrapperIjLb1EEEEE10hipError_tT1_PNSt15iterator_traitsISK_E10value_typeET2_T3_PNSL_ISQ_E10value_typeET4_T5_PSV_SW_PNS1_23onesweep_lookback_stateEbbT6_jjT7_P12ihipStream_tbENKUlT_T0_SK_SP_E_clISE_SE_SF_SF_EEDaS13_S14_SK_SP_EUlS13_E_NS1_11comp_targetILNS1_3genE0ELNS1_11target_archE4294967295ELNS1_3gpuE0ELNS1_3repE0EEENS1_47radix_sort_onesweep_sort_config_static_selectorELNS0_4arch9wavefront6targetE0EEEvSK_, .Lfunc_end159-_ZN7rocprim17ROCPRIM_400000_NS6detail17trampoline_kernelINS0_14default_configENS1_35radix_sort_onesweep_config_selectorIiNS0_10empty_typeEEEZZNS1_29radix_sort_onesweep_iterationIS3_Lb0EN6thrust23THRUST_200600_302600_NS6detail15normal_iteratorINS9_10device_ptrIiEEEESE_PS5_SF_jNS0_19identity_decomposerENS1_16block_id_wrapperIjLb1EEEEE10hipError_tT1_PNSt15iterator_traitsISK_E10value_typeET2_T3_PNSL_ISQ_E10value_typeET4_T5_PSV_SW_PNS1_23onesweep_lookback_stateEbbT6_jjT7_P12ihipStream_tbENKUlT_T0_SK_SP_E_clISE_SE_SF_SF_EEDaS13_S14_SK_SP_EUlS13_E_NS1_11comp_targetILNS1_3genE0ELNS1_11target_archE4294967295ELNS1_3gpuE0ELNS1_3repE0EEENS1_47radix_sort_onesweep_sort_config_static_selectorELNS0_4arch9wavefront6targetE0EEEvSK_
                                        ; -- End function
	.set _ZN7rocprim17ROCPRIM_400000_NS6detail17trampoline_kernelINS0_14default_configENS1_35radix_sort_onesweep_config_selectorIiNS0_10empty_typeEEEZZNS1_29radix_sort_onesweep_iterationIS3_Lb0EN6thrust23THRUST_200600_302600_NS6detail15normal_iteratorINS9_10device_ptrIiEEEESE_PS5_SF_jNS0_19identity_decomposerENS1_16block_id_wrapperIjLb1EEEEE10hipError_tT1_PNSt15iterator_traitsISK_E10value_typeET2_T3_PNSL_ISQ_E10value_typeET4_T5_PSV_SW_PNS1_23onesweep_lookback_stateEbbT6_jjT7_P12ihipStream_tbENKUlT_T0_SK_SP_E_clISE_SE_SF_SF_EEDaS13_S14_SK_SP_EUlS13_E_NS1_11comp_targetILNS1_3genE0ELNS1_11target_archE4294967295ELNS1_3gpuE0ELNS1_3repE0EEENS1_47radix_sort_onesweep_sort_config_static_selectorELNS0_4arch9wavefront6targetE0EEEvSK_.num_vgpr, 0
	.set _ZN7rocprim17ROCPRIM_400000_NS6detail17trampoline_kernelINS0_14default_configENS1_35radix_sort_onesweep_config_selectorIiNS0_10empty_typeEEEZZNS1_29radix_sort_onesweep_iterationIS3_Lb0EN6thrust23THRUST_200600_302600_NS6detail15normal_iteratorINS9_10device_ptrIiEEEESE_PS5_SF_jNS0_19identity_decomposerENS1_16block_id_wrapperIjLb1EEEEE10hipError_tT1_PNSt15iterator_traitsISK_E10value_typeET2_T3_PNSL_ISQ_E10value_typeET4_T5_PSV_SW_PNS1_23onesweep_lookback_stateEbbT6_jjT7_P12ihipStream_tbENKUlT_T0_SK_SP_E_clISE_SE_SF_SF_EEDaS13_S14_SK_SP_EUlS13_E_NS1_11comp_targetILNS1_3genE0ELNS1_11target_archE4294967295ELNS1_3gpuE0ELNS1_3repE0EEENS1_47radix_sort_onesweep_sort_config_static_selectorELNS0_4arch9wavefront6targetE0EEEvSK_.num_agpr, 0
	.set _ZN7rocprim17ROCPRIM_400000_NS6detail17trampoline_kernelINS0_14default_configENS1_35radix_sort_onesweep_config_selectorIiNS0_10empty_typeEEEZZNS1_29radix_sort_onesweep_iterationIS3_Lb0EN6thrust23THRUST_200600_302600_NS6detail15normal_iteratorINS9_10device_ptrIiEEEESE_PS5_SF_jNS0_19identity_decomposerENS1_16block_id_wrapperIjLb1EEEEE10hipError_tT1_PNSt15iterator_traitsISK_E10value_typeET2_T3_PNSL_ISQ_E10value_typeET4_T5_PSV_SW_PNS1_23onesweep_lookback_stateEbbT6_jjT7_P12ihipStream_tbENKUlT_T0_SK_SP_E_clISE_SE_SF_SF_EEDaS13_S14_SK_SP_EUlS13_E_NS1_11comp_targetILNS1_3genE0ELNS1_11target_archE4294967295ELNS1_3gpuE0ELNS1_3repE0EEENS1_47radix_sort_onesweep_sort_config_static_selectorELNS0_4arch9wavefront6targetE0EEEvSK_.numbered_sgpr, 0
	.set _ZN7rocprim17ROCPRIM_400000_NS6detail17trampoline_kernelINS0_14default_configENS1_35radix_sort_onesweep_config_selectorIiNS0_10empty_typeEEEZZNS1_29radix_sort_onesweep_iterationIS3_Lb0EN6thrust23THRUST_200600_302600_NS6detail15normal_iteratorINS9_10device_ptrIiEEEESE_PS5_SF_jNS0_19identity_decomposerENS1_16block_id_wrapperIjLb1EEEEE10hipError_tT1_PNSt15iterator_traitsISK_E10value_typeET2_T3_PNSL_ISQ_E10value_typeET4_T5_PSV_SW_PNS1_23onesweep_lookback_stateEbbT6_jjT7_P12ihipStream_tbENKUlT_T0_SK_SP_E_clISE_SE_SF_SF_EEDaS13_S14_SK_SP_EUlS13_E_NS1_11comp_targetILNS1_3genE0ELNS1_11target_archE4294967295ELNS1_3gpuE0ELNS1_3repE0EEENS1_47radix_sort_onesweep_sort_config_static_selectorELNS0_4arch9wavefront6targetE0EEEvSK_.num_named_barrier, 0
	.set _ZN7rocprim17ROCPRIM_400000_NS6detail17trampoline_kernelINS0_14default_configENS1_35radix_sort_onesweep_config_selectorIiNS0_10empty_typeEEEZZNS1_29radix_sort_onesweep_iterationIS3_Lb0EN6thrust23THRUST_200600_302600_NS6detail15normal_iteratorINS9_10device_ptrIiEEEESE_PS5_SF_jNS0_19identity_decomposerENS1_16block_id_wrapperIjLb1EEEEE10hipError_tT1_PNSt15iterator_traitsISK_E10value_typeET2_T3_PNSL_ISQ_E10value_typeET4_T5_PSV_SW_PNS1_23onesweep_lookback_stateEbbT6_jjT7_P12ihipStream_tbENKUlT_T0_SK_SP_E_clISE_SE_SF_SF_EEDaS13_S14_SK_SP_EUlS13_E_NS1_11comp_targetILNS1_3genE0ELNS1_11target_archE4294967295ELNS1_3gpuE0ELNS1_3repE0EEENS1_47radix_sort_onesweep_sort_config_static_selectorELNS0_4arch9wavefront6targetE0EEEvSK_.private_seg_size, 0
	.set _ZN7rocprim17ROCPRIM_400000_NS6detail17trampoline_kernelINS0_14default_configENS1_35radix_sort_onesweep_config_selectorIiNS0_10empty_typeEEEZZNS1_29radix_sort_onesweep_iterationIS3_Lb0EN6thrust23THRUST_200600_302600_NS6detail15normal_iteratorINS9_10device_ptrIiEEEESE_PS5_SF_jNS0_19identity_decomposerENS1_16block_id_wrapperIjLb1EEEEE10hipError_tT1_PNSt15iterator_traitsISK_E10value_typeET2_T3_PNSL_ISQ_E10value_typeET4_T5_PSV_SW_PNS1_23onesweep_lookback_stateEbbT6_jjT7_P12ihipStream_tbENKUlT_T0_SK_SP_E_clISE_SE_SF_SF_EEDaS13_S14_SK_SP_EUlS13_E_NS1_11comp_targetILNS1_3genE0ELNS1_11target_archE4294967295ELNS1_3gpuE0ELNS1_3repE0EEENS1_47radix_sort_onesweep_sort_config_static_selectorELNS0_4arch9wavefront6targetE0EEEvSK_.uses_vcc, 0
	.set _ZN7rocprim17ROCPRIM_400000_NS6detail17trampoline_kernelINS0_14default_configENS1_35radix_sort_onesweep_config_selectorIiNS0_10empty_typeEEEZZNS1_29radix_sort_onesweep_iterationIS3_Lb0EN6thrust23THRUST_200600_302600_NS6detail15normal_iteratorINS9_10device_ptrIiEEEESE_PS5_SF_jNS0_19identity_decomposerENS1_16block_id_wrapperIjLb1EEEEE10hipError_tT1_PNSt15iterator_traitsISK_E10value_typeET2_T3_PNSL_ISQ_E10value_typeET4_T5_PSV_SW_PNS1_23onesweep_lookback_stateEbbT6_jjT7_P12ihipStream_tbENKUlT_T0_SK_SP_E_clISE_SE_SF_SF_EEDaS13_S14_SK_SP_EUlS13_E_NS1_11comp_targetILNS1_3genE0ELNS1_11target_archE4294967295ELNS1_3gpuE0ELNS1_3repE0EEENS1_47radix_sort_onesweep_sort_config_static_selectorELNS0_4arch9wavefront6targetE0EEEvSK_.uses_flat_scratch, 0
	.set _ZN7rocprim17ROCPRIM_400000_NS6detail17trampoline_kernelINS0_14default_configENS1_35radix_sort_onesweep_config_selectorIiNS0_10empty_typeEEEZZNS1_29radix_sort_onesweep_iterationIS3_Lb0EN6thrust23THRUST_200600_302600_NS6detail15normal_iteratorINS9_10device_ptrIiEEEESE_PS5_SF_jNS0_19identity_decomposerENS1_16block_id_wrapperIjLb1EEEEE10hipError_tT1_PNSt15iterator_traitsISK_E10value_typeET2_T3_PNSL_ISQ_E10value_typeET4_T5_PSV_SW_PNS1_23onesweep_lookback_stateEbbT6_jjT7_P12ihipStream_tbENKUlT_T0_SK_SP_E_clISE_SE_SF_SF_EEDaS13_S14_SK_SP_EUlS13_E_NS1_11comp_targetILNS1_3genE0ELNS1_11target_archE4294967295ELNS1_3gpuE0ELNS1_3repE0EEENS1_47radix_sort_onesweep_sort_config_static_selectorELNS0_4arch9wavefront6targetE0EEEvSK_.has_dyn_sized_stack, 0
	.set _ZN7rocprim17ROCPRIM_400000_NS6detail17trampoline_kernelINS0_14default_configENS1_35radix_sort_onesweep_config_selectorIiNS0_10empty_typeEEEZZNS1_29radix_sort_onesweep_iterationIS3_Lb0EN6thrust23THRUST_200600_302600_NS6detail15normal_iteratorINS9_10device_ptrIiEEEESE_PS5_SF_jNS0_19identity_decomposerENS1_16block_id_wrapperIjLb1EEEEE10hipError_tT1_PNSt15iterator_traitsISK_E10value_typeET2_T3_PNSL_ISQ_E10value_typeET4_T5_PSV_SW_PNS1_23onesweep_lookback_stateEbbT6_jjT7_P12ihipStream_tbENKUlT_T0_SK_SP_E_clISE_SE_SF_SF_EEDaS13_S14_SK_SP_EUlS13_E_NS1_11comp_targetILNS1_3genE0ELNS1_11target_archE4294967295ELNS1_3gpuE0ELNS1_3repE0EEENS1_47radix_sort_onesweep_sort_config_static_selectorELNS0_4arch9wavefront6targetE0EEEvSK_.has_recursion, 0
	.set _ZN7rocprim17ROCPRIM_400000_NS6detail17trampoline_kernelINS0_14default_configENS1_35radix_sort_onesweep_config_selectorIiNS0_10empty_typeEEEZZNS1_29radix_sort_onesweep_iterationIS3_Lb0EN6thrust23THRUST_200600_302600_NS6detail15normal_iteratorINS9_10device_ptrIiEEEESE_PS5_SF_jNS0_19identity_decomposerENS1_16block_id_wrapperIjLb1EEEEE10hipError_tT1_PNSt15iterator_traitsISK_E10value_typeET2_T3_PNSL_ISQ_E10value_typeET4_T5_PSV_SW_PNS1_23onesweep_lookback_stateEbbT6_jjT7_P12ihipStream_tbENKUlT_T0_SK_SP_E_clISE_SE_SF_SF_EEDaS13_S14_SK_SP_EUlS13_E_NS1_11comp_targetILNS1_3genE0ELNS1_11target_archE4294967295ELNS1_3gpuE0ELNS1_3repE0EEENS1_47radix_sort_onesweep_sort_config_static_selectorELNS0_4arch9wavefront6targetE0EEEvSK_.has_indirect_call, 0
	.section	.AMDGPU.csdata,"",@progbits
; Kernel info:
; codeLenInByte = 0
; TotalNumSgprs: 0
; NumVgprs: 0
; ScratchSize: 0
; MemoryBound: 0
; FloatMode: 240
; IeeeMode: 1
; LDSByteSize: 0 bytes/workgroup (compile time only)
; SGPRBlocks: 0
; VGPRBlocks: 0
; NumSGPRsForWavesPerEU: 1
; NumVGPRsForWavesPerEU: 1
; Occupancy: 16
; WaveLimiterHint : 0
; COMPUTE_PGM_RSRC2:SCRATCH_EN: 0
; COMPUTE_PGM_RSRC2:USER_SGPR: 6
; COMPUTE_PGM_RSRC2:TRAP_HANDLER: 0
; COMPUTE_PGM_RSRC2:TGID_X_EN: 1
; COMPUTE_PGM_RSRC2:TGID_Y_EN: 0
; COMPUTE_PGM_RSRC2:TGID_Z_EN: 0
; COMPUTE_PGM_RSRC2:TIDIG_COMP_CNT: 0
	.section	.text._ZN7rocprim17ROCPRIM_400000_NS6detail17trampoline_kernelINS0_14default_configENS1_35radix_sort_onesweep_config_selectorIiNS0_10empty_typeEEEZZNS1_29radix_sort_onesweep_iterationIS3_Lb0EN6thrust23THRUST_200600_302600_NS6detail15normal_iteratorINS9_10device_ptrIiEEEESE_PS5_SF_jNS0_19identity_decomposerENS1_16block_id_wrapperIjLb1EEEEE10hipError_tT1_PNSt15iterator_traitsISK_E10value_typeET2_T3_PNSL_ISQ_E10value_typeET4_T5_PSV_SW_PNS1_23onesweep_lookback_stateEbbT6_jjT7_P12ihipStream_tbENKUlT_T0_SK_SP_E_clISE_SE_SF_SF_EEDaS13_S14_SK_SP_EUlS13_E_NS1_11comp_targetILNS1_3genE6ELNS1_11target_archE950ELNS1_3gpuE13ELNS1_3repE0EEENS1_47radix_sort_onesweep_sort_config_static_selectorELNS0_4arch9wavefront6targetE0EEEvSK_,"axG",@progbits,_ZN7rocprim17ROCPRIM_400000_NS6detail17trampoline_kernelINS0_14default_configENS1_35radix_sort_onesweep_config_selectorIiNS0_10empty_typeEEEZZNS1_29radix_sort_onesweep_iterationIS3_Lb0EN6thrust23THRUST_200600_302600_NS6detail15normal_iteratorINS9_10device_ptrIiEEEESE_PS5_SF_jNS0_19identity_decomposerENS1_16block_id_wrapperIjLb1EEEEE10hipError_tT1_PNSt15iterator_traitsISK_E10value_typeET2_T3_PNSL_ISQ_E10value_typeET4_T5_PSV_SW_PNS1_23onesweep_lookback_stateEbbT6_jjT7_P12ihipStream_tbENKUlT_T0_SK_SP_E_clISE_SE_SF_SF_EEDaS13_S14_SK_SP_EUlS13_E_NS1_11comp_targetILNS1_3genE6ELNS1_11target_archE950ELNS1_3gpuE13ELNS1_3repE0EEENS1_47radix_sort_onesweep_sort_config_static_selectorELNS0_4arch9wavefront6targetE0EEEvSK_,comdat
	.protected	_ZN7rocprim17ROCPRIM_400000_NS6detail17trampoline_kernelINS0_14default_configENS1_35radix_sort_onesweep_config_selectorIiNS0_10empty_typeEEEZZNS1_29radix_sort_onesweep_iterationIS3_Lb0EN6thrust23THRUST_200600_302600_NS6detail15normal_iteratorINS9_10device_ptrIiEEEESE_PS5_SF_jNS0_19identity_decomposerENS1_16block_id_wrapperIjLb1EEEEE10hipError_tT1_PNSt15iterator_traitsISK_E10value_typeET2_T3_PNSL_ISQ_E10value_typeET4_T5_PSV_SW_PNS1_23onesweep_lookback_stateEbbT6_jjT7_P12ihipStream_tbENKUlT_T0_SK_SP_E_clISE_SE_SF_SF_EEDaS13_S14_SK_SP_EUlS13_E_NS1_11comp_targetILNS1_3genE6ELNS1_11target_archE950ELNS1_3gpuE13ELNS1_3repE0EEENS1_47radix_sort_onesweep_sort_config_static_selectorELNS0_4arch9wavefront6targetE0EEEvSK_ ; -- Begin function _ZN7rocprim17ROCPRIM_400000_NS6detail17trampoline_kernelINS0_14default_configENS1_35radix_sort_onesweep_config_selectorIiNS0_10empty_typeEEEZZNS1_29radix_sort_onesweep_iterationIS3_Lb0EN6thrust23THRUST_200600_302600_NS6detail15normal_iteratorINS9_10device_ptrIiEEEESE_PS5_SF_jNS0_19identity_decomposerENS1_16block_id_wrapperIjLb1EEEEE10hipError_tT1_PNSt15iterator_traitsISK_E10value_typeET2_T3_PNSL_ISQ_E10value_typeET4_T5_PSV_SW_PNS1_23onesweep_lookback_stateEbbT6_jjT7_P12ihipStream_tbENKUlT_T0_SK_SP_E_clISE_SE_SF_SF_EEDaS13_S14_SK_SP_EUlS13_E_NS1_11comp_targetILNS1_3genE6ELNS1_11target_archE950ELNS1_3gpuE13ELNS1_3repE0EEENS1_47radix_sort_onesweep_sort_config_static_selectorELNS0_4arch9wavefront6targetE0EEEvSK_
	.globl	_ZN7rocprim17ROCPRIM_400000_NS6detail17trampoline_kernelINS0_14default_configENS1_35radix_sort_onesweep_config_selectorIiNS0_10empty_typeEEEZZNS1_29radix_sort_onesweep_iterationIS3_Lb0EN6thrust23THRUST_200600_302600_NS6detail15normal_iteratorINS9_10device_ptrIiEEEESE_PS5_SF_jNS0_19identity_decomposerENS1_16block_id_wrapperIjLb1EEEEE10hipError_tT1_PNSt15iterator_traitsISK_E10value_typeET2_T3_PNSL_ISQ_E10value_typeET4_T5_PSV_SW_PNS1_23onesweep_lookback_stateEbbT6_jjT7_P12ihipStream_tbENKUlT_T0_SK_SP_E_clISE_SE_SF_SF_EEDaS13_S14_SK_SP_EUlS13_E_NS1_11comp_targetILNS1_3genE6ELNS1_11target_archE950ELNS1_3gpuE13ELNS1_3repE0EEENS1_47radix_sort_onesweep_sort_config_static_selectorELNS0_4arch9wavefront6targetE0EEEvSK_
	.p2align	8
	.type	_ZN7rocprim17ROCPRIM_400000_NS6detail17trampoline_kernelINS0_14default_configENS1_35radix_sort_onesweep_config_selectorIiNS0_10empty_typeEEEZZNS1_29radix_sort_onesweep_iterationIS3_Lb0EN6thrust23THRUST_200600_302600_NS6detail15normal_iteratorINS9_10device_ptrIiEEEESE_PS5_SF_jNS0_19identity_decomposerENS1_16block_id_wrapperIjLb1EEEEE10hipError_tT1_PNSt15iterator_traitsISK_E10value_typeET2_T3_PNSL_ISQ_E10value_typeET4_T5_PSV_SW_PNS1_23onesweep_lookback_stateEbbT6_jjT7_P12ihipStream_tbENKUlT_T0_SK_SP_E_clISE_SE_SF_SF_EEDaS13_S14_SK_SP_EUlS13_E_NS1_11comp_targetILNS1_3genE6ELNS1_11target_archE950ELNS1_3gpuE13ELNS1_3repE0EEENS1_47radix_sort_onesweep_sort_config_static_selectorELNS0_4arch9wavefront6targetE0EEEvSK_,@function
_ZN7rocprim17ROCPRIM_400000_NS6detail17trampoline_kernelINS0_14default_configENS1_35radix_sort_onesweep_config_selectorIiNS0_10empty_typeEEEZZNS1_29radix_sort_onesweep_iterationIS3_Lb0EN6thrust23THRUST_200600_302600_NS6detail15normal_iteratorINS9_10device_ptrIiEEEESE_PS5_SF_jNS0_19identity_decomposerENS1_16block_id_wrapperIjLb1EEEEE10hipError_tT1_PNSt15iterator_traitsISK_E10value_typeET2_T3_PNSL_ISQ_E10value_typeET4_T5_PSV_SW_PNS1_23onesweep_lookback_stateEbbT6_jjT7_P12ihipStream_tbENKUlT_T0_SK_SP_E_clISE_SE_SF_SF_EEDaS13_S14_SK_SP_EUlS13_E_NS1_11comp_targetILNS1_3genE6ELNS1_11target_archE950ELNS1_3gpuE13ELNS1_3repE0EEENS1_47radix_sort_onesweep_sort_config_static_selectorELNS0_4arch9wavefront6targetE0EEEvSK_: ; @_ZN7rocprim17ROCPRIM_400000_NS6detail17trampoline_kernelINS0_14default_configENS1_35radix_sort_onesweep_config_selectorIiNS0_10empty_typeEEEZZNS1_29radix_sort_onesweep_iterationIS3_Lb0EN6thrust23THRUST_200600_302600_NS6detail15normal_iteratorINS9_10device_ptrIiEEEESE_PS5_SF_jNS0_19identity_decomposerENS1_16block_id_wrapperIjLb1EEEEE10hipError_tT1_PNSt15iterator_traitsISK_E10value_typeET2_T3_PNSL_ISQ_E10value_typeET4_T5_PSV_SW_PNS1_23onesweep_lookback_stateEbbT6_jjT7_P12ihipStream_tbENKUlT_T0_SK_SP_E_clISE_SE_SF_SF_EEDaS13_S14_SK_SP_EUlS13_E_NS1_11comp_targetILNS1_3genE6ELNS1_11target_archE950ELNS1_3gpuE13ELNS1_3repE0EEENS1_47radix_sort_onesweep_sort_config_static_selectorELNS0_4arch9wavefront6targetE0EEEvSK_
; %bb.0:
	.section	.rodata,"a",@progbits
	.p2align	6, 0x0
	.amdhsa_kernel _ZN7rocprim17ROCPRIM_400000_NS6detail17trampoline_kernelINS0_14default_configENS1_35radix_sort_onesweep_config_selectorIiNS0_10empty_typeEEEZZNS1_29radix_sort_onesweep_iterationIS3_Lb0EN6thrust23THRUST_200600_302600_NS6detail15normal_iteratorINS9_10device_ptrIiEEEESE_PS5_SF_jNS0_19identity_decomposerENS1_16block_id_wrapperIjLb1EEEEE10hipError_tT1_PNSt15iterator_traitsISK_E10value_typeET2_T3_PNSL_ISQ_E10value_typeET4_T5_PSV_SW_PNS1_23onesweep_lookback_stateEbbT6_jjT7_P12ihipStream_tbENKUlT_T0_SK_SP_E_clISE_SE_SF_SF_EEDaS13_S14_SK_SP_EUlS13_E_NS1_11comp_targetILNS1_3genE6ELNS1_11target_archE950ELNS1_3gpuE13ELNS1_3repE0EEENS1_47radix_sort_onesweep_sort_config_static_selectorELNS0_4arch9wavefront6targetE0EEEvSK_
		.amdhsa_group_segment_fixed_size 0
		.amdhsa_private_segment_fixed_size 0
		.amdhsa_kernarg_size 88
		.amdhsa_user_sgpr_count 6
		.amdhsa_user_sgpr_private_segment_buffer 1
		.amdhsa_user_sgpr_dispatch_ptr 0
		.amdhsa_user_sgpr_queue_ptr 0
		.amdhsa_user_sgpr_kernarg_segment_ptr 1
		.amdhsa_user_sgpr_dispatch_id 0
		.amdhsa_user_sgpr_flat_scratch_init 0
		.amdhsa_user_sgpr_private_segment_size 0
		.amdhsa_wavefront_size32 1
		.amdhsa_uses_dynamic_stack 0
		.amdhsa_system_sgpr_private_segment_wavefront_offset 0
		.amdhsa_system_sgpr_workgroup_id_x 1
		.amdhsa_system_sgpr_workgroup_id_y 0
		.amdhsa_system_sgpr_workgroup_id_z 0
		.amdhsa_system_sgpr_workgroup_info 0
		.amdhsa_system_vgpr_workitem_id 0
		.amdhsa_next_free_vgpr 1
		.amdhsa_next_free_sgpr 1
		.amdhsa_reserve_vcc 0
		.amdhsa_reserve_flat_scratch 0
		.amdhsa_float_round_mode_32 0
		.amdhsa_float_round_mode_16_64 0
		.amdhsa_float_denorm_mode_32 3
		.amdhsa_float_denorm_mode_16_64 3
		.amdhsa_dx10_clamp 1
		.amdhsa_ieee_mode 1
		.amdhsa_fp16_overflow 0
		.amdhsa_workgroup_processor_mode 1
		.amdhsa_memory_ordered 1
		.amdhsa_forward_progress 1
		.amdhsa_shared_vgpr_count 0
		.amdhsa_exception_fp_ieee_invalid_op 0
		.amdhsa_exception_fp_denorm_src 0
		.amdhsa_exception_fp_ieee_div_zero 0
		.amdhsa_exception_fp_ieee_overflow 0
		.amdhsa_exception_fp_ieee_underflow 0
		.amdhsa_exception_fp_ieee_inexact 0
		.amdhsa_exception_int_div_zero 0
	.end_amdhsa_kernel
	.section	.text._ZN7rocprim17ROCPRIM_400000_NS6detail17trampoline_kernelINS0_14default_configENS1_35radix_sort_onesweep_config_selectorIiNS0_10empty_typeEEEZZNS1_29radix_sort_onesweep_iterationIS3_Lb0EN6thrust23THRUST_200600_302600_NS6detail15normal_iteratorINS9_10device_ptrIiEEEESE_PS5_SF_jNS0_19identity_decomposerENS1_16block_id_wrapperIjLb1EEEEE10hipError_tT1_PNSt15iterator_traitsISK_E10value_typeET2_T3_PNSL_ISQ_E10value_typeET4_T5_PSV_SW_PNS1_23onesweep_lookback_stateEbbT6_jjT7_P12ihipStream_tbENKUlT_T0_SK_SP_E_clISE_SE_SF_SF_EEDaS13_S14_SK_SP_EUlS13_E_NS1_11comp_targetILNS1_3genE6ELNS1_11target_archE950ELNS1_3gpuE13ELNS1_3repE0EEENS1_47radix_sort_onesweep_sort_config_static_selectorELNS0_4arch9wavefront6targetE0EEEvSK_,"axG",@progbits,_ZN7rocprim17ROCPRIM_400000_NS6detail17trampoline_kernelINS0_14default_configENS1_35radix_sort_onesweep_config_selectorIiNS0_10empty_typeEEEZZNS1_29radix_sort_onesweep_iterationIS3_Lb0EN6thrust23THRUST_200600_302600_NS6detail15normal_iteratorINS9_10device_ptrIiEEEESE_PS5_SF_jNS0_19identity_decomposerENS1_16block_id_wrapperIjLb1EEEEE10hipError_tT1_PNSt15iterator_traitsISK_E10value_typeET2_T3_PNSL_ISQ_E10value_typeET4_T5_PSV_SW_PNS1_23onesweep_lookback_stateEbbT6_jjT7_P12ihipStream_tbENKUlT_T0_SK_SP_E_clISE_SE_SF_SF_EEDaS13_S14_SK_SP_EUlS13_E_NS1_11comp_targetILNS1_3genE6ELNS1_11target_archE950ELNS1_3gpuE13ELNS1_3repE0EEENS1_47radix_sort_onesweep_sort_config_static_selectorELNS0_4arch9wavefront6targetE0EEEvSK_,comdat
.Lfunc_end160:
	.size	_ZN7rocprim17ROCPRIM_400000_NS6detail17trampoline_kernelINS0_14default_configENS1_35radix_sort_onesweep_config_selectorIiNS0_10empty_typeEEEZZNS1_29radix_sort_onesweep_iterationIS3_Lb0EN6thrust23THRUST_200600_302600_NS6detail15normal_iteratorINS9_10device_ptrIiEEEESE_PS5_SF_jNS0_19identity_decomposerENS1_16block_id_wrapperIjLb1EEEEE10hipError_tT1_PNSt15iterator_traitsISK_E10value_typeET2_T3_PNSL_ISQ_E10value_typeET4_T5_PSV_SW_PNS1_23onesweep_lookback_stateEbbT6_jjT7_P12ihipStream_tbENKUlT_T0_SK_SP_E_clISE_SE_SF_SF_EEDaS13_S14_SK_SP_EUlS13_E_NS1_11comp_targetILNS1_3genE6ELNS1_11target_archE950ELNS1_3gpuE13ELNS1_3repE0EEENS1_47radix_sort_onesweep_sort_config_static_selectorELNS0_4arch9wavefront6targetE0EEEvSK_, .Lfunc_end160-_ZN7rocprim17ROCPRIM_400000_NS6detail17trampoline_kernelINS0_14default_configENS1_35radix_sort_onesweep_config_selectorIiNS0_10empty_typeEEEZZNS1_29radix_sort_onesweep_iterationIS3_Lb0EN6thrust23THRUST_200600_302600_NS6detail15normal_iteratorINS9_10device_ptrIiEEEESE_PS5_SF_jNS0_19identity_decomposerENS1_16block_id_wrapperIjLb1EEEEE10hipError_tT1_PNSt15iterator_traitsISK_E10value_typeET2_T3_PNSL_ISQ_E10value_typeET4_T5_PSV_SW_PNS1_23onesweep_lookback_stateEbbT6_jjT7_P12ihipStream_tbENKUlT_T0_SK_SP_E_clISE_SE_SF_SF_EEDaS13_S14_SK_SP_EUlS13_E_NS1_11comp_targetILNS1_3genE6ELNS1_11target_archE950ELNS1_3gpuE13ELNS1_3repE0EEENS1_47radix_sort_onesweep_sort_config_static_selectorELNS0_4arch9wavefront6targetE0EEEvSK_
                                        ; -- End function
	.set _ZN7rocprim17ROCPRIM_400000_NS6detail17trampoline_kernelINS0_14default_configENS1_35radix_sort_onesweep_config_selectorIiNS0_10empty_typeEEEZZNS1_29radix_sort_onesweep_iterationIS3_Lb0EN6thrust23THRUST_200600_302600_NS6detail15normal_iteratorINS9_10device_ptrIiEEEESE_PS5_SF_jNS0_19identity_decomposerENS1_16block_id_wrapperIjLb1EEEEE10hipError_tT1_PNSt15iterator_traitsISK_E10value_typeET2_T3_PNSL_ISQ_E10value_typeET4_T5_PSV_SW_PNS1_23onesweep_lookback_stateEbbT6_jjT7_P12ihipStream_tbENKUlT_T0_SK_SP_E_clISE_SE_SF_SF_EEDaS13_S14_SK_SP_EUlS13_E_NS1_11comp_targetILNS1_3genE6ELNS1_11target_archE950ELNS1_3gpuE13ELNS1_3repE0EEENS1_47radix_sort_onesweep_sort_config_static_selectorELNS0_4arch9wavefront6targetE0EEEvSK_.num_vgpr, 0
	.set _ZN7rocprim17ROCPRIM_400000_NS6detail17trampoline_kernelINS0_14default_configENS1_35radix_sort_onesweep_config_selectorIiNS0_10empty_typeEEEZZNS1_29radix_sort_onesweep_iterationIS3_Lb0EN6thrust23THRUST_200600_302600_NS6detail15normal_iteratorINS9_10device_ptrIiEEEESE_PS5_SF_jNS0_19identity_decomposerENS1_16block_id_wrapperIjLb1EEEEE10hipError_tT1_PNSt15iterator_traitsISK_E10value_typeET2_T3_PNSL_ISQ_E10value_typeET4_T5_PSV_SW_PNS1_23onesweep_lookback_stateEbbT6_jjT7_P12ihipStream_tbENKUlT_T0_SK_SP_E_clISE_SE_SF_SF_EEDaS13_S14_SK_SP_EUlS13_E_NS1_11comp_targetILNS1_3genE6ELNS1_11target_archE950ELNS1_3gpuE13ELNS1_3repE0EEENS1_47radix_sort_onesweep_sort_config_static_selectorELNS0_4arch9wavefront6targetE0EEEvSK_.num_agpr, 0
	.set _ZN7rocprim17ROCPRIM_400000_NS6detail17trampoline_kernelINS0_14default_configENS1_35radix_sort_onesweep_config_selectorIiNS0_10empty_typeEEEZZNS1_29radix_sort_onesweep_iterationIS3_Lb0EN6thrust23THRUST_200600_302600_NS6detail15normal_iteratorINS9_10device_ptrIiEEEESE_PS5_SF_jNS0_19identity_decomposerENS1_16block_id_wrapperIjLb1EEEEE10hipError_tT1_PNSt15iterator_traitsISK_E10value_typeET2_T3_PNSL_ISQ_E10value_typeET4_T5_PSV_SW_PNS1_23onesweep_lookback_stateEbbT6_jjT7_P12ihipStream_tbENKUlT_T0_SK_SP_E_clISE_SE_SF_SF_EEDaS13_S14_SK_SP_EUlS13_E_NS1_11comp_targetILNS1_3genE6ELNS1_11target_archE950ELNS1_3gpuE13ELNS1_3repE0EEENS1_47radix_sort_onesweep_sort_config_static_selectorELNS0_4arch9wavefront6targetE0EEEvSK_.numbered_sgpr, 0
	.set _ZN7rocprim17ROCPRIM_400000_NS6detail17trampoline_kernelINS0_14default_configENS1_35radix_sort_onesweep_config_selectorIiNS0_10empty_typeEEEZZNS1_29radix_sort_onesweep_iterationIS3_Lb0EN6thrust23THRUST_200600_302600_NS6detail15normal_iteratorINS9_10device_ptrIiEEEESE_PS5_SF_jNS0_19identity_decomposerENS1_16block_id_wrapperIjLb1EEEEE10hipError_tT1_PNSt15iterator_traitsISK_E10value_typeET2_T3_PNSL_ISQ_E10value_typeET4_T5_PSV_SW_PNS1_23onesweep_lookback_stateEbbT6_jjT7_P12ihipStream_tbENKUlT_T0_SK_SP_E_clISE_SE_SF_SF_EEDaS13_S14_SK_SP_EUlS13_E_NS1_11comp_targetILNS1_3genE6ELNS1_11target_archE950ELNS1_3gpuE13ELNS1_3repE0EEENS1_47radix_sort_onesweep_sort_config_static_selectorELNS0_4arch9wavefront6targetE0EEEvSK_.num_named_barrier, 0
	.set _ZN7rocprim17ROCPRIM_400000_NS6detail17trampoline_kernelINS0_14default_configENS1_35radix_sort_onesweep_config_selectorIiNS0_10empty_typeEEEZZNS1_29radix_sort_onesweep_iterationIS3_Lb0EN6thrust23THRUST_200600_302600_NS6detail15normal_iteratorINS9_10device_ptrIiEEEESE_PS5_SF_jNS0_19identity_decomposerENS1_16block_id_wrapperIjLb1EEEEE10hipError_tT1_PNSt15iterator_traitsISK_E10value_typeET2_T3_PNSL_ISQ_E10value_typeET4_T5_PSV_SW_PNS1_23onesweep_lookback_stateEbbT6_jjT7_P12ihipStream_tbENKUlT_T0_SK_SP_E_clISE_SE_SF_SF_EEDaS13_S14_SK_SP_EUlS13_E_NS1_11comp_targetILNS1_3genE6ELNS1_11target_archE950ELNS1_3gpuE13ELNS1_3repE0EEENS1_47radix_sort_onesweep_sort_config_static_selectorELNS0_4arch9wavefront6targetE0EEEvSK_.private_seg_size, 0
	.set _ZN7rocprim17ROCPRIM_400000_NS6detail17trampoline_kernelINS0_14default_configENS1_35radix_sort_onesweep_config_selectorIiNS0_10empty_typeEEEZZNS1_29radix_sort_onesweep_iterationIS3_Lb0EN6thrust23THRUST_200600_302600_NS6detail15normal_iteratorINS9_10device_ptrIiEEEESE_PS5_SF_jNS0_19identity_decomposerENS1_16block_id_wrapperIjLb1EEEEE10hipError_tT1_PNSt15iterator_traitsISK_E10value_typeET2_T3_PNSL_ISQ_E10value_typeET4_T5_PSV_SW_PNS1_23onesweep_lookback_stateEbbT6_jjT7_P12ihipStream_tbENKUlT_T0_SK_SP_E_clISE_SE_SF_SF_EEDaS13_S14_SK_SP_EUlS13_E_NS1_11comp_targetILNS1_3genE6ELNS1_11target_archE950ELNS1_3gpuE13ELNS1_3repE0EEENS1_47radix_sort_onesweep_sort_config_static_selectorELNS0_4arch9wavefront6targetE0EEEvSK_.uses_vcc, 0
	.set _ZN7rocprim17ROCPRIM_400000_NS6detail17trampoline_kernelINS0_14default_configENS1_35radix_sort_onesweep_config_selectorIiNS0_10empty_typeEEEZZNS1_29radix_sort_onesweep_iterationIS3_Lb0EN6thrust23THRUST_200600_302600_NS6detail15normal_iteratorINS9_10device_ptrIiEEEESE_PS5_SF_jNS0_19identity_decomposerENS1_16block_id_wrapperIjLb1EEEEE10hipError_tT1_PNSt15iterator_traitsISK_E10value_typeET2_T3_PNSL_ISQ_E10value_typeET4_T5_PSV_SW_PNS1_23onesweep_lookback_stateEbbT6_jjT7_P12ihipStream_tbENKUlT_T0_SK_SP_E_clISE_SE_SF_SF_EEDaS13_S14_SK_SP_EUlS13_E_NS1_11comp_targetILNS1_3genE6ELNS1_11target_archE950ELNS1_3gpuE13ELNS1_3repE0EEENS1_47radix_sort_onesweep_sort_config_static_selectorELNS0_4arch9wavefront6targetE0EEEvSK_.uses_flat_scratch, 0
	.set _ZN7rocprim17ROCPRIM_400000_NS6detail17trampoline_kernelINS0_14default_configENS1_35radix_sort_onesweep_config_selectorIiNS0_10empty_typeEEEZZNS1_29radix_sort_onesweep_iterationIS3_Lb0EN6thrust23THRUST_200600_302600_NS6detail15normal_iteratorINS9_10device_ptrIiEEEESE_PS5_SF_jNS0_19identity_decomposerENS1_16block_id_wrapperIjLb1EEEEE10hipError_tT1_PNSt15iterator_traitsISK_E10value_typeET2_T3_PNSL_ISQ_E10value_typeET4_T5_PSV_SW_PNS1_23onesweep_lookback_stateEbbT6_jjT7_P12ihipStream_tbENKUlT_T0_SK_SP_E_clISE_SE_SF_SF_EEDaS13_S14_SK_SP_EUlS13_E_NS1_11comp_targetILNS1_3genE6ELNS1_11target_archE950ELNS1_3gpuE13ELNS1_3repE0EEENS1_47radix_sort_onesweep_sort_config_static_selectorELNS0_4arch9wavefront6targetE0EEEvSK_.has_dyn_sized_stack, 0
	.set _ZN7rocprim17ROCPRIM_400000_NS6detail17trampoline_kernelINS0_14default_configENS1_35radix_sort_onesweep_config_selectorIiNS0_10empty_typeEEEZZNS1_29radix_sort_onesweep_iterationIS3_Lb0EN6thrust23THRUST_200600_302600_NS6detail15normal_iteratorINS9_10device_ptrIiEEEESE_PS5_SF_jNS0_19identity_decomposerENS1_16block_id_wrapperIjLb1EEEEE10hipError_tT1_PNSt15iterator_traitsISK_E10value_typeET2_T3_PNSL_ISQ_E10value_typeET4_T5_PSV_SW_PNS1_23onesweep_lookback_stateEbbT6_jjT7_P12ihipStream_tbENKUlT_T0_SK_SP_E_clISE_SE_SF_SF_EEDaS13_S14_SK_SP_EUlS13_E_NS1_11comp_targetILNS1_3genE6ELNS1_11target_archE950ELNS1_3gpuE13ELNS1_3repE0EEENS1_47radix_sort_onesweep_sort_config_static_selectorELNS0_4arch9wavefront6targetE0EEEvSK_.has_recursion, 0
	.set _ZN7rocprim17ROCPRIM_400000_NS6detail17trampoline_kernelINS0_14default_configENS1_35radix_sort_onesweep_config_selectorIiNS0_10empty_typeEEEZZNS1_29radix_sort_onesweep_iterationIS3_Lb0EN6thrust23THRUST_200600_302600_NS6detail15normal_iteratorINS9_10device_ptrIiEEEESE_PS5_SF_jNS0_19identity_decomposerENS1_16block_id_wrapperIjLb1EEEEE10hipError_tT1_PNSt15iterator_traitsISK_E10value_typeET2_T3_PNSL_ISQ_E10value_typeET4_T5_PSV_SW_PNS1_23onesweep_lookback_stateEbbT6_jjT7_P12ihipStream_tbENKUlT_T0_SK_SP_E_clISE_SE_SF_SF_EEDaS13_S14_SK_SP_EUlS13_E_NS1_11comp_targetILNS1_3genE6ELNS1_11target_archE950ELNS1_3gpuE13ELNS1_3repE0EEENS1_47radix_sort_onesweep_sort_config_static_selectorELNS0_4arch9wavefront6targetE0EEEvSK_.has_indirect_call, 0
	.section	.AMDGPU.csdata,"",@progbits
; Kernel info:
; codeLenInByte = 0
; TotalNumSgprs: 0
; NumVgprs: 0
; ScratchSize: 0
; MemoryBound: 0
; FloatMode: 240
; IeeeMode: 1
; LDSByteSize: 0 bytes/workgroup (compile time only)
; SGPRBlocks: 0
; VGPRBlocks: 0
; NumSGPRsForWavesPerEU: 1
; NumVGPRsForWavesPerEU: 1
; Occupancy: 16
; WaveLimiterHint : 0
; COMPUTE_PGM_RSRC2:SCRATCH_EN: 0
; COMPUTE_PGM_RSRC2:USER_SGPR: 6
; COMPUTE_PGM_RSRC2:TRAP_HANDLER: 0
; COMPUTE_PGM_RSRC2:TGID_X_EN: 1
; COMPUTE_PGM_RSRC2:TGID_Y_EN: 0
; COMPUTE_PGM_RSRC2:TGID_Z_EN: 0
; COMPUTE_PGM_RSRC2:TIDIG_COMP_CNT: 0
	.section	.text._ZN7rocprim17ROCPRIM_400000_NS6detail17trampoline_kernelINS0_14default_configENS1_35radix_sort_onesweep_config_selectorIiNS0_10empty_typeEEEZZNS1_29radix_sort_onesweep_iterationIS3_Lb0EN6thrust23THRUST_200600_302600_NS6detail15normal_iteratorINS9_10device_ptrIiEEEESE_PS5_SF_jNS0_19identity_decomposerENS1_16block_id_wrapperIjLb1EEEEE10hipError_tT1_PNSt15iterator_traitsISK_E10value_typeET2_T3_PNSL_ISQ_E10value_typeET4_T5_PSV_SW_PNS1_23onesweep_lookback_stateEbbT6_jjT7_P12ihipStream_tbENKUlT_T0_SK_SP_E_clISE_SE_SF_SF_EEDaS13_S14_SK_SP_EUlS13_E_NS1_11comp_targetILNS1_3genE5ELNS1_11target_archE942ELNS1_3gpuE9ELNS1_3repE0EEENS1_47radix_sort_onesweep_sort_config_static_selectorELNS0_4arch9wavefront6targetE0EEEvSK_,"axG",@progbits,_ZN7rocprim17ROCPRIM_400000_NS6detail17trampoline_kernelINS0_14default_configENS1_35radix_sort_onesweep_config_selectorIiNS0_10empty_typeEEEZZNS1_29radix_sort_onesweep_iterationIS3_Lb0EN6thrust23THRUST_200600_302600_NS6detail15normal_iteratorINS9_10device_ptrIiEEEESE_PS5_SF_jNS0_19identity_decomposerENS1_16block_id_wrapperIjLb1EEEEE10hipError_tT1_PNSt15iterator_traitsISK_E10value_typeET2_T3_PNSL_ISQ_E10value_typeET4_T5_PSV_SW_PNS1_23onesweep_lookback_stateEbbT6_jjT7_P12ihipStream_tbENKUlT_T0_SK_SP_E_clISE_SE_SF_SF_EEDaS13_S14_SK_SP_EUlS13_E_NS1_11comp_targetILNS1_3genE5ELNS1_11target_archE942ELNS1_3gpuE9ELNS1_3repE0EEENS1_47radix_sort_onesweep_sort_config_static_selectorELNS0_4arch9wavefront6targetE0EEEvSK_,comdat
	.protected	_ZN7rocprim17ROCPRIM_400000_NS6detail17trampoline_kernelINS0_14default_configENS1_35radix_sort_onesweep_config_selectorIiNS0_10empty_typeEEEZZNS1_29radix_sort_onesweep_iterationIS3_Lb0EN6thrust23THRUST_200600_302600_NS6detail15normal_iteratorINS9_10device_ptrIiEEEESE_PS5_SF_jNS0_19identity_decomposerENS1_16block_id_wrapperIjLb1EEEEE10hipError_tT1_PNSt15iterator_traitsISK_E10value_typeET2_T3_PNSL_ISQ_E10value_typeET4_T5_PSV_SW_PNS1_23onesweep_lookback_stateEbbT6_jjT7_P12ihipStream_tbENKUlT_T0_SK_SP_E_clISE_SE_SF_SF_EEDaS13_S14_SK_SP_EUlS13_E_NS1_11comp_targetILNS1_3genE5ELNS1_11target_archE942ELNS1_3gpuE9ELNS1_3repE0EEENS1_47radix_sort_onesweep_sort_config_static_selectorELNS0_4arch9wavefront6targetE0EEEvSK_ ; -- Begin function _ZN7rocprim17ROCPRIM_400000_NS6detail17trampoline_kernelINS0_14default_configENS1_35radix_sort_onesweep_config_selectorIiNS0_10empty_typeEEEZZNS1_29radix_sort_onesweep_iterationIS3_Lb0EN6thrust23THRUST_200600_302600_NS6detail15normal_iteratorINS9_10device_ptrIiEEEESE_PS5_SF_jNS0_19identity_decomposerENS1_16block_id_wrapperIjLb1EEEEE10hipError_tT1_PNSt15iterator_traitsISK_E10value_typeET2_T3_PNSL_ISQ_E10value_typeET4_T5_PSV_SW_PNS1_23onesweep_lookback_stateEbbT6_jjT7_P12ihipStream_tbENKUlT_T0_SK_SP_E_clISE_SE_SF_SF_EEDaS13_S14_SK_SP_EUlS13_E_NS1_11comp_targetILNS1_3genE5ELNS1_11target_archE942ELNS1_3gpuE9ELNS1_3repE0EEENS1_47radix_sort_onesweep_sort_config_static_selectorELNS0_4arch9wavefront6targetE0EEEvSK_
	.globl	_ZN7rocprim17ROCPRIM_400000_NS6detail17trampoline_kernelINS0_14default_configENS1_35radix_sort_onesweep_config_selectorIiNS0_10empty_typeEEEZZNS1_29radix_sort_onesweep_iterationIS3_Lb0EN6thrust23THRUST_200600_302600_NS6detail15normal_iteratorINS9_10device_ptrIiEEEESE_PS5_SF_jNS0_19identity_decomposerENS1_16block_id_wrapperIjLb1EEEEE10hipError_tT1_PNSt15iterator_traitsISK_E10value_typeET2_T3_PNSL_ISQ_E10value_typeET4_T5_PSV_SW_PNS1_23onesweep_lookback_stateEbbT6_jjT7_P12ihipStream_tbENKUlT_T0_SK_SP_E_clISE_SE_SF_SF_EEDaS13_S14_SK_SP_EUlS13_E_NS1_11comp_targetILNS1_3genE5ELNS1_11target_archE942ELNS1_3gpuE9ELNS1_3repE0EEENS1_47radix_sort_onesweep_sort_config_static_selectorELNS0_4arch9wavefront6targetE0EEEvSK_
	.p2align	8
	.type	_ZN7rocprim17ROCPRIM_400000_NS6detail17trampoline_kernelINS0_14default_configENS1_35radix_sort_onesweep_config_selectorIiNS0_10empty_typeEEEZZNS1_29radix_sort_onesweep_iterationIS3_Lb0EN6thrust23THRUST_200600_302600_NS6detail15normal_iteratorINS9_10device_ptrIiEEEESE_PS5_SF_jNS0_19identity_decomposerENS1_16block_id_wrapperIjLb1EEEEE10hipError_tT1_PNSt15iterator_traitsISK_E10value_typeET2_T3_PNSL_ISQ_E10value_typeET4_T5_PSV_SW_PNS1_23onesweep_lookback_stateEbbT6_jjT7_P12ihipStream_tbENKUlT_T0_SK_SP_E_clISE_SE_SF_SF_EEDaS13_S14_SK_SP_EUlS13_E_NS1_11comp_targetILNS1_3genE5ELNS1_11target_archE942ELNS1_3gpuE9ELNS1_3repE0EEENS1_47radix_sort_onesweep_sort_config_static_selectorELNS0_4arch9wavefront6targetE0EEEvSK_,@function
_ZN7rocprim17ROCPRIM_400000_NS6detail17trampoline_kernelINS0_14default_configENS1_35radix_sort_onesweep_config_selectorIiNS0_10empty_typeEEEZZNS1_29radix_sort_onesweep_iterationIS3_Lb0EN6thrust23THRUST_200600_302600_NS6detail15normal_iteratorINS9_10device_ptrIiEEEESE_PS5_SF_jNS0_19identity_decomposerENS1_16block_id_wrapperIjLb1EEEEE10hipError_tT1_PNSt15iterator_traitsISK_E10value_typeET2_T3_PNSL_ISQ_E10value_typeET4_T5_PSV_SW_PNS1_23onesweep_lookback_stateEbbT6_jjT7_P12ihipStream_tbENKUlT_T0_SK_SP_E_clISE_SE_SF_SF_EEDaS13_S14_SK_SP_EUlS13_E_NS1_11comp_targetILNS1_3genE5ELNS1_11target_archE942ELNS1_3gpuE9ELNS1_3repE0EEENS1_47radix_sort_onesweep_sort_config_static_selectorELNS0_4arch9wavefront6targetE0EEEvSK_: ; @_ZN7rocprim17ROCPRIM_400000_NS6detail17trampoline_kernelINS0_14default_configENS1_35radix_sort_onesweep_config_selectorIiNS0_10empty_typeEEEZZNS1_29radix_sort_onesweep_iterationIS3_Lb0EN6thrust23THRUST_200600_302600_NS6detail15normal_iteratorINS9_10device_ptrIiEEEESE_PS5_SF_jNS0_19identity_decomposerENS1_16block_id_wrapperIjLb1EEEEE10hipError_tT1_PNSt15iterator_traitsISK_E10value_typeET2_T3_PNSL_ISQ_E10value_typeET4_T5_PSV_SW_PNS1_23onesweep_lookback_stateEbbT6_jjT7_P12ihipStream_tbENKUlT_T0_SK_SP_E_clISE_SE_SF_SF_EEDaS13_S14_SK_SP_EUlS13_E_NS1_11comp_targetILNS1_3genE5ELNS1_11target_archE942ELNS1_3gpuE9ELNS1_3repE0EEENS1_47radix_sort_onesweep_sort_config_static_selectorELNS0_4arch9wavefront6targetE0EEEvSK_
; %bb.0:
	.section	.rodata,"a",@progbits
	.p2align	6, 0x0
	.amdhsa_kernel _ZN7rocprim17ROCPRIM_400000_NS6detail17trampoline_kernelINS0_14default_configENS1_35radix_sort_onesweep_config_selectorIiNS0_10empty_typeEEEZZNS1_29radix_sort_onesweep_iterationIS3_Lb0EN6thrust23THRUST_200600_302600_NS6detail15normal_iteratorINS9_10device_ptrIiEEEESE_PS5_SF_jNS0_19identity_decomposerENS1_16block_id_wrapperIjLb1EEEEE10hipError_tT1_PNSt15iterator_traitsISK_E10value_typeET2_T3_PNSL_ISQ_E10value_typeET4_T5_PSV_SW_PNS1_23onesweep_lookback_stateEbbT6_jjT7_P12ihipStream_tbENKUlT_T0_SK_SP_E_clISE_SE_SF_SF_EEDaS13_S14_SK_SP_EUlS13_E_NS1_11comp_targetILNS1_3genE5ELNS1_11target_archE942ELNS1_3gpuE9ELNS1_3repE0EEENS1_47radix_sort_onesweep_sort_config_static_selectorELNS0_4arch9wavefront6targetE0EEEvSK_
		.amdhsa_group_segment_fixed_size 0
		.amdhsa_private_segment_fixed_size 0
		.amdhsa_kernarg_size 88
		.amdhsa_user_sgpr_count 6
		.amdhsa_user_sgpr_private_segment_buffer 1
		.amdhsa_user_sgpr_dispatch_ptr 0
		.amdhsa_user_sgpr_queue_ptr 0
		.amdhsa_user_sgpr_kernarg_segment_ptr 1
		.amdhsa_user_sgpr_dispatch_id 0
		.amdhsa_user_sgpr_flat_scratch_init 0
		.amdhsa_user_sgpr_private_segment_size 0
		.amdhsa_wavefront_size32 1
		.amdhsa_uses_dynamic_stack 0
		.amdhsa_system_sgpr_private_segment_wavefront_offset 0
		.amdhsa_system_sgpr_workgroup_id_x 1
		.amdhsa_system_sgpr_workgroup_id_y 0
		.amdhsa_system_sgpr_workgroup_id_z 0
		.amdhsa_system_sgpr_workgroup_info 0
		.amdhsa_system_vgpr_workitem_id 0
		.amdhsa_next_free_vgpr 1
		.amdhsa_next_free_sgpr 1
		.amdhsa_reserve_vcc 0
		.amdhsa_reserve_flat_scratch 0
		.amdhsa_float_round_mode_32 0
		.amdhsa_float_round_mode_16_64 0
		.amdhsa_float_denorm_mode_32 3
		.amdhsa_float_denorm_mode_16_64 3
		.amdhsa_dx10_clamp 1
		.amdhsa_ieee_mode 1
		.amdhsa_fp16_overflow 0
		.amdhsa_workgroup_processor_mode 1
		.amdhsa_memory_ordered 1
		.amdhsa_forward_progress 1
		.amdhsa_shared_vgpr_count 0
		.amdhsa_exception_fp_ieee_invalid_op 0
		.amdhsa_exception_fp_denorm_src 0
		.amdhsa_exception_fp_ieee_div_zero 0
		.amdhsa_exception_fp_ieee_overflow 0
		.amdhsa_exception_fp_ieee_underflow 0
		.amdhsa_exception_fp_ieee_inexact 0
		.amdhsa_exception_int_div_zero 0
	.end_amdhsa_kernel
	.section	.text._ZN7rocprim17ROCPRIM_400000_NS6detail17trampoline_kernelINS0_14default_configENS1_35radix_sort_onesweep_config_selectorIiNS0_10empty_typeEEEZZNS1_29radix_sort_onesweep_iterationIS3_Lb0EN6thrust23THRUST_200600_302600_NS6detail15normal_iteratorINS9_10device_ptrIiEEEESE_PS5_SF_jNS0_19identity_decomposerENS1_16block_id_wrapperIjLb1EEEEE10hipError_tT1_PNSt15iterator_traitsISK_E10value_typeET2_T3_PNSL_ISQ_E10value_typeET4_T5_PSV_SW_PNS1_23onesweep_lookback_stateEbbT6_jjT7_P12ihipStream_tbENKUlT_T0_SK_SP_E_clISE_SE_SF_SF_EEDaS13_S14_SK_SP_EUlS13_E_NS1_11comp_targetILNS1_3genE5ELNS1_11target_archE942ELNS1_3gpuE9ELNS1_3repE0EEENS1_47radix_sort_onesweep_sort_config_static_selectorELNS0_4arch9wavefront6targetE0EEEvSK_,"axG",@progbits,_ZN7rocprim17ROCPRIM_400000_NS6detail17trampoline_kernelINS0_14default_configENS1_35radix_sort_onesweep_config_selectorIiNS0_10empty_typeEEEZZNS1_29radix_sort_onesweep_iterationIS3_Lb0EN6thrust23THRUST_200600_302600_NS6detail15normal_iteratorINS9_10device_ptrIiEEEESE_PS5_SF_jNS0_19identity_decomposerENS1_16block_id_wrapperIjLb1EEEEE10hipError_tT1_PNSt15iterator_traitsISK_E10value_typeET2_T3_PNSL_ISQ_E10value_typeET4_T5_PSV_SW_PNS1_23onesweep_lookback_stateEbbT6_jjT7_P12ihipStream_tbENKUlT_T0_SK_SP_E_clISE_SE_SF_SF_EEDaS13_S14_SK_SP_EUlS13_E_NS1_11comp_targetILNS1_3genE5ELNS1_11target_archE942ELNS1_3gpuE9ELNS1_3repE0EEENS1_47radix_sort_onesweep_sort_config_static_selectorELNS0_4arch9wavefront6targetE0EEEvSK_,comdat
.Lfunc_end161:
	.size	_ZN7rocprim17ROCPRIM_400000_NS6detail17trampoline_kernelINS0_14default_configENS1_35radix_sort_onesweep_config_selectorIiNS0_10empty_typeEEEZZNS1_29radix_sort_onesweep_iterationIS3_Lb0EN6thrust23THRUST_200600_302600_NS6detail15normal_iteratorINS9_10device_ptrIiEEEESE_PS5_SF_jNS0_19identity_decomposerENS1_16block_id_wrapperIjLb1EEEEE10hipError_tT1_PNSt15iterator_traitsISK_E10value_typeET2_T3_PNSL_ISQ_E10value_typeET4_T5_PSV_SW_PNS1_23onesweep_lookback_stateEbbT6_jjT7_P12ihipStream_tbENKUlT_T0_SK_SP_E_clISE_SE_SF_SF_EEDaS13_S14_SK_SP_EUlS13_E_NS1_11comp_targetILNS1_3genE5ELNS1_11target_archE942ELNS1_3gpuE9ELNS1_3repE0EEENS1_47radix_sort_onesweep_sort_config_static_selectorELNS0_4arch9wavefront6targetE0EEEvSK_, .Lfunc_end161-_ZN7rocprim17ROCPRIM_400000_NS6detail17trampoline_kernelINS0_14default_configENS1_35radix_sort_onesweep_config_selectorIiNS0_10empty_typeEEEZZNS1_29radix_sort_onesweep_iterationIS3_Lb0EN6thrust23THRUST_200600_302600_NS6detail15normal_iteratorINS9_10device_ptrIiEEEESE_PS5_SF_jNS0_19identity_decomposerENS1_16block_id_wrapperIjLb1EEEEE10hipError_tT1_PNSt15iterator_traitsISK_E10value_typeET2_T3_PNSL_ISQ_E10value_typeET4_T5_PSV_SW_PNS1_23onesweep_lookback_stateEbbT6_jjT7_P12ihipStream_tbENKUlT_T0_SK_SP_E_clISE_SE_SF_SF_EEDaS13_S14_SK_SP_EUlS13_E_NS1_11comp_targetILNS1_3genE5ELNS1_11target_archE942ELNS1_3gpuE9ELNS1_3repE0EEENS1_47radix_sort_onesweep_sort_config_static_selectorELNS0_4arch9wavefront6targetE0EEEvSK_
                                        ; -- End function
	.set _ZN7rocprim17ROCPRIM_400000_NS6detail17trampoline_kernelINS0_14default_configENS1_35radix_sort_onesweep_config_selectorIiNS0_10empty_typeEEEZZNS1_29radix_sort_onesweep_iterationIS3_Lb0EN6thrust23THRUST_200600_302600_NS6detail15normal_iteratorINS9_10device_ptrIiEEEESE_PS5_SF_jNS0_19identity_decomposerENS1_16block_id_wrapperIjLb1EEEEE10hipError_tT1_PNSt15iterator_traitsISK_E10value_typeET2_T3_PNSL_ISQ_E10value_typeET4_T5_PSV_SW_PNS1_23onesweep_lookback_stateEbbT6_jjT7_P12ihipStream_tbENKUlT_T0_SK_SP_E_clISE_SE_SF_SF_EEDaS13_S14_SK_SP_EUlS13_E_NS1_11comp_targetILNS1_3genE5ELNS1_11target_archE942ELNS1_3gpuE9ELNS1_3repE0EEENS1_47radix_sort_onesweep_sort_config_static_selectorELNS0_4arch9wavefront6targetE0EEEvSK_.num_vgpr, 0
	.set _ZN7rocprim17ROCPRIM_400000_NS6detail17trampoline_kernelINS0_14default_configENS1_35radix_sort_onesweep_config_selectorIiNS0_10empty_typeEEEZZNS1_29radix_sort_onesweep_iterationIS3_Lb0EN6thrust23THRUST_200600_302600_NS6detail15normal_iteratorINS9_10device_ptrIiEEEESE_PS5_SF_jNS0_19identity_decomposerENS1_16block_id_wrapperIjLb1EEEEE10hipError_tT1_PNSt15iterator_traitsISK_E10value_typeET2_T3_PNSL_ISQ_E10value_typeET4_T5_PSV_SW_PNS1_23onesweep_lookback_stateEbbT6_jjT7_P12ihipStream_tbENKUlT_T0_SK_SP_E_clISE_SE_SF_SF_EEDaS13_S14_SK_SP_EUlS13_E_NS1_11comp_targetILNS1_3genE5ELNS1_11target_archE942ELNS1_3gpuE9ELNS1_3repE0EEENS1_47radix_sort_onesweep_sort_config_static_selectorELNS0_4arch9wavefront6targetE0EEEvSK_.num_agpr, 0
	.set _ZN7rocprim17ROCPRIM_400000_NS6detail17trampoline_kernelINS0_14default_configENS1_35radix_sort_onesweep_config_selectorIiNS0_10empty_typeEEEZZNS1_29radix_sort_onesweep_iterationIS3_Lb0EN6thrust23THRUST_200600_302600_NS6detail15normal_iteratorINS9_10device_ptrIiEEEESE_PS5_SF_jNS0_19identity_decomposerENS1_16block_id_wrapperIjLb1EEEEE10hipError_tT1_PNSt15iterator_traitsISK_E10value_typeET2_T3_PNSL_ISQ_E10value_typeET4_T5_PSV_SW_PNS1_23onesweep_lookback_stateEbbT6_jjT7_P12ihipStream_tbENKUlT_T0_SK_SP_E_clISE_SE_SF_SF_EEDaS13_S14_SK_SP_EUlS13_E_NS1_11comp_targetILNS1_3genE5ELNS1_11target_archE942ELNS1_3gpuE9ELNS1_3repE0EEENS1_47radix_sort_onesweep_sort_config_static_selectorELNS0_4arch9wavefront6targetE0EEEvSK_.numbered_sgpr, 0
	.set _ZN7rocprim17ROCPRIM_400000_NS6detail17trampoline_kernelINS0_14default_configENS1_35radix_sort_onesweep_config_selectorIiNS0_10empty_typeEEEZZNS1_29radix_sort_onesweep_iterationIS3_Lb0EN6thrust23THRUST_200600_302600_NS6detail15normal_iteratorINS9_10device_ptrIiEEEESE_PS5_SF_jNS0_19identity_decomposerENS1_16block_id_wrapperIjLb1EEEEE10hipError_tT1_PNSt15iterator_traitsISK_E10value_typeET2_T3_PNSL_ISQ_E10value_typeET4_T5_PSV_SW_PNS1_23onesweep_lookback_stateEbbT6_jjT7_P12ihipStream_tbENKUlT_T0_SK_SP_E_clISE_SE_SF_SF_EEDaS13_S14_SK_SP_EUlS13_E_NS1_11comp_targetILNS1_3genE5ELNS1_11target_archE942ELNS1_3gpuE9ELNS1_3repE0EEENS1_47radix_sort_onesweep_sort_config_static_selectorELNS0_4arch9wavefront6targetE0EEEvSK_.num_named_barrier, 0
	.set _ZN7rocprim17ROCPRIM_400000_NS6detail17trampoline_kernelINS0_14default_configENS1_35radix_sort_onesweep_config_selectorIiNS0_10empty_typeEEEZZNS1_29radix_sort_onesweep_iterationIS3_Lb0EN6thrust23THRUST_200600_302600_NS6detail15normal_iteratorINS9_10device_ptrIiEEEESE_PS5_SF_jNS0_19identity_decomposerENS1_16block_id_wrapperIjLb1EEEEE10hipError_tT1_PNSt15iterator_traitsISK_E10value_typeET2_T3_PNSL_ISQ_E10value_typeET4_T5_PSV_SW_PNS1_23onesweep_lookback_stateEbbT6_jjT7_P12ihipStream_tbENKUlT_T0_SK_SP_E_clISE_SE_SF_SF_EEDaS13_S14_SK_SP_EUlS13_E_NS1_11comp_targetILNS1_3genE5ELNS1_11target_archE942ELNS1_3gpuE9ELNS1_3repE0EEENS1_47radix_sort_onesweep_sort_config_static_selectorELNS0_4arch9wavefront6targetE0EEEvSK_.private_seg_size, 0
	.set _ZN7rocprim17ROCPRIM_400000_NS6detail17trampoline_kernelINS0_14default_configENS1_35radix_sort_onesweep_config_selectorIiNS0_10empty_typeEEEZZNS1_29radix_sort_onesweep_iterationIS3_Lb0EN6thrust23THRUST_200600_302600_NS6detail15normal_iteratorINS9_10device_ptrIiEEEESE_PS5_SF_jNS0_19identity_decomposerENS1_16block_id_wrapperIjLb1EEEEE10hipError_tT1_PNSt15iterator_traitsISK_E10value_typeET2_T3_PNSL_ISQ_E10value_typeET4_T5_PSV_SW_PNS1_23onesweep_lookback_stateEbbT6_jjT7_P12ihipStream_tbENKUlT_T0_SK_SP_E_clISE_SE_SF_SF_EEDaS13_S14_SK_SP_EUlS13_E_NS1_11comp_targetILNS1_3genE5ELNS1_11target_archE942ELNS1_3gpuE9ELNS1_3repE0EEENS1_47radix_sort_onesweep_sort_config_static_selectorELNS0_4arch9wavefront6targetE0EEEvSK_.uses_vcc, 0
	.set _ZN7rocprim17ROCPRIM_400000_NS6detail17trampoline_kernelINS0_14default_configENS1_35radix_sort_onesweep_config_selectorIiNS0_10empty_typeEEEZZNS1_29radix_sort_onesweep_iterationIS3_Lb0EN6thrust23THRUST_200600_302600_NS6detail15normal_iteratorINS9_10device_ptrIiEEEESE_PS5_SF_jNS0_19identity_decomposerENS1_16block_id_wrapperIjLb1EEEEE10hipError_tT1_PNSt15iterator_traitsISK_E10value_typeET2_T3_PNSL_ISQ_E10value_typeET4_T5_PSV_SW_PNS1_23onesweep_lookback_stateEbbT6_jjT7_P12ihipStream_tbENKUlT_T0_SK_SP_E_clISE_SE_SF_SF_EEDaS13_S14_SK_SP_EUlS13_E_NS1_11comp_targetILNS1_3genE5ELNS1_11target_archE942ELNS1_3gpuE9ELNS1_3repE0EEENS1_47radix_sort_onesweep_sort_config_static_selectorELNS0_4arch9wavefront6targetE0EEEvSK_.uses_flat_scratch, 0
	.set _ZN7rocprim17ROCPRIM_400000_NS6detail17trampoline_kernelINS0_14default_configENS1_35radix_sort_onesweep_config_selectorIiNS0_10empty_typeEEEZZNS1_29radix_sort_onesweep_iterationIS3_Lb0EN6thrust23THRUST_200600_302600_NS6detail15normal_iteratorINS9_10device_ptrIiEEEESE_PS5_SF_jNS0_19identity_decomposerENS1_16block_id_wrapperIjLb1EEEEE10hipError_tT1_PNSt15iterator_traitsISK_E10value_typeET2_T3_PNSL_ISQ_E10value_typeET4_T5_PSV_SW_PNS1_23onesweep_lookback_stateEbbT6_jjT7_P12ihipStream_tbENKUlT_T0_SK_SP_E_clISE_SE_SF_SF_EEDaS13_S14_SK_SP_EUlS13_E_NS1_11comp_targetILNS1_3genE5ELNS1_11target_archE942ELNS1_3gpuE9ELNS1_3repE0EEENS1_47radix_sort_onesweep_sort_config_static_selectorELNS0_4arch9wavefront6targetE0EEEvSK_.has_dyn_sized_stack, 0
	.set _ZN7rocprim17ROCPRIM_400000_NS6detail17trampoline_kernelINS0_14default_configENS1_35radix_sort_onesweep_config_selectorIiNS0_10empty_typeEEEZZNS1_29radix_sort_onesweep_iterationIS3_Lb0EN6thrust23THRUST_200600_302600_NS6detail15normal_iteratorINS9_10device_ptrIiEEEESE_PS5_SF_jNS0_19identity_decomposerENS1_16block_id_wrapperIjLb1EEEEE10hipError_tT1_PNSt15iterator_traitsISK_E10value_typeET2_T3_PNSL_ISQ_E10value_typeET4_T5_PSV_SW_PNS1_23onesweep_lookback_stateEbbT6_jjT7_P12ihipStream_tbENKUlT_T0_SK_SP_E_clISE_SE_SF_SF_EEDaS13_S14_SK_SP_EUlS13_E_NS1_11comp_targetILNS1_3genE5ELNS1_11target_archE942ELNS1_3gpuE9ELNS1_3repE0EEENS1_47radix_sort_onesweep_sort_config_static_selectorELNS0_4arch9wavefront6targetE0EEEvSK_.has_recursion, 0
	.set _ZN7rocprim17ROCPRIM_400000_NS6detail17trampoline_kernelINS0_14default_configENS1_35radix_sort_onesweep_config_selectorIiNS0_10empty_typeEEEZZNS1_29radix_sort_onesweep_iterationIS3_Lb0EN6thrust23THRUST_200600_302600_NS6detail15normal_iteratorINS9_10device_ptrIiEEEESE_PS5_SF_jNS0_19identity_decomposerENS1_16block_id_wrapperIjLb1EEEEE10hipError_tT1_PNSt15iterator_traitsISK_E10value_typeET2_T3_PNSL_ISQ_E10value_typeET4_T5_PSV_SW_PNS1_23onesweep_lookback_stateEbbT6_jjT7_P12ihipStream_tbENKUlT_T0_SK_SP_E_clISE_SE_SF_SF_EEDaS13_S14_SK_SP_EUlS13_E_NS1_11comp_targetILNS1_3genE5ELNS1_11target_archE942ELNS1_3gpuE9ELNS1_3repE0EEENS1_47radix_sort_onesweep_sort_config_static_selectorELNS0_4arch9wavefront6targetE0EEEvSK_.has_indirect_call, 0
	.section	.AMDGPU.csdata,"",@progbits
; Kernel info:
; codeLenInByte = 0
; TotalNumSgprs: 0
; NumVgprs: 0
; ScratchSize: 0
; MemoryBound: 0
; FloatMode: 240
; IeeeMode: 1
; LDSByteSize: 0 bytes/workgroup (compile time only)
; SGPRBlocks: 0
; VGPRBlocks: 0
; NumSGPRsForWavesPerEU: 1
; NumVGPRsForWavesPerEU: 1
; Occupancy: 16
; WaveLimiterHint : 0
; COMPUTE_PGM_RSRC2:SCRATCH_EN: 0
; COMPUTE_PGM_RSRC2:USER_SGPR: 6
; COMPUTE_PGM_RSRC2:TRAP_HANDLER: 0
; COMPUTE_PGM_RSRC2:TGID_X_EN: 1
; COMPUTE_PGM_RSRC2:TGID_Y_EN: 0
; COMPUTE_PGM_RSRC2:TGID_Z_EN: 0
; COMPUTE_PGM_RSRC2:TIDIG_COMP_CNT: 0
	.section	.text._ZN7rocprim17ROCPRIM_400000_NS6detail17trampoline_kernelINS0_14default_configENS1_35radix_sort_onesweep_config_selectorIiNS0_10empty_typeEEEZZNS1_29radix_sort_onesweep_iterationIS3_Lb0EN6thrust23THRUST_200600_302600_NS6detail15normal_iteratorINS9_10device_ptrIiEEEESE_PS5_SF_jNS0_19identity_decomposerENS1_16block_id_wrapperIjLb1EEEEE10hipError_tT1_PNSt15iterator_traitsISK_E10value_typeET2_T3_PNSL_ISQ_E10value_typeET4_T5_PSV_SW_PNS1_23onesweep_lookback_stateEbbT6_jjT7_P12ihipStream_tbENKUlT_T0_SK_SP_E_clISE_SE_SF_SF_EEDaS13_S14_SK_SP_EUlS13_E_NS1_11comp_targetILNS1_3genE2ELNS1_11target_archE906ELNS1_3gpuE6ELNS1_3repE0EEENS1_47radix_sort_onesweep_sort_config_static_selectorELNS0_4arch9wavefront6targetE0EEEvSK_,"axG",@progbits,_ZN7rocprim17ROCPRIM_400000_NS6detail17trampoline_kernelINS0_14default_configENS1_35radix_sort_onesweep_config_selectorIiNS0_10empty_typeEEEZZNS1_29radix_sort_onesweep_iterationIS3_Lb0EN6thrust23THRUST_200600_302600_NS6detail15normal_iteratorINS9_10device_ptrIiEEEESE_PS5_SF_jNS0_19identity_decomposerENS1_16block_id_wrapperIjLb1EEEEE10hipError_tT1_PNSt15iterator_traitsISK_E10value_typeET2_T3_PNSL_ISQ_E10value_typeET4_T5_PSV_SW_PNS1_23onesweep_lookback_stateEbbT6_jjT7_P12ihipStream_tbENKUlT_T0_SK_SP_E_clISE_SE_SF_SF_EEDaS13_S14_SK_SP_EUlS13_E_NS1_11comp_targetILNS1_3genE2ELNS1_11target_archE906ELNS1_3gpuE6ELNS1_3repE0EEENS1_47radix_sort_onesweep_sort_config_static_selectorELNS0_4arch9wavefront6targetE0EEEvSK_,comdat
	.protected	_ZN7rocprim17ROCPRIM_400000_NS6detail17trampoline_kernelINS0_14default_configENS1_35radix_sort_onesweep_config_selectorIiNS0_10empty_typeEEEZZNS1_29radix_sort_onesweep_iterationIS3_Lb0EN6thrust23THRUST_200600_302600_NS6detail15normal_iteratorINS9_10device_ptrIiEEEESE_PS5_SF_jNS0_19identity_decomposerENS1_16block_id_wrapperIjLb1EEEEE10hipError_tT1_PNSt15iterator_traitsISK_E10value_typeET2_T3_PNSL_ISQ_E10value_typeET4_T5_PSV_SW_PNS1_23onesweep_lookback_stateEbbT6_jjT7_P12ihipStream_tbENKUlT_T0_SK_SP_E_clISE_SE_SF_SF_EEDaS13_S14_SK_SP_EUlS13_E_NS1_11comp_targetILNS1_3genE2ELNS1_11target_archE906ELNS1_3gpuE6ELNS1_3repE0EEENS1_47radix_sort_onesweep_sort_config_static_selectorELNS0_4arch9wavefront6targetE0EEEvSK_ ; -- Begin function _ZN7rocprim17ROCPRIM_400000_NS6detail17trampoline_kernelINS0_14default_configENS1_35radix_sort_onesweep_config_selectorIiNS0_10empty_typeEEEZZNS1_29radix_sort_onesweep_iterationIS3_Lb0EN6thrust23THRUST_200600_302600_NS6detail15normal_iteratorINS9_10device_ptrIiEEEESE_PS5_SF_jNS0_19identity_decomposerENS1_16block_id_wrapperIjLb1EEEEE10hipError_tT1_PNSt15iterator_traitsISK_E10value_typeET2_T3_PNSL_ISQ_E10value_typeET4_T5_PSV_SW_PNS1_23onesweep_lookback_stateEbbT6_jjT7_P12ihipStream_tbENKUlT_T0_SK_SP_E_clISE_SE_SF_SF_EEDaS13_S14_SK_SP_EUlS13_E_NS1_11comp_targetILNS1_3genE2ELNS1_11target_archE906ELNS1_3gpuE6ELNS1_3repE0EEENS1_47radix_sort_onesweep_sort_config_static_selectorELNS0_4arch9wavefront6targetE0EEEvSK_
	.globl	_ZN7rocprim17ROCPRIM_400000_NS6detail17trampoline_kernelINS0_14default_configENS1_35radix_sort_onesweep_config_selectorIiNS0_10empty_typeEEEZZNS1_29radix_sort_onesweep_iterationIS3_Lb0EN6thrust23THRUST_200600_302600_NS6detail15normal_iteratorINS9_10device_ptrIiEEEESE_PS5_SF_jNS0_19identity_decomposerENS1_16block_id_wrapperIjLb1EEEEE10hipError_tT1_PNSt15iterator_traitsISK_E10value_typeET2_T3_PNSL_ISQ_E10value_typeET4_T5_PSV_SW_PNS1_23onesweep_lookback_stateEbbT6_jjT7_P12ihipStream_tbENKUlT_T0_SK_SP_E_clISE_SE_SF_SF_EEDaS13_S14_SK_SP_EUlS13_E_NS1_11comp_targetILNS1_3genE2ELNS1_11target_archE906ELNS1_3gpuE6ELNS1_3repE0EEENS1_47radix_sort_onesweep_sort_config_static_selectorELNS0_4arch9wavefront6targetE0EEEvSK_
	.p2align	8
	.type	_ZN7rocprim17ROCPRIM_400000_NS6detail17trampoline_kernelINS0_14default_configENS1_35radix_sort_onesweep_config_selectorIiNS0_10empty_typeEEEZZNS1_29radix_sort_onesweep_iterationIS3_Lb0EN6thrust23THRUST_200600_302600_NS6detail15normal_iteratorINS9_10device_ptrIiEEEESE_PS5_SF_jNS0_19identity_decomposerENS1_16block_id_wrapperIjLb1EEEEE10hipError_tT1_PNSt15iterator_traitsISK_E10value_typeET2_T3_PNSL_ISQ_E10value_typeET4_T5_PSV_SW_PNS1_23onesweep_lookback_stateEbbT6_jjT7_P12ihipStream_tbENKUlT_T0_SK_SP_E_clISE_SE_SF_SF_EEDaS13_S14_SK_SP_EUlS13_E_NS1_11comp_targetILNS1_3genE2ELNS1_11target_archE906ELNS1_3gpuE6ELNS1_3repE0EEENS1_47radix_sort_onesweep_sort_config_static_selectorELNS0_4arch9wavefront6targetE0EEEvSK_,@function
_ZN7rocprim17ROCPRIM_400000_NS6detail17trampoline_kernelINS0_14default_configENS1_35radix_sort_onesweep_config_selectorIiNS0_10empty_typeEEEZZNS1_29radix_sort_onesweep_iterationIS3_Lb0EN6thrust23THRUST_200600_302600_NS6detail15normal_iteratorINS9_10device_ptrIiEEEESE_PS5_SF_jNS0_19identity_decomposerENS1_16block_id_wrapperIjLb1EEEEE10hipError_tT1_PNSt15iterator_traitsISK_E10value_typeET2_T3_PNSL_ISQ_E10value_typeET4_T5_PSV_SW_PNS1_23onesweep_lookback_stateEbbT6_jjT7_P12ihipStream_tbENKUlT_T0_SK_SP_E_clISE_SE_SF_SF_EEDaS13_S14_SK_SP_EUlS13_E_NS1_11comp_targetILNS1_3genE2ELNS1_11target_archE906ELNS1_3gpuE6ELNS1_3repE0EEENS1_47radix_sort_onesweep_sort_config_static_selectorELNS0_4arch9wavefront6targetE0EEEvSK_: ; @_ZN7rocprim17ROCPRIM_400000_NS6detail17trampoline_kernelINS0_14default_configENS1_35radix_sort_onesweep_config_selectorIiNS0_10empty_typeEEEZZNS1_29radix_sort_onesweep_iterationIS3_Lb0EN6thrust23THRUST_200600_302600_NS6detail15normal_iteratorINS9_10device_ptrIiEEEESE_PS5_SF_jNS0_19identity_decomposerENS1_16block_id_wrapperIjLb1EEEEE10hipError_tT1_PNSt15iterator_traitsISK_E10value_typeET2_T3_PNSL_ISQ_E10value_typeET4_T5_PSV_SW_PNS1_23onesweep_lookback_stateEbbT6_jjT7_P12ihipStream_tbENKUlT_T0_SK_SP_E_clISE_SE_SF_SF_EEDaS13_S14_SK_SP_EUlS13_E_NS1_11comp_targetILNS1_3genE2ELNS1_11target_archE906ELNS1_3gpuE6ELNS1_3repE0EEENS1_47radix_sort_onesweep_sort_config_static_selectorELNS0_4arch9wavefront6targetE0EEEvSK_
; %bb.0:
	.section	.rodata,"a",@progbits
	.p2align	6, 0x0
	.amdhsa_kernel _ZN7rocprim17ROCPRIM_400000_NS6detail17trampoline_kernelINS0_14default_configENS1_35radix_sort_onesweep_config_selectorIiNS0_10empty_typeEEEZZNS1_29radix_sort_onesweep_iterationIS3_Lb0EN6thrust23THRUST_200600_302600_NS6detail15normal_iteratorINS9_10device_ptrIiEEEESE_PS5_SF_jNS0_19identity_decomposerENS1_16block_id_wrapperIjLb1EEEEE10hipError_tT1_PNSt15iterator_traitsISK_E10value_typeET2_T3_PNSL_ISQ_E10value_typeET4_T5_PSV_SW_PNS1_23onesweep_lookback_stateEbbT6_jjT7_P12ihipStream_tbENKUlT_T0_SK_SP_E_clISE_SE_SF_SF_EEDaS13_S14_SK_SP_EUlS13_E_NS1_11comp_targetILNS1_3genE2ELNS1_11target_archE906ELNS1_3gpuE6ELNS1_3repE0EEENS1_47radix_sort_onesweep_sort_config_static_selectorELNS0_4arch9wavefront6targetE0EEEvSK_
		.amdhsa_group_segment_fixed_size 0
		.amdhsa_private_segment_fixed_size 0
		.amdhsa_kernarg_size 88
		.amdhsa_user_sgpr_count 6
		.amdhsa_user_sgpr_private_segment_buffer 1
		.amdhsa_user_sgpr_dispatch_ptr 0
		.amdhsa_user_sgpr_queue_ptr 0
		.amdhsa_user_sgpr_kernarg_segment_ptr 1
		.amdhsa_user_sgpr_dispatch_id 0
		.amdhsa_user_sgpr_flat_scratch_init 0
		.amdhsa_user_sgpr_private_segment_size 0
		.amdhsa_wavefront_size32 1
		.amdhsa_uses_dynamic_stack 0
		.amdhsa_system_sgpr_private_segment_wavefront_offset 0
		.amdhsa_system_sgpr_workgroup_id_x 1
		.amdhsa_system_sgpr_workgroup_id_y 0
		.amdhsa_system_sgpr_workgroup_id_z 0
		.amdhsa_system_sgpr_workgroup_info 0
		.amdhsa_system_vgpr_workitem_id 0
		.amdhsa_next_free_vgpr 1
		.amdhsa_next_free_sgpr 1
		.amdhsa_reserve_vcc 0
		.amdhsa_reserve_flat_scratch 0
		.amdhsa_float_round_mode_32 0
		.amdhsa_float_round_mode_16_64 0
		.amdhsa_float_denorm_mode_32 3
		.amdhsa_float_denorm_mode_16_64 3
		.amdhsa_dx10_clamp 1
		.amdhsa_ieee_mode 1
		.amdhsa_fp16_overflow 0
		.amdhsa_workgroup_processor_mode 1
		.amdhsa_memory_ordered 1
		.amdhsa_forward_progress 1
		.amdhsa_shared_vgpr_count 0
		.amdhsa_exception_fp_ieee_invalid_op 0
		.amdhsa_exception_fp_denorm_src 0
		.amdhsa_exception_fp_ieee_div_zero 0
		.amdhsa_exception_fp_ieee_overflow 0
		.amdhsa_exception_fp_ieee_underflow 0
		.amdhsa_exception_fp_ieee_inexact 0
		.amdhsa_exception_int_div_zero 0
	.end_amdhsa_kernel
	.section	.text._ZN7rocprim17ROCPRIM_400000_NS6detail17trampoline_kernelINS0_14default_configENS1_35radix_sort_onesweep_config_selectorIiNS0_10empty_typeEEEZZNS1_29radix_sort_onesweep_iterationIS3_Lb0EN6thrust23THRUST_200600_302600_NS6detail15normal_iteratorINS9_10device_ptrIiEEEESE_PS5_SF_jNS0_19identity_decomposerENS1_16block_id_wrapperIjLb1EEEEE10hipError_tT1_PNSt15iterator_traitsISK_E10value_typeET2_T3_PNSL_ISQ_E10value_typeET4_T5_PSV_SW_PNS1_23onesweep_lookback_stateEbbT6_jjT7_P12ihipStream_tbENKUlT_T0_SK_SP_E_clISE_SE_SF_SF_EEDaS13_S14_SK_SP_EUlS13_E_NS1_11comp_targetILNS1_3genE2ELNS1_11target_archE906ELNS1_3gpuE6ELNS1_3repE0EEENS1_47radix_sort_onesweep_sort_config_static_selectorELNS0_4arch9wavefront6targetE0EEEvSK_,"axG",@progbits,_ZN7rocprim17ROCPRIM_400000_NS6detail17trampoline_kernelINS0_14default_configENS1_35radix_sort_onesweep_config_selectorIiNS0_10empty_typeEEEZZNS1_29radix_sort_onesweep_iterationIS3_Lb0EN6thrust23THRUST_200600_302600_NS6detail15normal_iteratorINS9_10device_ptrIiEEEESE_PS5_SF_jNS0_19identity_decomposerENS1_16block_id_wrapperIjLb1EEEEE10hipError_tT1_PNSt15iterator_traitsISK_E10value_typeET2_T3_PNSL_ISQ_E10value_typeET4_T5_PSV_SW_PNS1_23onesweep_lookback_stateEbbT6_jjT7_P12ihipStream_tbENKUlT_T0_SK_SP_E_clISE_SE_SF_SF_EEDaS13_S14_SK_SP_EUlS13_E_NS1_11comp_targetILNS1_3genE2ELNS1_11target_archE906ELNS1_3gpuE6ELNS1_3repE0EEENS1_47radix_sort_onesweep_sort_config_static_selectorELNS0_4arch9wavefront6targetE0EEEvSK_,comdat
.Lfunc_end162:
	.size	_ZN7rocprim17ROCPRIM_400000_NS6detail17trampoline_kernelINS0_14default_configENS1_35radix_sort_onesweep_config_selectorIiNS0_10empty_typeEEEZZNS1_29radix_sort_onesweep_iterationIS3_Lb0EN6thrust23THRUST_200600_302600_NS6detail15normal_iteratorINS9_10device_ptrIiEEEESE_PS5_SF_jNS0_19identity_decomposerENS1_16block_id_wrapperIjLb1EEEEE10hipError_tT1_PNSt15iterator_traitsISK_E10value_typeET2_T3_PNSL_ISQ_E10value_typeET4_T5_PSV_SW_PNS1_23onesweep_lookback_stateEbbT6_jjT7_P12ihipStream_tbENKUlT_T0_SK_SP_E_clISE_SE_SF_SF_EEDaS13_S14_SK_SP_EUlS13_E_NS1_11comp_targetILNS1_3genE2ELNS1_11target_archE906ELNS1_3gpuE6ELNS1_3repE0EEENS1_47radix_sort_onesweep_sort_config_static_selectorELNS0_4arch9wavefront6targetE0EEEvSK_, .Lfunc_end162-_ZN7rocprim17ROCPRIM_400000_NS6detail17trampoline_kernelINS0_14default_configENS1_35radix_sort_onesweep_config_selectorIiNS0_10empty_typeEEEZZNS1_29radix_sort_onesweep_iterationIS3_Lb0EN6thrust23THRUST_200600_302600_NS6detail15normal_iteratorINS9_10device_ptrIiEEEESE_PS5_SF_jNS0_19identity_decomposerENS1_16block_id_wrapperIjLb1EEEEE10hipError_tT1_PNSt15iterator_traitsISK_E10value_typeET2_T3_PNSL_ISQ_E10value_typeET4_T5_PSV_SW_PNS1_23onesweep_lookback_stateEbbT6_jjT7_P12ihipStream_tbENKUlT_T0_SK_SP_E_clISE_SE_SF_SF_EEDaS13_S14_SK_SP_EUlS13_E_NS1_11comp_targetILNS1_3genE2ELNS1_11target_archE906ELNS1_3gpuE6ELNS1_3repE0EEENS1_47radix_sort_onesweep_sort_config_static_selectorELNS0_4arch9wavefront6targetE0EEEvSK_
                                        ; -- End function
	.set _ZN7rocprim17ROCPRIM_400000_NS6detail17trampoline_kernelINS0_14default_configENS1_35radix_sort_onesweep_config_selectorIiNS0_10empty_typeEEEZZNS1_29radix_sort_onesweep_iterationIS3_Lb0EN6thrust23THRUST_200600_302600_NS6detail15normal_iteratorINS9_10device_ptrIiEEEESE_PS5_SF_jNS0_19identity_decomposerENS1_16block_id_wrapperIjLb1EEEEE10hipError_tT1_PNSt15iterator_traitsISK_E10value_typeET2_T3_PNSL_ISQ_E10value_typeET4_T5_PSV_SW_PNS1_23onesweep_lookback_stateEbbT6_jjT7_P12ihipStream_tbENKUlT_T0_SK_SP_E_clISE_SE_SF_SF_EEDaS13_S14_SK_SP_EUlS13_E_NS1_11comp_targetILNS1_3genE2ELNS1_11target_archE906ELNS1_3gpuE6ELNS1_3repE0EEENS1_47radix_sort_onesweep_sort_config_static_selectorELNS0_4arch9wavefront6targetE0EEEvSK_.num_vgpr, 0
	.set _ZN7rocprim17ROCPRIM_400000_NS6detail17trampoline_kernelINS0_14default_configENS1_35radix_sort_onesweep_config_selectorIiNS0_10empty_typeEEEZZNS1_29radix_sort_onesweep_iterationIS3_Lb0EN6thrust23THRUST_200600_302600_NS6detail15normal_iteratorINS9_10device_ptrIiEEEESE_PS5_SF_jNS0_19identity_decomposerENS1_16block_id_wrapperIjLb1EEEEE10hipError_tT1_PNSt15iterator_traitsISK_E10value_typeET2_T3_PNSL_ISQ_E10value_typeET4_T5_PSV_SW_PNS1_23onesweep_lookback_stateEbbT6_jjT7_P12ihipStream_tbENKUlT_T0_SK_SP_E_clISE_SE_SF_SF_EEDaS13_S14_SK_SP_EUlS13_E_NS1_11comp_targetILNS1_3genE2ELNS1_11target_archE906ELNS1_3gpuE6ELNS1_3repE0EEENS1_47radix_sort_onesweep_sort_config_static_selectorELNS0_4arch9wavefront6targetE0EEEvSK_.num_agpr, 0
	.set _ZN7rocprim17ROCPRIM_400000_NS6detail17trampoline_kernelINS0_14default_configENS1_35radix_sort_onesweep_config_selectorIiNS0_10empty_typeEEEZZNS1_29radix_sort_onesweep_iterationIS3_Lb0EN6thrust23THRUST_200600_302600_NS6detail15normal_iteratorINS9_10device_ptrIiEEEESE_PS5_SF_jNS0_19identity_decomposerENS1_16block_id_wrapperIjLb1EEEEE10hipError_tT1_PNSt15iterator_traitsISK_E10value_typeET2_T3_PNSL_ISQ_E10value_typeET4_T5_PSV_SW_PNS1_23onesweep_lookback_stateEbbT6_jjT7_P12ihipStream_tbENKUlT_T0_SK_SP_E_clISE_SE_SF_SF_EEDaS13_S14_SK_SP_EUlS13_E_NS1_11comp_targetILNS1_3genE2ELNS1_11target_archE906ELNS1_3gpuE6ELNS1_3repE0EEENS1_47radix_sort_onesweep_sort_config_static_selectorELNS0_4arch9wavefront6targetE0EEEvSK_.numbered_sgpr, 0
	.set _ZN7rocprim17ROCPRIM_400000_NS6detail17trampoline_kernelINS0_14default_configENS1_35radix_sort_onesweep_config_selectorIiNS0_10empty_typeEEEZZNS1_29radix_sort_onesweep_iterationIS3_Lb0EN6thrust23THRUST_200600_302600_NS6detail15normal_iteratorINS9_10device_ptrIiEEEESE_PS5_SF_jNS0_19identity_decomposerENS1_16block_id_wrapperIjLb1EEEEE10hipError_tT1_PNSt15iterator_traitsISK_E10value_typeET2_T3_PNSL_ISQ_E10value_typeET4_T5_PSV_SW_PNS1_23onesweep_lookback_stateEbbT6_jjT7_P12ihipStream_tbENKUlT_T0_SK_SP_E_clISE_SE_SF_SF_EEDaS13_S14_SK_SP_EUlS13_E_NS1_11comp_targetILNS1_3genE2ELNS1_11target_archE906ELNS1_3gpuE6ELNS1_3repE0EEENS1_47radix_sort_onesweep_sort_config_static_selectorELNS0_4arch9wavefront6targetE0EEEvSK_.num_named_barrier, 0
	.set _ZN7rocprim17ROCPRIM_400000_NS6detail17trampoline_kernelINS0_14default_configENS1_35radix_sort_onesweep_config_selectorIiNS0_10empty_typeEEEZZNS1_29radix_sort_onesweep_iterationIS3_Lb0EN6thrust23THRUST_200600_302600_NS6detail15normal_iteratorINS9_10device_ptrIiEEEESE_PS5_SF_jNS0_19identity_decomposerENS1_16block_id_wrapperIjLb1EEEEE10hipError_tT1_PNSt15iterator_traitsISK_E10value_typeET2_T3_PNSL_ISQ_E10value_typeET4_T5_PSV_SW_PNS1_23onesweep_lookback_stateEbbT6_jjT7_P12ihipStream_tbENKUlT_T0_SK_SP_E_clISE_SE_SF_SF_EEDaS13_S14_SK_SP_EUlS13_E_NS1_11comp_targetILNS1_3genE2ELNS1_11target_archE906ELNS1_3gpuE6ELNS1_3repE0EEENS1_47radix_sort_onesweep_sort_config_static_selectorELNS0_4arch9wavefront6targetE0EEEvSK_.private_seg_size, 0
	.set _ZN7rocprim17ROCPRIM_400000_NS6detail17trampoline_kernelINS0_14default_configENS1_35radix_sort_onesweep_config_selectorIiNS0_10empty_typeEEEZZNS1_29radix_sort_onesweep_iterationIS3_Lb0EN6thrust23THRUST_200600_302600_NS6detail15normal_iteratorINS9_10device_ptrIiEEEESE_PS5_SF_jNS0_19identity_decomposerENS1_16block_id_wrapperIjLb1EEEEE10hipError_tT1_PNSt15iterator_traitsISK_E10value_typeET2_T3_PNSL_ISQ_E10value_typeET4_T5_PSV_SW_PNS1_23onesweep_lookback_stateEbbT6_jjT7_P12ihipStream_tbENKUlT_T0_SK_SP_E_clISE_SE_SF_SF_EEDaS13_S14_SK_SP_EUlS13_E_NS1_11comp_targetILNS1_3genE2ELNS1_11target_archE906ELNS1_3gpuE6ELNS1_3repE0EEENS1_47radix_sort_onesweep_sort_config_static_selectorELNS0_4arch9wavefront6targetE0EEEvSK_.uses_vcc, 0
	.set _ZN7rocprim17ROCPRIM_400000_NS6detail17trampoline_kernelINS0_14default_configENS1_35radix_sort_onesweep_config_selectorIiNS0_10empty_typeEEEZZNS1_29radix_sort_onesweep_iterationIS3_Lb0EN6thrust23THRUST_200600_302600_NS6detail15normal_iteratorINS9_10device_ptrIiEEEESE_PS5_SF_jNS0_19identity_decomposerENS1_16block_id_wrapperIjLb1EEEEE10hipError_tT1_PNSt15iterator_traitsISK_E10value_typeET2_T3_PNSL_ISQ_E10value_typeET4_T5_PSV_SW_PNS1_23onesweep_lookback_stateEbbT6_jjT7_P12ihipStream_tbENKUlT_T0_SK_SP_E_clISE_SE_SF_SF_EEDaS13_S14_SK_SP_EUlS13_E_NS1_11comp_targetILNS1_3genE2ELNS1_11target_archE906ELNS1_3gpuE6ELNS1_3repE0EEENS1_47radix_sort_onesweep_sort_config_static_selectorELNS0_4arch9wavefront6targetE0EEEvSK_.uses_flat_scratch, 0
	.set _ZN7rocprim17ROCPRIM_400000_NS6detail17trampoline_kernelINS0_14default_configENS1_35radix_sort_onesweep_config_selectorIiNS0_10empty_typeEEEZZNS1_29radix_sort_onesweep_iterationIS3_Lb0EN6thrust23THRUST_200600_302600_NS6detail15normal_iteratorINS9_10device_ptrIiEEEESE_PS5_SF_jNS0_19identity_decomposerENS1_16block_id_wrapperIjLb1EEEEE10hipError_tT1_PNSt15iterator_traitsISK_E10value_typeET2_T3_PNSL_ISQ_E10value_typeET4_T5_PSV_SW_PNS1_23onesweep_lookback_stateEbbT6_jjT7_P12ihipStream_tbENKUlT_T0_SK_SP_E_clISE_SE_SF_SF_EEDaS13_S14_SK_SP_EUlS13_E_NS1_11comp_targetILNS1_3genE2ELNS1_11target_archE906ELNS1_3gpuE6ELNS1_3repE0EEENS1_47radix_sort_onesweep_sort_config_static_selectorELNS0_4arch9wavefront6targetE0EEEvSK_.has_dyn_sized_stack, 0
	.set _ZN7rocprim17ROCPRIM_400000_NS6detail17trampoline_kernelINS0_14default_configENS1_35radix_sort_onesweep_config_selectorIiNS0_10empty_typeEEEZZNS1_29radix_sort_onesweep_iterationIS3_Lb0EN6thrust23THRUST_200600_302600_NS6detail15normal_iteratorINS9_10device_ptrIiEEEESE_PS5_SF_jNS0_19identity_decomposerENS1_16block_id_wrapperIjLb1EEEEE10hipError_tT1_PNSt15iterator_traitsISK_E10value_typeET2_T3_PNSL_ISQ_E10value_typeET4_T5_PSV_SW_PNS1_23onesweep_lookback_stateEbbT6_jjT7_P12ihipStream_tbENKUlT_T0_SK_SP_E_clISE_SE_SF_SF_EEDaS13_S14_SK_SP_EUlS13_E_NS1_11comp_targetILNS1_3genE2ELNS1_11target_archE906ELNS1_3gpuE6ELNS1_3repE0EEENS1_47radix_sort_onesweep_sort_config_static_selectorELNS0_4arch9wavefront6targetE0EEEvSK_.has_recursion, 0
	.set _ZN7rocprim17ROCPRIM_400000_NS6detail17trampoline_kernelINS0_14default_configENS1_35radix_sort_onesweep_config_selectorIiNS0_10empty_typeEEEZZNS1_29radix_sort_onesweep_iterationIS3_Lb0EN6thrust23THRUST_200600_302600_NS6detail15normal_iteratorINS9_10device_ptrIiEEEESE_PS5_SF_jNS0_19identity_decomposerENS1_16block_id_wrapperIjLb1EEEEE10hipError_tT1_PNSt15iterator_traitsISK_E10value_typeET2_T3_PNSL_ISQ_E10value_typeET4_T5_PSV_SW_PNS1_23onesweep_lookback_stateEbbT6_jjT7_P12ihipStream_tbENKUlT_T0_SK_SP_E_clISE_SE_SF_SF_EEDaS13_S14_SK_SP_EUlS13_E_NS1_11comp_targetILNS1_3genE2ELNS1_11target_archE906ELNS1_3gpuE6ELNS1_3repE0EEENS1_47radix_sort_onesweep_sort_config_static_selectorELNS0_4arch9wavefront6targetE0EEEvSK_.has_indirect_call, 0
	.section	.AMDGPU.csdata,"",@progbits
; Kernel info:
; codeLenInByte = 0
; TotalNumSgprs: 0
; NumVgprs: 0
; ScratchSize: 0
; MemoryBound: 0
; FloatMode: 240
; IeeeMode: 1
; LDSByteSize: 0 bytes/workgroup (compile time only)
; SGPRBlocks: 0
; VGPRBlocks: 0
; NumSGPRsForWavesPerEU: 1
; NumVGPRsForWavesPerEU: 1
; Occupancy: 16
; WaveLimiterHint : 0
; COMPUTE_PGM_RSRC2:SCRATCH_EN: 0
; COMPUTE_PGM_RSRC2:USER_SGPR: 6
; COMPUTE_PGM_RSRC2:TRAP_HANDLER: 0
; COMPUTE_PGM_RSRC2:TGID_X_EN: 1
; COMPUTE_PGM_RSRC2:TGID_Y_EN: 0
; COMPUTE_PGM_RSRC2:TGID_Z_EN: 0
; COMPUTE_PGM_RSRC2:TIDIG_COMP_CNT: 0
	.section	.text._ZN7rocprim17ROCPRIM_400000_NS6detail17trampoline_kernelINS0_14default_configENS1_35radix_sort_onesweep_config_selectorIiNS0_10empty_typeEEEZZNS1_29radix_sort_onesweep_iterationIS3_Lb0EN6thrust23THRUST_200600_302600_NS6detail15normal_iteratorINS9_10device_ptrIiEEEESE_PS5_SF_jNS0_19identity_decomposerENS1_16block_id_wrapperIjLb1EEEEE10hipError_tT1_PNSt15iterator_traitsISK_E10value_typeET2_T3_PNSL_ISQ_E10value_typeET4_T5_PSV_SW_PNS1_23onesweep_lookback_stateEbbT6_jjT7_P12ihipStream_tbENKUlT_T0_SK_SP_E_clISE_SE_SF_SF_EEDaS13_S14_SK_SP_EUlS13_E_NS1_11comp_targetILNS1_3genE4ELNS1_11target_archE910ELNS1_3gpuE8ELNS1_3repE0EEENS1_47radix_sort_onesweep_sort_config_static_selectorELNS0_4arch9wavefront6targetE0EEEvSK_,"axG",@progbits,_ZN7rocprim17ROCPRIM_400000_NS6detail17trampoline_kernelINS0_14default_configENS1_35radix_sort_onesweep_config_selectorIiNS0_10empty_typeEEEZZNS1_29radix_sort_onesweep_iterationIS3_Lb0EN6thrust23THRUST_200600_302600_NS6detail15normal_iteratorINS9_10device_ptrIiEEEESE_PS5_SF_jNS0_19identity_decomposerENS1_16block_id_wrapperIjLb1EEEEE10hipError_tT1_PNSt15iterator_traitsISK_E10value_typeET2_T3_PNSL_ISQ_E10value_typeET4_T5_PSV_SW_PNS1_23onesweep_lookback_stateEbbT6_jjT7_P12ihipStream_tbENKUlT_T0_SK_SP_E_clISE_SE_SF_SF_EEDaS13_S14_SK_SP_EUlS13_E_NS1_11comp_targetILNS1_3genE4ELNS1_11target_archE910ELNS1_3gpuE8ELNS1_3repE0EEENS1_47radix_sort_onesweep_sort_config_static_selectorELNS0_4arch9wavefront6targetE0EEEvSK_,comdat
	.protected	_ZN7rocprim17ROCPRIM_400000_NS6detail17trampoline_kernelINS0_14default_configENS1_35radix_sort_onesweep_config_selectorIiNS0_10empty_typeEEEZZNS1_29radix_sort_onesweep_iterationIS3_Lb0EN6thrust23THRUST_200600_302600_NS6detail15normal_iteratorINS9_10device_ptrIiEEEESE_PS5_SF_jNS0_19identity_decomposerENS1_16block_id_wrapperIjLb1EEEEE10hipError_tT1_PNSt15iterator_traitsISK_E10value_typeET2_T3_PNSL_ISQ_E10value_typeET4_T5_PSV_SW_PNS1_23onesweep_lookback_stateEbbT6_jjT7_P12ihipStream_tbENKUlT_T0_SK_SP_E_clISE_SE_SF_SF_EEDaS13_S14_SK_SP_EUlS13_E_NS1_11comp_targetILNS1_3genE4ELNS1_11target_archE910ELNS1_3gpuE8ELNS1_3repE0EEENS1_47radix_sort_onesweep_sort_config_static_selectorELNS0_4arch9wavefront6targetE0EEEvSK_ ; -- Begin function _ZN7rocprim17ROCPRIM_400000_NS6detail17trampoline_kernelINS0_14default_configENS1_35radix_sort_onesweep_config_selectorIiNS0_10empty_typeEEEZZNS1_29radix_sort_onesweep_iterationIS3_Lb0EN6thrust23THRUST_200600_302600_NS6detail15normal_iteratorINS9_10device_ptrIiEEEESE_PS5_SF_jNS0_19identity_decomposerENS1_16block_id_wrapperIjLb1EEEEE10hipError_tT1_PNSt15iterator_traitsISK_E10value_typeET2_T3_PNSL_ISQ_E10value_typeET4_T5_PSV_SW_PNS1_23onesweep_lookback_stateEbbT6_jjT7_P12ihipStream_tbENKUlT_T0_SK_SP_E_clISE_SE_SF_SF_EEDaS13_S14_SK_SP_EUlS13_E_NS1_11comp_targetILNS1_3genE4ELNS1_11target_archE910ELNS1_3gpuE8ELNS1_3repE0EEENS1_47radix_sort_onesweep_sort_config_static_selectorELNS0_4arch9wavefront6targetE0EEEvSK_
	.globl	_ZN7rocprim17ROCPRIM_400000_NS6detail17trampoline_kernelINS0_14default_configENS1_35radix_sort_onesweep_config_selectorIiNS0_10empty_typeEEEZZNS1_29radix_sort_onesweep_iterationIS3_Lb0EN6thrust23THRUST_200600_302600_NS6detail15normal_iteratorINS9_10device_ptrIiEEEESE_PS5_SF_jNS0_19identity_decomposerENS1_16block_id_wrapperIjLb1EEEEE10hipError_tT1_PNSt15iterator_traitsISK_E10value_typeET2_T3_PNSL_ISQ_E10value_typeET4_T5_PSV_SW_PNS1_23onesweep_lookback_stateEbbT6_jjT7_P12ihipStream_tbENKUlT_T0_SK_SP_E_clISE_SE_SF_SF_EEDaS13_S14_SK_SP_EUlS13_E_NS1_11comp_targetILNS1_3genE4ELNS1_11target_archE910ELNS1_3gpuE8ELNS1_3repE0EEENS1_47radix_sort_onesweep_sort_config_static_selectorELNS0_4arch9wavefront6targetE0EEEvSK_
	.p2align	8
	.type	_ZN7rocprim17ROCPRIM_400000_NS6detail17trampoline_kernelINS0_14default_configENS1_35radix_sort_onesweep_config_selectorIiNS0_10empty_typeEEEZZNS1_29radix_sort_onesweep_iterationIS3_Lb0EN6thrust23THRUST_200600_302600_NS6detail15normal_iteratorINS9_10device_ptrIiEEEESE_PS5_SF_jNS0_19identity_decomposerENS1_16block_id_wrapperIjLb1EEEEE10hipError_tT1_PNSt15iterator_traitsISK_E10value_typeET2_T3_PNSL_ISQ_E10value_typeET4_T5_PSV_SW_PNS1_23onesweep_lookback_stateEbbT6_jjT7_P12ihipStream_tbENKUlT_T0_SK_SP_E_clISE_SE_SF_SF_EEDaS13_S14_SK_SP_EUlS13_E_NS1_11comp_targetILNS1_3genE4ELNS1_11target_archE910ELNS1_3gpuE8ELNS1_3repE0EEENS1_47radix_sort_onesweep_sort_config_static_selectorELNS0_4arch9wavefront6targetE0EEEvSK_,@function
_ZN7rocprim17ROCPRIM_400000_NS6detail17trampoline_kernelINS0_14default_configENS1_35radix_sort_onesweep_config_selectorIiNS0_10empty_typeEEEZZNS1_29radix_sort_onesweep_iterationIS3_Lb0EN6thrust23THRUST_200600_302600_NS6detail15normal_iteratorINS9_10device_ptrIiEEEESE_PS5_SF_jNS0_19identity_decomposerENS1_16block_id_wrapperIjLb1EEEEE10hipError_tT1_PNSt15iterator_traitsISK_E10value_typeET2_T3_PNSL_ISQ_E10value_typeET4_T5_PSV_SW_PNS1_23onesweep_lookback_stateEbbT6_jjT7_P12ihipStream_tbENKUlT_T0_SK_SP_E_clISE_SE_SF_SF_EEDaS13_S14_SK_SP_EUlS13_E_NS1_11comp_targetILNS1_3genE4ELNS1_11target_archE910ELNS1_3gpuE8ELNS1_3repE0EEENS1_47radix_sort_onesweep_sort_config_static_selectorELNS0_4arch9wavefront6targetE0EEEvSK_: ; @_ZN7rocprim17ROCPRIM_400000_NS6detail17trampoline_kernelINS0_14default_configENS1_35radix_sort_onesweep_config_selectorIiNS0_10empty_typeEEEZZNS1_29radix_sort_onesweep_iterationIS3_Lb0EN6thrust23THRUST_200600_302600_NS6detail15normal_iteratorINS9_10device_ptrIiEEEESE_PS5_SF_jNS0_19identity_decomposerENS1_16block_id_wrapperIjLb1EEEEE10hipError_tT1_PNSt15iterator_traitsISK_E10value_typeET2_T3_PNSL_ISQ_E10value_typeET4_T5_PSV_SW_PNS1_23onesweep_lookback_stateEbbT6_jjT7_P12ihipStream_tbENKUlT_T0_SK_SP_E_clISE_SE_SF_SF_EEDaS13_S14_SK_SP_EUlS13_E_NS1_11comp_targetILNS1_3genE4ELNS1_11target_archE910ELNS1_3gpuE8ELNS1_3repE0EEENS1_47radix_sort_onesweep_sort_config_static_selectorELNS0_4arch9wavefront6targetE0EEEvSK_
; %bb.0:
	.section	.rodata,"a",@progbits
	.p2align	6, 0x0
	.amdhsa_kernel _ZN7rocprim17ROCPRIM_400000_NS6detail17trampoline_kernelINS0_14default_configENS1_35radix_sort_onesweep_config_selectorIiNS0_10empty_typeEEEZZNS1_29radix_sort_onesweep_iterationIS3_Lb0EN6thrust23THRUST_200600_302600_NS6detail15normal_iteratorINS9_10device_ptrIiEEEESE_PS5_SF_jNS0_19identity_decomposerENS1_16block_id_wrapperIjLb1EEEEE10hipError_tT1_PNSt15iterator_traitsISK_E10value_typeET2_T3_PNSL_ISQ_E10value_typeET4_T5_PSV_SW_PNS1_23onesweep_lookback_stateEbbT6_jjT7_P12ihipStream_tbENKUlT_T0_SK_SP_E_clISE_SE_SF_SF_EEDaS13_S14_SK_SP_EUlS13_E_NS1_11comp_targetILNS1_3genE4ELNS1_11target_archE910ELNS1_3gpuE8ELNS1_3repE0EEENS1_47radix_sort_onesweep_sort_config_static_selectorELNS0_4arch9wavefront6targetE0EEEvSK_
		.amdhsa_group_segment_fixed_size 0
		.amdhsa_private_segment_fixed_size 0
		.amdhsa_kernarg_size 88
		.amdhsa_user_sgpr_count 6
		.amdhsa_user_sgpr_private_segment_buffer 1
		.amdhsa_user_sgpr_dispatch_ptr 0
		.amdhsa_user_sgpr_queue_ptr 0
		.amdhsa_user_sgpr_kernarg_segment_ptr 1
		.amdhsa_user_sgpr_dispatch_id 0
		.amdhsa_user_sgpr_flat_scratch_init 0
		.amdhsa_user_sgpr_private_segment_size 0
		.amdhsa_wavefront_size32 1
		.amdhsa_uses_dynamic_stack 0
		.amdhsa_system_sgpr_private_segment_wavefront_offset 0
		.amdhsa_system_sgpr_workgroup_id_x 1
		.amdhsa_system_sgpr_workgroup_id_y 0
		.amdhsa_system_sgpr_workgroup_id_z 0
		.amdhsa_system_sgpr_workgroup_info 0
		.amdhsa_system_vgpr_workitem_id 0
		.amdhsa_next_free_vgpr 1
		.amdhsa_next_free_sgpr 1
		.amdhsa_reserve_vcc 0
		.amdhsa_reserve_flat_scratch 0
		.amdhsa_float_round_mode_32 0
		.amdhsa_float_round_mode_16_64 0
		.amdhsa_float_denorm_mode_32 3
		.amdhsa_float_denorm_mode_16_64 3
		.amdhsa_dx10_clamp 1
		.amdhsa_ieee_mode 1
		.amdhsa_fp16_overflow 0
		.amdhsa_workgroup_processor_mode 1
		.amdhsa_memory_ordered 1
		.amdhsa_forward_progress 1
		.amdhsa_shared_vgpr_count 0
		.amdhsa_exception_fp_ieee_invalid_op 0
		.amdhsa_exception_fp_denorm_src 0
		.amdhsa_exception_fp_ieee_div_zero 0
		.amdhsa_exception_fp_ieee_overflow 0
		.amdhsa_exception_fp_ieee_underflow 0
		.amdhsa_exception_fp_ieee_inexact 0
		.amdhsa_exception_int_div_zero 0
	.end_amdhsa_kernel
	.section	.text._ZN7rocprim17ROCPRIM_400000_NS6detail17trampoline_kernelINS0_14default_configENS1_35radix_sort_onesweep_config_selectorIiNS0_10empty_typeEEEZZNS1_29radix_sort_onesweep_iterationIS3_Lb0EN6thrust23THRUST_200600_302600_NS6detail15normal_iteratorINS9_10device_ptrIiEEEESE_PS5_SF_jNS0_19identity_decomposerENS1_16block_id_wrapperIjLb1EEEEE10hipError_tT1_PNSt15iterator_traitsISK_E10value_typeET2_T3_PNSL_ISQ_E10value_typeET4_T5_PSV_SW_PNS1_23onesweep_lookback_stateEbbT6_jjT7_P12ihipStream_tbENKUlT_T0_SK_SP_E_clISE_SE_SF_SF_EEDaS13_S14_SK_SP_EUlS13_E_NS1_11comp_targetILNS1_3genE4ELNS1_11target_archE910ELNS1_3gpuE8ELNS1_3repE0EEENS1_47radix_sort_onesweep_sort_config_static_selectorELNS0_4arch9wavefront6targetE0EEEvSK_,"axG",@progbits,_ZN7rocprim17ROCPRIM_400000_NS6detail17trampoline_kernelINS0_14default_configENS1_35radix_sort_onesweep_config_selectorIiNS0_10empty_typeEEEZZNS1_29radix_sort_onesweep_iterationIS3_Lb0EN6thrust23THRUST_200600_302600_NS6detail15normal_iteratorINS9_10device_ptrIiEEEESE_PS5_SF_jNS0_19identity_decomposerENS1_16block_id_wrapperIjLb1EEEEE10hipError_tT1_PNSt15iterator_traitsISK_E10value_typeET2_T3_PNSL_ISQ_E10value_typeET4_T5_PSV_SW_PNS1_23onesweep_lookback_stateEbbT6_jjT7_P12ihipStream_tbENKUlT_T0_SK_SP_E_clISE_SE_SF_SF_EEDaS13_S14_SK_SP_EUlS13_E_NS1_11comp_targetILNS1_3genE4ELNS1_11target_archE910ELNS1_3gpuE8ELNS1_3repE0EEENS1_47radix_sort_onesweep_sort_config_static_selectorELNS0_4arch9wavefront6targetE0EEEvSK_,comdat
.Lfunc_end163:
	.size	_ZN7rocprim17ROCPRIM_400000_NS6detail17trampoline_kernelINS0_14default_configENS1_35radix_sort_onesweep_config_selectorIiNS0_10empty_typeEEEZZNS1_29radix_sort_onesweep_iterationIS3_Lb0EN6thrust23THRUST_200600_302600_NS6detail15normal_iteratorINS9_10device_ptrIiEEEESE_PS5_SF_jNS0_19identity_decomposerENS1_16block_id_wrapperIjLb1EEEEE10hipError_tT1_PNSt15iterator_traitsISK_E10value_typeET2_T3_PNSL_ISQ_E10value_typeET4_T5_PSV_SW_PNS1_23onesweep_lookback_stateEbbT6_jjT7_P12ihipStream_tbENKUlT_T0_SK_SP_E_clISE_SE_SF_SF_EEDaS13_S14_SK_SP_EUlS13_E_NS1_11comp_targetILNS1_3genE4ELNS1_11target_archE910ELNS1_3gpuE8ELNS1_3repE0EEENS1_47radix_sort_onesweep_sort_config_static_selectorELNS0_4arch9wavefront6targetE0EEEvSK_, .Lfunc_end163-_ZN7rocprim17ROCPRIM_400000_NS6detail17trampoline_kernelINS0_14default_configENS1_35radix_sort_onesweep_config_selectorIiNS0_10empty_typeEEEZZNS1_29radix_sort_onesweep_iterationIS3_Lb0EN6thrust23THRUST_200600_302600_NS6detail15normal_iteratorINS9_10device_ptrIiEEEESE_PS5_SF_jNS0_19identity_decomposerENS1_16block_id_wrapperIjLb1EEEEE10hipError_tT1_PNSt15iterator_traitsISK_E10value_typeET2_T3_PNSL_ISQ_E10value_typeET4_T5_PSV_SW_PNS1_23onesweep_lookback_stateEbbT6_jjT7_P12ihipStream_tbENKUlT_T0_SK_SP_E_clISE_SE_SF_SF_EEDaS13_S14_SK_SP_EUlS13_E_NS1_11comp_targetILNS1_3genE4ELNS1_11target_archE910ELNS1_3gpuE8ELNS1_3repE0EEENS1_47radix_sort_onesweep_sort_config_static_selectorELNS0_4arch9wavefront6targetE0EEEvSK_
                                        ; -- End function
	.set _ZN7rocprim17ROCPRIM_400000_NS6detail17trampoline_kernelINS0_14default_configENS1_35radix_sort_onesweep_config_selectorIiNS0_10empty_typeEEEZZNS1_29radix_sort_onesweep_iterationIS3_Lb0EN6thrust23THRUST_200600_302600_NS6detail15normal_iteratorINS9_10device_ptrIiEEEESE_PS5_SF_jNS0_19identity_decomposerENS1_16block_id_wrapperIjLb1EEEEE10hipError_tT1_PNSt15iterator_traitsISK_E10value_typeET2_T3_PNSL_ISQ_E10value_typeET4_T5_PSV_SW_PNS1_23onesweep_lookback_stateEbbT6_jjT7_P12ihipStream_tbENKUlT_T0_SK_SP_E_clISE_SE_SF_SF_EEDaS13_S14_SK_SP_EUlS13_E_NS1_11comp_targetILNS1_3genE4ELNS1_11target_archE910ELNS1_3gpuE8ELNS1_3repE0EEENS1_47radix_sort_onesweep_sort_config_static_selectorELNS0_4arch9wavefront6targetE0EEEvSK_.num_vgpr, 0
	.set _ZN7rocprim17ROCPRIM_400000_NS6detail17trampoline_kernelINS0_14default_configENS1_35radix_sort_onesweep_config_selectorIiNS0_10empty_typeEEEZZNS1_29radix_sort_onesweep_iterationIS3_Lb0EN6thrust23THRUST_200600_302600_NS6detail15normal_iteratorINS9_10device_ptrIiEEEESE_PS5_SF_jNS0_19identity_decomposerENS1_16block_id_wrapperIjLb1EEEEE10hipError_tT1_PNSt15iterator_traitsISK_E10value_typeET2_T3_PNSL_ISQ_E10value_typeET4_T5_PSV_SW_PNS1_23onesweep_lookback_stateEbbT6_jjT7_P12ihipStream_tbENKUlT_T0_SK_SP_E_clISE_SE_SF_SF_EEDaS13_S14_SK_SP_EUlS13_E_NS1_11comp_targetILNS1_3genE4ELNS1_11target_archE910ELNS1_3gpuE8ELNS1_3repE0EEENS1_47radix_sort_onesweep_sort_config_static_selectorELNS0_4arch9wavefront6targetE0EEEvSK_.num_agpr, 0
	.set _ZN7rocprim17ROCPRIM_400000_NS6detail17trampoline_kernelINS0_14default_configENS1_35radix_sort_onesweep_config_selectorIiNS0_10empty_typeEEEZZNS1_29radix_sort_onesweep_iterationIS3_Lb0EN6thrust23THRUST_200600_302600_NS6detail15normal_iteratorINS9_10device_ptrIiEEEESE_PS5_SF_jNS0_19identity_decomposerENS1_16block_id_wrapperIjLb1EEEEE10hipError_tT1_PNSt15iterator_traitsISK_E10value_typeET2_T3_PNSL_ISQ_E10value_typeET4_T5_PSV_SW_PNS1_23onesweep_lookback_stateEbbT6_jjT7_P12ihipStream_tbENKUlT_T0_SK_SP_E_clISE_SE_SF_SF_EEDaS13_S14_SK_SP_EUlS13_E_NS1_11comp_targetILNS1_3genE4ELNS1_11target_archE910ELNS1_3gpuE8ELNS1_3repE0EEENS1_47radix_sort_onesweep_sort_config_static_selectorELNS0_4arch9wavefront6targetE0EEEvSK_.numbered_sgpr, 0
	.set _ZN7rocprim17ROCPRIM_400000_NS6detail17trampoline_kernelINS0_14default_configENS1_35radix_sort_onesweep_config_selectorIiNS0_10empty_typeEEEZZNS1_29radix_sort_onesweep_iterationIS3_Lb0EN6thrust23THRUST_200600_302600_NS6detail15normal_iteratorINS9_10device_ptrIiEEEESE_PS5_SF_jNS0_19identity_decomposerENS1_16block_id_wrapperIjLb1EEEEE10hipError_tT1_PNSt15iterator_traitsISK_E10value_typeET2_T3_PNSL_ISQ_E10value_typeET4_T5_PSV_SW_PNS1_23onesweep_lookback_stateEbbT6_jjT7_P12ihipStream_tbENKUlT_T0_SK_SP_E_clISE_SE_SF_SF_EEDaS13_S14_SK_SP_EUlS13_E_NS1_11comp_targetILNS1_3genE4ELNS1_11target_archE910ELNS1_3gpuE8ELNS1_3repE0EEENS1_47radix_sort_onesweep_sort_config_static_selectorELNS0_4arch9wavefront6targetE0EEEvSK_.num_named_barrier, 0
	.set _ZN7rocprim17ROCPRIM_400000_NS6detail17trampoline_kernelINS0_14default_configENS1_35radix_sort_onesweep_config_selectorIiNS0_10empty_typeEEEZZNS1_29radix_sort_onesweep_iterationIS3_Lb0EN6thrust23THRUST_200600_302600_NS6detail15normal_iteratorINS9_10device_ptrIiEEEESE_PS5_SF_jNS0_19identity_decomposerENS1_16block_id_wrapperIjLb1EEEEE10hipError_tT1_PNSt15iterator_traitsISK_E10value_typeET2_T3_PNSL_ISQ_E10value_typeET4_T5_PSV_SW_PNS1_23onesweep_lookback_stateEbbT6_jjT7_P12ihipStream_tbENKUlT_T0_SK_SP_E_clISE_SE_SF_SF_EEDaS13_S14_SK_SP_EUlS13_E_NS1_11comp_targetILNS1_3genE4ELNS1_11target_archE910ELNS1_3gpuE8ELNS1_3repE0EEENS1_47radix_sort_onesweep_sort_config_static_selectorELNS0_4arch9wavefront6targetE0EEEvSK_.private_seg_size, 0
	.set _ZN7rocprim17ROCPRIM_400000_NS6detail17trampoline_kernelINS0_14default_configENS1_35radix_sort_onesweep_config_selectorIiNS0_10empty_typeEEEZZNS1_29radix_sort_onesweep_iterationIS3_Lb0EN6thrust23THRUST_200600_302600_NS6detail15normal_iteratorINS9_10device_ptrIiEEEESE_PS5_SF_jNS0_19identity_decomposerENS1_16block_id_wrapperIjLb1EEEEE10hipError_tT1_PNSt15iterator_traitsISK_E10value_typeET2_T3_PNSL_ISQ_E10value_typeET4_T5_PSV_SW_PNS1_23onesweep_lookback_stateEbbT6_jjT7_P12ihipStream_tbENKUlT_T0_SK_SP_E_clISE_SE_SF_SF_EEDaS13_S14_SK_SP_EUlS13_E_NS1_11comp_targetILNS1_3genE4ELNS1_11target_archE910ELNS1_3gpuE8ELNS1_3repE0EEENS1_47radix_sort_onesweep_sort_config_static_selectorELNS0_4arch9wavefront6targetE0EEEvSK_.uses_vcc, 0
	.set _ZN7rocprim17ROCPRIM_400000_NS6detail17trampoline_kernelINS0_14default_configENS1_35radix_sort_onesweep_config_selectorIiNS0_10empty_typeEEEZZNS1_29radix_sort_onesweep_iterationIS3_Lb0EN6thrust23THRUST_200600_302600_NS6detail15normal_iteratorINS9_10device_ptrIiEEEESE_PS5_SF_jNS0_19identity_decomposerENS1_16block_id_wrapperIjLb1EEEEE10hipError_tT1_PNSt15iterator_traitsISK_E10value_typeET2_T3_PNSL_ISQ_E10value_typeET4_T5_PSV_SW_PNS1_23onesweep_lookback_stateEbbT6_jjT7_P12ihipStream_tbENKUlT_T0_SK_SP_E_clISE_SE_SF_SF_EEDaS13_S14_SK_SP_EUlS13_E_NS1_11comp_targetILNS1_3genE4ELNS1_11target_archE910ELNS1_3gpuE8ELNS1_3repE0EEENS1_47radix_sort_onesweep_sort_config_static_selectorELNS0_4arch9wavefront6targetE0EEEvSK_.uses_flat_scratch, 0
	.set _ZN7rocprim17ROCPRIM_400000_NS6detail17trampoline_kernelINS0_14default_configENS1_35radix_sort_onesweep_config_selectorIiNS0_10empty_typeEEEZZNS1_29radix_sort_onesweep_iterationIS3_Lb0EN6thrust23THRUST_200600_302600_NS6detail15normal_iteratorINS9_10device_ptrIiEEEESE_PS5_SF_jNS0_19identity_decomposerENS1_16block_id_wrapperIjLb1EEEEE10hipError_tT1_PNSt15iterator_traitsISK_E10value_typeET2_T3_PNSL_ISQ_E10value_typeET4_T5_PSV_SW_PNS1_23onesweep_lookback_stateEbbT6_jjT7_P12ihipStream_tbENKUlT_T0_SK_SP_E_clISE_SE_SF_SF_EEDaS13_S14_SK_SP_EUlS13_E_NS1_11comp_targetILNS1_3genE4ELNS1_11target_archE910ELNS1_3gpuE8ELNS1_3repE0EEENS1_47radix_sort_onesweep_sort_config_static_selectorELNS0_4arch9wavefront6targetE0EEEvSK_.has_dyn_sized_stack, 0
	.set _ZN7rocprim17ROCPRIM_400000_NS6detail17trampoline_kernelINS0_14default_configENS1_35radix_sort_onesweep_config_selectorIiNS0_10empty_typeEEEZZNS1_29radix_sort_onesweep_iterationIS3_Lb0EN6thrust23THRUST_200600_302600_NS6detail15normal_iteratorINS9_10device_ptrIiEEEESE_PS5_SF_jNS0_19identity_decomposerENS1_16block_id_wrapperIjLb1EEEEE10hipError_tT1_PNSt15iterator_traitsISK_E10value_typeET2_T3_PNSL_ISQ_E10value_typeET4_T5_PSV_SW_PNS1_23onesweep_lookback_stateEbbT6_jjT7_P12ihipStream_tbENKUlT_T0_SK_SP_E_clISE_SE_SF_SF_EEDaS13_S14_SK_SP_EUlS13_E_NS1_11comp_targetILNS1_3genE4ELNS1_11target_archE910ELNS1_3gpuE8ELNS1_3repE0EEENS1_47radix_sort_onesweep_sort_config_static_selectorELNS0_4arch9wavefront6targetE0EEEvSK_.has_recursion, 0
	.set _ZN7rocprim17ROCPRIM_400000_NS6detail17trampoline_kernelINS0_14default_configENS1_35radix_sort_onesweep_config_selectorIiNS0_10empty_typeEEEZZNS1_29radix_sort_onesweep_iterationIS3_Lb0EN6thrust23THRUST_200600_302600_NS6detail15normal_iteratorINS9_10device_ptrIiEEEESE_PS5_SF_jNS0_19identity_decomposerENS1_16block_id_wrapperIjLb1EEEEE10hipError_tT1_PNSt15iterator_traitsISK_E10value_typeET2_T3_PNSL_ISQ_E10value_typeET4_T5_PSV_SW_PNS1_23onesweep_lookback_stateEbbT6_jjT7_P12ihipStream_tbENKUlT_T0_SK_SP_E_clISE_SE_SF_SF_EEDaS13_S14_SK_SP_EUlS13_E_NS1_11comp_targetILNS1_3genE4ELNS1_11target_archE910ELNS1_3gpuE8ELNS1_3repE0EEENS1_47radix_sort_onesweep_sort_config_static_selectorELNS0_4arch9wavefront6targetE0EEEvSK_.has_indirect_call, 0
	.section	.AMDGPU.csdata,"",@progbits
; Kernel info:
; codeLenInByte = 0
; TotalNumSgprs: 0
; NumVgprs: 0
; ScratchSize: 0
; MemoryBound: 0
; FloatMode: 240
; IeeeMode: 1
; LDSByteSize: 0 bytes/workgroup (compile time only)
; SGPRBlocks: 0
; VGPRBlocks: 0
; NumSGPRsForWavesPerEU: 1
; NumVGPRsForWavesPerEU: 1
; Occupancy: 16
; WaveLimiterHint : 0
; COMPUTE_PGM_RSRC2:SCRATCH_EN: 0
; COMPUTE_PGM_RSRC2:USER_SGPR: 6
; COMPUTE_PGM_RSRC2:TRAP_HANDLER: 0
; COMPUTE_PGM_RSRC2:TGID_X_EN: 1
; COMPUTE_PGM_RSRC2:TGID_Y_EN: 0
; COMPUTE_PGM_RSRC2:TGID_Z_EN: 0
; COMPUTE_PGM_RSRC2:TIDIG_COMP_CNT: 0
	.section	.text._ZN7rocprim17ROCPRIM_400000_NS6detail17trampoline_kernelINS0_14default_configENS1_35radix_sort_onesweep_config_selectorIiNS0_10empty_typeEEEZZNS1_29radix_sort_onesweep_iterationIS3_Lb0EN6thrust23THRUST_200600_302600_NS6detail15normal_iteratorINS9_10device_ptrIiEEEESE_PS5_SF_jNS0_19identity_decomposerENS1_16block_id_wrapperIjLb1EEEEE10hipError_tT1_PNSt15iterator_traitsISK_E10value_typeET2_T3_PNSL_ISQ_E10value_typeET4_T5_PSV_SW_PNS1_23onesweep_lookback_stateEbbT6_jjT7_P12ihipStream_tbENKUlT_T0_SK_SP_E_clISE_SE_SF_SF_EEDaS13_S14_SK_SP_EUlS13_E_NS1_11comp_targetILNS1_3genE3ELNS1_11target_archE908ELNS1_3gpuE7ELNS1_3repE0EEENS1_47radix_sort_onesweep_sort_config_static_selectorELNS0_4arch9wavefront6targetE0EEEvSK_,"axG",@progbits,_ZN7rocprim17ROCPRIM_400000_NS6detail17trampoline_kernelINS0_14default_configENS1_35radix_sort_onesweep_config_selectorIiNS0_10empty_typeEEEZZNS1_29radix_sort_onesweep_iterationIS3_Lb0EN6thrust23THRUST_200600_302600_NS6detail15normal_iteratorINS9_10device_ptrIiEEEESE_PS5_SF_jNS0_19identity_decomposerENS1_16block_id_wrapperIjLb1EEEEE10hipError_tT1_PNSt15iterator_traitsISK_E10value_typeET2_T3_PNSL_ISQ_E10value_typeET4_T5_PSV_SW_PNS1_23onesweep_lookback_stateEbbT6_jjT7_P12ihipStream_tbENKUlT_T0_SK_SP_E_clISE_SE_SF_SF_EEDaS13_S14_SK_SP_EUlS13_E_NS1_11comp_targetILNS1_3genE3ELNS1_11target_archE908ELNS1_3gpuE7ELNS1_3repE0EEENS1_47radix_sort_onesweep_sort_config_static_selectorELNS0_4arch9wavefront6targetE0EEEvSK_,comdat
	.protected	_ZN7rocprim17ROCPRIM_400000_NS6detail17trampoline_kernelINS0_14default_configENS1_35radix_sort_onesweep_config_selectorIiNS0_10empty_typeEEEZZNS1_29radix_sort_onesweep_iterationIS3_Lb0EN6thrust23THRUST_200600_302600_NS6detail15normal_iteratorINS9_10device_ptrIiEEEESE_PS5_SF_jNS0_19identity_decomposerENS1_16block_id_wrapperIjLb1EEEEE10hipError_tT1_PNSt15iterator_traitsISK_E10value_typeET2_T3_PNSL_ISQ_E10value_typeET4_T5_PSV_SW_PNS1_23onesweep_lookback_stateEbbT6_jjT7_P12ihipStream_tbENKUlT_T0_SK_SP_E_clISE_SE_SF_SF_EEDaS13_S14_SK_SP_EUlS13_E_NS1_11comp_targetILNS1_3genE3ELNS1_11target_archE908ELNS1_3gpuE7ELNS1_3repE0EEENS1_47radix_sort_onesweep_sort_config_static_selectorELNS0_4arch9wavefront6targetE0EEEvSK_ ; -- Begin function _ZN7rocprim17ROCPRIM_400000_NS6detail17trampoline_kernelINS0_14default_configENS1_35radix_sort_onesweep_config_selectorIiNS0_10empty_typeEEEZZNS1_29radix_sort_onesweep_iterationIS3_Lb0EN6thrust23THRUST_200600_302600_NS6detail15normal_iteratorINS9_10device_ptrIiEEEESE_PS5_SF_jNS0_19identity_decomposerENS1_16block_id_wrapperIjLb1EEEEE10hipError_tT1_PNSt15iterator_traitsISK_E10value_typeET2_T3_PNSL_ISQ_E10value_typeET4_T5_PSV_SW_PNS1_23onesweep_lookback_stateEbbT6_jjT7_P12ihipStream_tbENKUlT_T0_SK_SP_E_clISE_SE_SF_SF_EEDaS13_S14_SK_SP_EUlS13_E_NS1_11comp_targetILNS1_3genE3ELNS1_11target_archE908ELNS1_3gpuE7ELNS1_3repE0EEENS1_47radix_sort_onesweep_sort_config_static_selectorELNS0_4arch9wavefront6targetE0EEEvSK_
	.globl	_ZN7rocprim17ROCPRIM_400000_NS6detail17trampoline_kernelINS0_14default_configENS1_35radix_sort_onesweep_config_selectorIiNS0_10empty_typeEEEZZNS1_29radix_sort_onesweep_iterationIS3_Lb0EN6thrust23THRUST_200600_302600_NS6detail15normal_iteratorINS9_10device_ptrIiEEEESE_PS5_SF_jNS0_19identity_decomposerENS1_16block_id_wrapperIjLb1EEEEE10hipError_tT1_PNSt15iterator_traitsISK_E10value_typeET2_T3_PNSL_ISQ_E10value_typeET4_T5_PSV_SW_PNS1_23onesweep_lookback_stateEbbT6_jjT7_P12ihipStream_tbENKUlT_T0_SK_SP_E_clISE_SE_SF_SF_EEDaS13_S14_SK_SP_EUlS13_E_NS1_11comp_targetILNS1_3genE3ELNS1_11target_archE908ELNS1_3gpuE7ELNS1_3repE0EEENS1_47radix_sort_onesweep_sort_config_static_selectorELNS0_4arch9wavefront6targetE0EEEvSK_
	.p2align	8
	.type	_ZN7rocprim17ROCPRIM_400000_NS6detail17trampoline_kernelINS0_14default_configENS1_35radix_sort_onesweep_config_selectorIiNS0_10empty_typeEEEZZNS1_29radix_sort_onesweep_iterationIS3_Lb0EN6thrust23THRUST_200600_302600_NS6detail15normal_iteratorINS9_10device_ptrIiEEEESE_PS5_SF_jNS0_19identity_decomposerENS1_16block_id_wrapperIjLb1EEEEE10hipError_tT1_PNSt15iterator_traitsISK_E10value_typeET2_T3_PNSL_ISQ_E10value_typeET4_T5_PSV_SW_PNS1_23onesweep_lookback_stateEbbT6_jjT7_P12ihipStream_tbENKUlT_T0_SK_SP_E_clISE_SE_SF_SF_EEDaS13_S14_SK_SP_EUlS13_E_NS1_11comp_targetILNS1_3genE3ELNS1_11target_archE908ELNS1_3gpuE7ELNS1_3repE0EEENS1_47radix_sort_onesweep_sort_config_static_selectorELNS0_4arch9wavefront6targetE0EEEvSK_,@function
_ZN7rocprim17ROCPRIM_400000_NS6detail17trampoline_kernelINS0_14default_configENS1_35radix_sort_onesweep_config_selectorIiNS0_10empty_typeEEEZZNS1_29radix_sort_onesweep_iterationIS3_Lb0EN6thrust23THRUST_200600_302600_NS6detail15normal_iteratorINS9_10device_ptrIiEEEESE_PS5_SF_jNS0_19identity_decomposerENS1_16block_id_wrapperIjLb1EEEEE10hipError_tT1_PNSt15iterator_traitsISK_E10value_typeET2_T3_PNSL_ISQ_E10value_typeET4_T5_PSV_SW_PNS1_23onesweep_lookback_stateEbbT6_jjT7_P12ihipStream_tbENKUlT_T0_SK_SP_E_clISE_SE_SF_SF_EEDaS13_S14_SK_SP_EUlS13_E_NS1_11comp_targetILNS1_3genE3ELNS1_11target_archE908ELNS1_3gpuE7ELNS1_3repE0EEENS1_47radix_sort_onesweep_sort_config_static_selectorELNS0_4arch9wavefront6targetE0EEEvSK_: ; @_ZN7rocprim17ROCPRIM_400000_NS6detail17trampoline_kernelINS0_14default_configENS1_35radix_sort_onesweep_config_selectorIiNS0_10empty_typeEEEZZNS1_29radix_sort_onesweep_iterationIS3_Lb0EN6thrust23THRUST_200600_302600_NS6detail15normal_iteratorINS9_10device_ptrIiEEEESE_PS5_SF_jNS0_19identity_decomposerENS1_16block_id_wrapperIjLb1EEEEE10hipError_tT1_PNSt15iterator_traitsISK_E10value_typeET2_T3_PNSL_ISQ_E10value_typeET4_T5_PSV_SW_PNS1_23onesweep_lookback_stateEbbT6_jjT7_P12ihipStream_tbENKUlT_T0_SK_SP_E_clISE_SE_SF_SF_EEDaS13_S14_SK_SP_EUlS13_E_NS1_11comp_targetILNS1_3genE3ELNS1_11target_archE908ELNS1_3gpuE7ELNS1_3repE0EEENS1_47radix_sort_onesweep_sort_config_static_selectorELNS0_4arch9wavefront6targetE0EEEvSK_
; %bb.0:
	.section	.rodata,"a",@progbits
	.p2align	6, 0x0
	.amdhsa_kernel _ZN7rocprim17ROCPRIM_400000_NS6detail17trampoline_kernelINS0_14default_configENS1_35radix_sort_onesweep_config_selectorIiNS0_10empty_typeEEEZZNS1_29radix_sort_onesweep_iterationIS3_Lb0EN6thrust23THRUST_200600_302600_NS6detail15normal_iteratorINS9_10device_ptrIiEEEESE_PS5_SF_jNS0_19identity_decomposerENS1_16block_id_wrapperIjLb1EEEEE10hipError_tT1_PNSt15iterator_traitsISK_E10value_typeET2_T3_PNSL_ISQ_E10value_typeET4_T5_PSV_SW_PNS1_23onesweep_lookback_stateEbbT6_jjT7_P12ihipStream_tbENKUlT_T0_SK_SP_E_clISE_SE_SF_SF_EEDaS13_S14_SK_SP_EUlS13_E_NS1_11comp_targetILNS1_3genE3ELNS1_11target_archE908ELNS1_3gpuE7ELNS1_3repE0EEENS1_47radix_sort_onesweep_sort_config_static_selectorELNS0_4arch9wavefront6targetE0EEEvSK_
		.amdhsa_group_segment_fixed_size 0
		.amdhsa_private_segment_fixed_size 0
		.amdhsa_kernarg_size 88
		.amdhsa_user_sgpr_count 6
		.amdhsa_user_sgpr_private_segment_buffer 1
		.amdhsa_user_sgpr_dispatch_ptr 0
		.amdhsa_user_sgpr_queue_ptr 0
		.amdhsa_user_sgpr_kernarg_segment_ptr 1
		.amdhsa_user_sgpr_dispatch_id 0
		.amdhsa_user_sgpr_flat_scratch_init 0
		.amdhsa_user_sgpr_private_segment_size 0
		.amdhsa_wavefront_size32 1
		.amdhsa_uses_dynamic_stack 0
		.amdhsa_system_sgpr_private_segment_wavefront_offset 0
		.amdhsa_system_sgpr_workgroup_id_x 1
		.amdhsa_system_sgpr_workgroup_id_y 0
		.amdhsa_system_sgpr_workgroup_id_z 0
		.amdhsa_system_sgpr_workgroup_info 0
		.amdhsa_system_vgpr_workitem_id 0
		.amdhsa_next_free_vgpr 1
		.amdhsa_next_free_sgpr 1
		.amdhsa_reserve_vcc 0
		.amdhsa_reserve_flat_scratch 0
		.amdhsa_float_round_mode_32 0
		.amdhsa_float_round_mode_16_64 0
		.amdhsa_float_denorm_mode_32 3
		.amdhsa_float_denorm_mode_16_64 3
		.amdhsa_dx10_clamp 1
		.amdhsa_ieee_mode 1
		.amdhsa_fp16_overflow 0
		.amdhsa_workgroup_processor_mode 1
		.amdhsa_memory_ordered 1
		.amdhsa_forward_progress 1
		.amdhsa_shared_vgpr_count 0
		.amdhsa_exception_fp_ieee_invalid_op 0
		.amdhsa_exception_fp_denorm_src 0
		.amdhsa_exception_fp_ieee_div_zero 0
		.amdhsa_exception_fp_ieee_overflow 0
		.amdhsa_exception_fp_ieee_underflow 0
		.amdhsa_exception_fp_ieee_inexact 0
		.amdhsa_exception_int_div_zero 0
	.end_amdhsa_kernel
	.section	.text._ZN7rocprim17ROCPRIM_400000_NS6detail17trampoline_kernelINS0_14default_configENS1_35radix_sort_onesweep_config_selectorIiNS0_10empty_typeEEEZZNS1_29radix_sort_onesweep_iterationIS3_Lb0EN6thrust23THRUST_200600_302600_NS6detail15normal_iteratorINS9_10device_ptrIiEEEESE_PS5_SF_jNS0_19identity_decomposerENS1_16block_id_wrapperIjLb1EEEEE10hipError_tT1_PNSt15iterator_traitsISK_E10value_typeET2_T3_PNSL_ISQ_E10value_typeET4_T5_PSV_SW_PNS1_23onesweep_lookback_stateEbbT6_jjT7_P12ihipStream_tbENKUlT_T0_SK_SP_E_clISE_SE_SF_SF_EEDaS13_S14_SK_SP_EUlS13_E_NS1_11comp_targetILNS1_3genE3ELNS1_11target_archE908ELNS1_3gpuE7ELNS1_3repE0EEENS1_47radix_sort_onesweep_sort_config_static_selectorELNS0_4arch9wavefront6targetE0EEEvSK_,"axG",@progbits,_ZN7rocprim17ROCPRIM_400000_NS6detail17trampoline_kernelINS0_14default_configENS1_35radix_sort_onesweep_config_selectorIiNS0_10empty_typeEEEZZNS1_29radix_sort_onesweep_iterationIS3_Lb0EN6thrust23THRUST_200600_302600_NS6detail15normal_iteratorINS9_10device_ptrIiEEEESE_PS5_SF_jNS0_19identity_decomposerENS1_16block_id_wrapperIjLb1EEEEE10hipError_tT1_PNSt15iterator_traitsISK_E10value_typeET2_T3_PNSL_ISQ_E10value_typeET4_T5_PSV_SW_PNS1_23onesweep_lookback_stateEbbT6_jjT7_P12ihipStream_tbENKUlT_T0_SK_SP_E_clISE_SE_SF_SF_EEDaS13_S14_SK_SP_EUlS13_E_NS1_11comp_targetILNS1_3genE3ELNS1_11target_archE908ELNS1_3gpuE7ELNS1_3repE0EEENS1_47radix_sort_onesweep_sort_config_static_selectorELNS0_4arch9wavefront6targetE0EEEvSK_,comdat
.Lfunc_end164:
	.size	_ZN7rocprim17ROCPRIM_400000_NS6detail17trampoline_kernelINS0_14default_configENS1_35radix_sort_onesweep_config_selectorIiNS0_10empty_typeEEEZZNS1_29radix_sort_onesweep_iterationIS3_Lb0EN6thrust23THRUST_200600_302600_NS6detail15normal_iteratorINS9_10device_ptrIiEEEESE_PS5_SF_jNS0_19identity_decomposerENS1_16block_id_wrapperIjLb1EEEEE10hipError_tT1_PNSt15iterator_traitsISK_E10value_typeET2_T3_PNSL_ISQ_E10value_typeET4_T5_PSV_SW_PNS1_23onesweep_lookback_stateEbbT6_jjT7_P12ihipStream_tbENKUlT_T0_SK_SP_E_clISE_SE_SF_SF_EEDaS13_S14_SK_SP_EUlS13_E_NS1_11comp_targetILNS1_3genE3ELNS1_11target_archE908ELNS1_3gpuE7ELNS1_3repE0EEENS1_47radix_sort_onesweep_sort_config_static_selectorELNS0_4arch9wavefront6targetE0EEEvSK_, .Lfunc_end164-_ZN7rocprim17ROCPRIM_400000_NS6detail17trampoline_kernelINS0_14default_configENS1_35radix_sort_onesweep_config_selectorIiNS0_10empty_typeEEEZZNS1_29radix_sort_onesweep_iterationIS3_Lb0EN6thrust23THRUST_200600_302600_NS6detail15normal_iteratorINS9_10device_ptrIiEEEESE_PS5_SF_jNS0_19identity_decomposerENS1_16block_id_wrapperIjLb1EEEEE10hipError_tT1_PNSt15iterator_traitsISK_E10value_typeET2_T3_PNSL_ISQ_E10value_typeET4_T5_PSV_SW_PNS1_23onesweep_lookback_stateEbbT6_jjT7_P12ihipStream_tbENKUlT_T0_SK_SP_E_clISE_SE_SF_SF_EEDaS13_S14_SK_SP_EUlS13_E_NS1_11comp_targetILNS1_3genE3ELNS1_11target_archE908ELNS1_3gpuE7ELNS1_3repE0EEENS1_47radix_sort_onesweep_sort_config_static_selectorELNS0_4arch9wavefront6targetE0EEEvSK_
                                        ; -- End function
	.set _ZN7rocprim17ROCPRIM_400000_NS6detail17trampoline_kernelINS0_14default_configENS1_35radix_sort_onesweep_config_selectorIiNS0_10empty_typeEEEZZNS1_29radix_sort_onesweep_iterationIS3_Lb0EN6thrust23THRUST_200600_302600_NS6detail15normal_iteratorINS9_10device_ptrIiEEEESE_PS5_SF_jNS0_19identity_decomposerENS1_16block_id_wrapperIjLb1EEEEE10hipError_tT1_PNSt15iterator_traitsISK_E10value_typeET2_T3_PNSL_ISQ_E10value_typeET4_T5_PSV_SW_PNS1_23onesweep_lookback_stateEbbT6_jjT7_P12ihipStream_tbENKUlT_T0_SK_SP_E_clISE_SE_SF_SF_EEDaS13_S14_SK_SP_EUlS13_E_NS1_11comp_targetILNS1_3genE3ELNS1_11target_archE908ELNS1_3gpuE7ELNS1_3repE0EEENS1_47radix_sort_onesweep_sort_config_static_selectorELNS0_4arch9wavefront6targetE0EEEvSK_.num_vgpr, 0
	.set _ZN7rocprim17ROCPRIM_400000_NS6detail17trampoline_kernelINS0_14default_configENS1_35radix_sort_onesweep_config_selectorIiNS0_10empty_typeEEEZZNS1_29radix_sort_onesweep_iterationIS3_Lb0EN6thrust23THRUST_200600_302600_NS6detail15normal_iteratorINS9_10device_ptrIiEEEESE_PS5_SF_jNS0_19identity_decomposerENS1_16block_id_wrapperIjLb1EEEEE10hipError_tT1_PNSt15iterator_traitsISK_E10value_typeET2_T3_PNSL_ISQ_E10value_typeET4_T5_PSV_SW_PNS1_23onesweep_lookback_stateEbbT6_jjT7_P12ihipStream_tbENKUlT_T0_SK_SP_E_clISE_SE_SF_SF_EEDaS13_S14_SK_SP_EUlS13_E_NS1_11comp_targetILNS1_3genE3ELNS1_11target_archE908ELNS1_3gpuE7ELNS1_3repE0EEENS1_47radix_sort_onesweep_sort_config_static_selectorELNS0_4arch9wavefront6targetE0EEEvSK_.num_agpr, 0
	.set _ZN7rocprim17ROCPRIM_400000_NS6detail17trampoline_kernelINS0_14default_configENS1_35radix_sort_onesweep_config_selectorIiNS0_10empty_typeEEEZZNS1_29radix_sort_onesweep_iterationIS3_Lb0EN6thrust23THRUST_200600_302600_NS6detail15normal_iteratorINS9_10device_ptrIiEEEESE_PS5_SF_jNS0_19identity_decomposerENS1_16block_id_wrapperIjLb1EEEEE10hipError_tT1_PNSt15iterator_traitsISK_E10value_typeET2_T3_PNSL_ISQ_E10value_typeET4_T5_PSV_SW_PNS1_23onesweep_lookback_stateEbbT6_jjT7_P12ihipStream_tbENKUlT_T0_SK_SP_E_clISE_SE_SF_SF_EEDaS13_S14_SK_SP_EUlS13_E_NS1_11comp_targetILNS1_3genE3ELNS1_11target_archE908ELNS1_3gpuE7ELNS1_3repE0EEENS1_47radix_sort_onesweep_sort_config_static_selectorELNS0_4arch9wavefront6targetE0EEEvSK_.numbered_sgpr, 0
	.set _ZN7rocprim17ROCPRIM_400000_NS6detail17trampoline_kernelINS0_14default_configENS1_35radix_sort_onesweep_config_selectorIiNS0_10empty_typeEEEZZNS1_29radix_sort_onesweep_iterationIS3_Lb0EN6thrust23THRUST_200600_302600_NS6detail15normal_iteratorINS9_10device_ptrIiEEEESE_PS5_SF_jNS0_19identity_decomposerENS1_16block_id_wrapperIjLb1EEEEE10hipError_tT1_PNSt15iterator_traitsISK_E10value_typeET2_T3_PNSL_ISQ_E10value_typeET4_T5_PSV_SW_PNS1_23onesweep_lookback_stateEbbT6_jjT7_P12ihipStream_tbENKUlT_T0_SK_SP_E_clISE_SE_SF_SF_EEDaS13_S14_SK_SP_EUlS13_E_NS1_11comp_targetILNS1_3genE3ELNS1_11target_archE908ELNS1_3gpuE7ELNS1_3repE0EEENS1_47radix_sort_onesweep_sort_config_static_selectorELNS0_4arch9wavefront6targetE0EEEvSK_.num_named_barrier, 0
	.set _ZN7rocprim17ROCPRIM_400000_NS6detail17trampoline_kernelINS0_14default_configENS1_35radix_sort_onesweep_config_selectorIiNS0_10empty_typeEEEZZNS1_29radix_sort_onesweep_iterationIS3_Lb0EN6thrust23THRUST_200600_302600_NS6detail15normal_iteratorINS9_10device_ptrIiEEEESE_PS5_SF_jNS0_19identity_decomposerENS1_16block_id_wrapperIjLb1EEEEE10hipError_tT1_PNSt15iterator_traitsISK_E10value_typeET2_T3_PNSL_ISQ_E10value_typeET4_T5_PSV_SW_PNS1_23onesweep_lookback_stateEbbT6_jjT7_P12ihipStream_tbENKUlT_T0_SK_SP_E_clISE_SE_SF_SF_EEDaS13_S14_SK_SP_EUlS13_E_NS1_11comp_targetILNS1_3genE3ELNS1_11target_archE908ELNS1_3gpuE7ELNS1_3repE0EEENS1_47radix_sort_onesweep_sort_config_static_selectorELNS0_4arch9wavefront6targetE0EEEvSK_.private_seg_size, 0
	.set _ZN7rocprim17ROCPRIM_400000_NS6detail17trampoline_kernelINS0_14default_configENS1_35radix_sort_onesweep_config_selectorIiNS0_10empty_typeEEEZZNS1_29radix_sort_onesweep_iterationIS3_Lb0EN6thrust23THRUST_200600_302600_NS6detail15normal_iteratorINS9_10device_ptrIiEEEESE_PS5_SF_jNS0_19identity_decomposerENS1_16block_id_wrapperIjLb1EEEEE10hipError_tT1_PNSt15iterator_traitsISK_E10value_typeET2_T3_PNSL_ISQ_E10value_typeET4_T5_PSV_SW_PNS1_23onesweep_lookback_stateEbbT6_jjT7_P12ihipStream_tbENKUlT_T0_SK_SP_E_clISE_SE_SF_SF_EEDaS13_S14_SK_SP_EUlS13_E_NS1_11comp_targetILNS1_3genE3ELNS1_11target_archE908ELNS1_3gpuE7ELNS1_3repE0EEENS1_47radix_sort_onesweep_sort_config_static_selectorELNS0_4arch9wavefront6targetE0EEEvSK_.uses_vcc, 0
	.set _ZN7rocprim17ROCPRIM_400000_NS6detail17trampoline_kernelINS0_14default_configENS1_35radix_sort_onesweep_config_selectorIiNS0_10empty_typeEEEZZNS1_29radix_sort_onesweep_iterationIS3_Lb0EN6thrust23THRUST_200600_302600_NS6detail15normal_iteratorINS9_10device_ptrIiEEEESE_PS5_SF_jNS0_19identity_decomposerENS1_16block_id_wrapperIjLb1EEEEE10hipError_tT1_PNSt15iterator_traitsISK_E10value_typeET2_T3_PNSL_ISQ_E10value_typeET4_T5_PSV_SW_PNS1_23onesweep_lookback_stateEbbT6_jjT7_P12ihipStream_tbENKUlT_T0_SK_SP_E_clISE_SE_SF_SF_EEDaS13_S14_SK_SP_EUlS13_E_NS1_11comp_targetILNS1_3genE3ELNS1_11target_archE908ELNS1_3gpuE7ELNS1_3repE0EEENS1_47radix_sort_onesweep_sort_config_static_selectorELNS0_4arch9wavefront6targetE0EEEvSK_.uses_flat_scratch, 0
	.set _ZN7rocprim17ROCPRIM_400000_NS6detail17trampoline_kernelINS0_14default_configENS1_35radix_sort_onesweep_config_selectorIiNS0_10empty_typeEEEZZNS1_29radix_sort_onesweep_iterationIS3_Lb0EN6thrust23THRUST_200600_302600_NS6detail15normal_iteratorINS9_10device_ptrIiEEEESE_PS5_SF_jNS0_19identity_decomposerENS1_16block_id_wrapperIjLb1EEEEE10hipError_tT1_PNSt15iterator_traitsISK_E10value_typeET2_T3_PNSL_ISQ_E10value_typeET4_T5_PSV_SW_PNS1_23onesweep_lookback_stateEbbT6_jjT7_P12ihipStream_tbENKUlT_T0_SK_SP_E_clISE_SE_SF_SF_EEDaS13_S14_SK_SP_EUlS13_E_NS1_11comp_targetILNS1_3genE3ELNS1_11target_archE908ELNS1_3gpuE7ELNS1_3repE0EEENS1_47radix_sort_onesweep_sort_config_static_selectorELNS0_4arch9wavefront6targetE0EEEvSK_.has_dyn_sized_stack, 0
	.set _ZN7rocprim17ROCPRIM_400000_NS6detail17trampoline_kernelINS0_14default_configENS1_35radix_sort_onesweep_config_selectorIiNS0_10empty_typeEEEZZNS1_29radix_sort_onesweep_iterationIS3_Lb0EN6thrust23THRUST_200600_302600_NS6detail15normal_iteratorINS9_10device_ptrIiEEEESE_PS5_SF_jNS0_19identity_decomposerENS1_16block_id_wrapperIjLb1EEEEE10hipError_tT1_PNSt15iterator_traitsISK_E10value_typeET2_T3_PNSL_ISQ_E10value_typeET4_T5_PSV_SW_PNS1_23onesweep_lookback_stateEbbT6_jjT7_P12ihipStream_tbENKUlT_T0_SK_SP_E_clISE_SE_SF_SF_EEDaS13_S14_SK_SP_EUlS13_E_NS1_11comp_targetILNS1_3genE3ELNS1_11target_archE908ELNS1_3gpuE7ELNS1_3repE0EEENS1_47radix_sort_onesweep_sort_config_static_selectorELNS0_4arch9wavefront6targetE0EEEvSK_.has_recursion, 0
	.set _ZN7rocprim17ROCPRIM_400000_NS6detail17trampoline_kernelINS0_14default_configENS1_35radix_sort_onesweep_config_selectorIiNS0_10empty_typeEEEZZNS1_29radix_sort_onesweep_iterationIS3_Lb0EN6thrust23THRUST_200600_302600_NS6detail15normal_iteratorINS9_10device_ptrIiEEEESE_PS5_SF_jNS0_19identity_decomposerENS1_16block_id_wrapperIjLb1EEEEE10hipError_tT1_PNSt15iterator_traitsISK_E10value_typeET2_T3_PNSL_ISQ_E10value_typeET4_T5_PSV_SW_PNS1_23onesweep_lookback_stateEbbT6_jjT7_P12ihipStream_tbENKUlT_T0_SK_SP_E_clISE_SE_SF_SF_EEDaS13_S14_SK_SP_EUlS13_E_NS1_11comp_targetILNS1_3genE3ELNS1_11target_archE908ELNS1_3gpuE7ELNS1_3repE0EEENS1_47radix_sort_onesweep_sort_config_static_selectorELNS0_4arch9wavefront6targetE0EEEvSK_.has_indirect_call, 0
	.section	.AMDGPU.csdata,"",@progbits
; Kernel info:
; codeLenInByte = 0
; TotalNumSgprs: 0
; NumVgprs: 0
; ScratchSize: 0
; MemoryBound: 0
; FloatMode: 240
; IeeeMode: 1
; LDSByteSize: 0 bytes/workgroup (compile time only)
; SGPRBlocks: 0
; VGPRBlocks: 0
; NumSGPRsForWavesPerEU: 1
; NumVGPRsForWavesPerEU: 1
; Occupancy: 16
; WaveLimiterHint : 0
; COMPUTE_PGM_RSRC2:SCRATCH_EN: 0
; COMPUTE_PGM_RSRC2:USER_SGPR: 6
; COMPUTE_PGM_RSRC2:TRAP_HANDLER: 0
; COMPUTE_PGM_RSRC2:TGID_X_EN: 1
; COMPUTE_PGM_RSRC2:TGID_Y_EN: 0
; COMPUTE_PGM_RSRC2:TGID_Z_EN: 0
; COMPUTE_PGM_RSRC2:TIDIG_COMP_CNT: 0
	.section	.text._ZN7rocprim17ROCPRIM_400000_NS6detail17trampoline_kernelINS0_14default_configENS1_35radix_sort_onesweep_config_selectorIiNS0_10empty_typeEEEZZNS1_29radix_sort_onesweep_iterationIS3_Lb0EN6thrust23THRUST_200600_302600_NS6detail15normal_iteratorINS9_10device_ptrIiEEEESE_PS5_SF_jNS0_19identity_decomposerENS1_16block_id_wrapperIjLb1EEEEE10hipError_tT1_PNSt15iterator_traitsISK_E10value_typeET2_T3_PNSL_ISQ_E10value_typeET4_T5_PSV_SW_PNS1_23onesweep_lookback_stateEbbT6_jjT7_P12ihipStream_tbENKUlT_T0_SK_SP_E_clISE_SE_SF_SF_EEDaS13_S14_SK_SP_EUlS13_E_NS1_11comp_targetILNS1_3genE10ELNS1_11target_archE1201ELNS1_3gpuE5ELNS1_3repE0EEENS1_47radix_sort_onesweep_sort_config_static_selectorELNS0_4arch9wavefront6targetE0EEEvSK_,"axG",@progbits,_ZN7rocprim17ROCPRIM_400000_NS6detail17trampoline_kernelINS0_14default_configENS1_35radix_sort_onesweep_config_selectorIiNS0_10empty_typeEEEZZNS1_29radix_sort_onesweep_iterationIS3_Lb0EN6thrust23THRUST_200600_302600_NS6detail15normal_iteratorINS9_10device_ptrIiEEEESE_PS5_SF_jNS0_19identity_decomposerENS1_16block_id_wrapperIjLb1EEEEE10hipError_tT1_PNSt15iterator_traitsISK_E10value_typeET2_T3_PNSL_ISQ_E10value_typeET4_T5_PSV_SW_PNS1_23onesweep_lookback_stateEbbT6_jjT7_P12ihipStream_tbENKUlT_T0_SK_SP_E_clISE_SE_SF_SF_EEDaS13_S14_SK_SP_EUlS13_E_NS1_11comp_targetILNS1_3genE10ELNS1_11target_archE1201ELNS1_3gpuE5ELNS1_3repE0EEENS1_47radix_sort_onesweep_sort_config_static_selectorELNS0_4arch9wavefront6targetE0EEEvSK_,comdat
	.protected	_ZN7rocprim17ROCPRIM_400000_NS6detail17trampoline_kernelINS0_14default_configENS1_35radix_sort_onesweep_config_selectorIiNS0_10empty_typeEEEZZNS1_29radix_sort_onesweep_iterationIS3_Lb0EN6thrust23THRUST_200600_302600_NS6detail15normal_iteratorINS9_10device_ptrIiEEEESE_PS5_SF_jNS0_19identity_decomposerENS1_16block_id_wrapperIjLb1EEEEE10hipError_tT1_PNSt15iterator_traitsISK_E10value_typeET2_T3_PNSL_ISQ_E10value_typeET4_T5_PSV_SW_PNS1_23onesweep_lookback_stateEbbT6_jjT7_P12ihipStream_tbENKUlT_T0_SK_SP_E_clISE_SE_SF_SF_EEDaS13_S14_SK_SP_EUlS13_E_NS1_11comp_targetILNS1_3genE10ELNS1_11target_archE1201ELNS1_3gpuE5ELNS1_3repE0EEENS1_47radix_sort_onesweep_sort_config_static_selectorELNS0_4arch9wavefront6targetE0EEEvSK_ ; -- Begin function _ZN7rocprim17ROCPRIM_400000_NS6detail17trampoline_kernelINS0_14default_configENS1_35radix_sort_onesweep_config_selectorIiNS0_10empty_typeEEEZZNS1_29radix_sort_onesweep_iterationIS3_Lb0EN6thrust23THRUST_200600_302600_NS6detail15normal_iteratorINS9_10device_ptrIiEEEESE_PS5_SF_jNS0_19identity_decomposerENS1_16block_id_wrapperIjLb1EEEEE10hipError_tT1_PNSt15iterator_traitsISK_E10value_typeET2_T3_PNSL_ISQ_E10value_typeET4_T5_PSV_SW_PNS1_23onesweep_lookback_stateEbbT6_jjT7_P12ihipStream_tbENKUlT_T0_SK_SP_E_clISE_SE_SF_SF_EEDaS13_S14_SK_SP_EUlS13_E_NS1_11comp_targetILNS1_3genE10ELNS1_11target_archE1201ELNS1_3gpuE5ELNS1_3repE0EEENS1_47radix_sort_onesweep_sort_config_static_selectorELNS0_4arch9wavefront6targetE0EEEvSK_
	.globl	_ZN7rocprim17ROCPRIM_400000_NS6detail17trampoline_kernelINS0_14default_configENS1_35radix_sort_onesweep_config_selectorIiNS0_10empty_typeEEEZZNS1_29radix_sort_onesweep_iterationIS3_Lb0EN6thrust23THRUST_200600_302600_NS6detail15normal_iteratorINS9_10device_ptrIiEEEESE_PS5_SF_jNS0_19identity_decomposerENS1_16block_id_wrapperIjLb1EEEEE10hipError_tT1_PNSt15iterator_traitsISK_E10value_typeET2_T3_PNSL_ISQ_E10value_typeET4_T5_PSV_SW_PNS1_23onesweep_lookback_stateEbbT6_jjT7_P12ihipStream_tbENKUlT_T0_SK_SP_E_clISE_SE_SF_SF_EEDaS13_S14_SK_SP_EUlS13_E_NS1_11comp_targetILNS1_3genE10ELNS1_11target_archE1201ELNS1_3gpuE5ELNS1_3repE0EEENS1_47radix_sort_onesweep_sort_config_static_selectorELNS0_4arch9wavefront6targetE0EEEvSK_
	.p2align	8
	.type	_ZN7rocprim17ROCPRIM_400000_NS6detail17trampoline_kernelINS0_14default_configENS1_35radix_sort_onesweep_config_selectorIiNS0_10empty_typeEEEZZNS1_29radix_sort_onesweep_iterationIS3_Lb0EN6thrust23THRUST_200600_302600_NS6detail15normal_iteratorINS9_10device_ptrIiEEEESE_PS5_SF_jNS0_19identity_decomposerENS1_16block_id_wrapperIjLb1EEEEE10hipError_tT1_PNSt15iterator_traitsISK_E10value_typeET2_T3_PNSL_ISQ_E10value_typeET4_T5_PSV_SW_PNS1_23onesweep_lookback_stateEbbT6_jjT7_P12ihipStream_tbENKUlT_T0_SK_SP_E_clISE_SE_SF_SF_EEDaS13_S14_SK_SP_EUlS13_E_NS1_11comp_targetILNS1_3genE10ELNS1_11target_archE1201ELNS1_3gpuE5ELNS1_3repE0EEENS1_47radix_sort_onesweep_sort_config_static_selectorELNS0_4arch9wavefront6targetE0EEEvSK_,@function
_ZN7rocprim17ROCPRIM_400000_NS6detail17trampoline_kernelINS0_14default_configENS1_35radix_sort_onesweep_config_selectorIiNS0_10empty_typeEEEZZNS1_29radix_sort_onesweep_iterationIS3_Lb0EN6thrust23THRUST_200600_302600_NS6detail15normal_iteratorINS9_10device_ptrIiEEEESE_PS5_SF_jNS0_19identity_decomposerENS1_16block_id_wrapperIjLb1EEEEE10hipError_tT1_PNSt15iterator_traitsISK_E10value_typeET2_T3_PNSL_ISQ_E10value_typeET4_T5_PSV_SW_PNS1_23onesweep_lookback_stateEbbT6_jjT7_P12ihipStream_tbENKUlT_T0_SK_SP_E_clISE_SE_SF_SF_EEDaS13_S14_SK_SP_EUlS13_E_NS1_11comp_targetILNS1_3genE10ELNS1_11target_archE1201ELNS1_3gpuE5ELNS1_3repE0EEENS1_47radix_sort_onesweep_sort_config_static_selectorELNS0_4arch9wavefront6targetE0EEEvSK_: ; @_ZN7rocprim17ROCPRIM_400000_NS6detail17trampoline_kernelINS0_14default_configENS1_35radix_sort_onesweep_config_selectorIiNS0_10empty_typeEEEZZNS1_29radix_sort_onesweep_iterationIS3_Lb0EN6thrust23THRUST_200600_302600_NS6detail15normal_iteratorINS9_10device_ptrIiEEEESE_PS5_SF_jNS0_19identity_decomposerENS1_16block_id_wrapperIjLb1EEEEE10hipError_tT1_PNSt15iterator_traitsISK_E10value_typeET2_T3_PNSL_ISQ_E10value_typeET4_T5_PSV_SW_PNS1_23onesweep_lookback_stateEbbT6_jjT7_P12ihipStream_tbENKUlT_T0_SK_SP_E_clISE_SE_SF_SF_EEDaS13_S14_SK_SP_EUlS13_E_NS1_11comp_targetILNS1_3genE10ELNS1_11target_archE1201ELNS1_3gpuE5ELNS1_3repE0EEENS1_47radix_sort_onesweep_sort_config_static_selectorELNS0_4arch9wavefront6targetE0EEEvSK_
; %bb.0:
	.section	.rodata,"a",@progbits
	.p2align	6, 0x0
	.amdhsa_kernel _ZN7rocprim17ROCPRIM_400000_NS6detail17trampoline_kernelINS0_14default_configENS1_35radix_sort_onesweep_config_selectorIiNS0_10empty_typeEEEZZNS1_29radix_sort_onesweep_iterationIS3_Lb0EN6thrust23THRUST_200600_302600_NS6detail15normal_iteratorINS9_10device_ptrIiEEEESE_PS5_SF_jNS0_19identity_decomposerENS1_16block_id_wrapperIjLb1EEEEE10hipError_tT1_PNSt15iterator_traitsISK_E10value_typeET2_T3_PNSL_ISQ_E10value_typeET4_T5_PSV_SW_PNS1_23onesweep_lookback_stateEbbT6_jjT7_P12ihipStream_tbENKUlT_T0_SK_SP_E_clISE_SE_SF_SF_EEDaS13_S14_SK_SP_EUlS13_E_NS1_11comp_targetILNS1_3genE10ELNS1_11target_archE1201ELNS1_3gpuE5ELNS1_3repE0EEENS1_47radix_sort_onesweep_sort_config_static_selectorELNS0_4arch9wavefront6targetE0EEEvSK_
		.amdhsa_group_segment_fixed_size 0
		.amdhsa_private_segment_fixed_size 0
		.amdhsa_kernarg_size 88
		.amdhsa_user_sgpr_count 6
		.amdhsa_user_sgpr_private_segment_buffer 1
		.amdhsa_user_sgpr_dispatch_ptr 0
		.amdhsa_user_sgpr_queue_ptr 0
		.amdhsa_user_sgpr_kernarg_segment_ptr 1
		.amdhsa_user_sgpr_dispatch_id 0
		.amdhsa_user_sgpr_flat_scratch_init 0
		.amdhsa_user_sgpr_private_segment_size 0
		.amdhsa_wavefront_size32 1
		.amdhsa_uses_dynamic_stack 0
		.amdhsa_system_sgpr_private_segment_wavefront_offset 0
		.amdhsa_system_sgpr_workgroup_id_x 1
		.amdhsa_system_sgpr_workgroup_id_y 0
		.amdhsa_system_sgpr_workgroup_id_z 0
		.amdhsa_system_sgpr_workgroup_info 0
		.amdhsa_system_vgpr_workitem_id 0
		.amdhsa_next_free_vgpr 1
		.amdhsa_next_free_sgpr 1
		.amdhsa_reserve_vcc 0
		.amdhsa_reserve_flat_scratch 0
		.amdhsa_float_round_mode_32 0
		.amdhsa_float_round_mode_16_64 0
		.amdhsa_float_denorm_mode_32 3
		.amdhsa_float_denorm_mode_16_64 3
		.amdhsa_dx10_clamp 1
		.amdhsa_ieee_mode 1
		.amdhsa_fp16_overflow 0
		.amdhsa_workgroup_processor_mode 1
		.amdhsa_memory_ordered 1
		.amdhsa_forward_progress 1
		.amdhsa_shared_vgpr_count 0
		.amdhsa_exception_fp_ieee_invalid_op 0
		.amdhsa_exception_fp_denorm_src 0
		.amdhsa_exception_fp_ieee_div_zero 0
		.amdhsa_exception_fp_ieee_overflow 0
		.amdhsa_exception_fp_ieee_underflow 0
		.amdhsa_exception_fp_ieee_inexact 0
		.amdhsa_exception_int_div_zero 0
	.end_amdhsa_kernel
	.section	.text._ZN7rocprim17ROCPRIM_400000_NS6detail17trampoline_kernelINS0_14default_configENS1_35radix_sort_onesweep_config_selectorIiNS0_10empty_typeEEEZZNS1_29radix_sort_onesweep_iterationIS3_Lb0EN6thrust23THRUST_200600_302600_NS6detail15normal_iteratorINS9_10device_ptrIiEEEESE_PS5_SF_jNS0_19identity_decomposerENS1_16block_id_wrapperIjLb1EEEEE10hipError_tT1_PNSt15iterator_traitsISK_E10value_typeET2_T3_PNSL_ISQ_E10value_typeET4_T5_PSV_SW_PNS1_23onesweep_lookback_stateEbbT6_jjT7_P12ihipStream_tbENKUlT_T0_SK_SP_E_clISE_SE_SF_SF_EEDaS13_S14_SK_SP_EUlS13_E_NS1_11comp_targetILNS1_3genE10ELNS1_11target_archE1201ELNS1_3gpuE5ELNS1_3repE0EEENS1_47radix_sort_onesweep_sort_config_static_selectorELNS0_4arch9wavefront6targetE0EEEvSK_,"axG",@progbits,_ZN7rocprim17ROCPRIM_400000_NS6detail17trampoline_kernelINS0_14default_configENS1_35radix_sort_onesweep_config_selectorIiNS0_10empty_typeEEEZZNS1_29radix_sort_onesweep_iterationIS3_Lb0EN6thrust23THRUST_200600_302600_NS6detail15normal_iteratorINS9_10device_ptrIiEEEESE_PS5_SF_jNS0_19identity_decomposerENS1_16block_id_wrapperIjLb1EEEEE10hipError_tT1_PNSt15iterator_traitsISK_E10value_typeET2_T3_PNSL_ISQ_E10value_typeET4_T5_PSV_SW_PNS1_23onesweep_lookback_stateEbbT6_jjT7_P12ihipStream_tbENKUlT_T0_SK_SP_E_clISE_SE_SF_SF_EEDaS13_S14_SK_SP_EUlS13_E_NS1_11comp_targetILNS1_3genE10ELNS1_11target_archE1201ELNS1_3gpuE5ELNS1_3repE0EEENS1_47radix_sort_onesweep_sort_config_static_selectorELNS0_4arch9wavefront6targetE0EEEvSK_,comdat
.Lfunc_end165:
	.size	_ZN7rocprim17ROCPRIM_400000_NS6detail17trampoline_kernelINS0_14default_configENS1_35radix_sort_onesweep_config_selectorIiNS0_10empty_typeEEEZZNS1_29radix_sort_onesweep_iterationIS3_Lb0EN6thrust23THRUST_200600_302600_NS6detail15normal_iteratorINS9_10device_ptrIiEEEESE_PS5_SF_jNS0_19identity_decomposerENS1_16block_id_wrapperIjLb1EEEEE10hipError_tT1_PNSt15iterator_traitsISK_E10value_typeET2_T3_PNSL_ISQ_E10value_typeET4_T5_PSV_SW_PNS1_23onesweep_lookback_stateEbbT6_jjT7_P12ihipStream_tbENKUlT_T0_SK_SP_E_clISE_SE_SF_SF_EEDaS13_S14_SK_SP_EUlS13_E_NS1_11comp_targetILNS1_3genE10ELNS1_11target_archE1201ELNS1_3gpuE5ELNS1_3repE0EEENS1_47radix_sort_onesweep_sort_config_static_selectorELNS0_4arch9wavefront6targetE0EEEvSK_, .Lfunc_end165-_ZN7rocprim17ROCPRIM_400000_NS6detail17trampoline_kernelINS0_14default_configENS1_35radix_sort_onesweep_config_selectorIiNS0_10empty_typeEEEZZNS1_29radix_sort_onesweep_iterationIS3_Lb0EN6thrust23THRUST_200600_302600_NS6detail15normal_iteratorINS9_10device_ptrIiEEEESE_PS5_SF_jNS0_19identity_decomposerENS1_16block_id_wrapperIjLb1EEEEE10hipError_tT1_PNSt15iterator_traitsISK_E10value_typeET2_T3_PNSL_ISQ_E10value_typeET4_T5_PSV_SW_PNS1_23onesweep_lookback_stateEbbT6_jjT7_P12ihipStream_tbENKUlT_T0_SK_SP_E_clISE_SE_SF_SF_EEDaS13_S14_SK_SP_EUlS13_E_NS1_11comp_targetILNS1_3genE10ELNS1_11target_archE1201ELNS1_3gpuE5ELNS1_3repE0EEENS1_47radix_sort_onesweep_sort_config_static_selectorELNS0_4arch9wavefront6targetE0EEEvSK_
                                        ; -- End function
	.set _ZN7rocprim17ROCPRIM_400000_NS6detail17trampoline_kernelINS0_14default_configENS1_35radix_sort_onesweep_config_selectorIiNS0_10empty_typeEEEZZNS1_29radix_sort_onesweep_iterationIS3_Lb0EN6thrust23THRUST_200600_302600_NS6detail15normal_iteratorINS9_10device_ptrIiEEEESE_PS5_SF_jNS0_19identity_decomposerENS1_16block_id_wrapperIjLb1EEEEE10hipError_tT1_PNSt15iterator_traitsISK_E10value_typeET2_T3_PNSL_ISQ_E10value_typeET4_T5_PSV_SW_PNS1_23onesweep_lookback_stateEbbT6_jjT7_P12ihipStream_tbENKUlT_T0_SK_SP_E_clISE_SE_SF_SF_EEDaS13_S14_SK_SP_EUlS13_E_NS1_11comp_targetILNS1_3genE10ELNS1_11target_archE1201ELNS1_3gpuE5ELNS1_3repE0EEENS1_47radix_sort_onesweep_sort_config_static_selectorELNS0_4arch9wavefront6targetE0EEEvSK_.num_vgpr, 0
	.set _ZN7rocprim17ROCPRIM_400000_NS6detail17trampoline_kernelINS0_14default_configENS1_35radix_sort_onesweep_config_selectorIiNS0_10empty_typeEEEZZNS1_29radix_sort_onesweep_iterationIS3_Lb0EN6thrust23THRUST_200600_302600_NS6detail15normal_iteratorINS9_10device_ptrIiEEEESE_PS5_SF_jNS0_19identity_decomposerENS1_16block_id_wrapperIjLb1EEEEE10hipError_tT1_PNSt15iterator_traitsISK_E10value_typeET2_T3_PNSL_ISQ_E10value_typeET4_T5_PSV_SW_PNS1_23onesweep_lookback_stateEbbT6_jjT7_P12ihipStream_tbENKUlT_T0_SK_SP_E_clISE_SE_SF_SF_EEDaS13_S14_SK_SP_EUlS13_E_NS1_11comp_targetILNS1_3genE10ELNS1_11target_archE1201ELNS1_3gpuE5ELNS1_3repE0EEENS1_47radix_sort_onesweep_sort_config_static_selectorELNS0_4arch9wavefront6targetE0EEEvSK_.num_agpr, 0
	.set _ZN7rocprim17ROCPRIM_400000_NS6detail17trampoline_kernelINS0_14default_configENS1_35radix_sort_onesweep_config_selectorIiNS0_10empty_typeEEEZZNS1_29radix_sort_onesweep_iterationIS3_Lb0EN6thrust23THRUST_200600_302600_NS6detail15normal_iteratorINS9_10device_ptrIiEEEESE_PS5_SF_jNS0_19identity_decomposerENS1_16block_id_wrapperIjLb1EEEEE10hipError_tT1_PNSt15iterator_traitsISK_E10value_typeET2_T3_PNSL_ISQ_E10value_typeET4_T5_PSV_SW_PNS1_23onesweep_lookback_stateEbbT6_jjT7_P12ihipStream_tbENKUlT_T0_SK_SP_E_clISE_SE_SF_SF_EEDaS13_S14_SK_SP_EUlS13_E_NS1_11comp_targetILNS1_3genE10ELNS1_11target_archE1201ELNS1_3gpuE5ELNS1_3repE0EEENS1_47radix_sort_onesweep_sort_config_static_selectorELNS0_4arch9wavefront6targetE0EEEvSK_.numbered_sgpr, 0
	.set _ZN7rocprim17ROCPRIM_400000_NS6detail17trampoline_kernelINS0_14default_configENS1_35radix_sort_onesweep_config_selectorIiNS0_10empty_typeEEEZZNS1_29radix_sort_onesweep_iterationIS3_Lb0EN6thrust23THRUST_200600_302600_NS6detail15normal_iteratorINS9_10device_ptrIiEEEESE_PS5_SF_jNS0_19identity_decomposerENS1_16block_id_wrapperIjLb1EEEEE10hipError_tT1_PNSt15iterator_traitsISK_E10value_typeET2_T3_PNSL_ISQ_E10value_typeET4_T5_PSV_SW_PNS1_23onesweep_lookback_stateEbbT6_jjT7_P12ihipStream_tbENKUlT_T0_SK_SP_E_clISE_SE_SF_SF_EEDaS13_S14_SK_SP_EUlS13_E_NS1_11comp_targetILNS1_3genE10ELNS1_11target_archE1201ELNS1_3gpuE5ELNS1_3repE0EEENS1_47radix_sort_onesweep_sort_config_static_selectorELNS0_4arch9wavefront6targetE0EEEvSK_.num_named_barrier, 0
	.set _ZN7rocprim17ROCPRIM_400000_NS6detail17trampoline_kernelINS0_14default_configENS1_35radix_sort_onesweep_config_selectorIiNS0_10empty_typeEEEZZNS1_29radix_sort_onesweep_iterationIS3_Lb0EN6thrust23THRUST_200600_302600_NS6detail15normal_iteratorINS9_10device_ptrIiEEEESE_PS5_SF_jNS0_19identity_decomposerENS1_16block_id_wrapperIjLb1EEEEE10hipError_tT1_PNSt15iterator_traitsISK_E10value_typeET2_T3_PNSL_ISQ_E10value_typeET4_T5_PSV_SW_PNS1_23onesweep_lookback_stateEbbT6_jjT7_P12ihipStream_tbENKUlT_T0_SK_SP_E_clISE_SE_SF_SF_EEDaS13_S14_SK_SP_EUlS13_E_NS1_11comp_targetILNS1_3genE10ELNS1_11target_archE1201ELNS1_3gpuE5ELNS1_3repE0EEENS1_47radix_sort_onesweep_sort_config_static_selectorELNS0_4arch9wavefront6targetE0EEEvSK_.private_seg_size, 0
	.set _ZN7rocprim17ROCPRIM_400000_NS6detail17trampoline_kernelINS0_14default_configENS1_35radix_sort_onesweep_config_selectorIiNS0_10empty_typeEEEZZNS1_29radix_sort_onesweep_iterationIS3_Lb0EN6thrust23THRUST_200600_302600_NS6detail15normal_iteratorINS9_10device_ptrIiEEEESE_PS5_SF_jNS0_19identity_decomposerENS1_16block_id_wrapperIjLb1EEEEE10hipError_tT1_PNSt15iterator_traitsISK_E10value_typeET2_T3_PNSL_ISQ_E10value_typeET4_T5_PSV_SW_PNS1_23onesweep_lookback_stateEbbT6_jjT7_P12ihipStream_tbENKUlT_T0_SK_SP_E_clISE_SE_SF_SF_EEDaS13_S14_SK_SP_EUlS13_E_NS1_11comp_targetILNS1_3genE10ELNS1_11target_archE1201ELNS1_3gpuE5ELNS1_3repE0EEENS1_47radix_sort_onesweep_sort_config_static_selectorELNS0_4arch9wavefront6targetE0EEEvSK_.uses_vcc, 0
	.set _ZN7rocprim17ROCPRIM_400000_NS6detail17trampoline_kernelINS0_14default_configENS1_35radix_sort_onesweep_config_selectorIiNS0_10empty_typeEEEZZNS1_29radix_sort_onesweep_iterationIS3_Lb0EN6thrust23THRUST_200600_302600_NS6detail15normal_iteratorINS9_10device_ptrIiEEEESE_PS5_SF_jNS0_19identity_decomposerENS1_16block_id_wrapperIjLb1EEEEE10hipError_tT1_PNSt15iterator_traitsISK_E10value_typeET2_T3_PNSL_ISQ_E10value_typeET4_T5_PSV_SW_PNS1_23onesweep_lookback_stateEbbT6_jjT7_P12ihipStream_tbENKUlT_T0_SK_SP_E_clISE_SE_SF_SF_EEDaS13_S14_SK_SP_EUlS13_E_NS1_11comp_targetILNS1_3genE10ELNS1_11target_archE1201ELNS1_3gpuE5ELNS1_3repE0EEENS1_47radix_sort_onesweep_sort_config_static_selectorELNS0_4arch9wavefront6targetE0EEEvSK_.uses_flat_scratch, 0
	.set _ZN7rocprim17ROCPRIM_400000_NS6detail17trampoline_kernelINS0_14default_configENS1_35radix_sort_onesweep_config_selectorIiNS0_10empty_typeEEEZZNS1_29radix_sort_onesweep_iterationIS3_Lb0EN6thrust23THRUST_200600_302600_NS6detail15normal_iteratorINS9_10device_ptrIiEEEESE_PS5_SF_jNS0_19identity_decomposerENS1_16block_id_wrapperIjLb1EEEEE10hipError_tT1_PNSt15iterator_traitsISK_E10value_typeET2_T3_PNSL_ISQ_E10value_typeET4_T5_PSV_SW_PNS1_23onesweep_lookback_stateEbbT6_jjT7_P12ihipStream_tbENKUlT_T0_SK_SP_E_clISE_SE_SF_SF_EEDaS13_S14_SK_SP_EUlS13_E_NS1_11comp_targetILNS1_3genE10ELNS1_11target_archE1201ELNS1_3gpuE5ELNS1_3repE0EEENS1_47radix_sort_onesweep_sort_config_static_selectorELNS0_4arch9wavefront6targetE0EEEvSK_.has_dyn_sized_stack, 0
	.set _ZN7rocprim17ROCPRIM_400000_NS6detail17trampoline_kernelINS0_14default_configENS1_35radix_sort_onesweep_config_selectorIiNS0_10empty_typeEEEZZNS1_29radix_sort_onesweep_iterationIS3_Lb0EN6thrust23THRUST_200600_302600_NS6detail15normal_iteratorINS9_10device_ptrIiEEEESE_PS5_SF_jNS0_19identity_decomposerENS1_16block_id_wrapperIjLb1EEEEE10hipError_tT1_PNSt15iterator_traitsISK_E10value_typeET2_T3_PNSL_ISQ_E10value_typeET4_T5_PSV_SW_PNS1_23onesweep_lookback_stateEbbT6_jjT7_P12ihipStream_tbENKUlT_T0_SK_SP_E_clISE_SE_SF_SF_EEDaS13_S14_SK_SP_EUlS13_E_NS1_11comp_targetILNS1_3genE10ELNS1_11target_archE1201ELNS1_3gpuE5ELNS1_3repE0EEENS1_47radix_sort_onesweep_sort_config_static_selectorELNS0_4arch9wavefront6targetE0EEEvSK_.has_recursion, 0
	.set _ZN7rocprim17ROCPRIM_400000_NS6detail17trampoline_kernelINS0_14default_configENS1_35radix_sort_onesweep_config_selectorIiNS0_10empty_typeEEEZZNS1_29radix_sort_onesweep_iterationIS3_Lb0EN6thrust23THRUST_200600_302600_NS6detail15normal_iteratorINS9_10device_ptrIiEEEESE_PS5_SF_jNS0_19identity_decomposerENS1_16block_id_wrapperIjLb1EEEEE10hipError_tT1_PNSt15iterator_traitsISK_E10value_typeET2_T3_PNSL_ISQ_E10value_typeET4_T5_PSV_SW_PNS1_23onesweep_lookback_stateEbbT6_jjT7_P12ihipStream_tbENKUlT_T0_SK_SP_E_clISE_SE_SF_SF_EEDaS13_S14_SK_SP_EUlS13_E_NS1_11comp_targetILNS1_3genE10ELNS1_11target_archE1201ELNS1_3gpuE5ELNS1_3repE0EEENS1_47radix_sort_onesweep_sort_config_static_selectorELNS0_4arch9wavefront6targetE0EEEvSK_.has_indirect_call, 0
	.section	.AMDGPU.csdata,"",@progbits
; Kernel info:
; codeLenInByte = 0
; TotalNumSgprs: 0
; NumVgprs: 0
; ScratchSize: 0
; MemoryBound: 0
; FloatMode: 240
; IeeeMode: 1
; LDSByteSize: 0 bytes/workgroup (compile time only)
; SGPRBlocks: 0
; VGPRBlocks: 0
; NumSGPRsForWavesPerEU: 1
; NumVGPRsForWavesPerEU: 1
; Occupancy: 16
; WaveLimiterHint : 0
; COMPUTE_PGM_RSRC2:SCRATCH_EN: 0
; COMPUTE_PGM_RSRC2:USER_SGPR: 6
; COMPUTE_PGM_RSRC2:TRAP_HANDLER: 0
; COMPUTE_PGM_RSRC2:TGID_X_EN: 1
; COMPUTE_PGM_RSRC2:TGID_Y_EN: 0
; COMPUTE_PGM_RSRC2:TGID_Z_EN: 0
; COMPUTE_PGM_RSRC2:TIDIG_COMP_CNT: 0
	.section	.text._ZN7rocprim17ROCPRIM_400000_NS6detail17trampoline_kernelINS0_14default_configENS1_35radix_sort_onesweep_config_selectorIiNS0_10empty_typeEEEZZNS1_29radix_sort_onesweep_iterationIS3_Lb0EN6thrust23THRUST_200600_302600_NS6detail15normal_iteratorINS9_10device_ptrIiEEEESE_PS5_SF_jNS0_19identity_decomposerENS1_16block_id_wrapperIjLb1EEEEE10hipError_tT1_PNSt15iterator_traitsISK_E10value_typeET2_T3_PNSL_ISQ_E10value_typeET4_T5_PSV_SW_PNS1_23onesweep_lookback_stateEbbT6_jjT7_P12ihipStream_tbENKUlT_T0_SK_SP_E_clISE_SE_SF_SF_EEDaS13_S14_SK_SP_EUlS13_E_NS1_11comp_targetILNS1_3genE9ELNS1_11target_archE1100ELNS1_3gpuE3ELNS1_3repE0EEENS1_47radix_sort_onesweep_sort_config_static_selectorELNS0_4arch9wavefront6targetE0EEEvSK_,"axG",@progbits,_ZN7rocprim17ROCPRIM_400000_NS6detail17trampoline_kernelINS0_14default_configENS1_35radix_sort_onesweep_config_selectorIiNS0_10empty_typeEEEZZNS1_29radix_sort_onesweep_iterationIS3_Lb0EN6thrust23THRUST_200600_302600_NS6detail15normal_iteratorINS9_10device_ptrIiEEEESE_PS5_SF_jNS0_19identity_decomposerENS1_16block_id_wrapperIjLb1EEEEE10hipError_tT1_PNSt15iterator_traitsISK_E10value_typeET2_T3_PNSL_ISQ_E10value_typeET4_T5_PSV_SW_PNS1_23onesweep_lookback_stateEbbT6_jjT7_P12ihipStream_tbENKUlT_T0_SK_SP_E_clISE_SE_SF_SF_EEDaS13_S14_SK_SP_EUlS13_E_NS1_11comp_targetILNS1_3genE9ELNS1_11target_archE1100ELNS1_3gpuE3ELNS1_3repE0EEENS1_47radix_sort_onesweep_sort_config_static_selectorELNS0_4arch9wavefront6targetE0EEEvSK_,comdat
	.protected	_ZN7rocprim17ROCPRIM_400000_NS6detail17trampoline_kernelINS0_14default_configENS1_35radix_sort_onesweep_config_selectorIiNS0_10empty_typeEEEZZNS1_29radix_sort_onesweep_iterationIS3_Lb0EN6thrust23THRUST_200600_302600_NS6detail15normal_iteratorINS9_10device_ptrIiEEEESE_PS5_SF_jNS0_19identity_decomposerENS1_16block_id_wrapperIjLb1EEEEE10hipError_tT1_PNSt15iterator_traitsISK_E10value_typeET2_T3_PNSL_ISQ_E10value_typeET4_T5_PSV_SW_PNS1_23onesweep_lookback_stateEbbT6_jjT7_P12ihipStream_tbENKUlT_T0_SK_SP_E_clISE_SE_SF_SF_EEDaS13_S14_SK_SP_EUlS13_E_NS1_11comp_targetILNS1_3genE9ELNS1_11target_archE1100ELNS1_3gpuE3ELNS1_3repE0EEENS1_47radix_sort_onesweep_sort_config_static_selectorELNS0_4arch9wavefront6targetE0EEEvSK_ ; -- Begin function _ZN7rocprim17ROCPRIM_400000_NS6detail17trampoline_kernelINS0_14default_configENS1_35radix_sort_onesweep_config_selectorIiNS0_10empty_typeEEEZZNS1_29radix_sort_onesweep_iterationIS3_Lb0EN6thrust23THRUST_200600_302600_NS6detail15normal_iteratorINS9_10device_ptrIiEEEESE_PS5_SF_jNS0_19identity_decomposerENS1_16block_id_wrapperIjLb1EEEEE10hipError_tT1_PNSt15iterator_traitsISK_E10value_typeET2_T3_PNSL_ISQ_E10value_typeET4_T5_PSV_SW_PNS1_23onesweep_lookback_stateEbbT6_jjT7_P12ihipStream_tbENKUlT_T0_SK_SP_E_clISE_SE_SF_SF_EEDaS13_S14_SK_SP_EUlS13_E_NS1_11comp_targetILNS1_3genE9ELNS1_11target_archE1100ELNS1_3gpuE3ELNS1_3repE0EEENS1_47radix_sort_onesweep_sort_config_static_selectorELNS0_4arch9wavefront6targetE0EEEvSK_
	.globl	_ZN7rocprim17ROCPRIM_400000_NS6detail17trampoline_kernelINS0_14default_configENS1_35radix_sort_onesweep_config_selectorIiNS0_10empty_typeEEEZZNS1_29radix_sort_onesweep_iterationIS3_Lb0EN6thrust23THRUST_200600_302600_NS6detail15normal_iteratorINS9_10device_ptrIiEEEESE_PS5_SF_jNS0_19identity_decomposerENS1_16block_id_wrapperIjLb1EEEEE10hipError_tT1_PNSt15iterator_traitsISK_E10value_typeET2_T3_PNSL_ISQ_E10value_typeET4_T5_PSV_SW_PNS1_23onesweep_lookback_stateEbbT6_jjT7_P12ihipStream_tbENKUlT_T0_SK_SP_E_clISE_SE_SF_SF_EEDaS13_S14_SK_SP_EUlS13_E_NS1_11comp_targetILNS1_3genE9ELNS1_11target_archE1100ELNS1_3gpuE3ELNS1_3repE0EEENS1_47radix_sort_onesweep_sort_config_static_selectorELNS0_4arch9wavefront6targetE0EEEvSK_
	.p2align	8
	.type	_ZN7rocprim17ROCPRIM_400000_NS6detail17trampoline_kernelINS0_14default_configENS1_35radix_sort_onesweep_config_selectorIiNS0_10empty_typeEEEZZNS1_29radix_sort_onesweep_iterationIS3_Lb0EN6thrust23THRUST_200600_302600_NS6detail15normal_iteratorINS9_10device_ptrIiEEEESE_PS5_SF_jNS0_19identity_decomposerENS1_16block_id_wrapperIjLb1EEEEE10hipError_tT1_PNSt15iterator_traitsISK_E10value_typeET2_T3_PNSL_ISQ_E10value_typeET4_T5_PSV_SW_PNS1_23onesweep_lookback_stateEbbT6_jjT7_P12ihipStream_tbENKUlT_T0_SK_SP_E_clISE_SE_SF_SF_EEDaS13_S14_SK_SP_EUlS13_E_NS1_11comp_targetILNS1_3genE9ELNS1_11target_archE1100ELNS1_3gpuE3ELNS1_3repE0EEENS1_47radix_sort_onesweep_sort_config_static_selectorELNS0_4arch9wavefront6targetE0EEEvSK_,@function
_ZN7rocprim17ROCPRIM_400000_NS6detail17trampoline_kernelINS0_14default_configENS1_35radix_sort_onesweep_config_selectorIiNS0_10empty_typeEEEZZNS1_29radix_sort_onesweep_iterationIS3_Lb0EN6thrust23THRUST_200600_302600_NS6detail15normal_iteratorINS9_10device_ptrIiEEEESE_PS5_SF_jNS0_19identity_decomposerENS1_16block_id_wrapperIjLb1EEEEE10hipError_tT1_PNSt15iterator_traitsISK_E10value_typeET2_T3_PNSL_ISQ_E10value_typeET4_T5_PSV_SW_PNS1_23onesweep_lookback_stateEbbT6_jjT7_P12ihipStream_tbENKUlT_T0_SK_SP_E_clISE_SE_SF_SF_EEDaS13_S14_SK_SP_EUlS13_E_NS1_11comp_targetILNS1_3genE9ELNS1_11target_archE1100ELNS1_3gpuE3ELNS1_3repE0EEENS1_47radix_sort_onesweep_sort_config_static_selectorELNS0_4arch9wavefront6targetE0EEEvSK_: ; @_ZN7rocprim17ROCPRIM_400000_NS6detail17trampoline_kernelINS0_14default_configENS1_35radix_sort_onesweep_config_selectorIiNS0_10empty_typeEEEZZNS1_29radix_sort_onesweep_iterationIS3_Lb0EN6thrust23THRUST_200600_302600_NS6detail15normal_iteratorINS9_10device_ptrIiEEEESE_PS5_SF_jNS0_19identity_decomposerENS1_16block_id_wrapperIjLb1EEEEE10hipError_tT1_PNSt15iterator_traitsISK_E10value_typeET2_T3_PNSL_ISQ_E10value_typeET4_T5_PSV_SW_PNS1_23onesweep_lookback_stateEbbT6_jjT7_P12ihipStream_tbENKUlT_T0_SK_SP_E_clISE_SE_SF_SF_EEDaS13_S14_SK_SP_EUlS13_E_NS1_11comp_targetILNS1_3genE9ELNS1_11target_archE1100ELNS1_3gpuE3ELNS1_3repE0EEENS1_47radix_sort_onesweep_sort_config_static_selectorELNS0_4arch9wavefront6targetE0EEEvSK_
; %bb.0:
	.section	.rodata,"a",@progbits
	.p2align	6, 0x0
	.amdhsa_kernel _ZN7rocprim17ROCPRIM_400000_NS6detail17trampoline_kernelINS0_14default_configENS1_35radix_sort_onesweep_config_selectorIiNS0_10empty_typeEEEZZNS1_29radix_sort_onesweep_iterationIS3_Lb0EN6thrust23THRUST_200600_302600_NS6detail15normal_iteratorINS9_10device_ptrIiEEEESE_PS5_SF_jNS0_19identity_decomposerENS1_16block_id_wrapperIjLb1EEEEE10hipError_tT1_PNSt15iterator_traitsISK_E10value_typeET2_T3_PNSL_ISQ_E10value_typeET4_T5_PSV_SW_PNS1_23onesweep_lookback_stateEbbT6_jjT7_P12ihipStream_tbENKUlT_T0_SK_SP_E_clISE_SE_SF_SF_EEDaS13_S14_SK_SP_EUlS13_E_NS1_11comp_targetILNS1_3genE9ELNS1_11target_archE1100ELNS1_3gpuE3ELNS1_3repE0EEENS1_47radix_sort_onesweep_sort_config_static_selectorELNS0_4arch9wavefront6targetE0EEEvSK_
		.amdhsa_group_segment_fixed_size 0
		.amdhsa_private_segment_fixed_size 0
		.amdhsa_kernarg_size 88
		.amdhsa_user_sgpr_count 6
		.amdhsa_user_sgpr_private_segment_buffer 1
		.amdhsa_user_sgpr_dispatch_ptr 0
		.amdhsa_user_sgpr_queue_ptr 0
		.amdhsa_user_sgpr_kernarg_segment_ptr 1
		.amdhsa_user_sgpr_dispatch_id 0
		.amdhsa_user_sgpr_flat_scratch_init 0
		.amdhsa_user_sgpr_private_segment_size 0
		.amdhsa_wavefront_size32 1
		.amdhsa_uses_dynamic_stack 0
		.amdhsa_system_sgpr_private_segment_wavefront_offset 0
		.amdhsa_system_sgpr_workgroup_id_x 1
		.amdhsa_system_sgpr_workgroup_id_y 0
		.amdhsa_system_sgpr_workgroup_id_z 0
		.amdhsa_system_sgpr_workgroup_info 0
		.amdhsa_system_vgpr_workitem_id 0
		.amdhsa_next_free_vgpr 1
		.amdhsa_next_free_sgpr 1
		.amdhsa_reserve_vcc 0
		.amdhsa_reserve_flat_scratch 0
		.amdhsa_float_round_mode_32 0
		.amdhsa_float_round_mode_16_64 0
		.amdhsa_float_denorm_mode_32 3
		.amdhsa_float_denorm_mode_16_64 3
		.amdhsa_dx10_clamp 1
		.amdhsa_ieee_mode 1
		.amdhsa_fp16_overflow 0
		.amdhsa_workgroup_processor_mode 1
		.amdhsa_memory_ordered 1
		.amdhsa_forward_progress 1
		.amdhsa_shared_vgpr_count 0
		.amdhsa_exception_fp_ieee_invalid_op 0
		.amdhsa_exception_fp_denorm_src 0
		.amdhsa_exception_fp_ieee_div_zero 0
		.amdhsa_exception_fp_ieee_overflow 0
		.amdhsa_exception_fp_ieee_underflow 0
		.amdhsa_exception_fp_ieee_inexact 0
		.amdhsa_exception_int_div_zero 0
	.end_amdhsa_kernel
	.section	.text._ZN7rocprim17ROCPRIM_400000_NS6detail17trampoline_kernelINS0_14default_configENS1_35radix_sort_onesweep_config_selectorIiNS0_10empty_typeEEEZZNS1_29radix_sort_onesweep_iterationIS3_Lb0EN6thrust23THRUST_200600_302600_NS6detail15normal_iteratorINS9_10device_ptrIiEEEESE_PS5_SF_jNS0_19identity_decomposerENS1_16block_id_wrapperIjLb1EEEEE10hipError_tT1_PNSt15iterator_traitsISK_E10value_typeET2_T3_PNSL_ISQ_E10value_typeET4_T5_PSV_SW_PNS1_23onesweep_lookback_stateEbbT6_jjT7_P12ihipStream_tbENKUlT_T0_SK_SP_E_clISE_SE_SF_SF_EEDaS13_S14_SK_SP_EUlS13_E_NS1_11comp_targetILNS1_3genE9ELNS1_11target_archE1100ELNS1_3gpuE3ELNS1_3repE0EEENS1_47radix_sort_onesweep_sort_config_static_selectorELNS0_4arch9wavefront6targetE0EEEvSK_,"axG",@progbits,_ZN7rocprim17ROCPRIM_400000_NS6detail17trampoline_kernelINS0_14default_configENS1_35radix_sort_onesweep_config_selectorIiNS0_10empty_typeEEEZZNS1_29radix_sort_onesweep_iterationIS3_Lb0EN6thrust23THRUST_200600_302600_NS6detail15normal_iteratorINS9_10device_ptrIiEEEESE_PS5_SF_jNS0_19identity_decomposerENS1_16block_id_wrapperIjLb1EEEEE10hipError_tT1_PNSt15iterator_traitsISK_E10value_typeET2_T3_PNSL_ISQ_E10value_typeET4_T5_PSV_SW_PNS1_23onesweep_lookback_stateEbbT6_jjT7_P12ihipStream_tbENKUlT_T0_SK_SP_E_clISE_SE_SF_SF_EEDaS13_S14_SK_SP_EUlS13_E_NS1_11comp_targetILNS1_3genE9ELNS1_11target_archE1100ELNS1_3gpuE3ELNS1_3repE0EEENS1_47radix_sort_onesweep_sort_config_static_selectorELNS0_4arch9wavefront6targetE0EEEvSK_,comdat
.Lfunc_end166:
	.size	_ZN7rocprim17ROCPRIM_400000_NS6detail17trampoline_kernelINS0_14default_configENS1_35radix_sort_onesweep_config_selectorIiNS0_10empty_typeEEEZZNS1_29radix_sort_onesweep_iterationIS3_Lb0EN6thrust23THRUST_200600_302600_NS6detail15normal_iteratorINS9_10device_ptrIiEEEESE_PS5_SF_jNS0_19identity_decomposerENS1_16block_id_wrapperIjLb1EEEEE10hipError_tT1_PNSt15iterator_traitsISK_E10value_typeET2_T3_PNSL_ISQ_E10value_typeET4_T5_PSV_SW_PNS1_23onesweep_lookback_stateEbbT6_jjT7_P12ihipStream_tbENKUlT_T0_SK_SP_E_clISE_SE_SF_SF_EEDaS13_S14_SK_SP_EUlS13_E_NS1_11comp_targetILNS1_3genE9ELNS1_11target_archE1100ELNS1_3gpuE3ELNS1_3repE0EEENS1_47radix_sort_onesweep_sort_config_static_selectorELNS0_4arch9wavefront6targetE0EEEvSK_, .Lfunc_end166-_ZN7rocprim17ROCPRIM_400000_NS6detail17trampoline_kernelINS0_14default_configENS1_35radix_sort_onesweep_config_selectorIiNS0_10empty_typeEEEZZNS1_29radix_sort_onesweep_iterationIS3_Lb0EN6thrust23THRUST_200600_302600_NS6detail15normal_iteratorINS9_10device_ptrIiEEEESE_PS5_SF_jNS0_19identity_decomposerENS1_16block_id_wrapperIjLb1EEEEE10hipError_tT1_PNSt15iterator_traitsISK_E10value_typeET2_T3_PNSL_ISQ_E10value_typeET4_T5_PSV_SW_PNS1_23onesweep_lookback_stateEbbT6_jjT7_P12ihipStream_tbENKUlT_T0_SK_SP_E_clISE_SE_SF_SF_EEDaS13_S14_SK_SP_EUlS13_E_NS1_11comp_targetILNS1_3genE9ELNS1_11target_archE1100ELNS1_3gpuE3ELNS1_3repE0EEENS1_47radix_sort_onesweep_sort_config_static_selectorELNS0_4arch9wavefront6targetE0EEEvSK_
                                        ; -- End function
	.set _ZN7rocprim17ROCPRIM_400000_NS6detail17trampoline_kernelINS0_14default_configENS1_35radix_sort_onesweep_config_selectorIiNS0_10empty_typeEEEZZNS1_29radix_sort_onesweep_iterationIS3_Lb0EN6thrust23THRUST_200600_302600_NS6detail15normal_iteratorINS9_10device_ptrIiEEEESE_PS5_SF_jNS0_19identity_decomposerENS1_16block_id_wrapperIjLb1EEEEE10hipError_tT1_PNSt15iterator_traitsISK_E10value_typeET2_T3_PNSL_ISQ_E10value_typeET4_T5_PSV_SW_PNS1_23onesweep_lookback_stateEbbT6_jjT7_P12ihipStream_tbENKUlT_T0_SK_SP_E_clISE_SE_SF_SF_EEDaS13_S14_SK_SP_EUlS13_E_NS1_11comp_targetILNS1_3genE9ELNS1_11target_archE1100ELNS1_3gpuE3ELNS1_3repE0EEENS1_47radix_sort_onesweep_sort_config_static_selectorELNS0_4arch9wavefront6targetE0EEEvSK_.num_vgpr, 0
	.set _ZN7rocprim17ROCPRIM_400000_NS6detail17trampoline_kernelINS0_14default_configENS1_35radix_sort_onesweep_config_selectorIiNS0_10empty_typeEEEZZNS1_29radix_sort_onesweep_iterationIS3_Lb0EN6thrust23THRUST_200600_302600_NS6detail15normal_iteratorINS9_10device_ptrIiEEEESE_PS5_SF_jNS0_19identity_decomposerENS1_16block_id_wrapperIjLb1EEEEE10hipError_tT1_PNSt15iterator_traitsISK_E10value_typeET2_T3_PNSL_ISQ_E10value_typeET4_T5_PSV_SW_PNS1_23onesweep_lookback_stateEbbT6_jjT7_P12ihipStream_tbENKUlT_T0_SK_SP_E_clISE_SE_SF_SF_EEDaS13_S14_SK_SP_EUlS13_E_NS1_11comp_targetILNS1_3genE9ELNS1_11target_archE1100ELNS1_3gpuE3ELNS1_3repE0EEENS1_47radix_sort_onesweep_sort_config_static_selectorELNS0_4arch9wavefront6targetE0EEEvSK_.num_agpr, 0
	.set _ZN7rocprim17ROCPRIM_400000_NS6detail17trampoline_kernelINS0_14default_configENS1_35radix_sort_onesweep_config_selectorIiNS0_10empty_typeEEEZZNS1_29radix_sort_onesweep_iterationIS3_Lb0EN6thrust23THRUST_200600_302600_NS6detail15normal_iteratorINS9_10device_ptrIiEEEESE_PS5_SF_jNS0_19identity_decomposerENS1_16block_id_wrapperIjLb1EEEEE10hipError_tT1_PNSt15iterator_traitsISK_E10value_typeET2_T3_PNSL_ISQ_E10value_typeET4_T5_PSV_SW_PNS1_23onesweep_lookback_stateEbbT6_jjT7_P12ihipStream_tbENKUlT_T0_SK_SP_E_clISE_SE_SF_SF_EEDaS13_S14_SK_SP_EUlS13_E_NS1_11comp_targetILNS1_3genE9ELNS1_11target_archE1100ELNS1_3gpuE3ELNS1_3repE0EEENS1_47radix_sort_onesweep_sort_config_static_selectorELNS0_4arch9wavefront6targetE0EEEvSK_.numbered_sgpr, 0
	.set _ZN7rocprim17ROCPRIM_400000_NS6detail17trampoline_kernelINS0_14default_configENS1_35radix_sort_onesweep_config_selectorIiNS0_10empty_typeEEEZZNS1_29radix_sort_onesweep_iterationIS3_Lb0EN6thrust23THRUST_200600_302600_NS6detail15normal_iteratorINS9_10device_ptrIiEEEESE_PS5_SF_jNS0_19identity_decomposerENS1_16block_id_wrapperIjLb1EEEEE10hipError_tT1_PNSt15iterator_traitsISK_E10value_typeET2_T3_PNSL_ISQ_E10value_typeET4_T5_PSV_SW_PNS1_23onesweep_lookback_stateEbbT6_jjT7_P12ihipStream_tbENKUlT_T0_SK_SP_E_clISE_SE_SF_SF_EEDaS13_S14_SK_SP_EUlS13_E_NS1_11comp_targetILNS1_3genE9ELNS1_11target_archE1100ELNS1_3gpuE3ELNS1_3repE0EEENS1_47radix_sort_onesweep_sort_config_static_selectorELNS0_4arch9wavefront6targetE0EEEvSK_.num_named_barrier, 0
	.set _ZN7rocprim17ROCPRIM_400000_NS6detail17trampoline_kernelINS0_14default_configENS1_35radix_sort_onesweep_config_selectorIiNS0_10empty_typeEEEZZNS1_29radix_sort_onesweep_iterationIS3_Lb0EN6thrust23THRUST_200600_302600_NS6detail15normal_iteratorINS9_10device_ptrIiEEEESE_PS5_SF_jNS0_19identity_decomposerENS1_16block_id_wrapperIjLb1EEEEE10hipError_tT1_PNSt15iterator_traitsISK_E10value_typeET2_T3_PNSL_ISQ_E10value_typeET4_T5_PSV_SW_PNS1_23onesweep_lookback_stateEbbT6_jjT7_P12ihipStream_tbENKUlT_T0_SK_SP_E_clISE_SE_SF_SF_EEDaS13_S14_SK_SP_EUlS13_E_NS1_11comp_targetILNS1_3genE9ELNS1_11target_archE1100ELNS1_3gpuE3ELNS1_3repE0EEENS1_47radix_sort_onesweep_sort_config_static_selectorELNS0_4arch9wavefront6targetE0EEEvSK_.private_seg_size, 0
	.set _ZN7rocprim17ROCPRIM_400000_NS6detail17trampoline_kernelINS0_14default_configENS1_35radix_sort_onesweep_config_selectorIiNS0_10empty_typeEEEZZNS1_29radix_sort_onesweep_iterationIS3_Lb0EN6thrust23THRUST_200600_302600_NS6detail15normal_iteratorINS9_10device_ptrIiEEEESE_PS5_SF_jNS0_19identity_decomposerENS1_16block_id_wrapperIjLb1EEEEE10hipError_tT1_PNSt15iterator_traitsISK_E10value_typeET2_T3_PNSL_ISQ_E10value_typeET4_T5_PSV_SW_PNS1_23onesweep_lookback_stateEbbT6_jjT7_P12ihipStream_tbENKUlT_T0_SK_SP_E_clISE_SE_SF_SF_EEDaS13_S14_SK_SP_EUlS13_E_NS1_11comp_targetILNS1_3genE9ELNS1_11target_archE1100ELNS1_3gpuE3ELNS1_3repE0EEENS1_47radix_sort_onesweep_sort_config_static_selectorELNS0_4arch9wavefront6targetE0EEEvSK_.uses_vcc, 0
	.set _ZN7rocprim17ROCPRIM_400000_NS6detail17trampoline_kernelINS0_14default_configENS1_35radix_sort_onesweep_config_selectorIiNS0_10empty_typeEEEZZNS1_29radix_sort_onesweep_iterationIS3_Lb0EN6thrust23THRUST_200600_302600_NS6detail15normal_iteratorINS9_10device_ptrIiEEEESE_PS5_SF_jNS0_19identity_decomposerENS1_16block_id_wrapperIjLb1EEEEE10hipError_tT1_PNSt15iterator_traitsISK_E10value_typeET2_T3_PNSL_ISQ_E10value_typeET4_T5_PSV_SW_PNS1_23onesweep_lookback_stateEbbT6_jjT7_P12ihipStream_tbENKUlT_T0_SK_SP_E_clISE_SE_SF_SF_EEDaS13_S14_SK_SP_EUlS13_E_NS1_11comp_targetILNS1_3genE9ELNS1_11target_archE1100ELNS1_3gpuE3ELNS1_3repE0EEENS1_47radix_sort_onesweep_sort_config_static_selectorELNS0_4arch9wavefront6targetE0EEEvSK_.uses_flat_scratch, 0
	.set _ZN7rocprim17ROCPRIM_400000_NS6detail17trampoline_kernelINS0_14default_configENS1_35radix_sort_onesweep_config_selectorIiNS0_10empty_typeEEEZZNS1_29radix_sort_onesweep_iterationIS3_Lb0EN6thrust23THRUST_200600_302600_NS6detail15normal_iteratorINS9_10device_ptrIiEEEESE_PS5_SF_jNS0_19identity_decomposerENS1_16block_id_wrapperIjLb1EEEEE10hipError_tT1_PNSt15iterator_traitsISK_E10value_typeET2_T3_PNSL_ISQ_E10value_typeET4_T5_PSV_SW_PNS1_23onesweep_lookback_stateEbbT6_jjT7_P12ihipStream_tbENKUlT_T0_SK_SP_E_clISE_SE_SF_SF_EEDaS13_S14_SK_SP_EUlS13_E_NS1_11comp_targetILNS1_3genE9ELNS1_11target_archE1100ELNS1_3gpuE3ELNS1_3repE0EEENS1_47radix_sort_onesweep_sort_config_static_selectorELNS0_4arch9wavefront6targetE0EEEvSK_.has_dyn_sized_stack, 0
	.set _ZN7rocprim17ROCPRIM_400000_NS6detail17trampoline_kernelINS0_14default_configENS1_35radix_sort_onesweep_config_selectorIiNS0_10empty_typeEEEZZNS1_29radix_sort_onesweep_iterationIS3_Lb0EN6thrust23THRUST_200600_302600_NS6detail15normal_iteratorINS9_10device_ptrIiEEEESE_PS5_SF_jNS0_19identity_decomposerENS1_16block_id_wrapperIjLb1EEEEE10hipError_tT1_PNSt15iterator_traitsISK_E10value_typeET2_T3_PNSL_ISQ_E10value_typeET4_T5_PSV_SW_PNS1_23onesweep_lookback_stateEbbT6_jjT7_P12ihipStream_tbENKUlT_T0_SK_SP_E_clISE_SE_SF_SF_EEDaS13_S14_SK_SP_EUlS13_E_NS1_11comp_targetILNS1_3genE9ELNS1_11target_archE1100ELNS1_3gpuE3ELNS1_3repE0EEENS1_47radix_sort_onesweep_sort_config_static_selectorELNS0_4arch9wavefront6targetE0EEEvSK_.has_recursion, 0
	.set _ZN7rocprim17ROCPRIM_400000_NS6detail17trampoline_kernelINS0_14default_configENS1_35radix_sort_onesweep_config_selectorIiNS0_10empty_typeEEEZZNS1_29radix_sort_onesweep_iterationIS3_Lb0EN6thrust23THRUST_200600_302600_NS6detail15normal_iteratorINS9_10device_ptrIiEEEESE_PS5_SF_jNS0_19identity_decomposerENS1_16block_id_wrapperIjLb1EEEEE10hipError_tT1_PNSt15iterator_traitsISK_E10value_typeET2_T3_PNSL_ISQ_E10value_typeET4_T5_PSV_SW_PNS1_23onesweep_lookback_stateEbbT6_jjT7_P12ihipStream_tbENKUlT_T0_SK_SP_E_clISE_SE_SF_SF_EEDaS13_S14_SK_SP_EUlS13_E_NS1_11comp_targetILNS1_3genE9ELNS1_11target_archE1100ELNS1_3gpuE3ELNS1_3repE0EEENS1_47radix_sort_onesweep_sort_config_static_selectorELNS0_4arch9wavefront6targetE0EEEvSK_.has_indirect_call, 0
	.section	.AMDGPU.csdata,"",@progbits
; Kernel info:
; codeLenInByte = 0
; TotalNumSgprs: 0
; NumVgprs: 0
; ScratchSize: 0
; MemoryBound: 0
; FloatMode: 240
; IeeeMode: 1
; LDSByteSize: 0 bytes/workgroup (compile time only)
; SGPRBlocks: 0
; VGPRBlocks: 0
; NumSGPRsForWavesPerEU: 1
; NumVGPRsForWavesPerEU: 1
; Occupancy: 16
; WaveLimiterHint : 0
; COMPUTE_PGM_RSRC2:SCRATCH_EN: 0
; COMPUTE_PGM_RSRC2:USER_SGPR: 6
; COMPUTE_PGM_RSRC2:TRAP_HANDLER: 0
; COMPUTE_PGM_RSRC2:TGID_X_EN: 1
; COMPUTE_PGM_RSRC2:TGID_Y_EN: 0
; COMPUTE_PGM_RSRC2:TGID_Z_EN: 0
; COMPUTE_PGM_RSRC2:TIDIG_COMP_CNT: 0
	.section	.text._ZN7rocprim17ROCPRIM_400000_NS6detail17trampoline_kernelINS0_14default_configENS1_35radix_sort_onesweep_config_selectorIiNS0_10empty_typeEEEZZNS1_29radix_sort_onesweep_iterationIS3_Lb0EN6thrust23THRUST_200600_302600_NS6detail15normal_iteratorINS9_10device_ptrIiEEEESE_PS5_SF_jNS0_19identity_decomposerENS1_16block_id_wrapperIjLb1EEEEE10hipError_tT1_PNSt15iterator_traitsISK_E10value_typeET2_T3_PNSL_ISQ_E10value_typeET4_T5_PSV_SW_PNS1_23onesweep_lookback_stateEbbT6_jjT7_P12ihipStream_tbENKUlT_T0_SK_SP_E_clISE_SE_SF_SF_EEDaS13_S14_SK_SP_EUlS13_E_NS1_11comp_targetILNS1_3genE8ELNS1_11target_archE1030ELNS1_3gpuE2ELNS1_3repE0EEENS1_47radix_sort_onesweep_sort_config_static_selectorELNS0_4arch9wavefront6targetE0EEEvSK_,"axG",@progbits,_ZN7rocprim17ROCPRIM_400000_NS6detail17trampoline_kernelINS0_14default_configENS1_35radix_sort_onesweep_config_selectorIiNS0_10empty_typeEEEZZNS1_29radix_sort_onesweep_iterationIS3_Lb0EN6thrust23THRUST_200600_302600_NS6detail15normal_iteratorINS9_10device_ptrIiEEEESE_PS5_SF_jNS0_19identity_decomposerENS1_16block_id_wrapperIjLb1EEEEE10hipError_tT1_PNSt15iterator_traitsISK_E10value_typeET2_T3_PNSL_ISQ_E10value_typeET4_T5_PSV_SW_PNS1_23onesweep_lookback_stateEbbT6_jjT7_P12ihipStream_tbENKUlT_T0_SK_SP_E_clISE_SE_SF_SF_EEDaS13_S14_SK_SP_EUlS13_E_NS1_11comp_targetILNS1_3genE8ELNS1_11target_archE1030ELNS1_3gpuE2ELNS1_3repE0EEENS1_47radix_sort_onesweep_sort_config_static_selectorELNS0_4arch9wavefront6targetE0EEEvSK_,comdat
	.protected	_ZN7rocprim17ROCPRIM_400000_NS6detail17trampoline_kernelINS0_14default_configENS1_35radix_sort_onesweep_config_selectorIiNS0_10empty_typeEEEZZNS1_29radix_sort_onesweep_iterationIS3_Lb0EN6thrust23THRUST_200600_302600_NS6detail15normal_iteratorINS9_10device_ptrIiEEEESE_PS5_SF_jNS0_19identity_decomposerENS1_16block_id_wrapperIjLb1EEEEE10hipError_tT1_PNSt15iterator_traitsISK_E10value_typeET2_T3_PNSL_ISQ_E10value_typeET4_T5_PSV_SW_PNS1_23onesweep_lookback_stateEbbT6_jjT7_P12ihipStream_tbENKUlT_T0_SK_SP_E_clISE_SE_SF_SF_EEDaS13_S14_SK_SP_EUlS13_E_NS1_11comp_targetILNS1_3genE8ELNS1_11target_archE1030ELNS1_3gpuE2ELNS1_3repE0EEENS1_47radix_sort_onesweep_sort_config_static_selectorELNS0_4arch9wavefront6targetE0EEEvSK_ ; -- Begin function _ZN7rocprim17ROCPRIM_400000_NS6detail17trampoline_kernelINS0_14default_configENS1_35radix_sort_onesweep_config_selectorIiNS0_10empty_typeEEEZZNS1_29radix_sort_onesweep_iterationIS3_Lb0EN6thrust23THRUST_200600_302600_NS6detail15normal_iteratorINS9_10device_ptrIiEEEESE_PS5_SF_jNS0_19identity_decomposerENS1_16block_id_wrapperIjLb1EEEEE10hipError_tT1_PNSt15iterator_traitsISK_E10value_typeET2_T3_PNSL_ISQ_E10value_typeET4_T5_PSV_SW_PNS1_23onesweep_lookback_stateEbbT6_jjT7_P12ihipStream_tbENKUlT_T0_SK_SP_E_clISE_SE_SF_SF_EEDaS13_S14_SK_SP_EUlS13_E_NS1_11comp_targetILNS1_3genE8ELNS1_11target_archE1030ELNS1_3gpuE2ELNS1_3repE0EEENS1_47radix_sort_onesweep_sort_config_static_selectorELNS0_4arch9wavefront6targetE0EEEvSK_
	.globl	_ZN7rocprim17ROCPRIM_400000_NS6detail17trampoline_kernelINS0_14default_configENS1_35radix_sort_onesweep_config_selectorIiNS0_10empty_typeEEEZZNS1_29radix_sort_onesweep_iterationIS3_Lb0EN6thrust23THRUST_200600_302600_NS6detail15normal_iteratorINS9_10device_ptrIiEEEESE_PS5_SF_jNS0_19identity_decomposerENS1_16block_id_wrapperIjLb1EEEEE10hipError_tT1_PNSt15iterator_traitsISK_E10value_typeET2_T3_PNSL_ISQ_E10value_typeET4_T5_PSV_SW_PNS1_23onesweep_lookback_stateEbbT6_jjT7_P12ihipStream_tbENKUlT_T0_SK_SP_E_clISE_SE_SF_SF_EEDaS13_S14_SK_SP_EUlS13_E_NS1_11comp_targetILNS1_3genE8ELNS1_11target_archE1030ELNS1_3gpuE2ELNS1_3repE0EEENS1_47radix_sort_onesweep_sort_config_static_selectorELNS0_4arch9wavefront6targetE0EEEvSK_
	.p2align	8
	.type	_ZN7rocprim17ROCPRIM_400000_NS6detail17trampoline_kernelINS0_14default_configENS1_35radix_sort_onesweep_config_selectorIiNS0_10empty_typeEEEZZNS1_29radix_sort_onesweep_iterationIS3_Lb0EN6thrust23THRUST_200600_302600_NS6detail15normal_iteratorINS9_10device_ptrIiEEEESE_PS5_SF_jNS0_19identity_decomposerENS1_16block_id_wrapperIjLb1EEEEE10hipError_tT1_PNSt15iterator_traitsISK_E10value_typeET2_T3_PNSL_ISQ_E10value_typeET4_T5_PSV_SW_PNS1_23onesweep_lookback_stateEbbT6_jjT7_P12ihipStream_tbENKUlT_T0_SK_SP_E_clISE_SE_SF_SF_EEDaS13_S14_SK_SP_EUlS13_E_NS1_11comp_targetILNS1_3genE8ELNS1_11target_archE1030ELNS1_3gpuE2ELNS1_3repE0EEENS1_47radix_sort_onesweep_sort_config_static_selectorELNS0_4arch9wavefront6targetE0EEEvSK_,@function
_ZN7rocprim17ROCPRIM_400000_NS6detail17trampoline_kernelINS0_14default_configENS1_35radix_sort_onesweep_config_selectorIiNS0_10empty_typeEEEZZNS1_29radix_sort_onesweep_iterationIS3_Lb0EN6thrust23THRUST_200600_302600_NS6detail15normal_iteratorINS9_10device_ptrIiEEEESE_PS5_SF_jNS0_19identity_decomposerENS1_16block_id_wrapperIjLb1EEEEE10hipError_tT1_PNSt15iterator_traitsISK_E10value_typeET2_T3_PNSL_ISQ_E10value_typeET4_T5_PSV_SW_PNS1_23onesweep_lookback_stateEbbT6_jjT7_P12ihipStream_tbENKUlT_T0_SK_SP_E_clISE_SE_SF_SF_EEDaS13_S14_SK_SP_EUlS13_E_NS1_11comp_targetILNS1_3genE8ELNS1_11target_archE1030ELNS1_3gpuE2ELNS1_3repE0EEENS1_47radix_sort_onesweep_sort_config_static_selectorELNS0_4arch9wavefront6targetE0EEEvSK_: ; @_ZN7rocprim17ROCPRIM_400000_NS6detail17trampoline_kernelINS0_14default_configENS1_35radix_sort_onesweep_config_selectorIiNS0_10empty_typeEEEZZNS1_29radix_sort_onesweep_iterationIS3_Lb0EN6thrust23THRUST_200600_302600_NS6detail15normal_iteratorINS9_10device_ptrIiEEEESE_PS5_SF_jNS0_19identity_decomposerENS1_16block_id_wrapperIjLb1EEEEE10hipError_tT1_PNSt15iterator_traitsISK_E10value_typeET2_T3_PNSL_ISQ_E10value_typeET4_T5_PSV_SW_PNS1_23onesweep_lookback_stateEbbT6_jjT7_P12ihipStream_tbENKUlT_T0_SK_SP_E_clISE_SE_SF_SF_EEDaS13_S14_SK_SP_EUlS13_E_NS1_11comp_targetILNS1_3genE8ELNS1_11target_archE1030ELNS1_3gpuE2ELNS1_3repE0EEENS1_47radix_sort_onesweep_sort_config_static_selectorELNS0_4arch9wavefront6targetE0EEEvSK_
; %bb.0:
	s_clause 0x2
	s_load_dwordx4 s[12:15], s[4:5], 0x28
	s_load_dwordx2 s[10:11], s[4:5], 0x38
	s_load_dwordx4 s[20:23], s[4:5], 0x44
	v_cmp_eq_u32_e64 s0, 0, v0
	s_and_saveexec_b32 s1, s0
	s_cbranch_execz .LBB167_4
; %bb.1:
	s_mov_b32 s3, exec_lo
	s_mov_b32 s2, exec_lo
	v_mbcnt_lo_u32_b32 v3, s3, 0
                                        ; implicit-def: $vgpr4
	v_cmpx_eq_u32_e32 0, v3
	s_cbranch_execz .LBB167_3
; %bb.2:
	s_load_dwordx2 s[8:9], s[4:5], 0x50
	s_bcnt1_i32_b32 s3, s3
	v_mov_b32_e32 v4, 0
	v_mov_b32_e32 v5, s3
	s_waitcnt lgkmcnt(0)
	global_atomic_add v4, v4, v5, s[8:9] glc
.LBB167_3:
	s_or_b32 exec_lo, exec_lo, s2
	s_waitcnt vmcnt(0)
	v_readfirstlane_b32 s2, v4
	v_mov_b32_e32 v4, 0
	v_add_nc_u32_e32 v3, s2, v3
	ds_write_b32 v4, v3 offset:36992
.LBB167_4:
	s_or_b32 exec_lo, exec_lo, s1
	v_mov_b32_e32 v3, 0
	s_clause 0x1
	s_load_dwordx4 s[16:19], s[4:5], 0x0
	s_load_dword s1, s[4:5], 0x20
	s_waitcnt lgkmcnt(0)
	s_barrier
	buffer_gl0_inv
	ds_read_b32 v3, v3 offset:36992
	v_mbcnt_lo_u32_b32 v12, -1, 0
	v_lshlrev_b32_e32 v11, 2, v0
	s_mov_b32 s2, -1
	s_waitcnt lgkmcnt(0)
	s_barrier
	buffer_gl0_inv
	v_cmp_le_u32_e32 vcc_lo, s22, v3
	v_readfirstlane_b32 s23, v3
	s_cbranch_vccz .LBB167_52
; %bb.5:
	s_lshl_b32 s3, s22, 12
	s_lshl_b32 s2, s23, 12
	s_sub_i32 s22, s1, s3
	s_mov_b32 s3, 0
	v_and_b32_e32 v3, 0xf80, v11
	v_lshlrev_b32_e32 v4, 2, v12
	s_lshl_b64 s[2:3], s[2:3], 2
	s_add_u32 s1, s16, s2
	s_addc_u32 s2, s17, s3
	v_lshlrev_b32_e32 v5, 2, v3
	v_add_co_u32 v4, s1, s1, v4
	v_add_co_ci_u32_e64 v6, null, s2, 0, s1
	v_or_b32_e32 v9, v12, v3
	v_bfrev_b32_e32 v3, -2
	v_add_co_u32 v7, vcc_lo, v4, v5
	v_add_co_ci_u32_e64 v8, null, 0, v6, vcc_lo
	v_mov_b32_e32 v4, v3
	v_mov_b32_e32 v5, v3
	;; [unrolled: 1-line block ×3, first 2 shown]
	s_mov_b32 s1, exec_lo
	v_cmpx_gt_u32_e64 s22, v9
	s_cbranch_execz .LBB167_7
; %bb.6:
	global_load_dword v13, v[7:8], off
	v_mov_b32_e32 v14, v3
	v_mov_b32_e32 v15, v3
	;; [unrolled: 1-line block ×3, first 2 shown]
	s_waitcnt vmcnt(0)
	v_mov_b32_e32 v3, v13
	v_mov_b32_e32 v4, v14
	;; [unrolled: 1-line block ×4, first 2 shown]
.LBB167_7:
	s_or_b32 exec_lo, exec_lo, s1
	v_or_b32_e32 v10, 32, v9
	s_mov_b32 s1, exec_lo
	v_cmpx_gt_u32_e64 s22, v10
	s_cbranch_execz .LBB167_9
; %bb.8:
	global_load_dword v4, v[7:8], off offset:128
.LBB167_9:
	s_or_b32 exec_lo, exec_lo, s1
	v_or_b32_e32 v10, 64, v9
	s_mov_b32 s1, exec_lo
	v_cmpx_gt_u32_e64 s22, v10
	s_cbranch_execz .LBB167_11
; %bb.10:
	global_load_dword v5, v[7:8], off offset:256
.LBB167_11:
	s_or_b32 exec_lo, exec_lo, s1
	v_or_b32_e32 v9, 0x60, v9
	s_mov_b32 s1, exec_lo
	v_cmpx_gt_u32_e64 s22, v9
	s_cbranch_execz .LBB167_13
; %bb.12:
	global_load_dword v6, v[7:8], off offset:384
.LBB167_13:
	s_or_b32 exec_lo, exec_lo, s1
	s_clause 0x1
	s_load_dword s1, s[4:5], 0x64
	s_load_dword s24, s[4:5], 0x58
	s_add_u32 s2, s4, 0x58
	s_addc_u32 s3, s5, 0
	v_mov_b32_e32 v10, 0
	v_xor_b32_e32 v13, 0x80000000, v3
	v_lshrrev_b32_e32 v3, s20, v13
	s_waitcnt lgkmcnt(0)
	s_lshr_b32 s7, s1, 16
	s_cmp_lt_u32 s6, s24
	s_cselect_b32 s1, 12, 18
	s_add_u32 s2, s2, s1
	s_addc_u32 s3, s3, 0
	s_lshl_b32 s1, -1, s21
	global_load_ushort v7, v10, s[2:3]
	s_not_b32 s25, s1
	v_and_b32_e32 v3, s25, v3
	v_and_b32_e32 v8, 1, v3
	v_lshlrev_b32_e32 v9, 30, v3
	v_lshlrev_b32_e32 v14, 29, v3
	;; [unrolled: 1-line block ×4, first 2 shown]
	v_add_co_u32 v8, s1, v8, -1
	v_cndmask_b32_e64 v15, 0, 1, s1
	v_not_b32_e32 v19, v9
	v_cmp_gt_i32_e64 s1, 0, v9
	v_not_b32_e32 v9, v14
	v_lshlrev_b32_e32 v18, 26, v3
	v_cmp_ne_u32_e32 vcc_lo, 0, v15
	v_ashrrev_i32_e32 v19, 31, v19
	v_lshlrev_b32_e32 v15, 25, v3
	v_ashrrev_i32_e32 v9, 31, v9
	v_xor_b32_e32 v8, vcc_lo, v8
	v_cmp_gt_i32_e32 vcc_lo, 0, v14
	v_not_b32_e32 v14, v16
	v_xor_b32_e32 v19, s1, v19
	v_cmp_gt_i32_e64 s1, 0, v16
	v_and_b32_e32 v8, exec_lo, v8
	v_not_b32_e32 v16, v17
	v_ashrrev_i32_e32 v14, 31, v14
	v_xor_b32_e32 v9, vcc_lo, v9
	v_cmp_gt_i32_e32 vcc_lo, 0, v17
	v_and_b32_e32 v8, v8, v19
	v_not_b32_e32 v17, v18
	v_ashrrev_i32_e32 v16, 31, v16
	v_xor_b32_e32 v14, s1, v14
	v_cmp_gt_i32_e64 s1, 0, v18
	v_and_b32_e32 v8, v8, v9
	v_not_b32_e32 v9, v15
	v_ashrrev_i32_e32 v17, 31, v17
	v_xor_b32_e32 v16, vcc_lo, v16
	v_cmp_gt_i32_e32 vcc_lo, 0, v15
	v_and_b32_e32 v8, v8, v14
	v_lshlrev_b32_e32 v14, 24, v3
	v_ashrrev_i32_e32 v9, 31, v9
	v_xor_b32_e32 v15, s1, v17
	v_and_b32_e32 v8, v8, v16
	v_not_b32_e32 v16, v14
	v_xor_b32_e32 v9, vcc_lo, v9
	v_cmp_gt_i32_e32 vcc_lo, 0, v14
	v_and_b32_e32 v8, v8, v15
	v_mad_u32_u24 v15, v2, s7, v1
	v_ashrrev_i32_e32 v14, 31, v16
	v_mul_u32_u24_e32 v16, 36, v0
	v_and_b32_e32 v17, v8, v9
	ds_write2_b32 v16, v10, v10 offset0:32 offset1:33
	ds_write2_b32 v16, v10, v10 offset0:34 offset1:35
	;; [unrolled: 1-line block ×4, first 2 shown]
	ds_write_b32 v16, v10 offset:160
	s_waitcnt vmcnt(0) lgkmcnt(0)
	s_barrier
	buffer_gl0_inv
	; wave barrier
	v_mad_u64_u32 v[8:9], null, v15, v7, v[0:1]
	v_xor_b32_e32 v7, vcc_lo, v14
	v_mul_lo_u32 v9, 0x84, v3
	v_and_b32_e32 v7, v17, v7
	v_lshrrev_b32_e32 v8, 3, v8
	v_mbcnt_lo_u32_b32 v14, v7, 0
	v_and_b32_e32 v3, 0x1ffffffc, v8
	v_cmp_ne_u32_e64 s1, 0, v7
	v_cmp_eq_u32_e32 vcc_lo, 0, v14
	v_add_nc_u32_e32 v17, v3, v9
	s_and_b32 s2, s1, vcc_lo
	s_and_saveexec_b32 s1, s2
; %bb.14:
	v_bcnt_u32_b32 v7, v7, 0
	ds_write_b32 v17, v7 offset:128
; %bb.15:
	s_or_b32 exec_lo, exec_lo, s1
	v_xor_b32_e32 v15, 0x80000000, v4
	; wave barrier
	v_lshrrev_b32_e32 v4, s20, v15
	v_and_b32_e32 v4, s25, v4
	v_and_b32_e32 v8, 1, v4
	v_lshlrev_b32_e32 v9, 30, v4
	v_lshlrev_b32_e32 v10, 29, v4
	;; [unrolled: 1-line block ×4, first 2 shown]
	v_add_co_u32 v8, s1, v8, -1
	v_cndmask_b32_e64 v19, 0, 1, s1
	v_not_b32_e32 v23, v9
	v_cmp_gt_i32_e64 s1, 0, v9
	v_not_b32_e32 v9, v10
	v_lshlrev_b32_e32 v21, 26, v4
	v_cmp_ne_u32_e32 vcc_lo, 0, v19
	v_ashrrev_i32_e32 v19, 31, v23
	v_lshlrev_b32_e32 v22, 25, v4
	v_ashrrev_i32_e32 v9, 31, v9
	v_mul_lo_u32 v7, 0x84, v4
	v_xor_b32_e32 v8, vcc_lo, v8
	v_cmp_gt_i32_e32 vcc_lo, 0, v10
	v_not_b32_e32 v10, v18
	v_xor_b32_e32 v19, s1, v19
	v_cmp_gt_i32_e64 s1, 0, v18
	v_and_b32_e32 v8, exec_lo, v8
	v_not_b32_e32 v18, v20
	v_ashrrev_i32_e32 v10, 31, v10
	v_xor_b32_e32 v9, vcc_lo, v9
	v_cmp_gt_i32_e32 vcc_lo, 0, v20
	v_and_b32_e32 v8, v8, v19
	v_not_b32_e32 v19, v21
	v_ashrrev_i32_e32 v18, 31, v18
	v_xor_b32_e32 v10, s1, v10
	v_lshlrev_b32_e32 v4, 24, v4
	v_and_b32_e32 v8, v8, v9
	v_cmp_gt_i32_e64 s1, 0, v21
	v_not_b32_e32 v9, v22
	v_ashrrev_i32_e32 v19, 31, v19
	v_xor_b32_e32 v18, vcc_lo, v18
	v_and_b32_e32 v8, v8, v10
	v_cmp_gt_i32_e32 vcc_lo, 0, v22
	v_not_b32_e32 v10, v4
	v_ashrrev_i32_e32 v9, 31, v9
	v_xor_b32_e32 v19, s1, v19
	v_and_b32_e32 v8, v8, v18
	v_cmp_gt_i32_e64 s1, 0, v4
	v_ashrrev_i32_e32 v4, 31, v10
	v_xor_b32_e32 v9, vcc_lo, v9
	v_add_nc_u32_e32 v21, v3, v7
	v_and_b32_e32 v8, v8, v19
	v_xor_b32_e32 v4, s1, v4
	ds_read_b32 v18, v21 offset:128
	v_and_b32_e32 v7, v8, v9
	; wave barrier
	v_and_b32_e32 v4, v7, v4
	v_mbcnt_lo_u32_b32 v20, v4, 0
	v_cmp_ne_u32_e64 s1, 0, v4
	v_cmp_eq_u32_e32 vcc_lo, 0, v20
	s_and_b32 s2, s1, vcc_lo
	s_and_saveexec_b32 s1, s2
	s_cbranch_execz .LBB167_17
; %bb.16:
	s_waitcnt lgkmcnt(0)
	v_bcnt_u32_b32 v4, v4, v18
	ds_write_b32 v21, v4 offset:128
.LBB167_17:
	s_or_b32 exec_lo, exec_lo, s1
	v_xor_b32_e32 v19, 0x80000000, v5
	; wave barrier
	v_lshrrev_b32_e32 v4, s20, v19
	v_and_b32_e32 v4, s25, v4
	v_and_b32_e32 v7, 1, v4
	v_lshlrev_b32_e32 v8, 30, v4
	v_lshlrev_b32_e32 v9, 29, v4
	;; [unrolled: 1-line block ×4, first 2 shown]
	v_add_co_u32 v7, s1, v7, -1
	v_cndmask_b32_e64 v22, 0, 1, s1
	v_not_b32_e32 v26, v8
	v_cmp_gt_i32_e64 s1, 0, v8
	v_not_b32_e32 v8, v9
	v_lshlrev_b32_e32 v24, 26, v4
	v_cmp_ne_u32_e32 vcc_lo, 0, v22
	v_ashrrev_i32_e32 v22, 31, v26
	v_lshlrev_b32_e32 v25, 25, v4
	v_ashrrev_i32_e32 v8, 31, v8
	v_mul_lo_u32 v5, 0x84, v4
	v_xor_b32_e32 v7, vcc_lo, v7
	v_cmp_gt_i32_e32 vcc_lo, 0, v9
	v_not_b32_e32 v9, v10
	v_xor_b32_e32 v22, s1, v22
	v_cmp_gt_i32_e64 s1, 0, v10
	v_and_b32_e32 v7, exec_lo, v7
	v_not_b32_e32 v10, v23
	v_ashrrev_i32_e32 v9, 31, v9
	v_xor_b32_e32 v8, vcc_lo, v8
	v_cmp_gt_i32_e32 vcc_lo, 0, v23
	v_and_b32_e32 v7, v7, v22
	v_not_b32_e32 v22, v24
	v_ashrrev_i32_e32 v10, 31, v10
	v_xor_b32_e32 v9, s1, v9
	v_lshlrev_b32_e32 v4, 24, v4
	v_and_b32_e32 v7, v7, v8
	v_cmp_gt_i32_e64 s1, 0, v24
	v_not_b32_e32 v8, v25
	v_ashrrev_i32_e32 v22, 31, v22
	v_xor_b32_e32 v10, vcc_lo, v10
	v_and_b32_e32 v7, v7, v9
	v_cmp_gt_i32_e32 vcc_lo, 0, v25
	v_not_b32_e32 v9, v4
	v_ashrrev_i32_e32 v8, 31, v8
	v_xor_b32_e32 v22, s1, v22
	v_and_b32_e32 v7, v7, v10
	v_cmp_gt_i32_e64 s1, 0, v4
	v_ashrrev_i32_e32 v4, 31, v9
	v_xor_b32_e32 v8, vcc_lo, v8
	v_add_nc_u32_e32 v25, v3, v5
	v_and_b32_e32 v7, v7, v22
	v_xor_b32_e32 v4, s1, v4
	ds_read_b32 v22, v25 offset:128
	v_and_b32_e32 v5, v7, v8
	; wave barrier
	v_and_b32_e32 v4, v5, v4
	v_mbcnt_lo_u32_b32 v24, v4, 0
	v_cmp_ne_u32_e64 s1, 0, v4
	v_cmp_eq_u32_e32 vcc_lo, 0, v24
	s_and_b32 s2, s1, vcc_lo
	s_and_saveexec_b32 s1, s2
	s_cbranch_execz .LBB167_19
; %bb.18:
	s_waitcnt lgkmcnt(0)
	v_bcnt_u32_b32 v4, v4, v22
	ds_write_b32 v25, v4 offset:128
.LBB167_19:
	s_or_b32 exec_lo, exec_lo, s1
	v_xor_b32_e32 v23, 0x80000000, v6
	; wave barrier
	v_lshrrev_b32_e32 v4, s20, v23
	v_and_b32_e32 v4, s25, v4
	v_and_b32_e32 v6, 1, v4
	v_lshlrev_b32_e32 v7, 30, v4
	v_lshlrev_b32_e32 v8, 29, v4
	;; [unrolled: 1-line block ×4, first 2 shown]
	v_add_co_u32 v6, s1, v6, -1
	v_cndmask_b32_e64 v10, 0, 1, s1
	v_not_b32_e32 v29, v7
	v_cmp_gt_i32_e64 s1, 0, v7
	v_not_b32_e32 v7, v8
	v_lshlrev_b32_e32 v27, 26, v4
	v_cmp_ne_u32_e32 vcc_lo, 0, v10
	v_ashrrev_i32_e32 v10, 31, v29
	v_lshlrev_b32_e32 v28, 25, v4
	v_ashrrev_i32_e32 v7, 31, v7
	v_mul_lo_u32 v5, 0x84, v4
	v_xor_b32_e32 v6, vcc_lo, v6
	v_cmp_gt_i32_e32 vcc_lo, 0, v8
	v_not_b32_e32 v8, v9
	v_xor_b32_e32 v10, s1, v10
	v_cmp_gt_i32_e64 s1, 0, v9
	v_and_b32_e32 v6, exec_lo, v6
	v_not_b32_e32 v9, v26
	v_ashrrev_i32_e32 v8, 31, v8
	v_xor_b32_e32 v7, vcc_lo, v7
	v_cmp_gt_i32_e32 vcc_lo, 0, v26
	v_and_b32_e32 v6, v6, v10
	v_not_b32_e32 v10, v27
	v_ashrrev_i32_e32 v9, 31, v9
	v_xor_b32_e32 v8, s1, v8
	v_lshlrev_b32_e32 v4, 24, v4
	v_and_b32_e32 v6, v6, v7
	v_cmp_gt_i32_e64 s1, 0, v27
	v_not_b32_e32 v7, v28
	v_ashrrev_i32_e32 v10, 31, v10
	v_xor_b32_e32 v9, vcc_lo, v9
	v_and_b32_e32 v6, v6, v8
	v_cmp_gt_i32_e32 vcc_lo, 0, v28
	v_not_b32_e32 v8, v4
	v_ashrrev_i32_e32 v7, 31, v7
	v_xor_b32_e32 v10, s1, v10
	v_and_b32_e32 v6, v6, v9
	v_cmp_gt_i32_e64 s1, 0, v4
	v_ashrrev_i32_e32 v4, 31, v8
	v_xor_b32_e32 v7, vcc_lo, v7
	v_add_nc_u32_e32 v28, v3, v5
	v_and_b32_e32 v6, v6, v10
	v_xor_b32_e32 v3, s1, v4
	ds_read_b32 v26, v28 offset:128
	v_and_b32_e32 v4, v6, v7
	; wave barrier
	v_and_b32_e32 v3, v4, v3
	v_mbcnt_lo_u32_b32 v27, v3, 0
	v_cmp_ne_u32_e64 s1, 0, v3
	v_cmp_eq_u32_e32 vcc_lo, 0, v27
	s_and_b32 s2, s1, vcc_lo
	s_and_saveexec_b32 s1, s2
	s_cbranch_execz .LBB167_21
; %bb.20:
	s_waitcnt lgkmcnt(0)
	v_bcnt_u32_b32 v3, v3, v26
	ds_write_b32 v28, v3 offset:128
.LBB167_21:
	s_or_b32 exec_lo, exec_lo, s1
	; wave barrier
	s_waitcnt lgkmcnt(0)
	s_barrier
	buffer_gl0_inv
	ds_read2_b32 v[9:10], v16 offset0:32 offset1:33
	ds_read2_b32 v[7:8], v16 offset0:34 offset1:35
	;; [unrolled: 1-line block ×4, first 2 shown]
	ds_read_b32 v29, v16 offset:160
	v_and_b32_e32 v32, 16, v12
	v_and_b32_e32 v33, 31, v0
	s_mov_b32 s9, exec_lo
	v_cmp_eq_u32_e64 s7, 0, v32
	s_waitcnt lgkmcnt(3)
	v_add3_u32 v30, v10, v9, v7
	s_waitcnt lgkmcnt(2)
	v_add3_u32 v30, v30, v8, v5
	;; [unrolled: 2-line block ×4, first 2 shown]
	v_and_b32_e32 v30, 15, v12
	v_mov_b32_dpp v31, v29 row_shr:1 row_mask:0xf bank_mask:0xf
	v_cmp_eq_u32_e32 vcc_lo, 0, v30
	v_cmp_lt_u32_e64 s1, 1, v30
	v_cmp_lt_u32_e64 s2, 3, v30
	;; [unrolled: 1-line block ×3, first 2 shown]
	v_cndmask_b32_e64 v31, v31, 0, vcc_lo
	v_add_nc_u32_e32 v29, v31, v29
	v_mov_b32_dpp v31, v29 row_shr:2 row_mask:0xf bank_mask:0xf
	v_cndmask_b32_e64 v31, 0, v31, s1
	v_add_nc_u32_e32 v29, v29, v31
	v_mov_b32_dpp v31, v29 row_shr:4 row_mask:0xf bank_mask:0xf
	v_cndmask_b32_e64 v31, 0, v31, s2
	;; [unrolled: 3-line block ×3, first 2 shown]
	v_bfe_i32 v31, v12, 4, 1
	v_add_nc_u32_e32 v29, v29, v30
	ds_swizzle_b32 v30, v29 offset:swizzle(BROADCAST,32,15)
	s_waitcnt lgkmcnt(0)
	v_and_b32_e32 v31, v31, v30
	v_lshrrev_b32_e32 v30, 5, v0
	v_add_nc_u32_e32 v29, v29, v31
	v_cmpx_eq_u32_e32 31, v33
; %bb.22:
	v_lshlrev_b32_e32 v31, 2, v30
	ds_write_b32 v31, v29
; %bb.23:
	s_or_b32 exec_lo, exec_lo, s9
	v_cmp_lt_u32_e64 s8, 31, v0
	s_mov_b32 s26, exec_lo
	s_waitcnt lgkmcnt(0)
	s_barrier
	buffer_gl0_inv
	v_cmpx_gt_u32_e32 32, v0
	s_cbranch_execz .LBB167_25
; %bb.24:
	ds_read_b32 v31, v11
	s_waitcnt lgkmcnt(0)
	v_mov_b32_dpp v32, v31 row_shr:1 row_mask:0xf bank_mask:0xf
	v_cndmask_b32_e64 v32, v32, 0, vcc_lo
	v_add_nc_u32_e32 v31, v32, v31
	v_mov_b32_dpp v32, v31 row_shr:2 row_mask:0xf bank_mask:0xf
	v_cndmask_b32_e64 v32, 0, v32, s1
	v_add_nc_u32_e32 v31, v31, v32
	v_mov_b32_dpp v32, v31 row_shr:4 row_mask:0xf bank_mask:0xf
	v_cndmask_b32_e64 v32, 0, v32, s2
	;; [unrolled: 3-line block ×3, first 2 shown]
	v_add_nc_u32_e32 v31, v31, v32
	ds_swizzle_b32 v32, v31 offset:swizzle(BROADCAST,32,15)
	s_waitcnt lgkmcnt(0)
	v_cndmask_b32_e64 v32, v32, 0, s7
	v_add_nc_u32_e32 v31, v31, v32
	ds_write_b32 v11, v31
.LBB167_25:
	s_or_b32 exec_lo, exec_lo, s26
	v_mov_b32_e32 v31, 0
	s_waitcnt lgkmcnt(0)
	s_barrier
	buffer_gl0_inv
	s_and_saveexec_b32 s1, s8
; %bb.26:
	v_lshl_add_u32 v30, v30, 2, -4
	ds_read_b32 v31, v30
; %bb.27:
	s_or_b32 exec_lo, exec_lo, s1
	v_sub_co_u32 v30, vcc_lo, v12, 1
	s_waitcnt lgkmcnt(0)
	v_add_nc_u32_e32 v29, v31, v29
	v_cmp_gt_i32_e64 s1, 0, v30
	v_cndmask_b32_e64 v30, v30, v12, s1
	v_cmp_gt_u32_e64 s1, 0x100, v0
	v_lshlrev_b32_e32 v30, 2, v30
	ds_bpermute_b32 v29, v30, v29
	s_waitcnt lgkmcnt(0)
	v_cndmask_b32_e32 v29, v29, v31, vcc_lo
	v_cmp_lt_u32_e32 vcc_lo, 0xff, v0
	v_cndmask_b32_e64 v29, v29, 0, s0
	v_add_nc_u32_e32 v9, v29, v9
	v_add_nc_u32_e32 v10, v9, v10
	v_add_nc_u32_e32 v7, v10, v7
	v_add_nc_u32_e32 v8, v7, v8
	v_add_nc_u32_e32 v5, v8, v5
	v_add_nc_u32_e32 v6, v5, v6
	v_add_nc_u32_e32 v3, v6, v3
	v_add_nc_u32_e32 v4, v3, v4
	ds_write2_b32 v16, v29, v9 offset0:32 offset1:33
	ds_write2_b32 v16, v10, v7 offset0:34 offset1:35
	;; [unrolled: 1-line block ×4, first 2 shown]
	ds_write_b32 v16, v4 offset:160
	s_waitcnt lgkmcnt(0)
	s_barrier
	buffer_gl0_inv
	ds_read_b32 v3, v17 offset:128
	ds_read_b32 v6, v21 offset:128
	;; [unrolled: 1-line block ×4, first 2 shown]
                                        ; implicit-def: $vgpr9
                                        ; implicit-def: $vgpr10
	s_and_saveexec_b32 s3, s1
	s_cbranch_execz .LBB167_31
; %bb.28:
	v_mul_u32_u24_e32 v7, 0x84, v0
	v_add_nc_u32_e32 v8, 1, v0
	s_mov_b32 s7, exec_lo
	ds_read_b32 v9, v7 offset:128
	v_mov_b32_e32 v7, 0x1000
	v_cmpx_ne_u32_e32 0x100, v8
; %bb.29:
	v_mul_u32_u24_e32 v7, 0x84, v8
	ds_read_b32 v7, v7 offset:128
; %bb.30:
	s_or_b32 exec_lo, exec_lo, s7
	s_waitcnt lgkmcnt(0)
	v_sub_nc_u32_e32 v10, v7, v9
.LBB167_31:
	s_or_b32 exec_lo, exec_lo, s3
	v_lshlrev_b32_e32 v7, 2, v14
	v_lshlrev_b32_e32 v8, 2, v20
	v_lshlrev_b32_e32 v14, 2, v18
	v_lshlrev_b32_e32 v18, 2, v27
	v_lshlrev_b32_e32 v20, 2, v26
	s_waitcnt lgkmcnt(0)
	v_lshlrev_b32_e32 v4, 2, v4
	v_lshlrev_b32_e32 v6, 2, v6
	;; [unrolled: 1-line block ×5, first 2 shown]
	v_lshl_add_u32 v3, v3, 2, v7
	v_add3_u32 v7, v18, v20, v4
	v_mov_b32_e32 v4, 0
	v_add3_u32 v6, v8, v14, v6
	v_add3_u32 v5, v16, v17, v5
	s_barrier
	buffer_gl0_inv
	ds_write_b32 v3, v13 offset:1024
	ds_write_b32 v6, v15 offset:1024
	;; [unrolled: 1-line block ×4, first 2 shown]
	s_and_saveexec_b32 s2, s1
	s_cbranch_execz .LBB167_41
; %bb.32:
	v_lshl_add_u32 v3, s23, 8, v0
	v_mov_b32_e32 v13, 0
	s_mov_b32 s3, 0
	s_mov_b32 s7, s23
	v_lshlrev_b64 v[5:6], 2, v[3:4]
	v_or_b32_e32 v3, 2.0, v10
	v_add_co_u32 v5, s1, s10, v5
	v_add_co_ci_u32_e64 v6, null, s11, v6, s1
                                        ; implicit-def: $sgpr1
	global_store_dword v[5:6], v3, off
	s_branch .LBB167_35
	.p2align	6
.LBB167_33:                             ;   in Loop: Header=BB167_35 Depth=1
	s_or_b32 exec_lo, exec_lo, s9
.LBB167_34:                             ;   in Loop: Header=BB167_35 Depth=1
	s_or_b32 exec_lo, exec_lo, s8
	v_and_b32_e32 v7, 0x3fffffff, v3
	v_cmp_gt_i32_e64 s1, -2.0, v3
	v_add_nc_u32_e32 v13, v7, v13
	s_and_b32 s8, exec_lo, s1
	s_or_b32 s3, s8, s3
	s_andn2_b32 exec_lo, exec_lo, s3
	s_cbranch_execz .LBB167_40
.LBB167_35:                             ; =>This Loop Header: Depth=1
                                        ;     Child Loop BB167_38 Depth 2
	s_or_b32 s1, s1, exec_lo
	s_cmp_eq_u32 s7, 0
	s_cbranch_scc1 .LBB167_39
; %bb.36:                               ;   in Loop: Header=BB167_35 Depth=1
	s_add_i32 s7, s7, -1
	s_mov_b32 s8, exec_lo
	v_lshl_or_b32 v3, s7, 8, v0
	v_lshlrev_b64 v[7:8], 2, v[3:4]
	v_add_co_u32 v7, s1, s10, v7
	v_add_co_ci_u32_e64 v8, null, s11, v8, s1
	global_load_dword v3, v[7:8], off glc dlc
	s_waitcnt vmcnt(0)
	v_cmpx_gt_u32_e32 2.0, v3
	s_cbranch_execz .LBB167_34
; %bb.37:                               ;   in Loop: Header=BB167_35 Depth=1
	s_mov_b32 s9, 0
.LBB167_38:                             ;   Parent Loop BB167_35 Depth=1
                                        ; =>  This Inner Loop Header: Depth=2
	global_load_dword v3, v[7:8], off glc dlc
	s_waitcnt vmcnt(0)
	v_cmp_lt_u32_e64 s1, 0x3fffffff, v3
	s_or_b32 s9, s1, s9
	s_andn2_b32 exec_lo, exec_lo, s9
	s_cbranch_execnz .LBB167_38
	s_branch .LBB167_33
.LBB167_39:                             ;   in Loop: Header=BB167_35 Depth=1
                                        ; implicit-def: $sgpr7
	s_and_b32 s8, exec_lo, s1
	s_or_b32 s3, s8, s3
	s_andn2_b32 exec_lo, exec_lo, s3
	s_cbranch_execnz .LBB167_35
.LBB167_40:
	s_or_b32 exec_lo, exec_lo, s3
	v_add_nc_u32_e32 v3, v13, v10
	v_sub_nc_u32_e32 v4, v13, v9
	v_or_b32_e32 v3, 0x80000000, v3
	global_store_dword v[5:6], v3, off
	global_load_dword v3, v11, s[12:13]
	s_waitcnt vmcnt(0)
	v_add_nc_u32_e32 v3, v4, v3
	ds_write_b32 v11, v3
.LBB167_41:
	s_or_b32 exec_lo, exec_lo, s2
	s_mov_b32 s2, exec_lo
	s_waitcnt lgkmcnt(0)
	s_waitcnt_vscnt null, 0x0
	s_barrier
	buffer_gl0_inv
	v_cmpx_gt_u32_e64 s22, v0
	s_cbranch_execz .LBB167_43
; %bb.42:
	ds_read_b32 v5, v11 offset:1024
	v_mov_b32_e32 v4, 0
	s_waitcnt lgkmcnt(0)
	v_lshrrev_b32_e32 v3, s20, v5
	v_xor_b32_e32 v5, 0x80000000, v5
	v_and_b32_e32 v3, s25, v3
	v_lshlrev_b32_e32 v3, 2, v3
	ds_read_b32 v3, v3
	s_waitcnt lgkmcnt(0)
	v_add_nc_u32_e32 v3, v3, v0
	v_lshlrev_b64 v[3:4], 2, v[3:4]
	v_add_co_u32 v3, s1, s18, v3
	v_add_co_ci_u32_e64 v4, null, s19, v4, s1
	global_store_dword v[3:4], v5, off
.LBB167_43:
	s_or_b32 exec_lo, exec_lo, s2
	v_or_b32_e32 v3, 0x400, v0
	s_mov_b32 s2, exec_lo
	v_cmpx_gt_u32_e64 s22, v3
	s_cbranch_execz .LBB167_45
; %bb.44:
	ds_read_b32 v5, v11 offset:5120
	s_waitcnt lgkmcnt(0)
	v_lshrrev_b32_e32 v4, s20, v5
	v_xor_b32_e32 v5, 0x80000000, v5
	v_and_b32_e32 v4, s25, v4
	v_lshlrev_b32_e32 v4, 2, v4
	ds_read_b32 v6, v4
	v_mov_b32_e32 v4, 0
	s_waitcnt lgkmcnt(0)
	v_add_nc_u32_e32 v3, v6, v3
	v_lshlrev_b64 v[3:4], 2, v[3:4]
	v_add_co_u32 v3, s1, s18, v3
	v_add_co_ci_u32_e64 v4, null, s19, v4, s1
	global_store_dword v[3:4], v5, off
.LBB167_45:
	s_or_b32 exec_lo, exec_lo, s2
	v_or_b32_e32 v3, 0x800, v0
	s_mov_b32 s2, exec_lo
	v_cmpx_gt_u32_e64 s22, v3
	s_cbranch_execz .LBB167_47
; %bb.46:
	ds_read_b32 v5, v11 offset:9216
	s_waitcnt lgkmcnt(0)
	v_lshrrev_b32_e32 v4, s20, v5
	v_xor_b32_e32 v5, 0x80000000, v5
	v_and_b32_e32 v4, s25, v4
	v_lshlrev_b32_e32 v4, 2, v4
	ds_read_b32 v6, v4
	v_mov_b32_e32 v4, 0
	s_waitcnt lgkmcnt(0)
	v_add_nc_u32_e32 v3, v6, v3
	v_lshlrev_b64 v[3:4], 2, v[3:4]
	v_add_co_u32 v3, s1, s18, v3
	v_add_co_ci_u32_e64 v4, null, s19, v4, s1
	global_store_dword v[3:4], v5, off
.LBB167_47:
	;; [unrolled: 21-line block ×3, first 2 shown]
	s_or_b32 exec_lo, exec_lo, s2
	s_add_i32 s24, s24, -1
	s_cmp_eq_u32 s23, s24
	s_cselect_b32 s1, -1, 0
	s_xor_b32 s2, vcc_lo, -1
	s_and_b32 s2, s2, s1
	s_and_saveexec_b32 s1, s2
	s_cbranch_execz .LBB167_51
; %bb.50:
	ds_read_b32 v3, v11
	s_waitcnt lgkmcnt(0)
	v_add3_u32 v3, v9, v10, v3
	global_store_dword v11, v3, s[14:15]
.LBB167_51:
	s_or_b32 exec_lo, exec_lo, s1
	s_mov_b32 s2, 0
.LBB167_52:
	s_and_b32 vcc_lo, exec_lo, s2
	s_cbranch_vccz .LBB167_83
; %bb.53:
	s_lshl_b32 s2, s23, 12
	s_mov_b32 s3, 0
	v_lshlrev_b32_e32 v3, 4, v0
	v_lshlrev_b32_e32 v4, 2, v12
	s_lshl_b64 s[2:3], s[2:3], 2
	v_mov_b32_e32 v13, 0
	s_add_u32 s1, s16, s2
	s_addc_u32 s2, s17, s3
	v_and_b32_e32 v3, 0x3e00, v3
	v_add_co_u32 v4, s1, s1, v4
	v_add_co_ci_u32_e64 v5, null, s2, 0, s1
	s_add_u32 s2, s4, 0x58
	v_add_co_u32 v6, vcc_lo, v4, v3
	v_add_co_ci_u32_e64 v7, null, 0, v5, vcc_lo
	s_addc_u32 s3, s5, 0
	global_load_dword v8, v[6:7], off
	s_clause 0x1
	s_load_dword s1, s[4:5], 0x64
	s_load_dword s7, s[4:5], 0x58
	s_waitcnt lgkmcnt(0)
	s_lshr_b32 s4, s1, 16
	s_cmp_lt_u32 s6, s7
	v_mad_u32_u24 v1, v2, s4, v1
	s_cselect_b32 s1, 12, 18
	s_add_u32 s2, s2, s1
	s_addc_u32 s3, s3, 0
	global_load_ushort v10, v13, s[2:3]
	s_clause 0x2
	global_load_dword v5, v[6:7], off offset:128
	global_load_dword v4, v[6:7], off offset:256
	;; [unrolled: 1-line block ×3, first 2 shown]
	s_lshl_b32 s1, -1, s21
	s_not_b32 s8, s1
	s_waitcnt vmcnt(4)
	v_xor_b32_e32 v9, 0x80000000, v8
	v_lshrrev_b32_e32 v6, s20, v9
	v_and_b32_e32 v6, s8, v6
	v_and_b32_e32 v7, 1, v6
	v_lshlrev_b32_e32 v8, 30, v6
	v_lshlrev_b32_e32 v14, 29, v6
	;; [unrolled: 1-line block ×4, first 2 shown]
	v_add_co_u32 v7, s1, v7, -1
	v_cndmask_b32_e64 v16, 0, 1, s1
	v_not_b32_e32 v20, v8
	v_cmp_gt_i32_e64 s1, 0, v8
	v_not_b32_e32 v8, v14
	v_lshlrev_b32_e32 v18, 26, v6
	v_cmp_ne_u32_e32 vcc_lo, 0, v16
	v_ashrrev_i32_e32 v20, 31, v20
	v_lshlrev_b32_e32 v19, 25, v6
	v_ashrrev_i32_e32 v8, 31, v8
	v_lshlrev_b32_e32 v16, 24, v6
	v_xor_b32_e32 v7, vcc_lo, v7
	v_cmp_gt_i32_e32 vcc_lo, 0, v14
	v_not_b32_e32 v14, v15
	v_xor_b32_e32 v20, s1, v20
	v_cmp_gt_i32_e64 s1, 0, v15
	v_and_b32_e32 v7, exec_lo, v7
	v_not_b32_e32 v15, v17
	v_ashrrev_i32_e32 v14, 31, v14
	v_xor_b32_e32 v8, vcc_lo, v8
	v_cmp_gt_i32_e32 vcc_lo, 0, v17
	v_and_b32_e32 v7, v7, v20
	v_not_b32_e32 v17, v18
	v_ashrrev_i32_e32 v15, 31, v15
	v_xor_b32_e32 v14, s1, v14
	v_cmp_gt_i32_e64 s1, 0, v18
	v_and_b32_e32 v7, v7, v8
	v_not_b32_e32 v8, v19
	v_ashrrev_i32_e32 v17, 31, v17
	v_xor_b32_e32 v15, vcc_lo, v15
	v_cmp_gt_i32_e32 vcc_lo, 0, v19
	v_and_b32_e32 v7, v7, v14
	v_not_b32_e32 v14, v16
	v_ashrrev_i32_e32 v8, 31, v8
	v_xor_b32_e32 v17, s1, v17
	v_cmp_gt_i32_e64 s1, 0, v16
	v_and_b32_e32 v7, v7, v15
	v_ashrrev_i32_e32 v15, 31, v14
	v_xor_b32_e32 v8, vcc_lo, v8
	s_waitcnt vmcnt(3)
	v_mad_u64_u32 v[1:2], null, v1, v10, v[0:1]
	v_and_b32_e32 v7, v7, v17
	v_xor_b32_e32 v2, s1, v15
	v_mul_lo_u32 v6, 0x84, v6
	v_mul_u32_u24_e32 v14, 36, v0
	v_and_b32_e32 v7, v7, v8
	v_lshrrev_b32_e32 v1, 3, v1
	ds_write2_b32 v14, v13, v13 offset0:32 offset1:33
	ds_write2_b32 v14, v13, v13 offset0:34 offset1:35
	;; [unrolled: 1-line block ×3, first 2 shown]
	v_and_b32_e32 v2, v7, v2
	v_and_b32_e32 v1, 0x1ffffffc, v1
	ds_write2_b32 v14, v13, v13 offset0:38 offset1:39
	ds_write_b32 v14, v13 offset:160
	s_waitcnt vmcnt(0) lgkmcnt(0)
	s_waitcnt_vscnt null, 0x0
	s_barrier
	v_mbcnt_lo_u32_b32 v10, v2, 0
	v_cmp_ne_u32_e64 s1, 0, v2
	v_add_nc_u32_e32 v15, v1, v6
	buffer_gl0_inv
	v_cmp_eq_u32_e32 vcc_lo, 0, v10
	; wave barrier
	s_and_b32 s2, s1, vcc_lo
	s_and_saveexec_b32 s1, s2
; %bb.54:
	v_bcnt_u32_b32 v2, v2, 0
	ds_write_b32 v15, v2 offset:128
; %bb.55:
	s_or_b32 exec_lo, exec_lo, s1
	v_xor_b32_e32 v13, 0x80000000, v5
	; wave barrier
	v_lshrrev_b32_e32 v2, s20, v13
	v_and_b32_e32 v2, s8, v2
	v_and_b32_e32 v6, 1, v2
	v_lshlrev_b32_e32 v7, 30, v2
	v_lshlrev_b32_e32 v8, 29, v2
	;; [unrolled: 1-line block ×4, first 2 shown]
	v_add_co_u32 v6, s1, v6, -1
	v_cndmask_b32_e64 v17, 0, 1, s1
	v_not_b32_e32 v21, v7
	v_cmp_gt_i32_e64 s1, 0, v7
	v_not_b32_e32 v7, v8
	v_lshlrev_b32_e32 v19, 26, v2
	v_cmp_ne_u32_e32 vcc_lo, 0, v17
	v_ashrrev_i32_e32 v17, 31, v21
	v_lshlrev_b32_e32 v20, 25, v2
	v_ashrrev_i32_e32 v7, 31, v7
	v_mul_lo_u32 v5, 0x84, v2
	v_xor_b32_e32 v6, vcc_lo, v6
	v_cmp_gt_i32_e32 vcc_lo, 0, v8
	v_not_b32_e32 v8, v16
	v_xor_b32_e32 v17, s1, v17
	v_cmp_gt_i32_e64 s1, 0, v16
	v_and_b32_e32 v6, exec_lo, v6
	v_not_b32_e32 v16, v18
	v_ashrrev_i32_e32 v8, 31, v8
	v_xor_b32_e32 v7, vcc_lo, v7
	v_cmp_gt_i32_e32 vcc_lo, 0, v18
	v_and_b32_e32 v6, v6, v17
	v_not_b32_e32 v17, v19
	v_ashrrev_i32_e32 v16, 31, v16
	v_xor_b32_e32 v8, s1, v8
	v_lshlrev_b32_e32 v2, 24, v2
	v_and_b32_e32 v6, v6, v7
	v_cmp_gt_i32_e64 s1, 0, v19
	v_not_b32_e32 v7, v20
	v_ashrrev_i32_e32 v17, 31, v17
	v_xor_b32_e32 v16, vcc_lo, v16
	v_and_b32_e32 v6, v6, v8
	v_cmp_gt_i32_e32 vcc_lo, 0, v20
	v_not_b32_e32 v8, v2
	v_ashrrev_i32_e32 v7, 31, v7
	v_xor_b32_e32 v17, s1, v17
	v_and_b32_e32 v6, v6, v16
	v_cmp_gt_i32_e64 s1, 0, v2
	v_ashrrev_i32_e32 v2, 31, v8
	v_xor_b32_e32 v7, vcc_lo, v7
	v_add_nc_u32_e32 v19, v1, v5
	v_and_b32_e32 v6, v6, v17
	v_xor_b32_e32 v2, s1, v2
	ds_read_b32 v16, v19 offset:128
	v_and_b32_e32 v5, v6, v7
	; wave barrier
	v_and_b32_e32 v2, v5, v2
	v_mbcnt_lo_u32_b32 v18, v2, 0
	v_cmp_ne_u32_e64 s1, 0, v2
	v_cmp_eq_u32_e32 vcc_lo, 0, v18
	s_and_b32 s2, s1, vcc_lo
	s_and_saveexec_b32 s1, s2
	s_cbranch_execz .LBB167_57
; %bb.56:
	s_waitcnt lgkmcnt(0)
	v_bcnt_u32_b32 v2, v2, v16
	ds_write_b32 v19, v2 offset:128
.LBB167_57:
	s_or_b32 exec_lo, exec_lo, s1
	v_xor_b32_e32 v17, 0x80000000, v4
	; wave barrier
	v_lshrrev_b32_e32 v2, s20, v17
	v_and_b32_e32 v2, s8, v2
	v_and_b32_e32 v5, 1, v2
	v_lshlrev_b32_e32 v6, 30, v2
	v_lshlrev_b32_e32 v7, 29, v2
	;; [unrolled: 1-line block ×4, first 2 shown]
	v_add_co_u32 v5, s1, v5, -1
	v_cndmask_b32_e64 v20, 0, 1, s1
	v_not_b32_e32 v24, v6
	v_cmp_gt_i32_e64 s1, 0, v6
	v_not_b32_e32 v6, v7
	v_lshlrev_b32_e32 v22, 26, v2
	v_cmp_ne_u32_e32 vcc_lo, 0, v20
	v_ashrrev_i32_e32 v20, 31, v24
	v_lshlrev_b32_e32 v23, 25, v2
	v_ashrrev_i32_e32 v6, 31, v6
	v_mul_lo_u32 v4, 0x84, v2
	v_xor_b32_e32 v5, vcc_lo, v5
	v_cmp_gt_i32_e32 vcc_lo, 0, v7
	v_not_b32_e32 v7, v8
	v_xor_b32_e32 v20, s1, v20
	v_cmp_gt_i32_e64 s1, 0, v8
	v_and_b32_e32 v5, exec_lo, v5
	v_not_b32_e32 v8, v21
	v_ashrrev_i32_e32 v7, 31, v7
	v_xor_b32_e32 v6, vcc_lo, v6
	v_cmp_gt_i32_e32 vcc_lo, 0, v21
	v_and_b32_e32 v5, v5, v20
	v_not_b32_e32 v20, v22
	v_ashrrev_i32_e32 v8, 31, v8
	v_xor_b32_e32 v7, s1, v7
	v_lshlrev_b32_e32 v2, 24, v2
	v_and_b32_e32 v5, v5, v6
	v_cmp_gt_i32_e64 s1, 0, v22
	v_not_b32_e32 v6, v23
	v_ashrrev_i32_e32 v20, 31, v20
	v_xor_b32_e32 v8, vcc_lo, v8
	v_and_b32_e32 v5, v5, v7
	v_cmp_gt_i32_e32 vcc_lo, 0, v23
	v_not_b32_e32 v7, v2
	v_ashrrev_i32_e32 v6, 31, v6
	v_xor_b32_e32 v20, s1, v20
	v_and_b32_e32 v5, v5, v8
	v_cmp_gt_i32_e64 s1, 0, v2
	v_ashrrev_i32_e32 v2, 31, v7
	v_xor_b32_e32 v6, vcc_lo, v6
	v_add_nc_u32_e32 v23, v1, v4
	v_and_b32_e32 v5, v5, v20
	v_xor_b32_e32 v2, s1, v2
	ds_read_b32 v20, v23 offset:128
	v_and_b32_e32 v4, v5, v6
	; wave barrier
	v_and_b32_e32 v2, v4, v2
	v_mbcnt_lo_u32_b32 v22, v2, 0
	v_cmp_ne_u32_e64 s1, 0, v2
	v_cmp_eq_u32_e32 vcc_lo, 0, v22
	s_and_b32 s2, s1, vcc_lo
	s_and_saveexec_b32 s1, s2
	s_cbranch_execz .LBB167_59
; %bb.58:
	s_waitcnt lgkmcnt(0)
	v_bcnt_u32_b32 v2, v2, v20
	ds_write_b32 v23, v2 offset:128
.LBB167_59:
	s_or_b32 exec_lo, exec_lo, s1
	v_xor_b32_e32 v21, 0x80000000, v3
	; wave barrier
	v_lshrrev_b32_e32 v2, s20, v21
	v_and_b32_e32 v2, s8, v2
	v_and_b32_e32 v4, 1, v2
	v_lshlrev_b32_e32 v5, 30, v2
	v_lshlrev_b32_e32 v6, 29, v2
	;; [unrolled: 1-line block ×4, first 2 shown]
	v_add_co_u32 v4, s1, v4, -1
	v_cndmask_b32_e64 v8, 0, 1, s1
	v_not_b32_e32 v27, v5
	v_cmp_gt_i32_e64 s1, 0, v5
	v_not_b32_e32 v5, v6
	v_lshlrev_b32_e32 v25, 26, v2
	v_cmp_ne_u32_e32 vcc_lo, 0, v8
	v_ashrrev_i32_e32 v8, 31, v27
	v_lshlrev_b32_e32 v26, 25, v2
	v_ashrrev_i32_e32 v5, 31, v5
	v_mul_lo_u32 v3, 0x84, v2
	v_xor_b32_e32 v4, vcc_lo, v4
	v_cmp_gt_i32_e32 vcc_lo, 0, v6
	v_not_b32_e32 v6, v7
	v_xor_b32_e32 v8, s1, v8
	v_cmp_gt_i32_e64 s1, 0, v7
	v_and_b32_e32 v4, exec_lo, v4
	v_not_b32_e32 v7, v24
	v_ashrrev_i32_e32 v6, 31, v6
	v_xor_b32_e32 v5, vcc_lo, v5
	v_cmp_gt_i32_e32 vcc_lo, 0, v24
	v_and_b32_e32 v4, v4, v8
	v_not_b32_e32 v8, v25
	v_ashrrev_i32_e32 v7, 31, v7
	v_xor_b32_e32 v6, s1, v6
	v_lshlrev_b32_e32 v2, 24, v2
	v_and_b32_e32 v4, v4, v5
	v_cmp_gt_i32_e64 s1, 0, v25
	v_not_b32_e32 v5, v26
	v_ashrrev_i32_e32 v8, 31, v8
	v_xor_b32_e32 v7, vcc_lo, v7
	v_and_b32_e32 v4, v4, v6
	v_cmp_gt_i32_e32 vcc_lo, 0, v26
	v_not_b32_e32 v6, v2
	v_ashrrev_i32_e32 v5, 31, v5
	v_xor_b32_e32 v8, s1, v8
	v_and_b32_e32 v4, v4, v7
	v_cmp_gt_i32_e64 s1, 0, v2
	v_ashrrev_i32_e32 v2, 31, v6
	v_xor_b32_e32 v5, vcc_lo, v5
	v_add_nc_u32_e32 v26, v1, v3
	v_and_b32_e32 v4, v4, v8
	v_xor_b32_e32 v1, s1, v2
	ds_read_b32 v24, v26 offset:128
	v_and_b32_e32 v2, v4, v5
	; wave barrier
	v_and_b32_e32 v1, v2, v1
	v_mbcnt_lo_u32_b32 v25, v1, 0
	v_cmp_ne_u32_e64 s1, 0, v1
	v_cmp_eq_u32_e32 vcc_lo, 0, v25
	s_and_b32 s2, s1, vcc_lo
	s_and_saveexec_b32 s1, s2
	s_cbranch_execz .LBB167_61
; %bb.60:
	s_waitcnt lgkmcnt(0)
	v_bcnt_u32_b32 v1, v1, v24
	ds_write_b32 v26, v1 offset:128
.LBB167_61:
	s_or_b32 exec_lo, exec_lo, s1
	; wave barrier
	s_waitcnt lgkmcnt(0)
	s_barrier
	buffer_gl0_inv
	ds_read2_b32 v[7:8], v14 offset0:32 offset1:33
	ds_read2_b32 v[5:6], v14 offset0:34 offset1:35
	;; [unrolled: 1-line block ×4, first 2 shown]
	ds_read_b32 v27, v14 offset:160
	v_and_b32_e32 v30, 16, v12
	v_and_b32_e32 v31, 31, v0
	s_mov_b32 s6, exec_lo
	v_cmp_eq_u32_e64 s4, 0, v30
	s_waitcnt lgkmcnt(3)
	v_add3_u32 v28, v8, v7, v5
	s_waitcnt lgkmcnt(2)
	v_add3_u32 v28, v28, v6, v3
	;; [unrolled: 2-line block ×4, first 2 shown]
	v_and_b32_e32 v28, 15, v12
	v_mov_b32_dpp v29, v27 row_shr:1 row_mask:0xf bank_mask:0xf
	v_cmp_eq_u32_e32 vcc_lo, 0, v28
	v_cmp_lt_u32_e64 s1, 1, v28
	v_cmp_lt_u32_e64 s2, 3, v28
	;; [unrolled: 1-line block ×3, first 2 shown]
	v_cndmask_b32_e64 v29, v29, 0, vcc_lo
	v_add_nc_u32_e32 v27, v29, v27
	v_mov_b32_dpp v29, v27 row_shr:2 row_mask:0xf bank_mask:0xf
	v_cndmask_b32_e64 v29, 0, v29, s1
	v_add_nc_u32_e32 v27, v27, v29
	v_mov_b32_dpp v29, v27 row_shr:4 row_mask:0xf bank_mask:0xf
	v_cndmask_b32_e64 v29, 0, v29, s2
	;; [unrolled: 3-line block ×3, first 2 shown]
	v_bfe_i32 v29, v12, 4, 1
	v_add_nc_u32_e32 v27, v27, v28
	ds_swizzle_b32 v28, v27 offset:swizzle(BROADCAST,32,15)
	s_waitcnt lgkmcnt(0)
	v_and_b32_e32 v29, v29, v28
	v_lshrrev_b32_e32 v28, 5, v0
	v_add_nc_u32_e32 v27, v27, v29
	v_cmpx_eq_u32_e32 31, v31
; %bb.62:
	v_lshlrev_b32_e32 v29, 2, v28
	ds_write_b32 v29, v27
; %bb.63:
	s_or_b32 exec_lo, exec_lo, s6
	v_cmp_lt_u32_e64 s5, 31, v0
	s_mov_b32 s9, exec_lo
	s_waitcnt lgkmcnt(0)
	s_barrier
	buffer_gl0_inv
	v_cmpx_gt_u32_e32 32, v0
	s_cbranch_execz .LBB167_65
; %bb.64:
	ds_read_b32 v29, v11
	s_waitcnt lgkmcnt(0)
	v_mov_b32_dpp v30, v29 row_shr:1 row_mask:0xf bank_mask:0xf
	v_cndmask_b32_e64 v30, v30, 0, vcc_lo
	v_add_nc_u32_e32 v29, v30, v29
	v_mov_b32_dpp v30, v29 row_shr:2 row_mask:0xf bank_mask:0xf
	v_cndmask_b32_e64 v30, 0, v30, s1
	v_add_nc_u32_e32 v29, v29, v30
	v_mov_b32_dpp v30, v29 row_shr:4 row_mask:0xf bank_mask:0xf
	v_cndmask_b32_e64 v30, 0, v30, s2
	v_add_nc_u32_e32 v29, v29, v30
	v_mov_b32_dpp v30, v29 row_shr:8 row_mask:0xf bank_mask:0xf
	v_cndmask_b32_e64 v30, 0, v30, s3
	v_add_nc_u32_e32 v29, v29, v30
	ds_swizzle_b32 v30, v29 offset:swizzle(BROADCAST,32,15)
	s_waitcnt lgkmcnt(0)
	v_cndmask_b32_e64 v30, v30, 0, s4
	v_add_nc_u32_e32 v29, v29, v30
	ds_write_b32 v11, v29
.LBB167_65:
	s_or_b32 exec_lo, exec_lo, s9
	v_mov_b32_e32 v29, 0
	s_waitcnt lgkmcnt(0)
	s_barrier
	buffer_gl0_inv
	s_and_saveexec_b32 s1, s5
; %bb.66:
	v_lshl_add_u32 v28, v28, 2, -4
	ds_read_b32 v29, v28
; %bb.67:
	s_or_b32 exec_lo, exec_lo, s1
	v_sub_co_u32 v28, vcc_lo, v12, 1
	s_waitcnt lgkmcnt(0)
	v_add_nc_u32_e32 v27, v29, v27
	v_cmp_gt_i32_e64 s1, 0, v28
	v_cndmask_b32_e64 v12, v28, v12, s1
	v_lshlrev_b32_e32 v12, 2, v12
	ds_bpermute_b32 v12, v12, v27
	s_waitcnt lgkmcnt(0)
	v_cndmask_b32_e32 v12, v12, v29, vcc_lo
	v_cmp_lt_u32_e32 vcc_lo, 0xff, v0
	v_cndmask_b32_e64 v12, v12, 0, s0
	v_cmp_gt_u32_e64 s0, 0x100, v0
	v_add_nc_u32_e32 v7, v12, v7
	v_add_nc_u32_e32 v8, v7, v8
	;; [unrolled: 1-line block ×8, first 2 shown]
	ds_write2_b32 v14, v12, v7 offset0:32 offset1:33
	ds_write2_b32 v14, v8, v5 offset0:34 offset1:35
	;; [unrolled: 1-line block ×4, first 2 shown]
	ds_write_b32 v14, v2 offset:160
	s_waitcnt lgkmcnt(0)
	s_barrier
	buffer_gl0_inv
	ds_read_b32 v1, v15 offset:128
	ds_read_b32 v4, v19 offset:128
	;; [unrolled: 1-line block ×4, first 2 shown]
                                        ; implicit-def: $vgpr7
                                        ; implicit-def: $vgpr8
	s_and_saveexec_b32 s2, s0
	s_cbranch_execz .LBB167_71
; %bb.68:
	v_mul_u32_u24_e32 v5, 0x84, v0
	v_add_nc_u32_e32 v6, 1, v0
	s_mov_b32 s3, exec_lo
	ds_read_b32 v7, v5 offset:128
	v_mov_b32_e32 v5, 0x1000
	v_cmpx_ne_u32_e32 0x100, v6
; %bb.69:
	v_mul_u32_u24_e32 v5, 0x84, v6
	ds_read_b32 v5, v5 offset:128
; %bb.70:
	s_or_b32 exec_lo, exec_lo, s3
	s_waitcnt lgkmcnt(0)
	v_sub_nc_u32_e32 v8, v5, v7
.LBB167_71:
	s_or_b32 exec_lo, exec_lo, s2
	v_lshlrev_b32_e32 v5, 2, v10
	v_lshlrev_b32_e32 v10, 2, v16
	;; [unrolled: 1-line block ×4, first 2 shown]
	s_waitcnt lgkmcnt(0)
	v_lshlrev_b32_e32 v2, 2, v2
	v_lshlrev_b32_e32 v6, 2, v18
	v_lshlrev_b32_e32 v4, 2, v4
	v_lshlrev_b32_e32 v12, 2, v22
	v_lshlrev_b32_e32 v14, 2, v20
	v_lshlrev_b32_e32 v3, 2, v3
	v_lshl_add_u32 v1, v1, 2, v5
	v_add3_u32 v5, v15, v16, v2
	v_mov_b32_e32 v2, 0
	v_add3_u32 v4, v6, v10, v4
	v_add3_u32 v3, v12, v14, v3
	s_barrier
	buffer_gl0_inv
	ds_write_b32 v1, v9 offset:1024
	ds_write_b32 v4, v13 offset:1024
	;; [unrolled: 1-line block ×4, first 2 shown]
	s_and_saveexec_b32 s1, s0
	s_cbranch_execz .LBB167_81
; %bb.72:
	v_lshl_add_u32 v1, s23, 8, v0
	v_mov_b32_e32 v9, 0
	s_mov_b32 s2, 0
	s_mov_b32 s3, s23
	v_lshlrev_b64 v[3:4], 2, v[1:2]
	v_or_b32_e32 v1, 2.0, v8
	v_add_co_u32 v3, s0, s10, v3
	v_add_co_ci_u32_e64 v4, null, s11, v4, s0
                                        ; implicit-def: $sgpr0
	global_store_dword v[3:4], v1, off
	s_branch .LBB167_75
	.p2align	6
.LBB167_73:                             ;   in Loop: Header=BB167_75 Depth=1
	s_or_b32 exec_lo, exec_lo, s5
.LBB167_74:                             ;   in Loop: Header=BB167_75 Depth=1
	s_or_b32 exec_lo, exec_lo, s4
	v_and_b32_e32 v5, 0x3fffffff, v1
	v_cmp_gt_i32_e64 s0, -2.0, v1
	v_add_nc_u32_e32 v9, v5, v9
	s_and_b32 s4, exec_lo, s0
	s_or_b32 s2, s4, s2
	s_andn2_b32 exec_lo, exec_lo, s2
	s_cbranch_execz .LBB167_80
.LBB167_75:                             ; =>This Loop Header: Depth=1
                                        ;     Child Loop BB167_78 Depth 2
	s_or_b32 s0, s0, exec_lo
	s_cmp_eq_u32 s3, 0
	s_cbranch_scc1 .LBB167_79
; %bb.76:                               ;   in Loop: Header=BB167_75 Depth=1
	s_add_i32 s3, s3, -1
	s_mov_b32 s4, exec_lo
	v_lshl_or_b32 v1, s3, 8, v0
	v_lshlrev_b64 v[5:6], 2, v[1:2]
	v_add_co_u32 v5, s0, s10, v5
	v_add_co_ci_u32_e64 v6, null, s11, v6, s0
	global_load_dword v1, v[5:6], off glc dlc
	s_waitcnt vmcnt(0)
	v_cmpx_gt_u32_e32 2.0, v1
	s_cbranch_execz .LBB167_74
; %bb.77:                               ;   in Loop: Header=BB167_75 Depth=1
	s_mov_b32 s5, 0
.LBB167_78:                             ;   Parent Loop BB167_75 Depth=1
                                        ; =>  This Inner Loop Header: Depth=2
	global_load_dword v1, v[5:6], off glc dlc
	s_waitcnt vmcnt(0)
	v_cmp_lt_u32_e64 s0, 0x3fffffff, v1
	s_or_b32 s5, s0, s5
	s_andn2_b32 exec_lo, exec_lo, s5
	s_cbranch_execnz .LBB167_78
	s_branch .LBB167_73
.LBB167_79:                             ;   in Loop: Header=BB167_75 Depth=1
                                        ; implicit-def: $sgpr3
	s_and_b32 s4, exec_lo, s0
	s_or_b32 s2, s4, s2
	s_andn2_b32 exec_lo, exec_lo, s2
	s_cbranch_execnz .LBB167_75
.LBB167_80:
	s_or_b32 exec_lo, exec_lo, s2
	v_add_nc_u32_e32 v1, v9, v8
	v_sub_nc_u32_e32 v2, v9, v7
	v_or_b32_e32 v1, 0x80000000, v1
	global_store_dword v[3:4], v1, off
	global_load_dword v1, v11, s[12:13]
	s_waitcnt vmcnt(0)
	v_add_nc_u32_e32 v1, v2, v1
	ds_write_b32 v11, v1
.LBB167_81:
	s_or_b32 exec_lo, exec_lo, s1
	s_waitcnt lgkmcnt(0)
	s_waitcnt_vscnt null, 0x0
	s_barrier
	buffer_gl0_inv
	ds_read2st64_b32 v[1:2], v11 offset0:4 offset1:20
	ds_read2st64_b32 v[3:4], v11 offset0:36 offset1:52
	s_add_i32 s7, s7, -1
	s_cmp_eq_u32 s23, s7
	s_waitcnt lgkmcnt(1)
	v_lshrrev_b32_e32 v5, s20, v1
	v_lshrrev_b32_e32 v6, s20, v2
	s_waitcnt lgkmcnt(0)
	v_lshrrev_b32_e32 v9, s20, v3
	v_lshrrev_b32_e32 v10, s20, v4
	v_xor_b32_e32 v15, 0x80000000, v1
	v_and_b32_e32 v5, s8, v5
	v_and_b32_e32 v6, s8, v6
	;; [unrolled: 1-line block ×3, first 2 shown]
	v_xor_b32_e32 v16, 0x80000000, v2
	v_xor_b32_e32 v4, 0x80000000, v4
	v_lshlrev_b32_e32 v5, 2, v5
	v_lshlrev_b32_e32 v6, 2, v6
	ds_read_b32 v5, v5
	ds_read_b32 v12, v6
	v_lshlrev_b32_e32 v6, 2, v9
	v_and_b32_e32 v9, s8, v10
	ds_read_b32 v13, v6
	v_lshlrev_b32_e32 v6, 2, v9
	ds_read_b32 v14, v6
	v_mov_b32_e32 v6, 0
	s_waitcnt lgkmcnt(3)
	v_add_nc_u32_e32 v5, v5, v0
	v_lshlrev_b64 v[9:10], 2, v[5:6]
	s_waitcnt lgkmcnt(2)
	v_add3_u32 v5, v12, v0, 0x400
	v_lshlrev_b64 v[1:2], 2, v[5:6]
	s_waitcnt lgkmcnt(1)
	v_add3_u32 v5, v13, v0, 0x800
	v_add_co_u32 v9, s0, s18, v9
	v_add_co_ci_u32_e64 v10, null, s19, v10, s0
	v_lshlrev_b64 v[12:13], 2, v[5:6]
	s_waitcnt lgkmcnt(0)
	v_add3_u32 v5, v14, v0, 0xc00
	v_add_co_u32 v0, s0, s18, v1
	v_add_co_ci_u32_e64 v1, null, s19, v2, s0
	v_xor_b32_e32 v14, 0x80000000, v3
	v_lshlrev_b64 v[2:3], 2, v[5:6]
	global_store_dword v[9:10], v15, off
	global_store_dword v[0:1], v16, off
	v_add_co_u32 v0, s0, s18, v12
	v_add_co_ci_u32_e64 v1, null, s19, v13, s0
	v_add_co_u32 v2, s0, s18, v2
	v_add_co_ci_u32_e64 v3, null, s19, v3, s0
	s_cselect_b32 s0, -1, 0
	s_xor_b32 s1, vcc_lo, -1
	global_store_dword v[0:1], v14, off
	s_and_b32 s0, s1, s0
	global_store_dword v[2:3], v4, off
	s_and_saveexec_b32 s1, s0
	s_cbranch_execz .LBB167_83
; %bb.82:
	ds_read_b32 v0, v11
	s_waitcnt lgkmcnt(0)
	v_add3_u32 v0, v7, v8, v0
	global_store_dword v11, v0, s[14:15]
.LBB167_83:
	s_endpgm
	.section	.rodata,"a",@progbits
	.p2align	6, 0x0
	.amdhsa_kernel _ZN7rocprim17ROCPRIM_400000_NS6detail17trampoline_kernelINS0_14default_configENS1_35radix_sort_onesweep_config_selectorIiNS0_10empty_typeEEEZZNS1_29radix_sort_onesweep_iterationIS3_Lb0EN6thrust23THRUST_200600_302600_NS6detail15normal_iteratorINS9_10device_ptrIiEEEESE_PS5_SF_jNS0_19identity_decomposerENS1_16block_id_wrapperIjLb1EEEEE10hipError_tT1_PNSt15iterator_traitsISK_E10value_typeET2_T3_PNSL_ISQ_E10value_typeET4_T5_PSV_SW_PNS1_23onesweep_lookback_stateEbbT6_jjT7_P12ihipStream_tbENKUlT_T0_SK_SP_E_clISE_SE_SF_SF_EEDaS13_S14_SK_SP_EUlS13_E_NS1_11comp_targetILNS1_3genE8ELNS1_11target_archE1030ELNS1_3gpuE2ELNS1_3repE0EEENS1_47radix_sort_onesweep_sort_config_static_selectorELNS0_4arch9wavefront6targetE0EEEvSK_
		.amdhsa_group_segment_fixed_size 37000
		.amdhsa_private_segment_fixed_size 0
		.amdhsa_kernarg_size 344
		.amdhsa_user_sgpr_count 6
		.amdhsa_user_sgpr_private_segment_buffer 1
		.amdhsa_user_sgpr_dispatch_ptr 0
		.amdhsa_user_sgpr_queue_ptr 0
		.amdhsa_user_sgpr_kernarg_segment_ptr 1
		.amdhsa_user_sgpr_dispatch_id 0
		.amdhsa_user_sgpr_flat_scratch_init 0
		.amdhsa_user_sgpr_private_segment_size 0
		.amdhsa_wavefront_size32 1
		.amdhsa_uses_dynamic_stack 0
		.amdhsa_system_sgpr_private_segment_wavefront_offset 0
		.amdhsa_system_sgpr_workgroup_id_x 1
		.amdhsa_system_sgpr_workgroup_id_y 0
		.amdhsa_system_sgpr_workgroup_id_z 0
		.amdhsa_system_sgpr_workgroup_info 0
		.amdhsa_system_vgpr_workitem_id 2
		.amdhsa_next_free_vgpr 34
		.amdhsa_next_free_sgpr 27
		.amdhsa_reserve_vcc 1
		.amdhsa_reserve_flat_scratch 0
		.amdhsa_float_round_mode_32 0
		.amdhsa_float_round_mode_16_64 0
		.amdhsa_float_denorm_mode_32 3
		.amdhsa_float_denorm_mode_16_64 3
		.amdhsa_dx10_clamp 1
		.amdhsa_ieee_mode 1
		.amdhsa_fp16_overflow 0
		.amdhsa_workgroup_processor_mode 1
		.amdhsa_memory_ordered 1
		.amdhsa_forward_progress 1
		.amdhsa_shared_vgpr_count 0
		.amdhsa_exception_fp_ieee_invalid_op 0
		.amdhsa_exception_fp_denorm_src 0
		.amdhsa_exception_fp_ieee_div_zero 0
		.amdhsa_exception_fp_ieee_overflow 0
		.amdhsa_exception_fp_ieee_underflow 0
		.amdhsa_exception_fp_ieee_inexact 0
		.amdhsa_exception_int_div_zero 0
	.end_amdhsa_kernel
	.section	.text._ZN7rocprim17ROCPRIM_400000_NS6detail17trampoline_kernelINS0_14default_configENS1_35radix_sort_onesweep_config_selectorIiNS0_10empty_typeEEEZZNS1_29radix_sort_onesweep_iterationIS3_Lb0EN6thrust23THRUST_200600_302600_NS6detail15normal_iteratorINS9_10device_ptrIiEEEESE_PS5_SF_jNS0_19identity_decomposerENS1_16block_id_wrapperIjLb1EEEEE10hipError_tT1_PNSt15iterator_traitsISK_E10value_typeET2_T3_PNSL_ISQ_E10value_typeET4_T5_PSV_SW_PNS1_23onesweep_lookback_stateEbbT6_jjT7_P12ihipStream_tbENKUlT_T0_SK_SP_E_clISE_SE_SF_SF_EEDaS13_S14_SK_SP_EUlS13_E_NS1_11comp_targetILNS1_3genE8ELNS1_11target_archE1030ELNS1_3gpuE2ELNS1_3repE0EEENS1_47radix_sort_onesweep_sort_config_static_selectorELNS0_4arch9wavefront6targetE0EEEvSK_,"axG",@progbits,_ZN7rocprim17ROCPRIM_400000_NS6detail17trampoline_kernelINS0_14default_configENS1_35radix_sort_onesweep_config_selectorIiNS0_10empty_typeEEEZZNS1_29radix_sort_onesweep_iterationIS3_Lb0EN6thrust23THRUST_200600_302600_NS6detail15normal_iteratorINS9_10device_ptrIiEEEESE_PS5_SF_jNS0_19identity_decomposerENS1_16block_id_wrapperIjLb1EEEEE10hipError_tT1_PNSt15iterator_traitsISK_E10value_typeET2_T3_PNSL_ISQ_E10value_typeET4_T5_PSV_SW_PNS1_23onesweep_lookback_stateEbbT6_jjT7_P12ihipStream_tbENKUlT_T0_SK_SP_E_clISE_SE_SF_SF_EEDaS13_S14_SK_SP_EUlS13_E_NS1_11comp_targetILNS1_3genE8ELNS1_11target_archE1030ELNS1_3gpuE2ELNS1_3repE0EEENS1_47radix_sort_onesweep_sort_config_static_selectorELNS0_4arch9wavefront6targetE0EEEvSK_,comdat
.Lfunc_end167:
	.size	_ZN7rocprim17ROCPRIM_400000_NS6detail17trampoline_kernelINS0_14default_configENS1_35radix_sort_onesweep_config_selectorIiNS0_10empty_typeEEEZZNS1_29radix_sort_onesweep_iterationIS3_Lb0EN6thrust23THRUST_200600_302600_NS6detail15normal_iteratorINS9_10device_ptrIiEEEESE_PS5_SF_jNS0_19identity_decomposerENS1_16block_id_wrapperIjLb1EEEEE10hipError_tT1_PNSt15iterator_traitsISK_E10value_typeET2_T3_PNSL_ISQ_E10value_typeET4_T5_PSV_SW_PNS1_23onesweep_lookback_stateEbbT6_jjT7_P12ihipStream_tbENKUlT_T0_SK_SP_E_clISE_SE_SF_SF_EEDaS13_S14_SK_SP_EUlS13_E_NS1_11comp_targetILNS1_3genE8ELNS1_11target_archE1030ELNS1_3gpuE2ELNS1_3repE0EEENS1_47radix_sort_onesweep_sort_config_static_selectorELNS0_4arch9wavefront6targetE0EEEvSK_, .Lfunc_end167-_ZN7rocprim17ROCPRIM_400000_NS6detail17trampoline_kernelINS0_14default_configENS1_35radix_sort_onesweep_config_selectorIiNS0_10empty_typeEEEZZNS1_29radix_sort_onesweep_iterationIS3_Lb0EN6thrust23THRUST_200600_302600_NS6detail15normal_iteratorINS9_10device_ptrIiEEEESE_PS5_SF_jNS0_19identity_decomposerENS1_16block_id_wrapperIjLb1EEEEE10hipError_tT1_PNSt15iterator_traitsISK_E10value_typeET2_T3_PNSL_ISQ_E10value_typeET4_T5_PSV_SW_PNS1_23onesweep_lookback_stateEbbT6_jjT7_P12ihipStream_tbENKUlT_T0_SK_SP_E_clISE_SE_SF_SF_EEDaS13_S14_SK_SP_EUlS13_E_NS1_11comp_targetILNS1_3genE8ELNS1_11target_archE1030ELNS1_3gpuE2ELNS1_3repE0EEENS1_47radix_sort_onesweep_sort_config_static_selectorELNS0_4arch9wavefront6targetE0EEEvSK_
                                        ; -- End function
	.set _ZN7rocprim17ROCPRIM_400000_NS6detail17trampoline_kernelINS0_14default_configENS1_35radix_sort_onesweep_config_selectorIiNS0_10empty_typeEEEZZNS1_29radix_sort_onesweep_iterationIS3_Lb0EN6thrust23THRUST_200600_302600_NS6detail15normal_iteratorINS9_10device_ptrIiEEEESE_PS5_SF_jNS0_19identity_decomposerENS1_16block_id_wrapperIjLb1EEEEE10hipError_tT1_PNSt15iterator_traitsISK_E10value_typeET2_T3_PNSL_ISQ_E10value_typeET4_T5_PSV_SW_PNS1_23onesweep_lookback_stateEbbT6_jjT7_P12ihipStream_tbENKUlT_T0_SK_SP_E_clISE_SE_SF_SF_EEDaS13_S14_SK_SP_EUlS13_E_NS1_11comp_targetILNS1_3genE8ELNS1_11target_archE1030ELNS1_3gpuE2ELNS1_3repE0EEENS1_47radix_sort_onesweep_sort_config_static_selectorELNS0_4arch9wavefront6targetE0EEEvSK_.num_vgpr, 34
	.set _ZN7rocprim17ROCPRIM_400000_NS6detail17trampoline_kernelINS0_14default_configENS1_35radix_sort_onesweep_config_selectorIiNS0_10empty_typeEEEZZNS1_29radix_sort_onesweep_iterationIS3_Lb0EN6thrust23THRUST_200600_302600_NS6detail15normal_iteratorINS9_10device_ptrIiEEEESE_PS5_SF_jNS0_19identity_decomposerENS1_16block_id_wrapperIjLb1EEEEE10hipError_tT1_PNSt15iterator_traitsISK_E10value_typeET2_T3_PNSL_ISQ_E10value_typeET4_T5_PSV_SW_PNS1_23onesweep_lookback_stateEbbT6_jjT7_P12ihipStream_tbENKUlT_T0_SK_SP_E_clISE_SE_SF_SF_EEDaS13_S14_SK_SP_EUlS13_E_NS1_11comp_targetILNS1_3genE8ELNS1_11target_archE1030ELNS1_3gpuE2ELNS1_3repE0EEENS1_47radix_sort_onesweep_sort_config_static_selectorELNS0_4arch9wavefront6targetE0EEEvSK_.num_agpr, 0
	.set _ZN7rocprim17ROCPRIM_400000_NS6detail17trampoline_kernelINS0_14default_configENS1_35radix_sort_onesweep_config_selectorIiNS0_10empty_typeEEEZZNS1_29radix_sort_onesweep_iterationIS3_Lb0EN6thrust23THRUST_200600_302600_NS6detail15normal_iteratorINS9_10device_ptrIiEEEESE_PS5_SF_jNS0_19identity_decomposerENS1_16block_id_wrapperIjLb1EEEEE10hipError_tT1_PNSt15iterator_traitsISK_E10value_typeET2_T3_PNSL_ISQ_E10value_typeET4_T5_PSV_SW_PNS1_23onesweep_lookback_stateEbbT6_jjT7_P12ihipStream_tbENKUlT_T0_SK_SP_E_clISE_SE_SF_SF_EEDaS13_S14_SK_SP_EUlS13_E_NS1_11comp_targetILNS1_3genE8ELNS1_11target_archE1030ELNS1_3gpuE2ELNS1_3repE0EEENS1_47radix_sort_onesweep_sort_config_static_selectorELNS0_4arch9wavefront6targetE0EEEvSK_.numbered_sgpr, 27
	.set _ZN7rocprim17ROCPRIM_400000_NS6detail17trampoline_kernelINS0_14default_configENS1_35radix_sort_onesweep_config_selectorIiNS0_10empty_typeEEEZZNS1_29radix_sort_onesweep_iterationIS3_Lb0EN6thrust23THRUST_200600_302600_NS6detail15normal_iteratorINS9_10device_ptrIiEEEESE_PS5_SF_jNS0_19identity_decomposerENS1_16block_id_wrapperIjLb1EEEEE10hipError_tT1_PNSt15iterator_traitsISK_E10value_typeET2_T3_PNSL_ISQ_E10value_typeET4_T5_PSV_SW_PNS1_23onesweep_lookback_stateEbbT6_jjT7_P12ihipStream_tbENKUlT_T0_SK_SP_E_clISE_SE_SF_SF_EEDaS13_S14_SK_SP_EUlS13_E_NS1_11comp_targetILNS1_3genE8ELNS1_11target_archE1030ELNS1_3gpuE2ELNS1_3repE0EEENS1_47radix_sort_onesweep_sort_config_static_selectorELNS0_4arch9wavefront6targetE0EEEvSK_.num_named_barrier, 0
	.set _ZN7rocprim17ROCPRIM_400000_NS6detail17trampoline_kernelINS0_14default_configENS1_35radix_sort_onesweep_config_selectorIiNS0_10empty_typeEEEZZNS1_29radix_sort_onesweep_iterationIS3_Lb0EN6thrust23THRUST_200600_302600_NS6detail15normal_iteratorINS9_10device_ptrIiEEEESE_PS5_SF_jNS0_19identity_decomposerENS1_16block_id_wrapperIjLb1EEEEE10hipError_tT1_PNSt15iterator_traitsISK_E10value_typeET2_T3_PNSL_ISQ_E10value_typeET4_T5_PSV_SW_PNS1_23onesweep_lookback_stateEbbT6_jjT7_P12ihipStream_tbENKUlT_T0_SK_SP_E_clISE_SE_SF_SF_EEDaS13_S14_SK_SP_EUlS13_E_NS1_11comp_targetILNS1_3genE8ELNS1_11target_archE1030ELNS1_3gpuE2ELNS1_3repE0EEENS1_47radix_sort_onesweep_sort_config_static_selectorELNS0_4arch9wavefront6targetE0EEEvSK_.private_seg_size, 0
	.set _ZN7rocprim17ROCPRIM_400000_NS6detail17trampoline_kernelINS0_14default_configENS1_35radix_sort_onesweep_config_selectorIiNS0_10empty_typeEEEZZNS1_29radix_sort_onesweep_iterationIS3_Lb0EN6thrust23THRUST_200600_302600_NS6detail15normal_iteratorINS9_10device_ptrIiEEEESE_PS5_SF_jNS0_19identity_decomposerENS1_16block_id_wrapperIjLb1EEEEE10hipError_tT1_PNSt15iterator_traitsISK_E10value_typeET2_T3_PNSL_ISQ_E10value_typeET4_T5_PSV_SW_PNS1_23onesweep_lookback_stateEbbT6_jjT7_P12ihipStream_tbENKUlT_T0_SK_SP_E_clISE_SE_SF_SF_EEDaS13_S14_SK_SP_EUlS13_E_NS1_11comp_targetILNS1_3genE8ELNS1_11target_archE1030ELNS1_3gpuE2ELNS1_3repE0EEENS1_47radix_sort_onesweep_sort_config_static_selectorELNS0_4arch9wavefront6targetE0EEEvSK_.uses_vcc, 1
	.set _ZN7rocprim17ROCPRIM_400000_NS6detail17trampoline_kernelINS0_14default_configENS1_35radix_sort_onesweep_config_selectorIiNS0_10empty_typeEEEZZNS1_29radix_sort_onesweep_iterationIS3_Lb0EN6thrust23THRUST_200600_302600_NS6detail15normal_iteratorINS9_10device_ptrIiEEEESE_PS5_SF_jNS0_19identity_decomposerENS1_16block_id_wrapperIjLb1EEEEE10hipError_tT1_PNSt15iterator_traitsISK_E10value_typeET2_T3_PNSL_ISQ_E10value_typeET4_T5_PSV_SW_PNS1_23onesweep_lookback_stateEbbT6_jjT7_P12ihipStream_tbENKUlT_T0_SK_SP_E_clISE_SE_SF_SF_EEDaS13_S14_SK_SP_EUlS13_E_NS1_11comp_targetILNS1_3genE8ELNS1_11target_archE1030ELNS1_3gpuE2ELNS1_3repE0EEENS1_47radix_sort_onesweep_sort_config_static_selectorELNS0_4arch9wavefront6targetE0EEEvSK_.uses_flat_scratch, 0
	.set _ZN7rocprim17ROCPRIM_400000_NS6detail17trampoline_kernelINS0_14default_configENS1_35radix_sort_onesweep_config_selectorIiNS0_10empty_typeEEEZZNS1_29radix_sort_onesweep_iterationIS3_Lb0EN6thrust23THRUST_200600_302600_NS6detail15normal_iteratorINS9_10device_ptrIiEEEESE_PS5_SF_jNS0_19identity_decomposerENS1_16block_id_wrapperIjLb1EEEEE10hipError_tT1_PNSt15iterator_traitsISK_E10value_typeET2_T3_PNSL_ISQ_E10value_typeET4_T5_PSV_SW_PNS1_23onesweep_lookback_stateEbbT6_jjT7_P12ihipStream_tbENKUlT_T0_SK_SP_E_clISE_SE_SF_SF_EEDaS13_S14_SK_SP_EUlS13_E_NS1_11comp_targetILNS1_3genE8ELNS1_11target_archE1030ELNS1_3gpuE2ELNS1_3repE0EEENS1_47radix_sort_onesweep_sort_config_static_selectorELNS0_4arch9wavefront6targetE0EEEvSK_.has_dyn_sized_stack, 0
	.set _ZN7rocprim17ROCPRIM_400000_NS6detail17trampoline_kernelINS0_14default_configENS1_35radix_sort_onesweep_config_selectorIiNS0_10empty_typeEEEZZNS1_29radix_sort_onesweep_iterationIS3_Lb0EN6thrust23THRUST_200600_302600_NS6detail15normal_iteratorINS9_10device_ptrIiEEEESE_PS5_SF_jNS0_19identity_decomposerENS1_16block_id_wrapperIjLb1EEEEE10hipError_tT1_PNSt15iterator_traitsISK_E10value_typeET2_T3_PNSL_ISQ_E10value_typeET4_T5_PSV_SW_PNS1_23onesweep_lookback_stateEbbT6_jjT7_P12ihipStream_tbENKUlT_T0_SK_SP_E_clISE_SE_SF_SF_EEDaS13_S14_SK_SP_EUlS13_E_NS1_11comp_targetILNS1_3genE8ELNS1_11target_archE1030ELNS1_3gpuE2ELNS1_3repE0EEENS1_47radix_sort_onesweep_sort_config_static_selectorELNS0_4arch9wavefront6targetE0EEEvSK_.has_recursion, 0
	.set _ZN7rocprim17ROCPRIM_400000_NS6detail17trampoline_kernelINS0_14default_configENS1_35radix_sort_onesweep_config_selectorIiNS0_10empty_typeEEEZZNS1_29radix_sort_onesweep_iterationIS3_Lb0EN6thrust23THRUST_200600_302600_NS6detail15normal_iteratorINS9_10device_ptrIiEEEESE_PS5_SF_jNS0_19identity_decomposerENS1_16block_id_wrapperIjLb1EEEEE10hipError_tT1_PNSt15iterator_traitsISK_E10value_typeET2_T3_PNSL_ISQ_E10value_typeET4_T5_PSV_SW_PNS1_23onesweep_lookback_stateEbbT6_jjT7_P12ihipStream_tbENKUlT_T0_SK_SP_E_clISE_SE_SF_SF_EEDaS13_S14_SK_SP_EUlS13_E_NS1_11comp_targetILNS1_3genE8ELNS1_11target_archE1030ELNS1_3gpuE2ELNS1_3repE0EEENS1_47radix_sort_onesweep_sort_config_static_selectorELNS0_4arch9wavefront6targetE0EEEvSK_.has_indirect_call, 0
	.section	.AMDGPU.csdata,"",@progbits
; Kernel info:
; codeLenInByte = 6780
; TotalNumSgprs: 29
; NumVgprs: 34
; ScratchSize: 0
; MemoryBound: 0
; FloatMode: 240
; IeeeMode: 1
; LDSByteSize: 37000 bytes/workgroup (compile time only)
; SGPRBlocks: 0
; VGPRBlocks: 4
; NumSGPRsForWavesPerEU: 29
; NumVGPRsForWavesPerEU: 34
; Occupancy: 16
; WaveLimiterHint : 1
; COMPUTE_PGM_RSRC2:SCRATCH_EN: 0
; COMPUTE_PGM_RSRC2:USER_SGPR: 6
; COMPUTE_PGM_RSRC2:TRAP_HANDLER: 0
; COMPUTE_PGM_RSRC2:TGID_X_EN: 1
; COMPUTE_PGM_RSRC2:TGID_Y_EN: 0
; COMPUTE_PGM_RSRC2:TGID_Z_EN: 0
; COMPUTE_PGM_RSRC2:TIDIG_COMP_CNT: 2
	.section	.text._ZN7rocprim17ROCPRIM_400000_NS6detail17trampoline_kernelINS0_14default_configENS1_35radix_sort_onesweep_config_selectorIiNS0_10empty_typeEEEZZNS1_29radix_sort_onesweep_iterationIS3_Lb0EN6thrust23THRUST_200600_302600_NS6detail15normal_iteratorINS9_10device_ptrIiEEEESE_PS5_SF_jNS0_19identity_decomposerENS1_16block_id_wrapperIjLb1EEEEE10hipError_tT1_PNSt15iterator_traitsISK_E10value_typeET2_T3_PNSL_ISQ_E10value_typeET4_T5_PSV_SW_PNS1_23onesweep_lookback_stateEbbT6_jjT7_P12ihipStream_tbENKUlT_T0_SK_SP_E_clISE_PiSF_SF_EEDaS13_S14_SK_SP_EUlS13_E_NS1_11comp_targetILNS1_3genE0ELNS1_11target_archE4294967295ELNS1_3gpuE0ELNS1_3repE0EEENS1_47radix_sort_onesweep_sort_config_static_selectorELNS0_4arch9wavefront6targetE0EEEvSK_,"axG",@progbits,_ZN7rocprim17ROCPRIM_400000_NS6detail17trampoline_kernelINS0_14default_configENS1_35radix_sort_onesweep_config_selectorIiNS0_10empty_typeEEEZZNS1_29radix_sort_onesweep_iterationIS3_Lb0EN6thrust23THRUST_200600_302600_NS6detail15normal_iteratorINS9_10device_ptrIiEEEESE_PS5_SF_jNS0_19identity_decomposerENS1_16block_id_wrapperIjLb1EEEEE10hipError_tT1_PNSt15iterator_traitsISK_E10value_typeET2_T3_PNSL_ISQ_E10value_typeET4_T5_PSV_SW_PNS1_23onesweep_lookback_stateEbbT6_jjT7_P12ihipStream_tbENKUlT_T0_SK_SP_E_clISE_PiSF_SF_EEDaS13_S14_SK_SP_EUlS13_E_NS1_11comp_targetILNS1_3genE0ELNS1_11target_archE4294967295ELNS1_3gpuE0ELNS1_3repE0EEENS1_47radix_sort_onesweep_sort_config_static_selectorELNS0_4arch9wavefront6targetE0EEEvSK_,comdat
	.protected	_ZN7rocprim17ROCPRIM_400000_NS6detail17trampoline_kernelINS0_14default_configENS1_35radix_sort_onesweep_config_selectorIiNS0_10empty_typeEEEZZNS1_29radix_sort_onesweep_iterationIS3_Lb0EN6thrust23THRUST_200600_302600_NS6detail15normal_iteratorINS9_10device_ptrIiEEEESE_PS5_SF_jNS0_19identity_decomposerENS1_16block_id_wrapperIjLb1EEEEE10hipError_tT1_PNSt15iterator_traitsISK_E10value_typeET2_T3_PNSL_ISQ_E10value_typeET4_T5_PSV_SW_PNS1_23onesweep_lookback_stateEbbT6_jjT7_P12ihipStream_tbENKUlT_T0_SK_SP_E_clISE_PiSF_SF_EEDaS13_S14_SK_SP_EUlS13_E_NS1_11comp_targetILNS1_3genE0ELNS1_11target_archE4294967295ELNS1_3gpuE0ELNS1_3repE0EEENS1_47radix_sort_onesweep_sort_config_static_selectorELNS0_4arch9wavefront6targetE0EEEvSK_ ; -- Begin function _ZN7rocprim17ROCPRIM_400000_NS6detail17trampoline_kernelINS0_14default_configENS1_35radix_sort_onesweep_config_selectorIiNS0_10empty_typeEEEZZNS1_29radix_sort_onesweep_iterationIS3_Lb0EN6thrust23THRUST_200600_302600_NS6detail15normal_iteratorINS9_10device_ptrIiEEEESE_PS5_SF_jNS0_19identity_decomposerENS1_16block_id_wrapperIjLb1EEEEE10hipError_tT1_PNSt15iterator_traitsISK_E10value_typeET2_T3_PNSL_ISQ_E10value_typeET4_T5_PSV_SW_PNS1_23onesweep_lookback_stateEbbT6_jjT7_P12ihipStream_tbENKUlT_T0_SK_SP_E_clISE_PiSF_SF_EEDaS13_S14_SK_SP_EUlS13_E_NS1_11comp_targetILNS1_3genE0ELNS1_11target_archE4294967295ELNS1_3gpuE0ELNS1_3repE0EEENS1_47radix_sort_onesweep_sort_config_static_selectorELNS0_4arch9wavefront6targetE0EEEvSK_
	.globl	_ZN7rocprim17ROCPRIM_400000_NS6detail17trampoline_kernelINS0_14default_configENS1_35radix_sort_onesweep_config_selectorIiNS0_10empty_typeEEEZZNS1_29radix_sort_onesweep_iterationIS3_Lb0EN6thrust23THRUST_200600_302600_NS6detail15normal_iteratorINS9_10device_ptrIiEEEESE_PS5_SF_jNS0_19identity_decomposerENS1_16block_id_wrapperIjLb1EEEEE10hipError_tT1_PNSt15iterator_traitsISK_E10value_typeET2_T3_PNSL_ISQ_E10value_typeET4_T5_PSV_SW_PNS1_23onesweep_lookback_stateEbbT6_jjT7_P12ihipStream_tbENKUlT_T0_SK_SP_E_clISE_PiSF_SF_EEDaS13_S14_SK_SP_EUlS13_E_NS1_11comp_targetILNS1_3genE0ELNS1_11target_archE4294967295ELNS1_3gpuE0ELNS1_3repE0EEENS1_47radix_sort_onesweep_sort_config_static_selectorELNS0_4arch9wavefront6targetE0EEEvSK_
	.p2align	8
	.type	_ZN7rocprim17ROCPRIM_400000_NS6detail17trampoline_kernelINS0_14default_configENS1_35radix_sort_onesweep_config_selectorIiNS0_10empty_typeEEEZZNS1_29radix_sort_onesweep_iterationIS3_Lb0EN6thrust23THRUST_200600_302600_NS6detail15normal_iteratorINS9_10device_ptrIiEEEESE_PS5_SF_jNS0_19identity_decomposerENS1_16block_id_wrapperIjLb1EEEEE10hipError_tT1_PNSt15iterator_traitsISK_E10value_typeET2_T3_PNSL_ISQ_E10value_typeET4_T5_PSV_SW_PNS1_23onesweep_lookback_stateEbbT6_jjT7_P12ihipStream_tbENKUlT_T0_SK_SP_E_clISE_PiSF_SF_EEDaS13_S14_SK_SP_EUlS13_E_NS1_11comp_targetILNS1_3genE0ELNS1_11target_archE4294967295ELNS1_3gpuE0ELNS1_3repE0EEENS1_47radix_sort_onesweep_sort_config_static_selectorELNS0_4arch9wavefront6targetE0EEEvSK_,@function
_ZN7rocprim17ROCPRIM_400000_NS6detail17trampoline_kernelINS0_14default_configENS1_35radix_sort_onesweep_config_selectorIiNS0_10empty_typeEEEZZNS1_29radix_sort_onesweep_iterationIS3_Lb0EN6thrust23THRUST_200600_302600_NS6detail15normal_iteratorINS9_10device_ptrIiEEEESE_PS5_SF_jNS0_19identity_decomposerENS1_16block_id_wrapperIjLb1EEEEE10hipError_tT1_PNSt15iterator_traitsISK_E10value_typeET2_T3_PNSL_ISQ_E10value_typeET4_T5_PSV_SW_PNS1_23onesweep_lookback_stateEbbT6_jjT7_P12ihipStream_tbENKUlT_T0_SK_SP_E_clISE_PiSF_SF_EEDaS13_S14_SK_SP_EUlS13_E_NS1_11comp_targetILNS1_3genE0ELNS1_11target_archE4294967295ELNS1_3gpuE0ELNS1_3repE0EEENS1_47radix_sort_onesweep_sort_config_static_selectorELNS0_4arch9wavefront6targetE0EEEvSK_: ; @_ZN7rocprim17ROCPRIM_400000_NS6detail17trampoline_kernelINS0_14default_configENS1_35radix_sort_onesweep_config_selectorIiNS0_10empty_typeEEEZZNS1_29radix_sort_onesweep_iterationIS3_Lb0EN6thrust23THRUST_200600_302600_NS6detail15normal_iteratorINS9_10device_ptrIiEEEESE_PS5_SF_jNS0_19identity_decomposerENS1_16block_id_wrapperIjLb1EEEEE10hipError_tT1_PNSt15iterator_traitsISK_E10value_typeET2_T3_PNSL_ISQ_E10value_typeET4_T5_PSV_SW_PNS1_23onesweep_lookback_stateEbbT6_jjT7_P12ihipStream_tbENKUlT_T0_SK_SP_E_clISE_PiSF_SF_EEDaS13_S14_SK_SP_EUlS13_E_NS1_11comp_targetILNS1_3genE0ELNS1_11target_archE4294967295ELNS1_3gpuE0ELNS1_3repE0EEENS1_47radix_sort_onesweep_sort_config_static_selectorELNS0_4arch9wavefront6targetE0EEEvSK_
; %bb.0:
	.section	.rodata,"a",@progbits
	.p2align	6, 0x0
	.amdhsa_kernel _ZN7rocprim17ROCPRIM_400000_NS6detail17trampoline_kernelINS0_14default_configENS1_35radix_sort_onesweep_config_selectorIiNS0_10empty_typeEEEZZNS1_29radix_sort_onesweep_iterationIS3_Lb0EN6thrust23THRUST_200600_302600_NS6detail15normal_iteratorINS9_10device_ptrIiEEEESE_PS5_SF_jNS0_19identity_decomposerENS1_16block_id_wrapperIjLb1EEEEE10hipError_tT1_PNSt15iterator_traitsISK_E10value_typeET2_T3_PNSL_ISQ_E10value_typeET4_T5_PSV_SW_PNS1_23onesweep_lookback_stateEbbT6_jjT7_P12ihipStream_tbENKUlT_T0_SK_SP_E_clISE_PiSF_SF_EEDaS13_S14_SK_SP_EUlS13_E_NS1_11comp_targetILNS1_3genE0ELNS1_11target_archE4294967295ELNS1_3gpuE0ELNS1_3repE0EEENS1_47radix_sort_onesweep_sort_config_static_selectorELNS0_4arch9wavefront6targetE0EEEvSK_
		.amdhsa_group_segment_fixed_size 0
		.amdhsa_private_segment_fixed_size 0
		.amdhsa_kernarg_size 88
		.amdhsa_user_sgpr_count 6
		.amdhsa_user_sgpr_private_segment_buffer 1
		.amdhsa_user_sgpr_dispatch_ptr 0
		.amdhsa_user_sgpr_queue_ptr 0
		.amdhsa_user_sgpr_kernarg_segment_ptr 1
		.amdhsa_user_sgpr_dispatch_id 0
		.amdhsa_user_sgpr_flat_scratch_init 0
		.amdhsa_user_sgpr_private_segment_size 0
		.amdhsa_wavefront_size32 1
		.amdhsa_uses_dynamic_stack 0
		.amdhsa_system_sgpr_private_segment_wavefront_offset 0
		.amdhsa_system_sgpr_workgroup_id_x 1
		.amdhsa_system_sgpr_workgroup_id_y 0
		.amdhsa_system_sgpr_workgroup_id_z 0
		.amdhsa_system_sgpr_workgroup_info 0
		.amdhsa_system_vgpr_workitem_id 0
		.amdhsa_next_free_vgpr 1
		.amdhsa_next_free_sgpr 1
		.amdhsa_reserve_vcc 0
		.amdhsa_reserve_flat_scratch 0
		.amdhsa_float_round_mode_32 0
		.amdhsa_float_round_mode_16_64 0
		.amdhsa_float_denorm_mode_32 3
		.amdhsa_float_denorm_mode_16_64 3
		.amdhsa_dx10_clamp 1
		.amdhsa_ieee_mode 1
		.amdhsa_fp16_overflow 0
		.amdhsa_workgroup_processor_mode 1
		.amdhsa_memory_ordered 1
		.amdhsa_forward_progress 1
		.amdhsa_shared_vgpr_count 0
		.amdhsa_exception_fp_ieee_invalid_op 0
		.amdhsa_exception_fp_denorm_src 0
		.amdhsa_exception_fp_ieee_div_zero 0
		.amdhsa_exception_fp_ieee_overflow 0
		.amdhsa_exception_fp_ieee_underflow 0
		.amdhsa_exception_fp_ieee_inexact 0
		.amdhsa_exception_int_div_zero 0
	.end_amdhsa_kernel
	.section	.text._ZN7rocprim17ROCPRIM_400000_NS6detail17trampoline_kernelINS0_14default_configENS1_35radix_sort_onesweep_config_selectorIiNS0_10empty_typeEEEZZNS1_29radix_sort_onesweep_iterationIS3_Lb0EN6thrust23THRUST_200600_302600_NS6detail15normal_iteratorINS9_10device_ptrIiEEEESE_PS5_SF_jNS0_19identity_decomposerENS1_16block_id_wrapperIjLb1EEEEE10hipError_tT1_PNSt15iterator_traitsISK_E10value_typeET2_T3_PNSL_ISQ_E10value_typeET4_T5_PSV_SW_PNS1_23onesweep_lookback_stateEbbT6_jjT7_P12ihipStream_tbENKUlT_T0_SK_SP_E_clISE_PiSF_SF_EEDaS13_S14_SK_SP_EUlS13_E_NS1_11comp_targetILNS1_3genE0ELNS1_11target_archE4294967295ELNS1_3gpuE0ELNS1_3repE0EEENS1_47radix_sort_onesweep_sort_config_static_selectorELNS0_4arch9wavefront6targetE0EEEvSK_,"axG",@progbits,_ZN7rocprim17ROCPRIM_400000_NS6detail17trampoline_kernelINS0_14default_configENS1_35radix_sort_onesweep_config_selectorIiNS0_10empty_typeEEEZZNS1_29radix_sort_onesweep_iterationIS3_Lb0EN6thrust23THRUST_200600_302600_NS6detail15normal_iteratorINS9_10device_ptrIiEEEESE_PS5_SF_jNS0_19identity_decomposerENS1_16block_id_wrapperIjLb1EEEEE10hipError_tT1_PNSt15iterator_traitsISK_E10value_typeET2_T3_PNSL_ISQ_E10value_typeET4_T5_PSV_SW_PNS1_23onesweep_lookback_stateEbbT6_jjT7_P12ihipStream_tbENKUlT_T0_SK_SP_E_clISE_PiSF_SF_EEDaS13_S14_SK_SP_EUlS13_E_NS1_11comp_targetILNS1_3genE0ELNS1_11target_archE4294967295ELNS1_3gpuE0ELNS1_3repE0EEENS1_47radix_sort_onesweep_sort_config_static_selectorELNS0_4arch9wavefront6targetE0EEEvSK_,comdat
.Lfunc_end168:
	.size	_ZN7rocprim17ROCPRIM_400000_NS6detail17trampoline_kernelINS0_14default_configENS1_35radix_sort_onesweep_config_selectorIiNS0_10empty_typeEEEZZNS1_29radix_sort_onesweep_iterationIS3_Lb0EN6thrust23THRUST_200600_302600_NS6detail15normal_iteratorINS9_10device_ptrIiEEEESE_PS5_SF_jNS0_19identity_decomposerENS1_16block_id_wrapperIjLb1EEEEE10hipError_tT1_PNSt15iterator_traitsISK_E10value_typeET2_T3_PNSL_ISQ_E10value_typeET4_T5_PSV_SW_PNS1_23onesweep_lookback_stateEbbT6_jjT7_P12ihipStream_tbENKUlT_T0_SK_SP_E_clISE_PiSF_SF_EEDaS13_S14_SK_SP_EUlS13_E_NS1_11comp_targetILNS1_3genE0ELNS1_11target_archE4294967295ELNS1_3gpuE0ELNS1_3repE0EEENS1_47radix_sort_onesweep_sort_config_static_selectorELNS0_4arch9wavefront6targetE0EEEvSK_, .Lfunc_end168-_ZN7rocprim17ROCPRIM_400000_NS6detail17trampoline_kernelINS0_14default_configENS1_35radix_sort_onesweep_config_selectorIiNS0_10empty_typeEEEZZNS1_29radix_sort_onesweep_iterationIS3_Lb0EN6thrust23THRUST_200600_302600_NS6detail15normal_iteratorINS9_10device_ptrIiEEEESE_PS5_SF_jNS0_19identity_decomposerENS1_16block_id_wrapperIjLb1EEEEE10hipError_tT1_PNSt15iterator_traitsISK_E10value_typeET2_T3_PNSL_ISQ_E10value_typeET4_T5_PSV_SW_PNS1_23onesweep_lookback_stateEbbT6_jjT7_P12ihipStream_tbENKUlT_T0_SK_SP_E_clISE_PiSF_SF_EEDaS13_S14_SK_SP_EUlS13_E_NS1_11comp_targetILNS1_3genE0ELNS1_11target_archE4294967295ELNS1_3gpuE0ELNS1_3repE0EEENS1_47radix_sort_onesweep_sort_config_static_selectorELNS0_4arch9wavefront6targetE0EEEvSK_
                                        ; -- End function
	.set _ZN7rocprim17ROCPRIM_400000_NS6detail17trampoline_kernelINS0_14default_configENS1_35radix_sort_onesweep_config_selectorIiNS0_10empty_typeEEEZZNS1_29radix_sort_onesweep_iterationIS3_Lb0EN6thrust23THRUST_200600_302600_NS6detail15normal_iteratorINS9_10device_ptrIiEEEESE_PS5_SF_jNS0_19identity_decomposerENS1_16block_id_wrapperIjLb1EEEEE10hipError_tT1_PNSt15iterator_traitsISK_E10value_typeET2_T3_PNSL_ISQ_E10value_typeET4_T5_PSV_SW_PNS1_23onesweep_lookback_stateEbbT6_jjT7_P12ihipStream_tbENKUlT_T0_SK_SP_E_clISE_PiSF_SF_EEDaS13_S14_SK_SP_EUlS13_E_NS1_11comp_targetILNS1_3genE0ELNS1_11target_archE4294967295ELNS1_3gpuE0ELNS1_3repE0EEENS1_47radix_sort_onesweep_sort_config_static_selectorELNS0_4arch9wavefront6targetE0EEEvSK_.num_vgpr, 0
	.set _ZN7rocprim17ROCPRIM_400000_NS6detail17trampoline_kernelINS0_14default_configENS1_35radix_sort_onesweep_config_selectorIiNS0_10empty_typeEEEZZNS1_29radix_sort_onesweep_iterationIS3_Lb0EN6thrust23THRUST_200600_302600_NS6detail15normal_iteratorINS9_10device_ptrIiEEEESE_PS5_SF_jNS0_19identity_decomposerENS1_16block_id_wrapperIjLb1EEEEE10hipError_tT1_PNSt15iterator_traitsISK_E10value_typeET2_T3_PNSL_ISQ_E10value_typeET4_T5_PSV_SW_PNS1_23onesweep_lookback_stateEbbT6_jjT7_P12ihipStream_tbENKUlT_T0_SK_SP_E_clISE_PiSF_SF_EEDaS13_S14_SK_SP_EUlS13_E_NS1_11comp_targetILNS1_3genE0ELNS1_11target_archE4294967295ELNS1_3gpuE0ELNS1_3repE0EEENS1_47radix_sort_onesweep_sort_config_static_selectorELNS0_4arch9wavefront6targetE0EEEvSK_.num_agpr, 0
	.set _ZN7rocprim17ROCPRIM_400000_NS6detail17trampoline_kernelINS0_14default_configENS1_35radix_sort_onesweep_config_selectorIiNS0_10empty_typeEEEZZNS1_29radix_sort_onesweep_iterationIS3_Lb0EN6thrust23THRUST_200600_302600_NS6detail15normal_iteratorINS9_10device_ptrIiEEEESE_PS5_SF_jNS0_19identity_decomposerENS1_16block_id_wrapperIjLb1EEEEE10hipError_tT1_PNSt15iterator_traitsISK_E10value_typeET2_T3_PNSL_ISQ_E10value_typeET4_T5_PSV_SW_PNS1_23onesweep_lookback_stateEbbT6_jjT7_P12ihipStream_tbENKUlT_T0_SK_SP_E_clISE_PiSF_SF_EEDaS13_S14_SK_SP_EUlS13_E_NS1_11comp_targetILNS1_3genE0ELNS1_11target_archE4294967295ELNS1_3gpuE0ELNS1_3repE0EEENS1_47radix_sort_onesweep_sort_config_static_selectorELNS0_4arch9wavefront6targetE0EEEvSK_.numbered_sgpr, 0
	.set _ZN7rocprim17ROCPRIM_400000_NS6detail17trampoline_kernelINS0_14default_configENS1_35radix_sort_onesweep_config_selectorIiNS0_10empty_typeEEEZZNS1_29radix_sort_onesweep_iterationIS3_Lb0EN6thrust23THRUST_200600_302600_NS6detail15normal_iteratorINS9_10device_ptrIiEEEESE_PS5_SF_jNS0_19identity_decomposerENS1_16block_id_wrapperIjLb1EEEEE10hipError_tT1_PNSt15iterator_traitsISK_E10value_typeET2_T3_PNSL_ISQ_E10value_typeET4_T5_PSV_SW_PNS1_23onesweep_lookback_stateEbbT6_jjT7_P12ihipStream_tbENKUlT_T0_SK_SP_E_clISE_PiSF_SF_EEDaS13_S14_SK_SP_EUlS13_E_NS1_11comp_targetILNS1_3genE0ELNS1_11target_archE4294967295ELNS1_3gpuE0ELNS1_3repE0EEENS1_47radix_sort_onesweep_sort_config_static_selectorELNS0_4arch9wavefront6targetE0EEEvSK_.num_named_barrier, 0
	.set _ZN7rocprim17ROCPRIM_400000_NS6detail17trampoline_kernelINS0_14default_configENS1_35radix_sort_onesweep_config_selectorIiNS0_10empty_typeEEEZZNS1_29radix_sort_onesweep_iterationIS3_Lb0EN6thrust23THRUST_200600_302600_NS6detail15normal_iteratorINS9_10device_ptrIiEEEESE_PS5_SF_jNS0_19identity_decomposerENS1_16block_id_wrapperIjLb1EEEEE10hipError_tT1_PNSt15iterator_traitsISK_E10value_typeET2_T3_PNSL_ISQ_E10value_typeET4_T5_PSV_SW_PNS1_23onesweep_lookback_stateEbbT6_jjT7_P12ihipStream_tbENKUlT_T0_SK_SP_E_clISE_PiSF_SF_EEDaS13_S14_SK_SP_EUlS13_E_NS1_11comp_targetILNS1_3genE0ELNS1_11target_archE4294967295ELNS1_3gpuE0ELNS1_3repE0EEENS1_47radix_sort_onesweep_sort_config_static_selectorELNS0_4arch9wavefront6targetE0EEEvSK_.private_seg_size, 0
	.set _ZN7rocprim17ROCPRIM_400000_NS6detail17trampoline_kernelINS0_14default_configENS1_35radix_sort_onesweep_config_selectorIiNS0_10empty_typeEEEZZNS1_29radix_sort_onesweep_iterationIS3_Lb0EN6thrust23THRUST_200600_302600_NS6detail15normal_iteratorINS9_10device_ptrIiEEEESE_PS5_SF_jNS0_19identity_decomposerENS1_16block_id_wrapperIjLb1EEEEE10hipError_tT1_PNSt15iterator_traitsISK_E10value_typeET2_T3_PNSL_ISQ_E10value_typeET4_T5_PSV_SW_PNS1_23onesweep_lookback_stateEbbT6_jjT7_P12ihipStream_tbENKUlT_T0_SK_SP_E_clISE_PiSF_SF_EEDaS13_S14_SK_SP_EUlS13_E_NS1_11comp_targetILNS1_3genE0ELNS1_11target_archE4294967295ELNS1_3gpuE0ELNS1_3repE0EEENS1_47radix_sort_onesweep_sort_config_static_selectorELNS0_4arch9wavefront6targetE0EEEvSK_.uses_vcc, 0
	.set _ZN7rocprim17ROCPRIM_400000_NS6detail17trampoline_kernelINS0_14default_configENS1_35radix_sort_onesweep_config_selectorIiNS0_10empty_typeEEEZZNS1_29radix_sort_onesweep_iterationIS3_Lb0EN6thrust23THRUST_200600_302600_NS6detail15normal_iteratorINS9_10device_ptrIiEEEESE_PS5_SF_jNS0_19identity_decomposerENS1_16block_id_wrapperIjLb1EEEEE10hipError_tT1_PNSt15iterator_traitsISK_E10value_typeET2_T3_PNSL_ISQ_E10value_typeET4_T5_PSV_SW_PNS1_23onesweep_lookback_stateEbbT6_jjT7_P12ihipStream_tbENKUlT_T0_SK_SP_E_clISE_PiSF_SF_EEDaS13_S14_SK_SP_EUlS13_E_NS1_11comp_targetILNS1_3genE0ELNS1_11target_archE4294967295ELNS1_3gpuE0ELNS1_3repE0EEENS1_47radix_sort_onesweep_sort_config_static_selectorELNS0_4arch9wavefront6targetE0EEEvSK_.uses_flat_scratch, 0
	.set _ZN7rocprim17ROCPRIM_400000_NS6detail17trampoline_kernelINS0_14default_configENS1_35radix_sort_onesweep_config_selectorIiNS0_10empty_typeEEEZZNS1_29radix_sort_onesweep_iterationIS3_Lb0EN6thrust23THRUST_200600_302600_NS6detail15normal_iteratorINS9_10device_ptrIiEEEESE_PS5_SF_jNS0_19identity_decomposerENS1_16block_id_wrapperIjLb1EEEEE10hipError_tT1_PNSt15iterator_traitsISK_E10value_typeET2_T3_PNSL_ISQ_E10value_typeET4_T5_PSV_SW_PNS1_23onesweep_lookback_stateEbbT6_jjT7_P12ihipStream_tbENKUlT_T0_SK_SP_E_clISE_PiSF_SF_EEDaS13_S14_SK_SP_EUlS13_E_NS1_11comp_targetILNS1_3genE0ELNS1_11target_archE4294967295ELNS1_3gpuE0ELNS1_3repE0EEENS1_47radix_sort_onesweep_sort_config_static_selectorELNS0_4arch9wavefront6targetE0EEEvSK_.has_dyn_sized_stack, 0
	.set _ZN7rocprim17ROCPRIM_400000_NS6detail17trampoline_kernelINS0_14default_configENS1_35radix_sort_onesweep_config_selectorIiNS0_10empty_typeEEEZZNS1_29radix_sort_onesweep_iterationIS3_Lb0EN6thrust23THRUST_200600_302600_NS6detail15normal_iteratorINS9_10device_ptrIiEEEESE_PS5_SF_jNS0_19identity_decomposerENS1_16block_id_wrapperIjLb1EEEEE10hipError_tT1_PNSt15iterator_traitsISK_E10value_typeET2_T3_PNSL_ISQ_E10value_typeET4_T5_PSV_SW_PNS1_23onesweep_lookback_stateEbbT6_jjT7_P12ihipStream_tbENKUlT_T0_SK_SP_E_clISE_PiSF_SF_EEDaS13_S14_SK_SP_EUlS13_E_NS1_11comp_targetILNS1_3genE0ELNS1_11target_archE4294967295ELNS1_3gpuE0ELNS1_3repE0EEENS1_47radix_sort_onesweep_sort_config_static_selectorELNS0_4arch9wavefront6targetE0EEEvSK_.has_recursion, 0
	.set _ZN7rocprim17ROCPRIM_400000_NS6detail17trampoline_kernelINS0_14default_configENS1_35radix_sort_onesweep_config_selectorIiNS0_10empty_typeEEEZZNS1_29radix_sort_onesweep_iterationIS3_Lb0EN6thrust23THRUST_200600_302600_NS6detail15normal_iteratorINS9_10device_ptrIiEEEESE_PS5_SF_jNS0_19identity_decomposerENS1_16block_id_wrapperIjLb1EEEEE10hipError_tT1_PNSt15iterator_traitsISK_E10value_typeET2_T3_PNSL_ISQ_E10value_typeET4_T5_PSV_SW_PNS1_23onesweep_lookback_stateEbbT6_jjT7_P12ihipStream_tbENKUlT_T0_SK_SP_E_clISE_PiSF_SF_EEDaS13_S14_SK_SP_EUlS13_E_NS1_11comp_targetILNS1_3genE0ELNS1_11target_archE4294967295ELNS1_3gpuE0ELNS1_3repE0EEENS1_47radix_sort_onesweep_sort_config_static_selectorELNS0_4arch9wavefront6targetE0EEEvSK_.has_indirect_call, 0
	.section	.AMDGPU.csdata,"",@progbits
; Kernel info:
; codeLenInByte = 0
; TotalNumSgprs: 0
; NumVgprs: 0
; ScratchSize: 0
; MemoryBound: 0
; FloatMode: 240
; IeeeMode: 1
; LDSByteSize: 0 bytes/workgroup (compile time only)
; SGPRBlocks: 0
; VGPRBlocks: 0
; NumSGPRsForWavesPerEU: 1
; NumVGPRsForWavesPerEU: 1
; Occupancy: 16
; WaveLimiterHint : 0
; COMPUTE_PGM_RSRC2:SCRATCH_EN: 0
; COMPUTE_PGM_RSRC2:USER_SGPR: 6
; COMPUTE_PGM_RSRC2:TRAP_HANDLER: 0
; COMPUTE_PGM_RSRC2:TGID_X_EN: 1
; COMPUTE_PGM_RSRC2:TGID_Y_EN: 0
; COMPUTE_PGM_RSRC2:TGID_Z_EN: 0
; COMPUTE_PGM_RSRC2:TIDIG_COMP_CNT: 0
	.section	.text._ZN7rocprim17ROCPRIM_400000_NS6detail17trampoline_kernelINS0_14default_configENS1_35radix_sort_onesweep_config_selectorIiNS0_10empty_typeEEEZZNS1_29radix_sort_onesweep_iterationIS3_Lb0EN6thrust23THRUST_200600_302600_NS6detail15normal_iteratorINS9_10device_ptrIiEEEESE_PS5_SF_jNS0_19identity_decomposerENS1_16block_id_wrapperIjLb1EEEEE10hipError_tT1_PNSt15iterator_traitsISK_E10value_typeET2_T3_PNSL_ISQ_E10value_typeET4_T5_PSV_SW_PNS1_23onesweep_lookback_stateEbbT6_jjT7_P12ihipStream_tbENKUlT_T0_SK_SP_E_clISE_PiSF_SF_EEDaS13_S14_SK_SP_EUlS13_E_NS1_11comp_targetILNS1_3genE6ELNS1_11target_archE950ELNS1_3gpuE13ELNS1_3repE0EEENS1_47radix_sort_onesweep_sort_config_static_selectorELNS0_4arch9wavefront6targetE0EEEvSK_,"axG",@progbits,_ZN7rocprim17ROCPRIM_400000_NS6detail17trampoline_kernelINS0_14default_configENS1_35radix_sort_onesweep_config_selectorIiNS0_10empty_typeEEEZZNS1_29radix_sort_onesweep_iterationIS3_Lb0EN6thrust23THRUST_200600_302600_NS6detail15normal_iteratorINS9_10device_ptrIiEEEESE_PS5_SF_jNS0_19identity_decomposerENS1_16block_id_wrapperIjLb1EEEEE10hipError_tT1_PNSt15iterator_traitsISK_E10value_typeET2_T3_PNSL_ISQ_E10value_typeET4_T5_PSV_SW_PNS1_23onesweep_lookback_stateEbbT6_jjT7_P12ihipStream_tbENKUlT_T0_SK_SP_E_clISE_PiSF_SF_EEDaS13_S14_SK_SP_EUlS13_E_NS1_11comp_targetILNS1_3genE6ELNS1_11target_archE950ELNS1_3gpuE13ELNS1_3repE0EEENS1_47radix_sort_onesweep_sort_config_static_selectorELNS0_4arch9wavefront6targetE0EEEvSK_,comdat
	.protected	_ZN7rocprim17ROCPRIM_400000_NS6detail17trampoline_kernelINS0_14default_configENS1_35radix_sort_onesweep_config_selectorIiNS0_10empty_typeEEEZZNS1_29radix_sort_onesweep_iterationIS3_Lb0EN6thrust23THRUST_200600_302600_NS6detail15normal_iteratorINS9_10device_ptrIiEEEESE_PS5_SF_jNS0_19identity_decomposerENS1_16block_id_wrapperIjLb1EEEEE10hipError_tT1_PNSt15iterator_traitsISK_E10value_typeET2_T3_PNSL_ISQ_E10value_typeET4_T5_PSV_SW_PNS1_23onesweep_lookback_stateEbbT6_jjT7_P12ihipStream_tbENKUlT_T0_SK_SP_E_clISE_PiSF_SF_EEDaS13_S14_SK_SP_EUlS13_E_NS1_11comp_targetILNS1_3genE6ELNS1_11target_archE950ELNS1_3gpuE13ELNS1_3repE0EEENS1_47radix_sort_onesweep_sort_config_static_selectorELNS0_4arch9wavefront6targetE0EEEvSK_ ; -- Begin function _ZN7rocprim17ROCPRIM_400000_NS6detail17trampoline_kernelINS0_14default_configENS1_35radix_sort_onesweep_config_selectorIiNS0_10empty_typeEEEZZNS1_29radix_sort_onesweep_iterationIS3_Lb0EN6thrust23THRUST_200600_302600_NS6detail15normal_iteratorINS9_10device_ptrIiEEEESE_PS5_SF_jNS0_19identity_decomposerENS1_16block_id_wrapperIjLb1EEEEE10hipError_tT1_PNSt15iterator_traitsISK_E10value_typeET2_T3_PNSL_ISQ_E10value_typeET4_T5_PSV_SW_PNS1_23onesweep_lookback_stateEbbT6_jjT7_P12ihipStream_tbENKUlT_T0_SK_SP_E_clISE_PiSF_SF_EEDaS13_S14_SK_SP_EUlS13_E_NS1_11comp_targetILNS1_3genE6ELNS1_11target_archE950ELNS1_3gpuE13ELNS1_3repE0EEENS1_47radix_sort_onesweep_sort_config_static_selectorELNS0_4arch9wavefront6targetE0EEEvSK_
	.globl	_ZN7rocprim17ROCPRIM_400000_NS6detail17trampoline_kernelINS0_14default_configENS1_35radix_sort_onesweep_config_selectorIiNS0_10empty_typeEEEZZNS1_29radix_sort_onesweep_iterationIS3_Lb0EN6thrust23THRUST_200600_302600_NS6detail15normal_iteratorINS9_10device_ptrIiEEEESE_PS5_SF_jNS0_19identity_decomposerENS1_16block_id_wrapperIjLb1EEEEE10hipError_tT1_PNSt15iterator_traitsISK_E10value_typeET2_T3_PNSL_ISQ_E10value_typeET4_T5_PSV_SW_PNS1_23onesweep_lookback_stateEbbT6_jjT7_P12ihipStream_tbENKUlT_T0_SK_SP_E_clISE_PiSF_SF_EEDaS13_S14_SK_SP_EUlS13_E_NS1_11comp_targetILNS1_3genE6ELNS1_11target_archE950ELNS1_3gpuE13ELNS1_3repE0EEENS1_47radix_sort_onesweep_sort_config_static_selectorELNS0_4arch9wavefront6targetE0EEEvSK_
	.p2align	8
	.type	_ZN7rocprim17ROCPRIM_400000_NS6detail17trampoline_kernelINS0_14default_configENS1_35radix_sort_onesweep_config_selectorIiNS0_10empty_typeEEEZZNS1_29radix_sort_onesweep_iterationIS3_Lb0EN6thrust23THRUST_200600_302600_NS6detail15normal_iteratorINS9_10device_ptrIiEEEESE_PS5_SF_jNS0_19identity_decomposerENS1_16block_id_wrapperIjLb1EEEEE10hipError_tT1_PNSt15iterator_traitsISK_E10value_typeET2_T3_PNSL_ISQ_E10value_typeET4_T5_PSV_SW_PNS1_23onesweep_lookback_stateEbbT6_jjT7_P12ihipStream_tbENKUlT_T0_SK_SP_E_clISE_PiSF_SF_EEDaS13_S14_SK_SP_EUlS13_E_NS1_11comp_targetILNS1_3genE6ELNS1_11target_archE950ELNS1_3gpuE13ELNS1_3repE0EEENS1_47radix_sort_onesweep_sort_config_static_selectorELNS0_4arch9wavefront6targetE0EEEvSK_,@function
_ZN7rocprim17ROCPRIM_400000_NS6detail17trampoline_kernelINS0_14default_configENS1_35radix_sort_onesweep_config_selectorIiNS0_10empty_typeEEEZZNS1_29radix_sort_onesweep_iterationIS3_Lb0EN6thrust23THRUST_200600_302600_NS6detail15normal_iteratorINS9_10device_ptrIiEEEESE_PS5_SF_jNS0_19identity_decomposerENS1_16block_id_wrapperIjLb1EEEEE10hipError_tT1_PNSt15iterator_traitsISK_E10value_typeET2_T3_PNSL_ISQ_E10value_typeET4_T5_PSV_SW_PNS1_23onesweep_lookback_stateEbbT6_jjT7_P12ihipStream_tbENKUlT_T0_SK_SP_E_clISE_PiSF_SF_EEDaS13_S14_SK_SP_EUlS13_E_NS1_11comp_targetILNS1_3genE6ELNS1_11target_archE950ELNS1_3gpuE13ELNS1_3repE0EEENS1_47radix_sort_onesweep_sort_config_static_selectorELNS0_4arch9wavefront6targetE0EEEvSK_: ; @_ZN7rocprim17ROCPRIM_400000_NS6detail17trampoline_kernelINS0_14default_configENS1_35radix_sort_onesweep_config_selectorIiNS0_10empty_typeEEEZZNS1_29radix_sort_onesweep_iterationIS3_Lb0EN6thrust23THRUST_200600_302600_NS6detail15normal_iteratorINS9_10device_ptrIiEEEESE_PS5_SF_jNS0_19identity_decomposerENS1_16block_id_wrapperIjLb1EEEEE10hipError_tT1_PNSt15iterator_traitsISK_E10value_typeET2_T3_PNSL_ISQ_E10value_typeET4_T5_PSV_SW_PNS1_23onesweep_lookback_stateEbbT6_jjT7_P12ihipStream_tbENKUlT_T0_SK_SP_E_clISE_PiSF_SF_EEDaS13_S14_SK_SP_EUlS13_E_NS1_11comp_targetILNS1_3genE6ELNS1_11target_archE950ELNS1_3gpuE13ELNS1_3repE0EEENS1_47radix_sort_onesweep_sort_config_static_selectorELNS0_4arch9wavefront6targetE0EEEvSK_
; %bb.0:
	.section	.rodata,"a",@progbits
	.p2align	6, 0x0
	.amdhsa_kernel _ZN7rocprim17ROCPRIM_400000_NS6detail17trampoline_kernelINS0_14default_configENS1_35radix_sort_onesweep_config_selectorIiNS0_10empty_typeEEEZZNS1_29radix_sort_onesweep_iterationIS3_Lb0EN6thrust23THRUST_200600_302600_NS6detail15normal_iteratorINS9_10device_ptrIiEEEESE_PS5_SF_jNS0_19identity_decomposerENS1_16block_id_wrapperIjLb1EEEEE10hipError_tT1_PNSt15iterator_traitsISK_E10value_typeET2_T3_PNSL_ISQ_E10value_typeET4_T5_PSV_SW_PNS1_23onesweep_lookback_stateEbbT6_jjT7_P12ihipStream_tbENKUlT_T0_SK_SP_E_clISE_PiSF_SF_EEDaS13_S14_SK_SP_EUlS13_E_NS1_11comp_targetILNS1_3genE6ELNS1_11target_archE950ELNS1_3gpuE13ELNS1_3repE0EEENS1_47radix_sort_onesweep_sort_config_static_selectorELNS0_4arch9wavefront6targetE0EEEvSK_
		.amdhsa_group_segment_fixed_size 0
		.amdhsa_private_segment_fixed_size 0
		.amdhsa_kernarg_size 88
		.amdhsa_user_sgpr_count 6
		.amdhsa_user_sgpr_private_segment_buffer 1
		.amdhsa_user_sgpr_dispatch_ptr 0
		.amdhsa_user_sgpr_queue_ptr 0
		.amdhsa_user_sgpr_kernarg_segment_ptr 1
		.amdhsa_user_sgpr_dispatch_id 0
		.amdhsa_user_sgpr_flat_scratch_init 0
		.amdhsa_user_sgpr_private_segment_size 0
		.amdhsa_wavefront_size32 1
		.amdhsa_uses_dynamic_stack 0
		.amdhsa_system_sgpr_private_segment_wavefront_offset 0
		.amdhsa_system_sgpr_workgroup_id_x 1
		.amdhsa_system_sgpr_workgroup_id_y 0
		.amdhsa_system_sgpr_workgroup_id_z 0
		.amdhsa_system_sgpr_workgroup_info 0
		.amdhsa_system_vgpr_workitem_id 0
		.amdhsa_next_free_vgpr 1
		.amdhsa_next_free_sgpr 1
		.amdhsa_reserve_vcc 0
		.amdhsa_reserve_flat_scratch 0
		.amdhsa_float_round_mode_32 0
		.amdhsa_float_round_mode_16_64 0
		.amdhsa_float_denorm_mode_32 3
		.amdhsa_float_denorm_mode_16_64 3
		.amdhsa_dx10_clamp 1
		.amdhsa_ieee_mode 1
		.amdhsa_fp16_overflow 0
		.amdhsa_workgroup_processor_mode 1
		.amdhsa_memory_ordered 1
		.amdhsa_forward_progress 1
		.amdhsa_shared_vgpr_count 0
		.amdhsa_exception_fp_ieee_invalid_op 0
		.amdhsa_exception_fp_denorm_src 0
		.amdhsa_exception_fp_ieee_div_zero 0
		.amdhsa_exception_fp_ieee_overflow 0
		.amdhsa_exception_fp_ieee_underflow 0
		.amdhsa_exception_fp_ieee_inexact 0
		.amdhsa_exception_int_div_zero 0
	.end_amdhsa_kernel
	.section	.text._ZN7rocprim17ROCPRIM_400000_NS6detail17trampoline_kernelINS0_14default_configENS1_35radix_sort_onesweep_config_selectorIiNS0_10empty_typeEEEZZNS1_29radix_sort_onesweep_iterationIS3_Lb0EN6thrust23THRUST_200600_302600_NS6detail15normal_iteratorINS9_10device_ptrIiEEEESE_PS5_SF_jNS0_19identity_decomposerENS1_16block_id_wrapperIjLb1EEEEE10hipError_tT1_PNSt15iterator_traitsISK_E10value_typeET2_T3_PNSL_ISQ_E10value_typeET4_T5_PSV_SW_PNS1_23onesweep_lookback_stateEbbT6_jjT7_P12ihipStream_tbENKUlT_T0_SK_SP_E_clISE_PiSF_SF_EEDaS13_S14_SK_SP_EUlS13_E_NS1_11comp_targetILNS1_3genE6ELNS1_11target_archE950ELNS1_3gpuE13ELNS1_3repE0EEENS1_47radix_sort_onesweep_sort_config_static_selectorELNS0_4arch9wavefront6targetE0EEEvSK_,"axG",@progbits,_ZN7rocprim17ROCPRIM_400000_NS6detail17trampoline_kernelINS0_14default_configENS1_35radix_sort_onesweep_config_selectorIiNS0_10empty_typeEEEZZNS1_29radix_sort_onesweep_iterationIS3_Lb0EN6thrust23THRUST_200600_302600_NS6detail15normal_iteratorINS9_10device_ptrIiEEEESE_PS5_SF_jNS0_19identity_decomposerENS1_16block_id_wrapperIjLb1EEEEE10hipError_tT1_PNSt15iterator_traitsISK_E10value_typeET2_T3_PNSL_ISQ_E10value_typeET4_T5_PSV_SW_PNS1_23onesweep_lookback_stateEbbT6_jjT7_P12ihipStream_tbENKUlT_T0_SK_SP_E_clISE_PiSF_SF_EEDaS13_S14_SK_SP_EUlS13_E_NS1_11comp_targetILNS1_3genE6ELNS1_11target_archE950ELNS1_3gpuE13ELNS1_3repE0EEENS1_47radix_sort_onesweep_sort_config_static_selectorELNS0_4arch9wavefront6targetE0EEEvSK_,comdat
.Lfunc_end169:
	.size	_ZN7rocprim17ROCPRIM_400000_NS6detail17trampoline_kernelINS0_14default_configENS1_35radix_sort_onesweep_config_selectorIiNS0_10empty_typeEEEZZNS1_29radix_sort_onesweep_iterationIS3_Lb0EN6thrust23THRUST_200600_302600_NS6detail15normal_iteratorINS9_10device_ptrIiEEEESE_PS5_SF_jNS0_19identity_decomposerENS1_16block_id_wrapperIjLb1EEEEE10hipError_tT1_PNSt15iterator_traitsISK_E10value_typeET2_T3_PNSL_ISQ_E10value_typeET4_T5_PSV_SW_PNS1_23onesweep_lookback_stateEbbT6_jjT7_P12ihipStream_tbENKUlT_T0_SK_SP_E_clISE_PiSF_SF_EEDaS13_S14_SK_SP_EUlS13_E_NS1_11comp_targetILNS1_3genE6ELNS1_11target_archE950ELNS1_3gpuE13ELNS1_3repE0EEENS1_47radix_sort_onesweep_sort_config_static_selectorELNS0_4arch9wavefront6targetE0EEEvSK_, .Lfunc_end169-_ZN7rocprim17ROCPRIM_400000_NS6detail17trampoline_kernelINS0_14default_configENS1_35radix_sort_onesweep_config_selectorIiNS0_10empty_typeEEEZZNS1_29radix_sort_onesweep_iterationIS3_Lb0EN6thrust23THRUST_200600_302600_NS6detail15normal_iteratorINS9_10device_ptrIiEEEESE_PS5_SF_jNS0_19identity_decomposerENS1_16block_id_wrapperIjLb1EEEEE10hipError_tT1_PNSt15iterator_traitsISK_E10value_typeET2_T3_PNSL_ISQ_E10value_typeET4_T5_PSV_SW_PNS1_23onesweep_lookback_stateEbbT6_jjT7_P12ihipStream_tbENKUlT_T0_SK_SP_E_clISE_PiSF_SF_EEDaS13_S14_SK_SP_EUlS13_E_NS1_11comp_targetILNS1_3genE6ELNS1_11target_archE950ELNS1_3gpuE13ELNS1_3repE0EEENS1_47radix_sort_onesweep_sort_config_static_selectorELNS0_4arch9wavefront6targetE0EEEvSK_
                                        ; -- End function
	.set _ZN7rocprim17ROCPRIM_400000_NS6detail17trampoline_kernelINS0_14default_configENS1_35radix_sort_onesweep_config_selectorIiNS0_10empty_typeEEEZZNS1_29radix_sort_onesweep_iterationIS3_Lb0EN6thrust23THRUST_200600_302600_NS6detail15normal_iteratorINS9_10device_ptrIiEEEESE_PS5_SF_jNS0_19identity_decomposerENS1_16block_id_wrapperIjLb1EEEEE10hipError_tT1_PNSt15iterator_traitsISK_E10value_typeET2_T3_PNSL_ISQ_E10value_typeET4_T5_PSV_SW_PNS1_23onesweep_lookback_stateEbbT6_jjT7_P12ihipStream_tbENKUlT_T0_SK_SP_E_clISE_PiSF_SF_EEDaS13_S14_SK_SP_EUlS13_E_NS1_11comp_targetILNS1_3genE6ELNS1_11target_archE950ELNS1_3gpuE13ELNS1_3repE0EEENS1_47radix_sort_onesweep_sort_config_static_selectorELNS0_4arch9wavefront6targetE0EEEvSK_.num_vgpr, 0
	.set _ZN7rocprim17ROCPRIM_400000_NS6detail17trampoline_kernelINS0_14default_configENS1_35radix_sort_onesweep_config_selectorIiNS0_10empty_typeEEEZZNS1_29radix_sort_onesweep_iterationIS3_Lb0EN6thrust23THRUST_200600_302600_NS6detail15normal_iteratorINS9_10device_ptrIiEEEESE_PS5_SF_jNS0_19identity_decomposerENS1_16block_id_wrapperIjLb1EEEEE10hipError_tT1_PNSt15iterator_traitsISK_E10value_typeET2_T3_PNSL_ISQ_E10value_typeET4_T5_PSV_SW_PNS1_23onesweep_lookback_stateEbbT6_jjT7_P12ihipStream_tbENKUlT_T0_SK_SP_E_clISE_PiSF_SF_EEDaS13_S14_SK_SP_EUlS13_E_NS1_11comp_targetILNS1_3genE6ELNS1_11target_archE950ELNS1_3gpuE13ELNS1_3repE0EEENS1_47radix_sort_onesweep_sort_config_static_selectorELNS0_4arch9wavefront6targetE0EEEvSK_.num_agpr, 0
	.set _ZN7rocprim17ROCPRIM_400000_NS6detail17trampoline_kernelINS0_14default_configENS1_35radix_sort_onesweep_config_selectorIiNS0_10empty_typeEEEZZNS1_29radix_sort_onesweep_iterationIS3_Lb0EN6thrust23THRUST_200600_302600_NS6detail15normal_iteratorINS9_10device_ptrIiEEEESE_PS5_SF_jNS0_19identity_decomposerENS1_16block_id_wrapperIjLb1EEEEE10hipError_tT1_PNSt15iterator_traitsISK_E10value_typeET2_T3_PNSL_ISQ_E10value_typeET4_T5_PSV_SW_PNS1_23onesweep_lookback_stateEbbT6_jjT7_P12ihipStream_tbENKUlT_T0_SK_SP_E_clISE_PiSF_SF_EEDaS13_S14_SK_SP_EUlS13_E_NS1_11comp_targetILNS1_3genE6ELNS1_11target_archE950ELNS1_3gpuE13ELNS1_3repE0EEENS1_47radix_sort_onesweep_sort_config_static_selectorELNS0_4arch9wavefront6targetE0EEEvSK_.numbered_sgpr, 0
	.set _ZN7rocprim17ROCPRIM_400000_NS6detail17trampoline_kernelINS0_14default_configENS1_35radix_sort_onesweep_config_selectorIiNS0_10empty_typeEEEZZNS1_29radix_sort_onesweep_iterationIS3_Lb0EN6thrust23THRUST_200600_302600_NS6detail15normal_iteratorINS9_10device_ptrIiEEEESE_PS5_SF_jNS0_19identity_decomposerENS1_16block_id_wrapperIjLb1EEEEE10hipError_tT1_PNSt15iterator_traitsISK_E10value_typeET2_T3_PNSL_ISQ_E10value_typeET4_T5_PSV_SW_PNS1_23onesweep_lookback_stateEbbT6_jjT7_P12ihipStream_tbENKUlT_T0_SK_SP_E_clISE_PiSF_SF_EEDaS13_S14_SK_SP_EUlS13_E_NS1_11comp_targetILNS1_3genE6ELNS1_11target_archE950ELNS1_3gpuE13ELNS1_3repE0EEENS1_47radix_sort_onesweep_sort_config_static_selectorELNS0_4arch9wavefront6targetE0EEEvSK_.num_named_barrier, 0
	.set _ZN7rocprim17ROCPRIM_400000_NS6detail17trampoline_kernelINS0_14default_configENS1_35radix_sort_onesweep_config_selectorIiNS0_10empty_typeEEEZZNS1_29radix_sort_onesweep_iterationIS3_Lb0EN6thrust23THRUST_200600_302600_NS6detail15normal_iteratorINS9_10device_ptrIiEEEESE_PS5_SF_jNS0_19identity_decomposerENS1_16block_id_wrapperIjLb1EEEEE10hipError_tT1_PNSt15iterator_traitsISK_E10value_typeET2_T3_PNSL_ISQ_E10value_typeET4_T5_PSV_SW_PNS1_23onesweep_lookback_stateEbbT6_jjT7_P12ihipStream_tbENKUlT_T0_SK_SP_E_clISE_PiSF_SF_EEDaS13_S14_SK_SP_EUlS13_E_NS1_11comp_targetILNS1_3genE6ELNS1_11target_archE950ELNS1_3gpuE13ELNS1_3repE0EEENS1_47radix_sort_onesweep_sort_config_static_selectorELNS0_4arch9wavefront6targetE0EEEvSK_.private_seg_size, 0
	.set _ZN7rocprim17ROCPRIM_400000_NS6detail17trampoline_kernelINS0_14default_configENS1_35radix_sort_onesweep_config_selectorIiNS0_10empty_typeEEEZZNS1_29radix_sort_onesweep_iterationIS3_Lb0EN6thrust23THRUST_200600_302600_NS6detail15normal_iteratorINS9_10device_ptrIiEEEESE_PS5_SF_jNS0_19identity_decomposerENS1_16block_id_wrapperIjLb1EEEEE10hipError_tT1_PNSt15iterator_traitsISK_E10value_typeET2_T3_PNSL_ISQ_E10value_typeET4_T5_PSV_SW_PNS1_23onesweep_lookback_stateEbbT6_jjT7_P12ihipStream_tbENKUlT_T0_SK_SP_E_clISE_PiSF_SF_EEDaS13_S14_SK_SP_EUlS13_E_NS1_11comp_targetILNS1_3genE6ELNS1_11target_archE950ELNS1_3gpuE13ELNS1_3repE0EEENS1_47radix_sort_onesweep_sort_config_static_selectorELNS0_4arch9wavefront6targetE0EEEvSK_.uses_vcc, 0
	.set _ZN7rocprim17ROCPRIM_400000_NS6detail17trampoline_kernelINS0_14default_configENS1_35radix_sort_onesweep_config_selectorIiNS0_10empty_typeEEEZZNS1_29radix_sort_onesweep_iterationIS3_Lb0EN6thrust23THRUST_200600_302600_NS6detail15normal_iteratorINS9_10device_ptrIiEEEESE_PS5_SF_jNS0_19identity_decomposerENS1_16block_id_wrapperIjLb1EEEEE10hipError_tT1_PNSt15iterator_traitsISK_E10value_typeET2_T3_PNSL_ISQ_E10value_typeET4_T5_PSV_SW_PNS1_23onesweep_lookback_stateEbbT6_jjT7_P12ihipStream_tbENKUlT_T0_SK_SP_E_clISE_PiSF_SF_EEDaS13_S14_SK_SP_EUlS13_E_NS1_11comp_targetILNS1_3genE6ELNS1_11target_archE950ELNS1_3gpuE13ELNS1_3repE0EEENS1_47radix_sort_onesweep_sort_config_static_selectorELNS0_4arch9wavefront6targetE0EEEvSK_.uses_flat_scratch, 0
	.set _ZN7rocprim17ROCPRIM_400000_NS6detail17trampoline_kernelINS0_14default_configENS1_35radix_sort_onesweep_config_selectorIiNS0_10empty_typeEEEZZNS1_29radix_sort_onesweep_iterationIS3_Lb0EN6thrust23THRUST_200600_302600_NS6detail15normal_iteratorINS9_10device_ptrIiEEEESE_PS5_SF_jNS0_19identity_decomposerENS1_16block_id_wrapperIjLb1EEEEE10hipError_tT1_PNSt15iterator_traitsISK_E10value_typeET2_T3_PNSL_ISQ_E10value_typeET4_T5_PSV_SW_PNS1_23onesweep_lookback_stateEbbT6_jjT7_P12ihipStream_tbENKUlT_T0_SK_SP_E_clISE_PiSF_SF_EEDaS13_S14_SK_SP_EUlS13_E_NS1_11comp_targetILNS1_3genE6ELNS1_11target_archE950ELNS1_3gpuE13ELNS1_3repE0EEENS1_47radix_sort_onesweep_sort_config_static_selectorELNS0_4arch9wavefront6targetE0EEEvSK_.has_dyn_sized_stack, 0
	.set _ZN7rocprim17ROCPRIM_400000_NS6detail17trampoline_kernelINS0_14default_configENS1_35radix_sort_onesweep_config_selectorIiNS0_10empty_typeEEEZZNS1_29radix_sort_onesweep_iterationIS3_Lb0EN6thrust23THRUST_200600_302600_NS6detail15normal_iteratorINS9_10device_ptrIiEEEESE_PS5_SF_jNS0_19identity_decomposerENS1_16block_id_wrapperIjLb1EEEEE10hipError_tT1_PNSt15iterator_traitsISK_E10value_typeET2_T3_PNSL_ISQ_E10value_typeET4_T5_PSV_SW_PNS1_23onesweep_lookback_stateEbbT6_jjT7_P12ihipStream_tbENKUlT_T0_SK_SP_E_clISE_PiSF_SF_EEDaS13_S14_SK_SP_EUlS13_E_NS1_11comp_targetILNS1_3genE6ELNS1_11target_archE950ELNS1_3gpuE13ELNS1_3repE0EEENS1_47radix_sort_onesweep_sort_config_static_selectorELNS0_4arch9wavefront6targetE0EEEvSK_.has_recursion, 0
	.set _ZN7rocprim17ROCPRIM_400000_NS6detail17trampoline_kernelINS0_14default_configENS1_35radix_sort_onesweep_config_selectorIiNS0_10empty_typeEEEZZNS1_29radix_sort_onesweep_iterationIS3_Lb0EN6thrust23THRUST_200600_302600_NS6detail15normal_iteratorINS9_10device_ptrIiEEEESE_PS5_SF_jNS0_19identity_decomposerENS1_16block_id_wrapperIjLb1EEEEE10hipError_tT1_PNSt15iterator_traitsISK_E10value_typeET2_T3_PNSL_ISQ_E10value_typeET4_T5_PSV_SW_PNS1_23onesweep_lookback_stateEbbT6_jjT7_P12ihipStream_tbENKUlT_T0_SK_SP_E_clISE_PiSF_SF_EEDaS13_S14_SK_SP_EUlS13_E_NS1_11comp_targetILNS1_3genE6ELNS1_11target_archE950ELNS1_3gpuE13ELNS1_3repE0EEENS1_47radix_sort_onesweep_sort_config_static_selectorELNS0_4arch9wavefront6targetE0EEEvSK_.has_indirect_call, 0
	.section	.AMDGPU.csdata,"",@progbits
; Kernel info:
; codeLenInByte = 0
; TotalNumSgprs: 0
; NumVgprs: 0
; ScratchSize: 0
; MemoryBound: 0
; FloatMode: 240
; IeeeMode: 1
; LDSByteSize: 0 bytes/workgroup (compile time only)
; SGPRBlocks: 0
; VGPRBlocks: 0
; NumSGPRsForWavesPerEU: 1
; NumVGPRsForWavesPerEU: 1
; Occupancy: 16
; WaveLimiterHint : 0
; COMPUTE_PGM_RSRC2:SCRATCH_EN: 0
; COMPUTE_PGM_RSRC2:USER_SGPR: 6
; COMPUTE_PGM_RSRC2:TRAP_HANDLER: 0
; COMPUTE_PGM_RSRC2:TGID_X_EN: 1
; COMPUTE_PGM_RSRC2:TGID_Y_EN: 0
; COMPUTE_PGM_RSRC2:TGID_Z_EN: 0
; COMPUTE_PGM_RSRC2:TIDIG_COMP_CNT: 0
	.section	.text._ZN7rocprim17ROCPRIM_400000_NS6detail17trampoline_kernelINS0_14default_configENS1_35radix_sort_onesweep_config_selectorIiNS0_10empty_typeEEEZZNS1_29radix_sort_onesweep_iterationIS3_Lb0EN6thrust23THRUST_200600_302600_NS6detail15normal_iteratorINS9_10device_ptrIiEEEESE_PS5_SF_jNS0_19identity_decomposerENS1_16block_id_wrapperIjLb1EEEEE10hipError_tT1_PNSt15iterator_traitsISK_E10value_typeET2_T3_PNSL_ISQ_E10value_typeET4_T5_PSV_SW_PNS1_23onesweep_lookback_stateEbbT6_jjT7_P12ihipStream_tbENKUlT_T0_SK_SP_E_clISE_PiSF_SF_EEDaS13_S14_SK_SP_EUlS13_E_NS1_11comp_targetILNS1_3genE5ELNS1_11target_archE942ELNS1_3gpuE9ELNS1_3repE0EEENS1_47radix_sort_onesweep_sort_config_static_selectorELNS0_4arch9wavefront6targetE0EEEvSK_,"axG",@progbits,_ZN7rocprim17ROCPRIM_400000_NS6detail17trampoline_kernelINS0_14default_configENS1_35radix_sort_onesweep_config_selectorIiNS0_10empty_typeEEEZZNS1_29radix_sort_onesweep_iterationIS3_Lb0EN6thrust23THRUST_200600_302600_NS6detail15normal_iteratorINS9_10device_ptrIiEEEESE_PS5_SF_jNS0_19identity_decomposerENS1_16block_id_wrapperIjLb1EEEEE10hipError_tT1_PNSt15iterator_traitsISK_E10value_typeET2_T3_PNSL_ISQ_E10value_typeET4_T5_PSV_SW_PNS1_23onesweep_lookback_stateEbbT6_jjT7_P12ihipStream_tbENKUlT_T0_SK_SP_E_clISE_PiSF_SF_EEDaS13_S14_SK_SP_EUlS13_E_NS1_11comp_targetILNS1_3genE5ELNS1_11target_archE942ELNS1_3gpuE9ELNS1_3repE0EEENS1_47radix_sort_onesweep_sort_config_static_selectorELNS0_4arch9wavefront6targetE0EEEvSK_,comdat
	.protected	_ZN7rocprim17ROCPRIM_400000_NS6detail17trampoline_kernelINS0_14default_configENS1_35radix_sort_onesweep_config_selectorIiNS0_10empty_typeEEEZZNS1_29radix_sort_onesweep_iterationIS3_Lb0EN6thrust23THRUST_200600_302600_NS6detail15normal_iteratorINS9_10device_ptrIiEEEESE_PS5_SF_jNS0_19identity_decomposerENS1_16block_id_wrapperIjLb1EEEEE10hipError_tT1_PNSt15iterator_traitsISK_E10value_typeET2_T3_PNSL_ISQ_E10value_typeET4_T5_PSV_SW_PNS1_23onesweep_lookback_stateEbbT6_jjT7_P12ihipStream_tbENKUlT_T0_SK_SP_E_clISE_PiSF_SF_EEDaS13_S14_SK_SP_EUlS13_E_NS1_11comp_targetILNS1_3genE5ELNS1_11target_archE942ELNS1_3gpuE9ELNS1_3repE0EEENS1_47radix_sort_onesweep_sort_config_static_selectorELNS0_4arch9wavefront6targetE0EEEvSK_ ; -- Begin function _ZN7rocprim17ROCPRIM_400000_NS6detail17trampoline_kernelINS0_14default_configENS1_35radix_sort_onesweep_config_selectorIiNS0_10empty_typeEEEZZNS1_29radix_sort_onesweep_iterationIS3_Lb0EN6thrust23THRUST_200600_302600_NS6detail15normal_iteratorINS9_10device_ptrIiEEEESE_PS5_SF_jNS0_19identity_decomposerENS1_16block_id_wrapperIjLb1EEEEE10hipError_tT1_PNSt15iterator_traitsISK_E10value_typeET2_T3_PNSL_ISQ_E10value_typeET4_T5_PSV_SW_PNS1_23onesweep_lookback_stateEbbT6_jjT7_P12ihipStream_tbENKUlT_T0_SK_SP_E_clISE_PiSF_SF_EEDaS13_S14_SK_SP_EUlS13_E_NS1_11comp_targetILNS1_3genE5ELNS1_11target_archE942ELNS1_3gpuE9ELNS1_3repE0EEENS1_47radix_sort_onesweep_sort_config_static_selectorELNS0_4arch9wavefront6targetE0EEEvSK_
	.globl	_ZN7rocprim17ROCPRIM_400000_NS6detail17trampoline_kernelINS0_14default_configENS1_35radix_sort_onesweep_config_selectorIiNS0_10empty_typeEEEZZNS1_29radix_sort_onesweep_iterationIS3_Lb0EN6thrust23THRUST_200600_302600_NS6detail15normal_iteratorINS9_10device_ptrIiEEEESE_PS5_SF_jNS0_19identity_decomposerENS1_16block_id_wrapperIjLb1EEEEE10hipError_tT1_PNSt15iterator_traitsISK_E10value_typeET2_T3_PNSL_ISQ_E10value_typeET4_T5_PSV_SW_PNS1_23onesweep_lookback_stateEbbT6_jjT7_P12ihipStream_tbENKUlT_T0_SK_SP_E_clISE_PiSF_SF_EEDaS13_S14_SK_SP_EUlS13_E_NS1_11comp_targetILNS1_3genE5ELNS1_11target_archE942ELNS1_3gpuE9ELNS1_3repE0EEENS1_47radix_sort_onesweep_sort_config_static_selectorELNS0_4arch9wavefront6targetE0EEEvSK_
	.p2align	8
	.type	_ZN7rocprim17ROCPRIM_400000_NS6detail17trampoline_kernelINS0_14default_configENS1_35radix_sort_onesweep_config_selectorIiNS0_10empty_typeEEEZZNS1_29radix_sort_onesweep_iterationIS3_Lb0EN6thrust23THRUST_200600_302600_NS6detail15normal_iteratorINS9_10device_ptrIiEEEESE_PS5_SF_jNS0_19identity_decomposerENS1_16block_id_wrapperIjLb1EEEEE10hipError_tT1_PNSt15iterator_traitsISK_E10value_typeET2_T3_PNSL_ISQ_E10value_typeET4_T5_PSV_SW_PNS1_23onesweep_lookback_stateEbbT6_jjT7_P12ihipStream_tbENKUlT_T0_SK_SP_E_clISE_PiSF_SF_EEDaS13_S14_SK_SP_EUlS13_E_NS1_11comp_targetILNS1_3genE5ELNS1_11target_archE942ELNS1_3gpuE9ELNS1_3repE0EEENS1_47radix_sort_onesweep_sort_config_static_selectorELNS0_4arch9wavefront6targetE0EEEvSK_,@function
_ZN7rocprim17ROCPRIM_400000_NS6detail17trampoline_kernelINS0_14default_configENS1_35radix_sort_onesweep_config_selectorIiNS0_10empty_typeEEEZZNS1_29radix_sort_onesweep_iterationIS3_Lb0EN6thrust23THRUST_200600_302600_NS6detail15normal_iteratorINS9_10device_ptrIiEEEESE_PS5_SF_jNS0_19identity_decomposerENS1_16block_id_wrapperIjLb1EEEEE10hipError_tT1_PNSt15iterator_traitsISK_E10value_typeET2_T3_PNSL_ISQ_E10value_typeET4_T5_PSV_SW_PNS1_23onesweep_lookback_stateEbbT6_jjT7_P12ihipStream_tbENKUlT_T0_SK_SP_E_clISE_PiSF_SF_EEDaS13_S14_SK_SP_EUlS13_E_NS1_11comp_targetILNS1_3genE5ELNS1_11target_archE942ELNS1_3gpuE9ELNS1_3repE0EEENS1_47radix_sort_onesweep_sort_config_static_selectorELNS0_4arch9wavefront6targetE0EEEvSK_: ; @_ZN7rocprim17ROCPRIM_400000_NS6detail17trampoline_kernelINS0_14default_configENS1_35radix_sort_onesweep_config_selectorIiNS0_10empty_typeEEEZZNS1_29radix_sort_onesweep_iterationIS3_Lb0EN6thrust23THRUST_200600_302600_NS6detail15normal_iteratorINS9_10device_ptrIiEEEESE_PS5_SF_jNS0_19identity_decomposerENS1_16block_id_wrapperIjLb1EEEEE10hipError_tT1_PNSt15iterator_traitsISK_E10value_typeET2_T3_PNSL_ISQ_E10value_typeET4_T5_PSV_SW_PNS1_23onesweep_lookback_stateEbbT6_jjT7_P12ihipStream_tbENKUlT_T0_SK_SP_E_clISE_PiSF_SF_EEDaS13_S14_SK_SP_EUlS13_E_NS1_11comp_targetILNS1_3genE5ELNS1_11target_archE942ELNS1_3gpuE9ELNS1_3repE0EEENS1_47radix_sort_onesweep_sort_config_static_selectorELNS0_4arch9wavefront6targetE0EEEvSK_
; %bb.0:
	.section	.rodata,"a",@progbits
	.p2align	6, 0x0
	.amdhsa_kernel _ZN7rocprim17ROCPRIM_400000_NS6detail17trampoline_kernelINS0_14default_configENS1_35radix_sort_onesweep_config_selectorIiNS0_10empty_typeEEEZZNS1_29radix_sort_onesweep_iterationIS3_Lb0EN6thrust23THRUST_200600_302600_NS6detail15normal_iteratorINS9_10device_ptrIiEEEESE_PS5_SF_jNS0_19identity_decomposerENS1_16block_id_wrapperIjLb1EEEEE10hipError_tT1_PNSt15iterator_traitsISK_E10value_typeET2_T3_PNSL_ISQ_E10value_typeET4_T5_PSV_SW_PNS1_23onesweep_lookback_stateEbbT6_jjT7_P12ihipStream_tbENKUlT_T0_SK_SP_E_clISE_PiSF_SF_EEDaS13_S14_SK_SP_EUlS13_E_NS1_11comp_targetILNS1_3genE5ELNS1_11target_archE942ELNS1_3gpuE9ELNS1_3repE0EEENS1_47radix_sort_onesweep_sort_config_static_selectorELNS0_4arch9wavefront6targetE0EEEvSK_
		.amdhsa_group_segment_fixed_size 0
		.amdhsa_private_segment_fixed_size 0
		.amdhsa_kernarg_size 88
		.amdhsa_user_sgpr_count 6
		.amdhsa_user_sgpr_private_segment_buffer 1
		.amdhsa_user_sgpr_dispatch_ptr 0
		.amdhsa_user_sgpr_queue_ptr 0
		.amdhsa_user_sgpr_kernarg_segment_ptr 1
		.amdhsa_user_sgpr_dispatch_id 0
		.amdhsa_user_sgpr_flat_scratch_init 0
		.amdhsa_user_sgpr_private_segment_size 0
		.amdhsa_wavefront_size32 1
		.amdhsa_uses_dynamic_stack 0
		.amdhsa_system_sgpr_private_segment_wavefront_offset 0
		.amdhsa_system_sgpr_workgroup_id_x 1
		.amdhsa_system_sgpr_workgroup_id_y 0
		.amdhsa_system_sgpr_workgroup_id_z 0
		.amdhsa_system_sgpr_workgroup_info 0
		.amdhsa_system_vgpr_workitem_id 0
		.amdhsa_next_free_vgpr 1
		.amdhsa_next_free_sgpr 1
		.amdhsa_reserve_vcc 0
		.amdhsa_reserve_flat_scratch 0
		.amdhsa_float_round_mode_32 0
		.amdhsa_float_round_mode_16_64 0
		.amdhsa_float_denorm_mode_32 3
		.amdhsa_float_denorm_mode_16_64 3
		.amdhsa_dx10_clamp 1
		.amdhsa_ieee_mode 1
		.amdhsa_fp16_overflow 0
		.amdhsa_workgroup_processor_mode 1
		.amdhsa_memory_ordered 1
		.amdhsa_forward_progress 1
		.amdhsa_shared_vgpr_count 0
		.amdhsa_exception_fp_ieee_invalid_op 0
		.amdhsa_exception_fp_denorm_src 0
		.amdhsa_exception_fp_ieee_div_zero 0
		.amdhsa_exception_fp_ieee_overflow 0
		.amdhsa_exception_fp_ieee_underflow 0
		.amdhsa_exception_fp_ieee_inexact 0
		.amdhsa_exception_int_div_zero 0
	.end_amdhsa_kernel
	.section	.text._ZN7rocprim17ROCPRIM_400000_NS6detail17trampoline_kernelINS0_14default_configENS1_35radix_sort_onesweep_config_selectorIiNS0_10empty_typeEEEZZNS1_29radix_sort_onesweep_iterationIS3_Lb0EN6thrust23THRUST_200600_302600_NS6detail15normal_iteratorINS9_10device_ptrIiEEEESE_PS5_SF_jNS0_19identity_decomposerENS1_16block_id_wrapperIjLb1EEEEE10hipError_tT1_PNSt15iterator_traitsISK_E10value_typeET2_T3_PNSL_ISQ_E10value_typeET4_T5_PSV_SW_PNS1_23onesweep_lookback_stateEbbT6_jjT7_P12ihipStream_tbENKUlT_T0_SK_SP_E_clISE_PiSF_SF_EEDaS13_S14_SK_SP_EUlS13_E_NS1_11comp_targetILNS1_3genE5ELNS1_11target_archE942ELNS1_3gpuE9ELNS1_3repE0EEENS1_47radix_sort_onesweep_sort_config_static_selectorELNS0_4arch9wavefront6targetE0EEEvSK_,"axG",@progbits,_ZN7rocprim17ROCPRIM_400000_NS6detail17trampoline_kernelINS0_14default_configENS1_35radix_sort_onesweep_config_selectorIiNS0_10empty_typeEEEZZNS1_29radix_sort_onesweep_iterationIS3_Lb0EN6thrust23THRUST_200600_302600_NS6detail15normal_iteratorINS9_10device_ptrIiEEEESE_PS5_SF_jNS0_19identity_decomposerENS1_16block_id_wrapperIjLb1EEEEE10hipError_tT1_PNSt15iterator_traitsISK_E10value_typeET2_T3_PNSL_ISQ_E10value_typeET4_T5_PSV_SW_PNS1_23onesweep_lookback_stateEbbT6_jjT7_P12ihipStream_tbENKUlT_T0_SK_SP_E_clISE_PiSF_SF_EEDaS13_S14_SK_SP_EUlS13_E_NS1_11comp_targetILNS1_3genE5ELNS1_11target_archE942ELNS1_3gpuE9ELNS1_3repE0EEENS1_47radix_sort_onesweep_sort_config_static_selectorELNS0_4arch9wavefront6targetE0EEEvSK_,comdat
.Lfunc_end170:
	.size	_ZN7rocprim17ROCPRIM_400000_NS6detail17trampoline_kernelINS0_14default_configENS1_35radix_sort_onesweep_config_selectorIiNS0_10empty_typeEEEZZNS1_29radix_sort_onesweep_iterationIS3_Lb0EN6thrust23THRUST_200600_302600_NS6detail15normal_iteratorINS9_10device_ptrIiEEEESE_PS5_SF_jNS0_19identity_decomposerENS1_16block_id_wrapperIjLb1EEEEE10hipError_tT1_PNSt15iterator_traitsISK_E10value_typeET2_T3_PNSL_ISQ_E10value_typeET4_T5_PSV_SW_PNS1_23onesweep_lookback_stateEbbT6_jjT7_P12ihipStream_tbENKUlT_T0_SK_SP_E_clISE_PiSF_SF_EEDaS13_S14_SK_SP_EUlS13_E_NS1_11comp_targetILNS1_3genE5ELNS1_11target_archE942ELNS1_3gpuE9ELNS1_3repE0EEENS1_47radix_sort_onesweep_sort_config_static_selectorELNS0_4arch9wavefront6targetE0EEEvSK_, .Lfunc_end170-_ZN7rocprim17ROCPRIM_400000_NS6detail17trampoline_kernelINS0_14default_configENS1_35radix_sort_onesweep_config_selectorIiNS0_10empty_typeEEEZZNS1_29radix_sort_onesweep_iterationIS3_Lb0EN6thrust23THRUST_200600_302600_NS6detail15normal_iteratorINS9_10device_ptrIiEEEESE_PS5_SF_jNS0_19identity_decomposerENS1_16block_id_wrapperIjLb1EEEEE10hipError_tT1_PNSt15iterator_traitsISK_E10value_typeET2_T3_PNSL_ISQ_E10value_typeET4_T5_PSV_SW_PNS1_23onesweep_lookback_stateEbbT6_jjT7_P12ihipStream_tbENKUlT_T0_SK_SP_E_clISE_PiSF_SF_EEDaS13_S14_SK_SP_EUlS13_E_NS1_11comp_targetILNS1_3genE5ELNS1_11target_archE942ELNS1_3gpuE9ELNS1_3repE0EEENS1_47radix_sort_onesweep_sort_config_static_selectorELNS0_4arch9wavefront6targetE0EEEvSK_
                                        ; -- End function
	.set _ZN7rocprim17ROCPRIM_400000_NS6detail17trampoline_kernelINS0_14default_configENS1_35radix_sort_onesweep_config_selectorIiNS0_10empty_typeEEEZZNS1_29radix_sort_onesweep_iterationIS3_Lb0EN6thrust23THRUST_200600_302600_NS6detail15normal_iteratorINS9_10device_ptrIiEEEESE_PS5_SF_jNS0_19identity_decomposerENS1_16block_id_wrapperIjLb1EEEEE10hipError_tT1_PNSt15iterator_traitsISK_E10value_typeET2_T3_PNSL_ISQ_E10value_typeET4_T5_PSV_SW_PNS1_23onesweep_lookback_stateEbbT6_jjT7_P12ihipStream_tbENKUlT_T0_SK_SP_E_clISE_PiSF_SF_EEDaS13_S14_SK_SP_EUlS13_E_NS1_11comp_targetILNS1_3genE5ELNS1_11target_archE942ELNS1_3gpuE9ELNS1_3repE0EEENS1_47radix_sort_onesweep_sort_config_static_selectorELNS0_4arch9wavefront6targetE0EEEvSK_.num_vgpr, 0
	.set _ZN7rocprim17ROCPRIM_400000_NS6detail17trampoline_kernelINS0_14default_configENS1_35radix_sort_onesweep_config_selectorIiNS0_10empty_typeEEEZZNS1_29radix_sort_onesweep_iterationIS3_Lb0EN6thrust23THRUST_200600_302600_NS6detail15normal_iteratorINS9_10device_ptrIiEEEESE_PS5_SF_jNS0_19identity_decomposerENS1_16block_id_wrapperIjLb1EEEEE10hipError_tT1_PNSt15iterator_traitsISK_E10value_typeET2_T3_PNSL_ISQ_E10value_typeET4_T5_PSV_SW_PNS1_23onesweep_lookback_stateEbbT6_jjT7_P12ihipStream_tbENKUlT_T0_SK_SP_E_clISE_PiSF_SF_EEDaS13_S14_SK_SP_EUlS13_E_NS1_11comp_targetILNS1_3genE5ELNS1_11target_archE942ELNS1_3gpuE9ELNS1_3repE0EEENS1_47radix_sort_onesweep_sort_config_static_selectorELNS0_4arch9wavefront6targetE0EEEvSK_.num_agpr, 0
	.set _ZN7rocprim17ROCPRIM_400000_NS6detail17trampoline_kernelINS0_14default_configENS1_35radix_sort_onesweep_config_selectorIiNS0_10empty_typeEEEZZNS1_29radix_sort_onesweep_iterationIS3_Lb0EN6thrust23THRUST_200600_302600_NS6detail15normal_iteratorINS9_10device_ptrIiEEEESE_PS5_SF_jNS0_19identity_decomposerENS1_16block_id_wrapperIjLb1EEEEE10hipError_tT1_PNSt15iterator_traitsISK_E10value_typeET2_T3_PNSL_ISQ_E10value_typeET4_T5_PSV_SW_PNS1_23onesweep_lookback_stateEbbT6_jjT7_P12ihipStream_tbENKUlT_T0_SK_SP_E_clISE_PiSF_SF_EEDaS13_S14_SK_SP_EUlS13_E_NS1_11comp_targetILNS1_3genE5ELNS1_11target_archE942ELNS1_3gpuE9ELNS1_3repE0EEENS1_47radix_sort_onesweep_sort_config_static_selectorELNS0_4arch9wavefront6targetE0EEEvSK_.numbered_sgpr, 0
	.set _ZN7rocprim17ROCPRIM_400000_NS6detail17trampoline_kernelINS0_14default_configENS1_35radix_sort_onesweep_config_selectorIiNS0_10empty_typeEEEZZNS1_29radix_sort_onesweep_iterationIS3_Lb0EN6thrust23THRUST_200600_302600_NS6detail15normal_iteratorINS9_10device_ptrIiEEEESE_PS5_SF_jNS0_19identity_decomposerENS1_16block_id_wrapperIjLb1EEEEE10hipError_tT1_PNSt15iterator_traitsISK_E10value_typeET2_T3_PNSL_ISQ_E10value_typeET4_T5_PSV_SW_PNS1_23onesweep_lookback_stateEbbT6_jjT7_P12ihipStream_tbENKUlT_T0_SK_SP_E_clISE_PiSF_SF_EEDaS13_S14_SK_SP_EUlS13_E_NS1_11comp_targetILNS1_3genE5ELNS1_11target_archE942ELNS1_3gpuE9ELNS1_3repE0EEENS1_47radix_sort_onesweep_sort_config_static_selectorELNS0_4arch9wavefront6targetE0EEEvSK_.num_named_barrier, 0
	.set _ZN7rocprim17ROCPRIM_400000_NS6detail17trampoline_kernelINS0_14default_configENS1_35radix_sort_onesweep_config_selectorIiNS0_10empty_typeEEEZZNS1_29radix_sort_onesweep_iterationIS3_Lb0EN6thrust23THRUST_200600_302600_NS6detail15normal_iteratorINS9_10device_ptrIiEEEESE_PS5_SF_jNS0_19identity_decomposerENS1_16block_id_wrapperIjLb1EEEEE10hipError_tT1_PNSt15iterator_traitsISK_E10value_typeET2_T3_PNSL_ISQ_E10value_typeET4_T5_PSV_SW_PNS1_23onesweep_lookback_stateEbbT6_jjT7_P12ihipStream_tbENKUlT_T0_SK_SP_E_clISE_PiSF_SF_EEDaS13_S14_SK_SP_EUlS13_E_NS1_11comp_targetILNS1_3genE5ELNS1_11target_archE942ELNS1_3gpuE9ELNS1_3repE0EEENS1_47radix_sort_onesweep_sort_config_static_selectorELNS0_4arch9wavefront6targetE0EEEvSK_.private_seg_size, 0
	.set _ZN7rocprim17ROCPRIM_400000_NS6detail17trampoline_kernelINS0_14default_configENS1_35radix_sort_onesweep_config_selectorIiNS0_10empty_typeEEEZZNS1_29radix_sort_onesweep_iterationIS3_Lb0EN6thrust23THRUST_200600_302600_NS6detail15normal_iteratorINS9_10device_ptrIiEEEESE_PS5_SF_jNS0_19identity_decomposerENS1_16block_id_wrapperIjLb1EEEEE10hipError_tT1_PNSt15iterator_traitsISK_E10value_typeET2_T3_PNSL_ISQ_E10value_typeET4_T5_PSV_SW_PNS1_23onesweep_lookback_stateEbbT6_jjT7_P12ihipStream_tbENKUlT_T0_SK_SP_E_clISE_PiSF_SF_EEDaS13_S14_SK_SP_EUlS13_E_NS1_11comp_targetILNS1_3genE5ELNS1_11target_archE942ELNS1_3gpuE9ELNS1_3repE0EEENS1_47radix_sort_onesweep_sort_config_static_selectorELNS0_4arch9wavefront6targetE0EEEvSK_.uses_vcc, 0
	.set _ZN7rocprim17ROCPRIM_400000_NS6detail17trampoline_kernelINS0_14default_configENS1_35radix_sort_onesweep_config_selectorIiNS0_10empty_typeEEEZZNS1_29radix_sort_onesweep_iterationIS3_Lb0EN6thrust23THRUST_200600_302600_NS6detail15normal_iteratorINS9_10device_ptrIiEEEESE_PS5_SF_jNS0_19identity_decomposerENS1_16block_id_wrapperIjLb1EEEEE10hipError_tT1_PNSt15iterator_traitsISK_E10value_typeET2_T3_PNSL_ISQ_E10value_typeET4_T5_PSV_SW_PNS1_23onesweep_lookback_stateEbbT6_jjT7_P12ihipStream_tbENKUlT_T0_SK_SP_E_clISE_PiSF_SF_EEDaS13_S14_SK_SP_EUlS13_E_NS1_11comp_targetILNS1_3genE5ELNS1_11target_archE942ELNS1_3gpuE9ELNS1_3repE0EEENS1_47radix_sort_onesweep_sort_config_static_selectorELNS0_4arch9wavefront6targetE0EEEvSK_.uses_flat_scratch, 0
	.set _ZN7rocprim17ROCPRIM_400000_NS6detail17trampoline_kernelINS0_14default_configENS1_35radix_sort_onesweep_config_selectorIiNS0_10empty_typeEEEZZNS1_29radix_sort_onesweep_iterationIS3_Lb0EN6thrust23THRUST_200600_302600_NS6detail15normal_iteratorINS9_10device_ptrIiEEEESE_PS5_SF_jNS0_19identity_decomposerENS1_16block_id_wrapperIjLb1EEEEE10hipError_tT1_PNSt15iterator_traitsISK_E10value_typeET2_T3_PNSL_ISQ_E10value_typeET4_T5_PSV_SW_PNS1_23onesweep_lookback_stateEbbT6_jjT7_P12ihipStream_tbENKUlT_T0_SK_SP_E_clISE_PiSF_SF_EEDaS13_S14_SK_SP_EUlS13_E_NS1_11comp_targetILNS1_3genE5ELNS1_11target_archE942ELNS1_3gpuE9ELNS1_3repE0EEENS1_47radix_sort_onesweep_sort_config_static_selectorELNS0_4arch9wavefront6targetE0EEEvSK_.has_dyn_sized_stack, 0
	.set _ZN7rocprim17ROCPRIM_400000_NS6detail17trampoline_kernelINS0_14default_configENS1_35radix_sort_onesweep_config_selectorIiNS0_10empty_typeEEEZZNS1_29radix_sort_onesweep_iterationIS3_Lb0EN6thrust23THRUST_200600_302600_NS6detail15normal_iteratorINS9_10device_ptrIiEEEESE_PS5_SF_jNS0_19identity_decomposerENS1_16block_id_wrapperIjLb1EEEEE10hipError_tT1_PNSt15iterator_traitsISK_E10value_typeET2_T3_PNSL_ISQ_E10value_typeET4_T5_PSV_SW_PNS1_23onesweep_lookback_stateEbbT6_jjT7_P12ihipStream_tbENKUlT_T0_SK_SP_E_clISE_PiSF_SF_EEDaS13_S14_SK_SP_EUlS13_E_NS1_11comp_targetILNS1_3genE5ELNS1_11target_archE942ELNS1_3gpuE9ELNS1_3repE0EEENS1_47radix_sort_onesweep_sort_config_static_selectorELNS0_4arch9wavefront6targetE0EEEvSK_.has_recursion, 0
	.set _ZN7rocprim17ROCPRIM_400000_NS6detail17trampoline_kernelINS0_14default_configENS1_35radix_sort_onesweep_config_selectorIiNS0_10empty_typeEEEZZNS1_29radix_sort_onesweep_iterationIS3_Lb0EN6thrust23THRUST_200600_302600_NS6detail15normal_iteratorINS9_10device_ptrIiEEEESE_PS5_SF_jNS0_19identity_decomposerENS1_16block_id_wrapperIjLb1EEEEE10hipError_tT1_PNSt15iterator_traitsISK_E10value_typeET2_T3_PNSL_ISQ_E10value_typeET4_T5_PSV_SW_PNS1_23onesweep_lookback_stateEbbT6_jjT7_P12ihipStream_tbENKUlT_T0_SK_SP_E_clISE_PiSF_SF_EEDaS13_S14_SK_SP_EUlS13_E_NS1_11comp_targetILNS1_3genE5ELNS1_11target_archE942ELNS1_3gpuE9ELNS1_3repE0EEENS1_47radix_sort_onesweep_sort_config_static_selectorELNS0_4arch9wavefront6targetE0EEEvSK_.has_indirect_call, 0
	.section	.AMDGPU.csdata,"",@progbits
; Kernel info:
; codeLenInByte = 0
; TotalNumSgprs: 0
; NumVgprs: 0
; ScratchSize: 0
; MemoryBound: 0
; FloatMode: 240
; IeeeMode: 1
; LDSByteSize: 0 bytes/workgroup (compile time only)
; SGPRBlocks: 0
; VGPRBlocks: 0
; NumSGPRsForWavesPerEU: 1
; NumVGPRsForWavesPerEU: 1
; Occupancy: 16
; WaveLimiterHint : 0
; COMPUTE_PGM_RSRC2:SCRATCH_EN: 0
; COMPUTE_PGM_RSRC2:USER_SGPR: 6
; COMPUTE_PGM_RSRC2:TRAP_HANDLER: 0
; COMPUTE_PGM_RSRC2:TGID_X_EN: 1
; COMPUTE_PGM_RSRC2:TGID_Y_EN: 0
; COMPUTE_PGM_RSRC2:TGID_Z_EN: 0
; COMPUTE_PGM_RSRC2:TIDIG_COMP_CNT: 0
	.section	.text._ZN7rocprim17ROCPRIM_400000_NS6detail17trampoline_kernelINS0_14default_configENS1_35radix_sort_onesweep_config_selectorIiNS0_10empty_typeEEEZZNS1_29radix_sort_onesweep_iterationIS3_Lb0EN6thrust23THRUST_200600_302600_NS6detail15normal_iteratorINS9_10device_ptrIiEEEESE_PS5_SF_jNS0_19identity_decomposerENS1_16block_id_wrapperIjLb1EEEEE10hipError_tT1_PNSt15iterator_traitsISK_E10value_typeET2_T3_PNSL_ISQ_E10value_typeET4_T5_PSV_SW_PNS1_23onesweep_lookback_stateEbbT6_jjT7_P12ihipStream_tbENKUlT_T0_SK_SP_E_clISE_PiSF_SF_EEDaS13_S14_SK_SP_EUlS13_E_NS1_11comp_targetILNS1_3genE2ELNS1_11target_archE906ELNS1_3gpuE6ELNS1_3repE0EEENS1_47radix_sort_onesweep_sort_config_static_selectorELNS0_4arch9wavefront6targetE0EEEvSK_,"axG",@progbits,_ZN7rocprim17ROCPRIM_400000_NS6detail17trampoline_kernelINS0_14default_configENS1_35radix_sort_onesweep_config_selectorIiNS0_10empty_typeEEEZZNS1_29radix_sort_onesweep_iterationIS3_Lb0EN6thrust23THRUST_200600_302600_NS6detail15normal_iteratorINS9_10device_ptrIiEEEESE_PS5_SF_jNS0_19identity_decomposerENS1_16block_id_wrapperIjLb1EEEEE10hipError_tT1_PNSt15iterator_traitsISK_E10value_typeET2_T3_PNSL_ISQ_E10value_typeET4_T5_PSV_SW_PNS1_23onesweep_lookback_stateEbbT6_jjT7_P12ihipStream_tbENKUlT_T0_SK_SP_E_clISE_PiSF_SF_EEDaS13_S14_SK_SP_EUlS13_E_NS1_11comp_targetILNS1_3genE2ELNS1_11target_archE906ELNS1_3gpuE6ELNS1_3repE0EEENS1_47radix_sort_onesweep_sort_config_static_selectorELNS0_4arch9wavefront6targetE0EEEvSK_,comdat
	.protected	_ZN7rocprim17ROCPRIM_400000_NS6detail17trampoline_kernelINS0_14default_configENS1_35radix_sort_onesweep_config_selectorIiNS0_10empty_typeEEEZZNS1_29radix_sort_onesweep_iterationIS3_Lb0EN6thrust23THRUST_200600_302600_NS6detail15normal_iteratorINS9_10device_ptrIiEEEESE_PS5_SF_jNS0_19identity_decomposerENS1_16block_id_wrapperIjLb1EEEEE10hipError_tT1_PNSt15iterator_traitsISK_E10value_typeET2_T3_PNSL_ISQ_E10value_typeET4_T5_PSV_SW_PNS1_23onesweep_lookback_stateEbbT6_jjT7_P12ihipStream_tbENKUlT_T0_SK_SP_E_clISE_PiSF_SF_EEDaS13_S14_SK_SP_EUlS13_E_NS1_11comp_targetILNS1_3genE2ELNS1_11target_archE906ELNS1_3gpuE6ELNS1_3repE0EEENS1_47radix_sort_onesweep_sort_config_static_selectorELNS0_4arch9wavefront6targetE0EEEvSK_ ; -- Begin function _ZN7rocprim17ROCPRIM_400000_NS6detail17trampoline_kernelINS0_14default_configENS1_35radix_sort_onesweep_config_selectorIiNS0_10empty_typeEEEZZNS1_29radix_sort_onesweep_iterationIS3_Lb0EN6thrust23THRUST_200600_302600_NS6detail15normal_iteratorINS9_10device_ptrIiEEEESE_PS5_SF_jNS0_19identity_decomposerENS1_16block_id_wrapperIjLb1EEEEE10hipError_tT1_PNSt15iterator_traitsISK_E10value_typeET2_T3_PNSL_ISQ_E10value_typeET4_T5_PSV_SW_PNS1_23onesweep_lookback_stateEbbT6_jjT7_P12ihipStream_tbENKUlT_T0_SK_SP_E_clISE_PiSF_SF_EEDaS13_S14_SK_SP_EUlS13_E_NS1_11comp_targetILNS1_3genE2ELNS1_11target_archE906ELNS1_3gpuE6ELNS1_3repE0EEENS1_47radix_sort_onesweep_sort_config_static_selectorELNS0_4arch9wavefront6targetE0EEEvSK_
	.globl	_ZN7rocprim17ROCPRIM_400000_NS6detail17trampoline_kernelINS0_14default_configENS1_35radix_sort_onesweep_config_selectorIiNS0_10empty_typeEEEZZNS1_29radix_sort_onesweep_iterationIS3_Lb0EN6thrust23THRUST_200600_302600_NS6detail15normal_iteratorINS9_10device_ptrIiEEEESE_PS5_SF_jNS0_19identity_decomposerENS1_16block_id_wrapperIjLb1EEEEE10hipError_tT1_PNSt15iterator_traitsISK_E10value_typeET2_T3_PNSL_ISQ_E10value_typeET4_T5_PSV_SW_PNS1_23onesweep_lookback_stateEbbT6_jjT7_P12ihipStream_tbENKUlT_T0_SK_SP_E_clISE_PiSF_SF_EEDaS13_S14_SK_SP_EUlS13_E_NS1_11comp_targetILNS1_3genE2ELNS1_11target_archE906ELNS1_3gpuE6ELNS1_3repE0EEENS1_47radix_sort_onesweep_sort_config_static_selectorELNS0_4arch9wavefront6targetE0EEEvSK_
	.p2align	8
	.type	_ZN7rocprim17ROCPRIM_400000_NS6detail17trampoline_kernelINS0_14default_configENS1_35radix_sort_onesweep_config_selectorIiNS0_10empty_typeEEEZZNS1_29radix_sort_onesweep_iterationIS3_Lb0EN6thrust23THRUST_200600_302600_NS6detail15normal_iteratorINS9_10device_ptrIiEEEESE_PS5_SF_jNS0_19identity_decomposerENS1_16block_id_wrapperIjLb1EEEEE10hipError_tT1_PNSt15iterator_traitsISK_E10value_typeET2_T3_PNSL_ISQ_E10value_typeET4_T5_PSV_SW_PNS1_23onesweep_lookback_stateEbbT6_jjT7_P12ihipStream_tbENKUlT_T0_SK_SP_E_clISE_PiSF_SF_EEDaS13_S14_SK_SP_EUlS13_E_NS1_11comp_targetILNS1_3genE2ELNS1_11target_archE906ELNS1_3gpuE6ELNS1_3repE0EEENS1_47radix_sort_onesweep_sort_config_static_selectorELNS0_4arch9wavefront6targetE0EEEvSK_,@function
_ZN7rocprim17ROCPRIM_400000_NS6detail17trampoline_kernelINS0_14default_configENS1_35radix_sort_onesweep_config_selectorIiNS0_10empty_typeEEEZZNS1_29radix_sort_onesweep_iterationIS3_Lb0EN6thrust23THRUST_200600_302600_NS6detail15normal_iteratorINS9_10device_ptrIiEEEESE_PS5_SF_jNS0_19identity_decomposerENS1_16block_id_wrapperIjLb1EEEEE10hipError_tT1_PNSt15iterator_traitsISK_E10value_typeET2_T3_PNSL_ISQ_E10value_typeET4_T5_PSV_SW_PNS1_23onesweep_lookback_stateEbbT6_jjT7_P12ihipStream_tbENKUlT_T0_SK_SP_E_clISE_PiSF_SF_EEDaS13_S14_SK_SP_EUlS13_E_NS1_11comp_targetILNS1_3genE2ELNS1_11target_archE906ELNS1_3gpuE6ELNS1_3repE0EEENS1_47radix_sort_onesweep_sort_config_static_selectorELNS0_4arch9wavefront6targetE0EEEvSK_: ; @_ZN7rocprim17ROCPRIM_400000_NS6detail17trampoline_kernelINS0_14default_configENS1_35radix_sort_onesweep_config_selectorIiNS0_10empty_typeEEEZZNS1_29radix_sort_onesweep_iterationIS3_Lb0EN6thrust23THRUST_200600_302600_NS6detail15normal_iteratorINS9_10device_ptrIiEEEESE_PS5_SF_jNS0_19identity_decomposerENS1_16block_id_wrapperIjLb1EEEEE10hipError_tT1_PNSt15iterator_traitsISK_E10value_typeET2_T3_PNSL_ISQ_E10value_typeET4_T5_PSV_SW_PNS1_23onesweep_lookback_stateEbbT6_jjT7_P12ihipStream_tbENKUlT_T0_SK_SP_E_clISE_PiSF_SF_EEDaS13_S14_SK_SP_EUlS13_E_NS1_11comp_targetILNS1_3genE2ELNS1_11target_archE906ELNS1_3gpuE6ELNS1_3repE0EEENS1_47radix_sort_onesweep_sort_config_static_selectorELNS0_4arch9wavefront6targetE0EEEvSK_
; %bb.0:
	.section	.rodata,"a",@progbits
	.p2align	6, 0x0
	.amdhsa_kernel _ZN7rocprim17ROCPRIM_400000_NS6detail17trampoline_kernelINS0_14default_configENS1_35radix_sort_onesweep_config_selectorIiNS0_10empty_typeEEEZZNS1_29radix_sort_onesweep_iterationIS3_Lb0EN6thrust23THRUST_200600_302600_NS6detail15normal_iteratorINS9_10device_ptrIiEEEESE_PS5_SF_jNS0_19identity_decomposerENS1_16block_id_wrapperIjLb1EEEEE10hipError_tT1_PNSt15iterator_traitsISK_E10value_typeET2_T3_PNSL_ISQ_E10value_typeET4_T5_PSV_SW_PNS1_23onesweep_lookback_stateEbbT6_jjT7_P12ihipStream_tbENKUlT_T0_SK_SP_E_clISE_PiSF_SF_EEDaS13_S14_SK_SP_EUlS13_E_NS1_11comp_targetILNS1_3genE2ELNS1_11target_archE906ELNS1_3gpuE6ELNS1_3repE0EEENS1_47radix_sort_onesweep_sort_config_static_selectorELNS0_4arch9wavefront6targetE0EEEvSK_
		.amdhsa_group_segment_fixed_size 0
		.amdhsa_private_segment_fixed_size 0
		.amdhsa_kernarg_size 88
		.amdhsa_user_sgpr_count 6
		.amdhsa_user_sgpr_private_segment_buffer 1
		.amdhsa_user_sgpr_dispatch_ptr 0
		.amdhsa_user_sgpr_queue_ptr 0
		.amdhsa_user_sgpr_kernarg_segment_ptr 1
		.amdhsa_user_sgpr_dispatch_id 0
		.amdhsa_user_sgpr_flat_scratch_init 0
		.amdhsa_user_sgpr_private_segment_size 0
		.amdhsa_wavefront_size32 1
		.amdhsa_uses_dynamic_stack 0
		.amdhsa_system_sgpr_private_segment_wavefront_offset 0
		.amdhsa_system_sgpr_workgroup_id_x 1
		.amdhsa_system_sgpr_workgroup_id_y 0
		.amdhsa_system_sgpr_workgroup_id_z 0
		.amdhsa_system_sgpr_workgroup_info 0
		.amdhsa_system_vgpr_workitem_id 0
		.amdhsa_next_free_vgpr 1
		.amdhsa_next_free_sgpr 1
		.amdhsa_reserve_vcc 0
		.amdhsa_reserve_flat_scratch 0
		.amdhsa_float_round_mode_32 0
		.amdhsa_float_round_mode_16_64 0
		.amdhsa_float_denorm_mode_32 3
		.amdhsa_float_denorm_mode_16_64 3
		.amdhsa_dx10_clamp 1
		.amdhsa_ieee_mode 1
		.amdhsa_fp16_overflow 0
		.amdhsa_workgroup_processor_mode 1
		.amdhsa_memory_ordered 1
		.amdhsa_forward_progress 1
		.amdhsa_shared_vgpr_count 0
		.amdhsa_exception_fp_ieee_invalid_op 0
		.amdhsa_exception_fp_denorm_src 0
		.amdhsa_exception_fp_ieee_div_zero 0
		.amdhsa_exception_fp_ieee_overflow 0
		.amdhsa_exception_fp_ieee_underflow 0
		.amdhsa_exception_fp_ieee_inexact 0
		.amdhsa_exception_int_div_zero 0
	.end_amdhsa_kernel
	.section	.text._ZN7rocprim17ROCPRIM_400000_NS6detail17trampoline_kernelINS0_14default_configENS1_35radix_sort_onesweep_config_selectorIiNS0_10empty_typeEEEZZNS1_29radix_sort_onesweep_iterationIS3_Lb0EN6thrust23THRUST_200600_302600_NS6detail15normal_iteratorINS9_10device_ptrIiEEEESE_PS5_SF_jNS0_19identity_decomposerENS1_16block_id_wrapperIjLb1EEEEE10hipError_tT1_PNSt15iterator_traitsISK_E10value_typeET2_T3_PNSL_ISQ_E10value_typeET4_T5_PSV_SW_PNS1_23onesweep_lookback_stateEbbT6_jjT7_P12ihipStream_tbENKUlT_T0_SK_SP_E_clISE_PiSF_SF_EEDaS13_S14_SK_SP_EUlS13_E_NS1_11comp_targetILNS1_3genE2ELNS1_11target_archE906ELNS1_3gpuE6ELNS1_3repE0EEENS1_47radix_sort_onesweep_sort_config_static_selectorELNS0_4arch9wavefront6targetE0EEEvSK_,"axG",@progbits,_ZN7rocprim17ROCPRIM_400000_NS6detail17trampoline_kernelINS0_14default_configENS1_35radix_sort_onesweep_config_selectorIiNS0_10empty_typeEEEZZNS1_29radix_sort_onesweep_iterationIS3_Lb0EN6thrust23THRUST_200600_302600_NS6detail15normal_iteratorINS9_10device_ptrIiEEEESE_PS5_SF_jNS0_19identity_decomposerENS1_16block_id_wrapperIjLb1EEEEE10hipError_tT1_PNSt15iterator_traitsISK_E10value_typeET2_T3_PNSL_ISQ_E10value_typeET4_T5_PSV_SW_PNS1_23onesweep_lookback_stateEbbT6_jjT7_P12ihipStream_tbENKUlT_T0_SK_SP_E_clISE_PiSF_SF_EEDaS13_S14_SK_SP_EUlS13_E_NS1_11comp_targetILNS1_3genE2ELNS1_11target_archE906ELNS1_3gpuE6ELNS1_3repE0EEENS1_47radix_sort_onesweep_sort_config_static_selectorELNS0_4arch9wavefront6targetE0EEEvSK_,comdat
.Lfunc_end171:
	.size	_ZN7rocprim17ROCPRIM_400000_NS6detail17trampoline_kernelINS0_14default_configENS1_35radix_sort_onesweep_config_selectorIiNS0_10empty_typeEEEZZNS1_29radix_sort_onesweep_iterationIS3_Lb0EN6thrust23THRUST_200600_302600_NS6detail15normal_iteratorINS9_10device_ptrIiEEEESE_PS5_SF_jNS0_19identity_decomposerENS1_16block_id_wrapperIjLb1EEEEE10hipError_tT1_PNSt15iterator_traitsISK_E10value_typeET2_T3_PNSL_ISQ_E10value_typeET4_T5_PSV_SW_PNS1_23onesweep_lookback_stateEbbT6_jjT7_P12ihipStream_tbENKUlT_T0_SK_SP_E_clISE_PiSF_SF_EEDaS13_S14_SK_SP_EUlS13_E_NS1_11comp_targetILNS1_3genE2ELNS1_11target_archE906ELNS1_3gpuE6ELNS1_3repE0EEENS1_47radix_sort_onesweep_sort_config_static_selectorELNS0_4arch9wavefront6targetE0EEEvSK_, .Lfunc_end171-_ZN7rocprim17ROCPRIM_400000_NS6detail17trampoline_kernelINS0_14default_configENS1_35radix_sort_onesweep_config_selectorIiNS0_10empty_typeEEEZZNS1_29radix_sort_onesweep_iterationIS3_Lb0EN6thrust23THRUST_200600_302600_NS6detail15normal_iteratorINS9_10device_ptrIiEEEESE_PS5_SF_jNS0_19identity_decomposerENS1_16block_id_wrapperIjLb1EEEEE10hipError_tT1_PNSt15iterator_traitsISK_E10value_typeET2_T3_PNSL_ISQ_E10value_typeET4_T5_PSV_SW_PNS1_23onesweep_lookback_stateEbbT6_jjT7_P12ihipStream_tbENKUlT_T0_SK_SP_E_clISE_PiSF_SF_EEDaS13_S14_SK_SP_EUlS13_E_NS1_11comp_targetILNS1_3genE2ELNS1_11target_archE906ELNS1_3gpuE6ELNS1_3repE0EEENS1_47radix_sort_onesweep_sort_config_static_selectorELNS0_4arch9wavefront6targetE0EEEvSK_
                                        ; -- End function
	.set _ZN7rocprim17ROCPRIM_400000_NS6detail17trampoline_kernelINS0_14default_configENS1_35radix_sort_onesweep_config_selectorIiNS0_10empty_typeEEEZZNS1_29radix_sort_onesweep_iterationIS3_Lb0EN6thrust23THRUST_200600_302600_NS6detail15normal_iteratorINS9_10device_ptrIiEEEESE_PS5_SF_jNS0_19identity_decomposerENS1_16block_id_wrapperIjLb1EEEEE10hipError_tT1_PNSt15iterator_traitsISK_E10value_typeET2_T3_PNSL_ISQ_E10value_typeET4_T5_PSV_SW_PNS1_23onesweep_lookback_stateEbbT6_jjT7_P12ihipStream_tbENKUlT_T0_SK_SP_E_clISE_PiSF_SF_EEDaS13_S14_SK_SP_EUlS13_E_NS1_11comp_targetILNS1_3genE2ELNS1_11target_archE906ELNS1_3gpuE6ELNS1_3repE0EEENS1_47radix_sort_onesweep_sort_config_static_selectorELNS0_4arch9wavefront6targetE0EEEvSK_.num_vgpr, 0
	.set _ZN7rocprim17ROCPRIM_400000_NS6detail17trampoline_kernelINS0_14default_configENS1_35radix_sort_onesweep_config_selectorIiNS0_10empty_typeEEEZZNS1_29radix_sort_onesweep_iterationIS3_Lb0EN6thrust23THRUST_200600_302600_NS6detail15normal_iteratorINS9_10device_ptrIiEEEESE_PS5_SF_jNS0_19identity_decomposerENS1_16block_id_wrapperIjLb1EEEEE10hipError_tT1_PNSt15iterator_traitsISK_E10value_typeET2_T3_PNSL_ISQ_E10value_typeET4_T5_PSV_SW_PNS1_23onesweep_lookback_stateEbbT6_jjT7_P12ihipStream_tbENKUlT_T0_SK_SP_E_clISE_PiSF_SF_EEDaS13_S14_SK_SP_EUlS13_E_NS1_11comp_targetILNS1_3genE2ELNS1_11target_archE906ELNS1_3gpuE6ELNS1_3repE0EEENS1_47radix_sort_onesweep_sort_config_static_selectorELNS0_4arch9wavefront6targetE0EEEvSK_.num_agpr, 0
	.set _ZN7rocprim17ROCPRIM_400000_NS6detail17trampoline_kernelINS0_14default_configENS1_35radix_sort_onesweep_config_selectorIiNS0_10empty_typeEEEZZNS1_29radix_sort_onesweep_iterationIS3_Lb0EN6thrust23THRUST_200600_302600_NS6detail15normal_iteratorINS9_10device_ptrIiEEEESE_PS5_SF_jNS0_19identity_decomposerENS1_16block_id_wrapperIjLb1EEEEE10hipError_tT1_PNSt15iterator_traitsISK_E10value_typeET2_T3_PNSL_ISQ_E10value_typeET4_T5_PSV_SW_PNS1_23onesweep_lookback_stateEbbT6_jjT7_P12ihipStream_tbENKUlT_T0_SK_SP_E_clISE_PiSF_SF_EEDaS13_S14_SK_SP_EUlS13_E_NS1_11comp_targetILNS1_3genE2ELNS1_11target_archE906ELNS1_3gpuE6ELNS1_3repE0EEENS1_47radix_sort_onesweep_sort_config_static_selectorELNS0_4arch9wavefront6targetE0EEEvSK_.numbered_sgpr, 0
	.set _ZN7rocprim17ROCPRIM_400000_NS6detail17trampoline_kernelINS0_14default_configENS1_35radix_sort_onesweep_config_selectorIiNS0_10empty_typeEEEZZNS1_29radix_sort_onesweep_iterationIS3_Lb0EN6thrust23THRUST_200600_302600_NS6detail15normal_iteratorINS9_10device_ptrIiEEEESE_PS5_SF_jNS0_19identity_decomposerENS1_16block_id_wrapperIjLb1EEEEE10hipError_tT1_PNSt15iterator_traitsISK_E10value_typeET2_T3_PNSL_ISQ_E10value_typeET4_T5_PSV_SW_PNS1_23onesweep_lookback_stateEbbT6_jjT7_P12ihipStream_tbENKUlT_T0_SK_SP_E_clISE_PiSF_SF_EEDaS13_S14_SK_SP_EUlS13_E_NS1_11comp_targetILNS1_3genE2ELNS1_11target_archE906ELNS1_3gpuE6ELNS1_3repE0EEENS1_47radix_sort_onesweep_sort_config_static_selectorELNS0_4arch9wavefront6targetE0EEEvSK_.num_named_barrier, 0
	.set _ZN7rocprim17ROCPRIM_400000_NS6detail17trampoline_kernelINS0_14default_configENS1_35radix_sort_onesweep_config_selectorIiNS0_10empty_typeEEEZZNS1_29radix_sort_onesweep_iterationIS3_Lb0EN6thrust23THRUST_200600_302600_NS6detail15normal_iteratorINS9_10device_ptrIiEEEESE_PS5_SF_jNS0_19identity_decomposerENS1_16block_id_wrapperIjLb1EEEEE10hipError_tT1_PNSt15iterator_traitsISK_E10value_typeET2_T3_PNSL_ISQ_E10value_typeET4_T5_PSV_SW_PNS1_23onesweep_lookback_stateEbbT6_jjT7_P12ihipStream_tbENKUlT_T0_SK_SP_E_clISE_PiSF_SF_EEDaS13_S14_SK_SP_EUlS13_E_NS1_11comp_targetILNS1_3genE2ELNS1_11target_archE906ELNS1_3gpuE6ELNS1_3repE0EEENS1_47radix_sort_onesweep_sort_config_static_selectorELNS0_4arch9wavefront6targetE0EEEvSK_.private_seg_size, 0
	.set _ZN7rocprim17ROCPRIM_400000_NS6detail17trampoline_kernelINS0_14default_configENS1_35radix_sort_onesweep_config_selectorIiNS0_10empty_typeEEEZZNS1_29radix_sort_onesweep_iterationIS3_Lb0EN6thrust23THRUST_200600_302600_NS6detail15normal_iteratorINS9_10device_ptrIiEEEESE_PS5_SF_jNS0_19identity_decomposerENS1_16block_id_wrapperIjLb1EEEEE10hipError_tT1_PNSt15iterator_traitsISK_E10value_typeET2_T3_PNSL_ISQ_E10value_typeET4_T5_PSV_SW_PNS1_23onesweep_lookback_stateEbbT6_jjT7_P12ihipStream_tbENKUlT_T0_SK_SP_E_clISE_PiSF_SF_EEDaS13_S14_SK_SP_EUlS13_E_NS1_11comp_targetILNS1_3genE2ELNS1_11target_archE906ELNS1_3gpuE6ELNS1_3repE0EEENS1_47radix_sort_onesweep_sort_config_static_selectorELNS0_4arch9wavefront6targetE0EEEvSK_.uses_vcc, 0
	.set _ZN7rocprim17ROCPRIM_400000_NS6detail17trampoline_kernelINS0_14default_configENS1_35radix_sort_onesweep_config_selectorIiNS0_10empty_typeEEEZZNS1_29radix_sort_onesweep_iterationIS3_Lb0EN6thrust23THRUST_200600_302600_NS6detail15normal_iteratorINS9_10device_ptrIiEEEESE_PS5_SF_jNS0_19identity_decomposerENS1_16block_id_wrapperIjLb1EEEEE10hipError_tT1_PNSt15iterator_traitsISK_E10value_typeET2_T3_PNSL_ISQ_E10value_typeET4_T5_PSV_SW_PNS1_23onesweep_lookback_stateEbbT6_jjT7_P12ihipStream_tbENKUlT_T0_SK_SP_E_clISE_PiSF_SF_EEDaS13_S14_SK_SP_EUlS13_E_NS1_11comp_targetILNS1_3genE2ELNS1_11target_archE906ELNS1_3gpuE6ELNS1_3repE0EEENS1_47radix_sort_onesweep_sort_config_static_selectorELNS0_4arch9wavefront6targetE0EEEvSK_.uses_flat_scratch, 0
	.set _ZN7rocprim17ROCPRIM_400000_NS6detail17trampoline_kernelINS0_14default_configENS1_35radix_sort_onesweep_config_selectorIiNS0_10empty_typeEEEZZNS1_29radix_sort_onesweep_iterationIS3_Lb0EN6thrust23THRUST_200600_302600_NS6detail15normal_iteratorINS9_10device_ptrIiEEEESE_PS5_SF_jNS0_19identity_decomposerENS1_16block_id_wrapperIjLb1EEEEE10hipError_tT1_PNSt15iterator_traitsISK_E10value_typeET2_T3_PNSL_ISQ_E10value_typeET4_T5_PSV_SW_PNS1_23onesweep_lookback_stateEbbT6_jjT7_P12ihipStream_tbENKUlT_T0_SK_SP_E_clISE_PiSF_SF_EEDaS13_S14_SK_SP_EUlS13_E_NS1_11comp_targetILNS1_3genE2ELNS1_11target_archE906ELNS1_3gpuE6ELNS1_3repE0EEENS1_47radix_sort_onesweep_sort_config_static_selectorELNS0_4arch9wavefront6targetE0EEEvSK_.has_dyn_sized_stack, 0
	.set _ZN7rocprim17ROCPRIM_400000_NS6detail17trampoline_kernelINS0_14default_configENS1_35radix_sort_onesweep_config_selectorIiNS0_10empty_typeEEEZZNS1_29radix_sort_onesweep_iterationIS3_Lb0EN6thrust23THRUST_200600_302600_NS6detail15normal_iteratorINS9_10device_ptrIiEEEESE_PS5_SF_jNS0_19identity_decomposerENS1_16block_id_wrapperIjLb1EEEEE10hipError_tT1_PNSt15iterator_traitsISK_E10value_typeET2_T3_PNSL_ISQ_E10value_typeET4_T5_PSV_SW_PNS1_23onesweep_lookback_stateEbbT6_jjT7_P12ihipStream_tbENKUlT_T0_SK_SP_E_clISE_PiSF_SF_EEDaS13_S14_SK_SP_EUlS13_E_NS1_11comp_targetILNS1_3genE2ELNS1_11target_archE906ELNS1_3gpuE6ELNS1_3repE0EEENS1_47radix_sort_onesweep_sort_config_static_selectorELNS0_4arch9wavefront6targetE0EEEvSK_.has_recursion, 0
	.set _ZN7rocprim17ROCPRIM_400000_NS6detail17trampoline_kernelINS0_14default_configENS1_35radix_sort_onesweep_config_selectorIiNS0_10empty_typeEEEZZNS1_29radix_sort_onesweep_iterationIS3_Lb0EN6thrust23THRUST_200600_302600_NS6detail15normal_iteratorINS9_10device_ptrIiEEEESE_PS5_SF_jNS0_19identity_decomposerENS1_16block_id_wrapperIjLb1EEEEE10hipError_tT1_PNSt15iterator_traitsISK_E10value_typeET2_T3_PNSL_ISQ_E10value_typeET4_T5_PSV_SW_PNS1_23onesweep_lookback_stateEbbT6_jjT7_P12ihipStream_tbENKUlT_T0_SK_SP_E_clISE_PiSF_SF_EEDaS13_S14_SK_SP_EUlS13_E_NS1_11comp_targetILNS1_3genE2ELNS1_11target_archE906ELNS1_3gpuE6ELNS1_3repE0EEENS1_47radix_sort_onesweep_sort_config_static_selectorELNS0_4arch9wavefront6targetE0EEEvSK_.has_indirect_call, 0
	.section	.AMDGPU.csdata,"",@progbits
; Kernel info:
; codeLenInByte = 0
; TotalNumSgprs: 0
; NumVgprs: 0
; ScratchSize: 0
; MemoryBound: 0
; FloatMode: 240
; IeeeMode: 1
; LDSByteSize: 0 bytes/workgroup (compile time only)
; SGPRBlocks: 0
; VGPRBlocks: 0
; NumSGPRsForWavesPerEU: 1
; NumVGPRsForWavesPerEU: 1
; Occupancy: 16
; WaveLimiterHint : 0
; COMPUTE_PGM_RSRC2:SCRATCH_EN: 0
; COMPUTE_PGM_RSRC2:USER_SGPR: 6
; COMPUTE_PGM_RSRC2:TRAP_HANDLER: 0
; COMPUTE_PGM_RSRC2:TGID_X_EN: 1
; COMPUTE_PGM_RSRC2:TGID_Y_EN: 0
; COMPUTE_PGM_RSRC2:TGID_Z_EN: 0
; COMPUTE_PGM_RSRC2:TIDIG_COMP_CNT: 0
	.section	.text._ZN7rocprim17ROCPRIM_400000_NS6detail17trampoline_kernelINS0_14default_configENS1_35radix_sort_onesweep_config_selectorIiNS0_10empty_typeEEEZZNS1_29radix_sort_onesweep_iterationIS3_Lb0EN6thrust23THRUST_200600_302600_NS6detail15normal_iteratorINS9_10device_ptrIiEEEESE_PS5_SF_jNS0_19identity_decomposerENS1_16block_id_wrapperIjLb1EEEEE10hipError_tT1_PNSt15iterator_traitsISK_E10value_typeET2_T3_PNSL_ISQ_E10value_typeET4_T5_PSV_SW_PNS1_23onesweep_lookback_stateEbbT6_jjT7_P12ihipStream_tbENKUlT_T0_SK_SP_E_clISE_PiSF_SF_EEDaS13_S14_SK_SP_EUlS13_E_NS1_11comp_targetILNS1_3genE4ELNS1_11target_archE910ELNS1_3gpuE8ELNS1_3repE0EEENS1_47radix_sort_onesweep_sort_config_static_selectorELNS0_4arch9wavefront6targetE0EEEvSK_,"axG",@progbits,_ZN7rocprim17ROCPRIM_400000_NS6detail17trampoline_kernelINS0_14default_configENS1_35radix_sort_onesweep_config_selectorIiNS0_10empty_typeEEEZZNS1_29radix_sort_onesweep_iterationIS3_Lb0EN6thrust23THRUST_200600_302600_NS6detail15normal_iteratorINS9_10device_ptrIiEEEESE_PS5_SF_jNS0_19identity_decomposerENS1_16block_id_wrapperIjLb1EEEEE10hipError_tT1_PNSt15iterator_traitsISK_E10value_typeET2_T3_PNSL_ISQ_E10value_typeET4_T5_PSV_SW_PNS1_23onesweep_lookback_stateEbbT6_jjT7_P12ihipStream_tbENKUlT_T0_SK_SP_E_clISE_PiSF_SF_EEDaS13_S14_SK_SP_EUlS13_E_NS1_11comp_targetILNS1_3genE4ELNS1_11target_archE910ELNS1_3gpuE8ELNS1_3repE0EEENS1_47radix_sort_onesweep_sort_config_static_selectorELNS0_4arch9wavefront6targetE0EEEvSK_,comdat
	.protected	_ZN7rocprim17ROCPRIM_400000_NS6detail17trampoline_kernelINS0_14default_configENS1_35radix_sort_onesweep_config_selectorIiNS0_10empty_typeEEEZZNS1_29radix_sort_onesweep_iterationIS3_Lb0EN6thrust23THRUST_200600_302600_NS6detail15normal_iteratorINS9_10device_ptrIiEEEESE_PS5_SF_jNS0_19identity_decomposerENS1_16block_id_wrapperIjLb1EEEEE10hipError_tT1_PNSt15iterator_traitsISK_E10value_typeET2_T3_PNSL_ISQ_E10value_typeET4_T5_PSV_SW_PNS1_23onesweep_lookback_stateEbbT6_jjT7_P12ihipStream_tbENKUlT_T0_SK_SP_E_clISE_PiSF_SF_EEDaS13_S14_SK_SP_EUlS13_E_NS1_11comp_targetILNS1_3genE4ELNS1_11target_archE910ELNS1_3gpuE8ELNS1_3repE0EEENS1_47radix_sort_onesweep_sort_config_static_selectorELNS0_4arch9wavefront6targetE0EEEvSK_ ; -- Begin function _ZN7rocprim17ROCPRIM_400000_NS6detail17trampoline_kernelINS0_14default_configENS1_35radix_sort_onesweep_config_selectorIiNS0_10empty_typeEEEZZNS1_29radix_sort_onesweep_iterationIS3_Lb0EN6thrust23THRUST_200600_302600_NS6detail15normal_iteratorINS9_10device_ptrIiEEEESE_PS5_SF_jNS0_19identity_decomposerENS1_16block_id_wrapperIjLb1EEEEE10hipError_tT1_PNSt15iterator_traitsISK_E10value_typeET2_T3_PNSL_ISQ_E10value_typeET4_T5_PSV_SW_PNS1_23onesweep_lookback_stateEbbT6_jjT7_P12ihipStream_tbENKUlT_T0_SK_SP_E_clISE_PiSF_SF_EEDaS13_S14_SK_SP_EUlS13_E_NS1_11comp_targetILNS1_3genE4ELNS1_11target_archE910ELNS1_3gpuE8ELNS1_3repE0EEENS1_47radix_sort_onesweep_sort_config_static_selectorELNS0_4arch9wavefront6targetE0EEEvSK_
	.globl	_ZN7rocprim17ROCPRIM_400000_NS6detail17trampoline_kernelINS0_14default_configENS1_35radix_sort_onesweep_config_selectorIiNS0_10empty_typeEEEZZNS1_29radix_sort_onesweep_iterationIS3_Lb0EN6thrust23THRUST_200600_302600_NS6detail15normal_iteratorINS9_10device_ptrIiEEEESE_PS5_SF_jNS0_19identity_decomposerENS1_16block_id_wrapperIjLb1EEEEE10hipError_tT1_PNSt15iterator_traitsISK_E10value_typeET2_T3_PNSL_ISQ_E10value_typeET4_T5_PSV_SW_PNS1_23onesweep_lookback_stateEbbT6_jjT7_P12ihipStream_tbENKUlT_T0_SK_SP_E_clISE_PiSF_SF_EEDaS13_S14_SK_SP_EUlS13_E_NS1_11comp_targetILNS1_3genE4ELNS1_11target_archE910ELNS1_3gpuE8ELNS1_3repE0EEENS1_47radix_sort_onesweep_sort_config_static_selectorELNS0_4arch9wavefront6targetE0EEEvSK_
	.p2align	8
	.type	_ZN7rocprim17ROCPRIM_400000_NS6detail17trampoline_kernelINS0_14default_configENS1_35radix_sort_onesweep_config_selectorIiNS0_10empty_typeEEEZZNS1_29radix_sort_onesweep_iterationIS3_Lb0EN6thrust23THRUST_200600_302600_NS6detail15normal_iteratorINS9_10device_ptrIiEEEESE_PS5_SF_jNS0_19identity_decomposerENS1_16block_id_wrapperIjLb1EEEEE10hipError_tT1_PNSt15iterator_traitsISK_E10value_typeET2_T3_PNSL_ISQ_E10value_typeET4_T5_PSV_SW_PNS1_23onesweep_lookback_stateEbbT6_jjT7_P12ihipStream_tbENKUlT_T0_SK_SP_E_clISE_PiSF_SF_EEDaS13_S14_SK_SP_EUlS13_E_NS1_11comp_targetILNS1_3genE4ELNS1_11target_archE910ELNS1_3gpuE8ELNS1_3repE0EEENS1_47radix_sort_onesweep_sort_config_static_selectorELNS0_4arch9wavefront6targetE0EEEvSK_,@function
_ZN7rocprim17ROCPRIM_400000_NS6detail17trampoline_kernelINS0_14default_configENS1_35radix_sort_onesweep_config_selectorIiNS0_10empty_typeEEEZZNS1_29radix_sort_onesweep_iterationIS3_Lb0EN6thrust23THRUST_200600_302600_NS6detail15normal_iteratorINS9_10device_ptrIiEEEESE_PS5_SF_jNS0_19identity_decomposerENS1_16block_id_wrapperIjLb1EEEEE10hipError_tT1_PNSt15iterator_traitsISK_E10value_typeET2_T3_PNSL_ISQ_E10value_typeET4_T5_PSV_SW_PNS1_23onesweep_lookback_stateEbbT6_jjT7_P12ihipStream_tbENKUlT_T0_SK_SP_E_clISE_PiSF_SF_EEDaS13_S14_SK_SP_EUlS13_E_NS1_11comp_targetILNS1_3genE4ELNS1_11target_archE910ELNS1_3gpuE8ELNS1_3repE0EEENS1_47radix_sort_onesweep_sort_config_static_selectorELNS0_4arch9wavefront6targetE0EEEvSK_: ; @_ZN7rocprim17ROCPRIM_400000_NS6detail17trampoline_kernelINS0_14default_configENS1_35radix_sort_onesweep_config_selectorIiNS0_10empty_typeEEEZZNS1_29radix_sort_onesweep_iterationIS3_Lb0EN6thrust23THRUST_200600_302600_NS6detail15normal_iteratorINS9_10device_ptrIiEEEESE_PS5_SF_jNS0_19identity_decomposerENS1_16block_id_wrapperIjLb1EEEEE10hipError_tT1_PNSt15iterator_traitsISK_E10value_typeET2_T3_PNSL_ISQ_E10value_typeET4_T5_PSV_SW_PNS1_23onesweep_lookback_stateEbbT6_jjT7_P12ihipStream_tbENKUlT_T0_SK_SP_E_clISE_PiSF_SF_EEDaS13_S14_SK_SP_EUlS13_E_NS1_11comp_targetILNS1_3genE4ELNS1_11target_archE910ELNS1_3gpuE8ELNS1_3repE0EEENS1_47radix_sort_onesweep_sort_config_static_selectorELNS0_4arch9wavefront6targetE0EEEvSK_
; %bb.0:
	.section	.rodata,"a",@progbits
	.p2align	6, 0x0
	.amdhsa_kernel _ZN7rocprim17ROCPRIM_400000_NS6detail17trampoline_kernelINS0_14default_configENS1_35radix_sort_onesweep_config_selectorIiNS0_10empty_typeEEEZZNS1_29radix_sort_onesweep_iterationIS3_Lb0EN6thrust23THRUST_200600_302600_NS6detail15normal_iteratorINS9_10device_ptrIiEEEESE_PS5_SF_jNS0_19identity_decomposerENS1_16block_id_wrapperIjLb1EEEEE10hipError_tT1_PNSt15iterator_traitsISK_E10value_typeET2_T3_PNSL_ISQ_E10value_typeET4_T5_PSV_SW_PNS1_23onesweep_lookback_stateEbbT6_jjT7_P12ihipStream_tbENKUlT_T0_SK_SP_E_clISE_PiSF_SF_EEDaS13_S14_SK_SP_EUlS13_E_NS1_11comp_targetILNS1_3genE4ELNS1_11target_archE910ELNS1_3gpuE8ELNS1_3repE0EEENS1_47radix_sort_onesweep_sort_config_static_selectorELNS0_4arch9wavefront6targetE0EEEvSK_
		.amdhsa_group_segment_fixed_size 0
		.amdhsa_private_segment_fixed_size 0
		.amdhsa_kernarg_size 88
		.amdhsa_user_sgpr_count 6
		.amdhsa_user_sgpr_private_segment_buffer 1
		.amdhsa_user_sgpr_dispatch_ptr 0
		.amdhsa_user_sgpr_queue_ptr 0
		.amdhsa_user_sgpr_kernarg_segment_ptr 1
		.amdhsa_user_sgpr_dispatch_id 0
		.amdhsa_user_sgpr_flat_scratch_init 0
		.amdhsa_user_sgpr_private_segment_size 0
		.amdhsa_wavefront_size32 1
		.amdhsa_uses_dynamic_stack 0
		.amdhsa_system_sgpr_private_segment_wavefront_offset 0
		.amdhsa_system_sgpr_workgroup_id_x 1
		.amdhsa_system_sgpr_workgroup_id_y 0
		.amdhsa_system_sgpr_workgroup_id_z 0
		.amdhsa_system_sgpr_workgroup_info 0
		.amdhsa_system_vgpr_workitem_id 0
		.amdhsa_next_free_vgpr 1
		.amdhsa_next_free_sgpr 1
		.amdhsa_reserve_vcc 0
		.amdhsa_reserve_flat_scratch 0
		.amdhsa_float_round_mode_32 0
		.amdhsa_float_round_mode_16_64 0
		.amdhsa_float_denorm_mode_32 3
		.amdhsa_float_denorm_mode_16_64 3
		.amdhsa_dx10_clamp 1
		.amdhsa_ieee_mode 1
		.amdhsa_fp16_overflow 0
		.amdhsa_workgroup_processor_mode 1
		.amdhsa_memory_ordered 1
		.amdhsa_forward_progress 1
		.amdhsa_shared_vgpr_count 0
		.amdhsa_exception_fp_ieee_invalid_op 0
		.amdhsa_exception_fp_denorm_src 0
		.amdhsa_exception_fp_ieee_div_zero 0
		.amdhsa_exception_fp_ieee_overflow 0
		.amdhsa_exception_fp_ieee_underflow 0
		.amdhsa_exception_fp_ieee_inexact 0
		.amdhsa_exception_int_div_zero 0
	.end_amdhsa_kernel
	.section	.text._ZN7rocprim17ROCPRIM_400000_NS6detail17trampoline_kernelINS0_14default_configENS1_35radix_sort_onesweep_config_selectorIiNS0_10empty_typeEEEZZNS1_29radix_sort_onesweep_iterationIS3_Lb0EN6thrust23THRUST_200600_302600_NS6detail15normal_iteratorINS9_10device_ptrIiEEEESE_PS5_SF_jNS0_19identity_decomposerENS1_16block_id_wrapperIjLb1EEEEE10hipError_tT1_PNSt15iterator_traitsISK_E10value_typeET2_T3_PNSL_ISQ_E10value_typeET4_T5_PSV_SW_PNS1_23onesweep_lookback_stateEbbT6_jjT7_P12ihipStream_tbENKUlT_T0_SK_SP_E_clISE_PiSF_SF_EEDaS13_S14_SK_SP_EUlS13_E_NS1_11comp_targetILNS1_3genE4ELNS1_11target_archE910ELNS1_3gpuE8ELNS1_3repE0EEENS1_47radix_sort_onesweep_sort_config_static_selectorELNS0_4arch9wavefront6targetE0EEEvSK_,"axG",@progbits,_ZN7rocprim17ROCPRIM_400000_NS6detail17trampoline_kernelINS0_14default_configENS1_35radix_sort_onesweep_config_selectorIiNS0_10empty_typeEEEZZNS1_29radix_sort_onesweep_iterationIS3_Lb0EN6thrust23THRUST_200600_302600_NS6detail15normal_iteratorINS9_10device_ptrIiEEEESE_PS5_SF_jNS0_19identity_decomposerENS1_16block_id_wrapperIjLb1EEEEE10hipError_tT1_PNSt15iterator_traitsISK_E10value_typeET2_T3_PNSL_ISQ_E10value_typeET4_T5_PSV_SW_PNS1_23onesweep_lookback_stateEbbT6_jjT7_P12ihipStream_tbENKUlT_T0_SK_SP_E_clISE_PiSF_SF_EEDaS13_S14_SK_SP_EUlS13_E_NS1_11comp_targetILNS1_3genE4ELNS1_11target_archE910ELNS1_3gpuE8ELNS1_3repE0EEENS1_47radix_sort_onesweep_sort_config_static_selectorELNS0_4arch9wavefront6targetE0EEEvSK_,comdat
.Lfunc_end172:
	.size	_ZN7rocprim17ROCPRIM_400000_NS6detail17trampoline_kernelINS0_14default_configENS1_35radix_sort_onesweep_config_selectorIiNS0_10empty_typeEEEZZNS1_29radix_sort_onesweep_iterationIS3_Lb0EN6thrust23THRUST_200600_302600_NS6detail15normal_iteratorINS9_10device_ptrIiEEEESE_PS5_SF_jNS0_19identity_decomposerENS1_16block_id_wrapperIjLb1EEEEE10hipError_tT1_PNSt15iterator_traitsISK_E10value_typeET2_T3_PNSL_ISQ_E10value_typeET4_T5_PSV_SW_PNS1_23onesweep_lookback_stateEbbT6_jjT7_P12ihipStream_tbENKUlT_T0_SK_SP_E_clISE_PiSF_SF_EEDaS13_S14_SK_SP_EUlS13_E_NS1_11comp_targetILNS1_3genE4ELNS1_11target_archE910ELNS1_3gpuE8ELNS1_3repE0EEENS1_47radix_sort_onesweep_sort_config_static_selectorELNS0_4arch9wavefront6targetE0EEEvSK_, .Lfunc_end172-_ZN7rocprim17ROCPRIM_400000_NS6detail17trampoline_kernelINS0_14default_configENS1_35radix_sort_onesweep_config_selectorIiNS0_10empty_typeEEEZZNS1_29radix_sort_onesweep_iterationIS3_Lb0EN6thrust23THRUST_200600_302600_NS6detail15normal_iteratorINS9_10device_ptrIiEEEESE_PS5_SF_jNS0_19identity_decomposerENS1_16block_id_wrapperIjLb1EEEEE10hipError_tT1_PNSt15iterator_traitsISK_E10value_typeET2_T3_PNSL_ISQ_E10value_typeET4_T5_PSV_SW_PNS1_23onesweep_lookback_stateEbbT6_jjT7_P12ihipStream_tbENKUlT_T0_SK_SP_E_clISE_PiSF_SF_EEDaS13_S14_SK_SP_EUlS13_E_NS1_11comp_targetILNS1_3genE4ELNS1_11target_archE910ELNS1_3gpuE8ELNS1_3repE0EEENS1_47radix_sort_onesweep_sort_config_static_selectorELNS0_4arch9wavefront6targetE0EEEvSK_
                                        ; -- End function
	.set _ZN7rocprim17ROCPRIM_400000_NS6detail17trampoline_kernelINS0_14default_configENS1_35radix_sort_onesweep_config_selectorIiNS0_10empty_typeEEEZZNS1_29radix_sort_onesweep_iterationIS3_Lb0EN6thrust23THRUST_200600_302600_NS6detail15normal_iteratorINS9_10device_ptrIiEEEESE_PS5_SF_jNS0_19identity_decomposerENS1_16block_id_wrapperIjLb1EEEEE10hipError_tT1_PNSt15iterator_traitsISK_E10value_typeET2_T3_PNSL_ISQ_E10value_typeET4_T5_PSV_SW_PNS1_23onesweep_lookback_stateEbbT6_jjT7_P12ihipStream_tbENKUlT_T0_SK_SP_E_clISE_PiSF_SF_EEDaS13_S14_SK_SP_EUlS13_E_NS1_11comp_targetILNS1_3genE4ELNS1_11target_archE910ELNS1_3gpuE8ELNS1_3repE0EEENS1_47radix_sort_onesweep_sort_config_static_selectorELNS0_4arch9wavefront6targetE0EEEvSK_.num_vgpr, 0
	.set _ZN7rocprim17ROCPRIM_400000_NS6detail17trampoline_kernelINS0_14default_configENS1_35radix_sort_onesweep_config_selectorIiNS0_10empty_typeEEEZZNS1_29radix_sort_onesweep_iterationIS3_Lb0EN6thrust23THRUST_200600_302600_NS6detail15normal_iteratorINS9_10device_ptrIiEEEESE_PS5_SF_jNS0_19identity_decomposerENS1_16block_id_wrapperIjLb1EEEEE10hipError_tT1_PNSt15iterator_traitsISK_E10value_typeET2_T3_PNSL_ISQ_E10value_typeET4_T5_PSV_SW_PNS1_23onesweep_lookback_stateEbbT6_jjT7_P12ihipStream_tbENKUlT_T0_SK_SP_E_clISE_PiSF_SF_EEDaS13_S14_SK_SP_EUlS13_E_NS1_11comp_targetILNS1_3genE4ELNS1_11target_archE910ELNS1_3gpuE8ELNS1_3repE0EEENS1_47radix_sort_onesweep_sort_config_static_selectorELNS0_4arch9wavefront6targetE0EEEvSK_.num_agpr, 0
	.set _ZN7rocprim17ROCPRIM_400000_NS6detail17trampoline_kernelINS0_14default_configENS1_35radix_sort_onesweep_config_selectorIiNS0_10empty_typeEEEZZNS1_29radix_sort_onesweep_iterationIS3_Lb0EN6thrust23THRUST_200600_302600_NS6detail15normal_iteratorINS9_10device_ptrIiEEEESE_PS5_SF_jNS0_19identity_decomposerENS1_16block_id_wrapperIjLb1EEEEE10hipError_tT1_PNSt15iterator_traitsISK_E10value_typeET2_T3_PNSL_ISQ_E10value_typeET4_T5_PSV_SW_PNS1_23onesweep_lookback_stateEbbT6_jjT7_P12ihipStream_tbENKUlT_T0_SK_SP_E_clISE_PiSF_SF_EEDaS13_S14_SK_SP_EUlS13_E_NS1_11comp_targetILNS1_3genE4ELNS1_11target_archE910ELNS1_3gpuE8ELNS1_3repE0EEENS1_47radix_sort_onesweep_sort_config_static_selectorELNS0_4arch9wavefront6targetE0EEEvSK_.numbered_sgpr, 0
	.set _ZN7rocprim17ROCPRIM_400000_NS6detail17trampoline_kernelINS0_14default_configENS1_35radix_sort_onesweep_config_selectorIiNS0_10empty_typeEEEZZNS1_29radix_sort_onesweep_iterationIS3_Lb0EN6thrust23THRUST_200600_302600_NS6detail15normal_iteratorINS9_10device_ptrIiEEEESE_PS5_SF_jNS0_19identity_decomposerENS1_16block_id_wrapperIjLb1EEEEE10hipError_tT1_PNSt15iterator_traitsISK_E10value_typeET2_T3_PNSL_ISQ_E10value_typeET4_T5_PSV_SW_PNS1_23onesweep_lookback_stateEbbT6_jjT7_P12ihipStream_tbENKUlT_T0_SK_SP_E_clISE_PiSF_SF_EEDaS13_S14_SK_SP_EUlS13_E_NS1_11comp_targetILNS1_3genE4ELNS1_11target_archE910ELNS1_3gpuE8ELNS1_3repE0EEENS1_47radix_sort_onesweep_sort_config_static_selectorELNS0_4arch9wavefront6targetE0EEEvSK_.num_named_barrier, 0
	.set _ZN7rocprim17ROCPRIM_400000_NS6detail17trampoline_kernelINS0_14default_configENS1_35radix_sort_onesweep_config_selectorIiNS0_10empty_typeEEEZZNS1_29radix_sort_onesweep_iterationIS3_Lb0EN6thrust23THRUST_200600_302600_NS6detail15normal_iteratorINS9_10device_ptrIiEEEESE_PS5_SF_jNS0_19identity_decomposerENS1_16block_id_wrapperIjLb1EEEEE10hipError_tT1_PNSt15iterator_traitsISK_E10value_typeET2_T3_PNSL_ISQ_E10value_typeET4_T5_PSV_SW_PNS1_23onesweep_lookback_stateEbbT6_jjT7_P12ihipStream_tbENKUlT_T0_SK_SP_E_clISE_PiSF_SF_EEDaS13_S14_SK_SP_EUlS13_E_NS1_11comp_targetILNS1_3genE4ELNS1_11target_archE910ELNS1_3gpuE8ELNS1_3repE0EEENS1_47radix_sort_onesweep_sort_config_static_selectorELNS0_4arch9wavefront6targetE0EEEvSK_.private_seg_size, 0
	.set _ZN7rocprim17ROCPRIM_400000_NS6detail17trampoline_kernelINS0_14default_configENS1_35radix_sort_onesweep_config_selectorIiNS0_10empty_typeEEEZZNS1_29radix_sort_onesweep_iterationIS3_Lb0EN6thrust23THRUST_200600_302600_NS6detail15normal_iteratorINS9_10device_ptrIiEEEESE_PS5_SF_jNS0_19identity_decomposerENS1_16block_id_wrapperIjLb1EEEEE10hipError_tT1_PNSt15iterator_traitsISK_E10value_typeET2_T3_PNSL_ISQ_E10value_typeET4_T5_PSV_SW_PNS1_23onesweep_lookback_stateEbbT6_jjT7_P12ihipStream_tbENKUlT_T0_SK_SP_E_clISE_PiSF_SF_EEDaS13_S14_SK_SP_EUlS13_E_NS1_11comp_targetILNS1_3genE4ELNS1_11target_archE910ELNS1_3gpuE8ELNS1_3repE0EEENS1_47radix_sort_onesweep_sort_config_static_selectorELNS0_4arch9wavefront6targetE0EEEvSK_.uses_vcc, 0
	.set _ZN7rocprim17ROCPRIM_400000_NS6detail17trampoline_kernelINS0_14default_configENS1_35radix_sort_onesweep_config_selectorIiNS0_10empty_typeEEEZZNS1_29radix_sort_onesweep_iterationIS3_Lb0EN6thrust23THRUST_200600_302600_NS6detail15normal_iteratorINS9_10device_ptrIiEEEESE_PS5_SF_jNS0_19identity_decomposerENS1_16block_id_wrapperIjLb1EEEEE10hipError_tT1_PNSt15iterator_traitsISK_E10value_typeET2_T3_PNSL_ISQ_E10value_typeET4_T5_PSV_SW_PNS1_23onesweep_lookback_stateEbbT6_jjT7_P12ihipStream_tbENKUlT_T0_SK_SP_E_clISE_PiSF_SF_EEDaS13_S14_SK_SP_EUlS13_E_NS1_11comp_targetILNS1_3genE4ELNS1_11target_archE910ELNS1_3gpuE8ELNS1_3repE0EEENS1_47radix_sort_onesweep_sort_config_static_selectorELNS0_4arch9wavefront6targetE0EEEvSK_.uses_flat_scratch, 0
	.set _ZN7rocprim17ROCPRIM_400000_NS6detail17trampoline_kernelINS0_14default_configENS1_35radix_sort_onesweep_config_selectorIiNS0_10empty_typeEEEZZNS1_29radix_sort_onesweep_iterationIS3_Lb0EN6thrust23THRUST_200600_302600_NS6detail15normal_iteratorINS9_10device_ptrIiEEEESE_PS5_SF_jNS0_19identity_decomposerENS1_16block_id_wrapperIjLb1EEEEE10hipError_tT1_PNSt15iterator_traitsISK_E10value_typeET2_T3_PNSL_ISQ_E10value_typeET4_T5_PSV_SW_PNS1_23onesweep_lookback_stateEbbT6_jjT7_P12ihipStream_tbENKUlT_T0_SK_SP_E_clISE_PiSF_SF_EEDaS13_S14_SK_SP_EUlS13_E_NS1_11comp_targetILNS1_3genE4ELNS1_11target_archE910ELNS1_3gpuE8ELNS1_3repE0EEENS1_47radix_sort_onesweep_sort_config_static_selectorELNS0_4arch9wavefront6targetE0EEEvSK_.has_dyn_sized_stack, 0
	.set _ZN7rocprim17ROCPRIM_400000_NS6detail17trampoline_kernelINS0_14default_configENS1_35radix_sort_onesweep_config_selectorIiNS0_10empty_typeEEEZZNS1_29radix_sort_onesweep_iterationIS3_Lb0EN6thrust23THRUST_200600_302600_NS6detail15normal_iteratorINS9_10device_ptrIiEEEESE_PS5_SF_jNS0_19identity_decomposerENS1_16block_id_wrapperIjLb1EEEEE10hipError_tT1_PNSt15iterator_traitsISK_E10value_typeET2_T3_PNSL_ISQ_E10value_typeET4_T5_PSV_SW_PNS1_23onesweep_lookback_stateEbbT6_jjT7_P12ihipStream_tbENKUlT_T0_SK_SP_E_clISE_PiSF_SF_EEDaS13_S14_SK_SP_EUlS13_E_NS1_11comp_targetILNS1_3genE4ELNS1_11target_archE910ELNS1_3gpuE8ELNS1_3repE0EEENS1_47radix_sort_onesweep_sort_config_static_selectorELNS0_4arch9wavefront6targetE0EEEvSK_.has_recursion, 0
	.set _ZN7rocprim17ROCPRIM_400000_NS6detail17trampoline_kernelINS0_14default_configENS1_35radix_sort_onesweep_config_selectorIiNS0_10empty_typeEEEZZNS1_29radix_sort_onesweep_iterationIS3_Lb0EN6thrust23THRUST_200600_302600_NS6detail15normal_iteratorINS9_10device_ptrIiEEEESE_PS5_SF_jNS0_19identity_decomposerENS1_16block_id_wrapperIjLb1EEEEE10hipError_tT1_PNSt15iterator_traitsISK_E10value_typeET2_T3_PNSL_ISQ_E10value_typeET4_T5_PSV_SW_PNS1_23onesweep_lookback_stateEbbT6_jjT7_P12ihipStream_tbENKUlT_T0_SK_SP_E_clISE_PiSF_SF_EEDaS13_S14_SK_SP_EUlS13_E_NS1_11comp_targetILNS1_3genE4ELNS1_11target_archE910ELNS1_3gpuE8ELNS1_3repE0EEENS1_47radix_sort_onesweep_sort_config_static_selectorELNS0_4arch9wavefront6targetE0EEEvSK_.has_indirect_call, 0
	.section	.AMDGPU.csdata,"",@progbits
; Kernel info:
; codeLenInByte = 0
; TotalNumSgprs: 0
; NumVgprs: 0
; ScratchSize: 0
; MemoryBound: 0
; FloatMode: 240
; IeeeMode: 1
; LDSByteSize: 0 bytes/workgroup (compile time only)
; SGPRBlocks: 0
; VGPRBlocks: 0
; NumSGPRsForWavesPerEU: 1
; NumVGPRsForWavesPerEU: 1
; Occupancy: 16
; WaveLimiterHint : 0
; COMPUTE_PGM_RSRC2:SCRATCH_EN: 0
; COMPUTE_PGM_RSRC2:USER_SGPR: 6
; COMPUTE_PGM_RSRC2:TRAP_HANDLER: 0
; COMPUTE_PGM_RSRC2:TGID_X_EN: 1
; COMPUTE_PGM_RSRC2:TGID_Y_EN: 0
; COMPUTE_PGM_RSRC2:TGID_Z_EN: 0
; COMPUTE_PGM_RSRC2:TIDIG_COMP_CNT: 0
	.section	.text._ZN7rocprim17ROCPRIM_400000_NS6detail17trampoline_kernelINS0_14default_configENS1_35radix_sort_onesweep_config_selectorIiNS0_10empty_typeEEEZZNS1_29radix_sort_onesweep_iterationIS3_Lb0EN6thrust23THRUST_200600_302600_NS6detail15normal_iteratorINS9_10device_ptrIiEEEESE_PS5_SF_jNS0_19identity_decomposerENS1_16block_id_wrapperIjLb1EEEEE10hipError_tT1_PNSt15iterator_traitsISK_E10value_typeET2_T3_PNSL_ISQ_E10value_typeET4_T5_PSV_SW_PNS1_23onesweep_lookback_stateEbbT6_jjT7_P12ihipStream_tbENKUlT_T0_SK_SP_E_clISE_PiSF_SF_EEDaS13_S14_SK_SP_EUlS13_E_NS1_11comp_targetILNS1_3genE3ELNS1_11target_archE908ELNS1_3gpuE7ELNS1_3repE0EEENS1_47radix_sort_onesweep_sort_config_static_selectorELNS0_4arch9wavefront6targetE0EEEvSK_,"axG",@progbits,_ZN7rocprim17ROCPRIM_400000_NS6detail17trampoline_kernelINS0_14default_configENS1_35radix_sort_onesweep_config_selectorIiNS0_10empty_typeEEEZZNS1_29radix_sort_onesweep_iterationIS3_Lb0EN6thrust23THRUST_200600_302600_NS6detail15normal_iteratorINS9_10device_ptrIiEEEESE_PS5_SF_jNS0_19identity_decomposerENS1_16block_id_wrapperIjLb1EEEEE10hipError_tT1_PNSt15iterator_traitsISK_E10value_typeET2_T3_PNSL_ISQ_E10value_typeET4_T5_PSV_SW_PNS1_23onesweep_lookback_stateEbbT6_jjT7_P12ihipStream_tbENKUlT_T0_SK_SP_E_clISE_PiSF_SF_EEDaS13_S14_SK_SP_EUlS13_E_NS1_11comp_targetILNS1_3genE3ELNS1_11target_archE908ELNS1_3gpuE7ELNS1_3repE0EEENS1_47radix_sort_onesweep_sort_config_static_selectorELNS0_4arch9wavefront6targetE0EEEvSK_,comdat
	.protected	_ZN7rocprim17ROCPRIM_400000_NS6detail17trampoline_kernelINS0_14default_configENS1_35radix_sort_onesweep_config_selectorIiNS0_10empty_typeEEEZZNS1_29radix_sort_onesweep_iterationIS3_Lb0EN6thrust23THRUST_200600_302600_NS6detail15normal_iteratorINS9_10device_ptrIiEEEESE_PS5_SF_jNS0_19identity_decomposerENS1_16block_id_wrapperIjLb1EEEEE10hipError_tT1_PNSt15iterator_traitsISK_E10value_typeET2_T3_PNSL_ISQ_E10value_typeET4_T5_PSV_SW_PNS1_23onesweep_lookback_stateEbbT6_jjT7_P12ihipStream_tbENKUlT_T0_SK_SP_E_clISE_PiSF_SF_EEDaS13_S14_SK_SP_EUlS13_E_NS1_11comp_targetILNS1_3genE3ELNS1_11target_archE908ELNS1_3gpuE7ELNS1_3repE0EEENS1_47radix_sort_onesweep_sort_config_static_selectorELNS0_4arch9wavefront6targetE0EEEvSK_ ; -- Begin function _ZN7rocprim17ROCPRIM_400000_NS6detail17trampoline_kernelINS0_14default_configENS1_35radix_sort_onesweep_config_selectorIiNS0_10empty_typeEEEZZNS1_29radix_sort_onesweep_iterationIS3_Lb0EN6thrust23THRUST_200600_302600_NS6detail15normal_iteratorINS9_10device_ptrIiEEEESE_PS5_SF_jNS0_19identity_decomposerENS1_16block_id_wrapperIjLb1EEEEE10hipError_tT1_PNSt15iterator_traitsISK_E10value_typeET2_T3_PNSL_ISQ_E10value_typeET4_T5_PSV_SW_PNS1_23onesweep_lookback_stateEbbT6_jjT7_P12ihipStream_tbENKUlT_T0_SK_SP_E_clISE_PiSF_SF_EEDaS13_S14_SK_SP_EUlS13_E_NS1_11comp_targetILNS1_3genE3ELNS1_11target_archE908ELNS1_3gpuE7ELNS1_3repE0EEENS1_47radix_sort_onesweep_sort_config_static_selectorELNS0_4arch9wavefront6targetE0EEEvSK_
	.globl	_ZN7rocprim17ROCPRIM_400000_NS6detail17trampoline_kernelINS0_14default_configENS1_35radix_sort_onesweep_config_selectorIiNS0_10empty_typeEEEZZNS1_29radix_sort_onesweep_iterationIS3_Lb0EN6thrust23THRUST_200600_302600_NS6detail15normal_iteratorINS9_10device_ptrIiEEEESE_PS5_SF_jNS0_19identity_decomposerENS1_16block_id_wrapperIjLb1EEEEE10hipError_tT1_PNSt15iterator_traitsISK_E10value_typeET2_T3_PNSL_ISQ_E10value_typeET4_T5_PSV_SW_PNS1_23onesweep_lookback_stateEbbT6_jjT7_P12ihipStream_tbENKUlT_T0_SK_SP_E_clISE_PiSF_SF_EEDaS13_S14_SK_SP_EUlS13_E_NS1_11comp_targetILNS1_3genE3ELNS1_11target_archE908ELNS1_3gpuE7ELNS1_3repE0EEENS1_47radix_sort_onesweep_sort_config_static_selectorELNS0_4arch9wavefront6targetE0EEEvSK_
	.p2align	8
	.type	_ZN7rocprim17ROCPRIM_400000_NS6detail17trampoline_kernelINS0_14default_configENS1_35radix_sort_onesweep_config_selectorIiNS0_10empty_typeEEEZZNS1_29radix_sort_onesweep_iterationIS3_Lb0EN6thrust23THRUST_200600_302600_NS6detail15normal_iteratorINS9_10device_ptrIiEEEESE_PS5_SF_jNS0_19identity_decomposerENS1_16block_id_wrapperIjLb1EEEEE10hipError_tT1_PNSt15iterator_traitsISK_E10value_typeET2_T3_PNSL_ISQ_E10value_typeET4_T5_PSV_SW_PNS1_23onesweep_lookback_stateEbbT6_jjT7_P12ihipStream_tbENKUlT_T0_SK_SP_E_clISE_PiSF_SF_EEDaS13_S14_SK_SP_EUlS13_E_NS1_11comp_targetILNS1_3genE3ELNS1_11target_archE908ELNS1_3gpuE7ELNS1_3repE0EEENS1_47radix_sort_onesweep_sort_config_static_selectorELNS0_4arch9wavefront6targetE0EEEvSK_,@function
_ZN7rocprim17ROCPRIM_400000_NS6detail17trampoline_kernelINS0_14default_configENS1_35radix_sort_onesweep_config_selectorIiNS0_10empty_typeEEEZZNS1_29radix_sort_onesweep_iterationIS3_Lb0EN6thrust23THRUST_200600_302600_NS6detail15normal_iteratorINS9_10device_ptrIiEEEESE_PS5_SF_jNS0_19identity_decomposerENS1_16block_id_wrapperIjLb1EEEEE10hipError_tT1_PNSt15iterator_traitsISK_E10value_typeET2_T3_PNSL_ISQ_E10value_typeET4_T5_PSV_SW_PNS1_23onesweep_lookback_stateEbbT6_jjT7_P12ihipStream_tbENKUlT_T0_SK_SP_E_clISE_PiSF_SF_EEDaS13_S14_SK_SP_EUlS13_E_NS1_11comp_targetILNS1_3genE3ELNS1_11target_archE908ELNS1_3gpuE7ELNS1_3repE0EEENS1_47radix_sort_onesweep_sort_config_static_selectorELNS0_4arch9wavefront6targetE0EEEvSK_: ; @_ZN7rocprim17ROCPRIM_400000_NS6detail17trampoline_kernelINS0_14default_configENS1_35radix_sort_onesweep_config_selectorIiNS0_10empty_typeEEEZZNS1_29radix_sort_onesweep_iterationIS3_Lb0EN6thrust23THRUST_200600_302600_NS6detail15normal_iteratorINS9_10device_ptrIiEEEESE_PS5_SF_jNS0_19identity_decomposerENS1_16block_id_wrapperIjLb1EEEEE10hipError_tT1_PNSt15iterator_traitsISK_E10value_typeET2_T3_PNSL_ISQ_E10value_typeET4_T5_PSV_SW_PNS1_23onesweep_lookback_stateEbbT6_jjT7_P12ihipStream_tbENKUlT_T0_SK_SP_E_clISE_PiSF_SF_EEDaS13_S14_SK_SP_EUlS13_E_NS1_11comp_targetILNS1_3genE3ELNS1_11target_archE908ELNS1_3gpuE7ELNS1_3repE0EEENS1_47radix_sort_onesweep_sort_config_static_selectorELNS0_4arch9wavefront6targetE0EEEvSK_
; %bb.0:
	.section	.rodata,"a",@progbits
	.p2align	6, 0x0
	.amdhsa_kernel _ZN7rocprim17ROCPRIM_400000_NS6detail17trampoline_kernelINS0_14default_configENS1_35radix_sort_onesweep_config_selectorIiNS0_10empty_typeEEEZZNS1_29radix_sort_onesweep_iterationIS3_Lb0EN6thrust23THRUST_200600_302600_NS6detail15normal_iteratorINS9_10device_ptrIiEEEESE_PS5_SF_jNS0_19identity_decomposerENS1_16block_id_wrapperIjLb1EEEEE10hipError_tT1_PNSt15iterator_traitsISK_E10value_typeET2_T3_PNSL_ISQ_E10value_typeET4_T5_PSV_SW_PNS1_23onesweep_lookback_stateEbbT6_jjT7_P12ihipStream_tbENKUlT_T0_SK_SP_E_clISE_PiSF_SF_EEDaS13_S14_SK_SP_EUlS13_E_NS1_11comp_targetILNS1_3genE3ELNS1_11target_archE908ELNS1_3gpuE7ELNS1_3repE0EEENS1_47radix_sort_onesweep_sort_config_static_selectorELNS0_4arch9wavefront6targetE0EEEvSK_
		.amdhsa_group_segment_fixed_size 0
		.amdhsa_private_segment_fixed_size 0
		.amdhsa_kernarg_size 88
		.amdhsa_user_sgpr_count 6
		.amdhsa_user_sgpr_private_segment_buffer 1
		.amdhsa_user_sgpr_dispatch_ptr 0
		.amdhsa_user_sgpr_queue_ptr 0
		.amdhsa_user_sgpr_kernarg_segment_ptr 1
		.amdhsa_user_sgpr_dispatch_id 0
		.amdhsa_user_sgpr_flat_scratch_init 0
		.amdhsa_user_sgpr_private_segment_size 0
		.amdhsa_wavefront_size32 1
		.amdhsa_uses_dynamic_stack 0
		.amdhsa_system_sgpr_private_segment_wavefront_offset 0
		.amdhsa_system_sgpr_workgroup_id_x 1
		.amdhsa_system_sgpr_workgroup_id_y 0
		.amdhsa_system_sgpr_workgroup_id_z 0
		.amdhsa_system_sgpr_workgroup_info 0
		.amdhsa_system_vgpr_workitem_id 0
		.amdhsa_next_free_vgpr 1
		.amdhsa_next_free_sgpr 1
		.amdhsa_reserve_vcc 0
		.amdhsa_reserve_flat_scratch 0
		.amdhsa_float_round_mode_32 0
		.amdhsa_float_round_mode_16_64 0
		.amdhsa_float_denorm_mode_32 3
		.amdhsa_float_denorm_mode_16_64 3
		.amdhsa_dx10_clamp 1
		.amdhsa_ieee_mode 1
		.amdhsa_fp16_overflow 0
		.amdhsa_workgroup_processor_mode 1
		.amdhsa_memory_ordered 1
		.amdhsa_forward_progress 1
		.amdhsa_shared_vgpr_count 0
		.amdhsa_exception_fp_ieee_invalid_op 0
		.amdhsa_exception_fp_denorm_src 0
		.amdhsa_exception_fp_ieee_div_zero 0
		.amdhsa_exception_fp_ieee_overflow 0
		.amdhsa_exception_fp_ieee_underflow 0
		.amdhsa_exception_fp_ieee_inexact 0
		.amdhsa_exception_int_div_zero 0
	.end_amdhsa_kernel
	.section	.text._ZN7rocprim17ROCPRIM_400000_NS6detail17trampoline_kernelINS0_14default_configENS1_35radix_sort_onesweep_config_selectorIiNS0_10empty_typeEEEZZNS1_29radix_sort_onesweep_iterationIS3_Lb0EN6thrust23THRUST_200600_302600_NS6detail15normal_iteratorINS9_10device_ptrIiEEEESE_PS5_SF_jNS0_19identity_decomposerENS1_16block_id_wrapperIjLb1EEEEE10hipError_tT1_PNSt15iterator_traitsISK_E10value_typeET2_T3_PNSL_ISQ_E10value_typeET4_T5_PSV_SW_PNS1_23onesweep_lookback_stateEbbT6_jjT7_P12ihipStream_tbENKUlT_T0_SK_SP_E_clISE_PiSF_SF_EEDaS13_S14_SK_SP_EUlS13_E_NS1_11comp_targetILNS1_3genE3ELNS1_11target_archE908ELNS1_3gpuE7ELNS1_3repE0EEENS1_47radix_sort_onesweep_sort_config_static_selectorELNS0_4arch9wavefront6targetE0EEEvSK_,"axG",@progbits,_ZN7rocprim17ROCPRIM_400000_NS6detail17trampoline_kernelINS0_14default_configENS1_35radix_sort_onesweep_config_selectorIiNS0_10empty_typeEEEZZNS1_29radix_sort_onesweep_iterationIS3_Lb0EN6thrust23THRUST_200600_302600_NS6detail15normal_iteratorINS9_10device_ptrIiEEEESE_PS5_SF_jNS0_19identity_decomposerENS1_16block_id_wrapperIjLb1EEEEE10hipError_tT1_PNSt15iterator_traitsISK_E10value_typeET2_T3_PNSL_ISQ_E10value_typeET4_T5_PSV_SW_PNS1_23onesweep_lookback_stateEbbT6_jjT7_P12ihipStream_tbENKUlT_T0_SK_SP_E_clISE_PiSF_SF_EEDaS13_S14_SK_SP_EUlS13_E_NS1_11comp_targetILNS1_3genE3ELNS1_11target_archE908ELNS1_3gpuE7ELNS1_3repE0EEENS1_47radix_sort_onesweep_sort_config_static_selectorELNS0_4arch9wavefront6targetE0EEEvSK_,comdat
.Lfunc_end173:
	.size	_ZN7rocprim17ROCPRIM_400000_NS6detail17trampoline_kernelINS0_14default_configENS1_35radix_sort_onesweep_config_selectorIiNS0_10empty_typeEEEZZNS1_29radix_sort_onesweep_iterationIS3_Lb0EN6thrust23THRUST_200600_302600_NS6detail15normal_iteratorINS9_10device_ptrIiEEEESE_PS5_SF_jNS0_19identity_decomposerENS1_16block_id_wrapperIjLb1EEEEE10hipError_tT1_PNSt15iterator_traitsISK_E10value_typeET2_T3_PNSL_ISQ_E10value_typeET4_T5_PSV_SW_PNS1_23onesweep_lookback_stateEbbT6_jjT7_P12ihipStream_tbENKUlT_T0_SK_SP_E_clISE_PiSF_SF_EEDaS13_S14_SK_SP_EUlS13_E_NS1_11comp_targetILNS1_3genE3ELNS1_11target_archE908ELNS1_3gpuE7ELNS1_3repE0EEENS1_47radix_sort_onesweep_sort_config_static_selectorELNS0_4arch9wavefront6targetE0EEEvSK_, .Lfunc_end173-_ZN7rocprim17ROCPRIM_400000_NS6detail17trampoline_kernelINS0_14default_configENS1_35radix_sort_onesweep_config_selectorIiNS0_10empty_typeEEEZZNS1_29radix_sort_onesweep_iterationIS3_Lb0EN6thrust23THRUST_200600_302600_NS6detail15normal_iteratorINS9_10device_ptrIiEEEESE_PS5_SF_jNS0_19identity_decomposerENS1_16block_id_wrapperIjLb1EEEEE10hipError_tT1_PNSt15iterator_traitsISK_E10value_typeET2_T3_PNSL_ISQ_E10value_typeET4_T5_PSV_SW_PNS1_23onesweep_lookback_stateEbbT6_jjT7_P12ihipStream_tbENKUlT_T0_SK_SP_E_clISE_PiSF_SF_EEDaS13_S14_SK_SP_EUlS13_E_NS1_11comp_targetILNS1_3genE3ELNS1_11target_archE908ELNS1_3gpuE7ELNS1_3repE0EEENS1_47radix_sort_onesweep_sort_config_static_selectorELNS0_4arch9wavefront6targetE0EEEvSK_
                                        ; -- End function
	.set _ZN7rocprim17ROCPRIM_400000_NS6detail17trampoline_kernelINS0_14default_configENS1_35radix_sort_onesweep_config_selectorIiNS0_10empty_typeEEEZZNS1_29radix_sort_onesweep_iterationIS3_Lb0EN6thrust23THRUST_200600_302600_NS6detail15normal_iteratorINS9_10device_ptrIiEEEESE_PS5_SF_jNS0_19identity_decomposerENS1_16block_id_wrapperIjLb1EEEEE10hipError_tT1_PNSt15iterator_traitsISK_E10value_typeET2_T3_PNSL_ISQ_E10value_typeET4_T5_PSV_SW_PNS1_23onesweep_lookback_stateEbbT6_jjT7_P12ihipStream_tbENKUlT_T0_SK_SP_E_clISE_PiSF_SF_EEDaS13_S14_SK_SP_EUlS13_E_NS1_11comp_targetILNS1_3genE3ELNS1_11target_archE908ELNS1_3gpuE7ELNS1_3repE0EEENS1_47radix_sort_onesweep_sort_config_static_selectorELNS0_4arch9wavefront6targetE0EEEvSK_.num_vgpr, 0
	.set _ZN7rocprim17ROCPRIM_400000_NS6detail17trampoline_kernelINS0_14default_configENS1_35radix_sort_onesweep_config_selectorIiNS0_10empty_typeEEEZZNS1_29radix_sort_onesweep_iterationIS3_Lb0EN6thrust23THRUST_200600_302600_NS6detail15normal_iteratorINS9_10device_ptrIiEEEESE_PS5_SF_jNS0_19identity_decomposerENS1_16block_id_wrapperIjLb1EEEEE10hipError_tT1_PNSt15iterator_traitsISK_E10value_typeET2_T3_PNSL_ISQ_E10value_typeET4_T5_PSV_SW_PNS1_23onesweep_lookback_stateEbbT6_jjT7_P12ihipStream_tbENKUlT_T0_SK_SP_E_clISE_PiSF_SF_EEDaS13_S14_SK_SP_EUlS13_E_NS1_11comp_targetILNS1_3genE3ELNS1_11target_archE908ELNS1_3gpuE7ELNS1_3repE0EEENS1_47radix_sort_onesweep_sort_config_static_selectorELNS0_4arch9wavefront6targetE0EEEvSK_.num_agpr, 0
	.set _ZN7rocprim17ROCPRIM_400000_NS6detail17trampoline_kernelINS0_14default_configENS1_35radix_sort_onesweep_config_selectorIiNS0_10empty_typeEEEZZNS1_29radix_sort_onesweep_iterationIS3_Lb0EN6thrust23THRUST_200600_302600_NS6detail15normal_iteratorINS9_10device_ptrIiEEEESE_PS5_SF_jNS0_19identity_decomposerENS1_16block_id_wrapperIjLb1EEEEE10hipError_tT1_PNSt15iterator_traitsISK_E10value_typeET2_T3_PNSL_ISQ_E10value_typeET4_T5_PSV_SW_PNS1_23onesweep_lookback_stateEbbT6_jjT7_P12ihipStream_tbENKUlT_T0_SK_SP_E_clISE_PiSF_SF_EEDaS13_S14_SK_SP_EUlS13_E_NS1_11comp_targetILNS1_3genE3ELNS1_11target_archE908ELNS1_3gpuE7ELNS1_3repE0EEENS1_47radix_sort_onesweep_sort_config_static_selectorELNS0_4arch9wavefront6targetE0EEEvSK_.numbered_sgpr, 0
	.set _ZN7rocprim17ROCPRIM_400000_NS6detail17trampoline_kernelINS0_14default_configENS1_35radix_sort_onesweep_config_selectorIiNS0_10empty_typeEEEZZNS1_29radix_sort_onesweep_iterationIS3_Lb0EN6thrust23THRUST_200600_302600_NS6detail15normal_iteratorINS9_10device_ptrIiEEEESE_PS5_SF_jNS0_19identity_decomposerENS1_16block_id_wrapperIjLb1EEEEE10hipError_tT1_PNSt15iterator_traitsISK_E10value_typeET2_T3_PNSL_ISQ_E10value_typeET4_T5_PSV_SW_PNS1_23onesweep_lookback_stateEbbT6_jjT7_P12ihipStream_tbENKUlT_T0_SK_SP_E_clISE_PiSF_SF_EEDaS13_S14_SK_SP_EUlS13_E_NS1_11comp_targetILNS1_3genE3ELNS1_11target_archE908ELNS1_3gpuE7ELNS1_3repE0EEENS1_47radix_sort_onesweep_sort_config_static_selectorELNS0_4arch9wavefront6targetE0EEEvSK_.num_named_barrier, 0
	.set _ZN7rocprim17ROCPRIM_400000_NS6detail17trampoline_kernelINS0_14default_configENS1_35radix_sort_onesweep_config_selectorIiNS0_10empty_typeEEEZZNS1_29radix_sort_onesweep_iterationIS3_Lb0EN6thrust23THRUST_200600_302600_NS6detail15normal_iteratorINS9_10device_ptrIiEEEESE_PS5_SF_jNS0_19identity_decomposerENS1_16block_id_wrapperIjLb1EEEEE10hipError_tT1_PNSt15iterator_traitsISK_E10value_typeET2_T3_PNSL_ISQ_E10value_typeET4_T5_PSV_SW_PNS1_23onesweep_lookback_stateEbbT6_jjT7_P12ihipStream_tbENKUlT_T0_SK_SP_E_clISE_PiSF_SF_EEDaS13_S14_SK_SP_EUlS13_E_NS1_11comp_targetILNS1_3genE3ELNS1_11target_archE908ELNS1_3gpuE7ELNS1_3repE0EEENS1_47radix_sort_onesweep_sort_config_static_selectorELNS0_4arch9wavefront6targetE0EEEvSK_.private_seg_size, 0
	.set _ZN7rocprim17ROCPRIM_400000_NS6detail17trampoline_kernelINS0_14default_configENS1_35radix_sort_onesweep_config_selectorIiNS0_10empty_typeEEEZZNS1_29radix_sort_onesweep_iterationIS3_Lb0EN6thrust23THRUST_200600_302600_NS6detail15normal_iteratorINS9_10device_ptrIiEEEESE_PS5_SF_jNS0_19identity_decomposerENS1_16block_id_wrapperIjLb1EEEEE10hipError_tT1_PNSt15iterator_traitsISK_E10value_typeET2_T3_PNSL_ISQ_E10value_typeET4_T5_PSV_SW_PNS1_23onesweep_lookback_stateEbbT6_jjT7_P12ihipStream_tbENKUlT_T0_SK_SP_E_clISE_PiSF_SF_EEDaS13_S14_SK_SP_EUlS13_E_NS1_11comp_targetILNS1_3genE3ELNS1_11target_archE908ELNS1_3gpuE7ELNS1_3repE0EEENS1_47radix_sort_onesweep_sort_config_static_selectorELNS0_4arch9wavefront6targetE0EEEvSK_.uses_vcc, 0
	.set _ZN7rocprim17ROCPRIM_400000_NS6detail17trampoline_kernelINS0_14default_configENS1_35radix_sort_onesweep_config_selectorIiNS0_10empty_typeEEEZZNS1_29radix_sort_onesweep_iterationIS3_Lb0EN6thrust23THRUST_200600_302600_NS6detail15normal_iteratorINS9_10device_ptrIiEEEESE_PS5_SF_jNS0_19identity_decomposerENS1_16block_id_wrapperIjLb1EEEEE10hipError_tT1_PNSt15iterator_traitsISK_E10value_typeET2_T3_PNSL_ISQ_E10value_typeET4_T5_PSV_SW_PNS1_23onesweep_lookback_stateEbbT6_jjT7_P12ihipStream_tbENKUlT_T0_SK_SP_E_clISE_PiSF_SF_EEDaS13_S14_SK_SP_EUlS13_E_NS1_11comp_targetILNS1_3genE3ELNS1_11target_archE908ELNS1_3gpuE7ELNS1_3repE0EEENS1_47radix_sort_onesweep_sort_config_static_selectorELNS0_4arch9wavefront6targetE0EEEvSK_.uses_flat_scratch, 0
	.set _ZN7rocprim17ROCPRIM_400000_NS6detail17trampoline_kernelINS0_14default_configENS1_35radix_sort_onesweep_config_selectorIiNS0_10empty_typeEEEZZNS1_29radix_sort_onesweep_iterationIS3_Lb0EN6thrust23THRUST_200600_302600_NS6detail15normal_iteratorINS9_10device_ptrIiEEEESE_PS5_SF_jNS0_19identity_decomposerENS1_16block_id_wrapperIjLb1EEEEE10hipError_tT1_PNSt15iterator_traitsISK_E10value_typeET2_T3_PNSL_ISQ_E10value_typeET4_T5_PSV_SW_PNS1_23onesweep_lookback_stateEbbT6_jjT7_P12ihipStream_tbENKUlT_T0_SK_SP_E_clISE_PiSF_SF_EEDaS13_S14_SK_SP_EUlS13_E_NS1_11comp_targetILNS1_3genE3ELNS1_11target_archE908ELNS1_3gpuE7ELNS1_3repE0EEENS1_47radix_sort_onesweep_sort_config_static_selectorELNS0_4arch9wavefront6targetE0EEEvSK_.has_dyn_sized_stack, 0
	.set _ZN7rocprim17ROCPRIM_400000_NS6detail17trampoline_kernelINS0_14default_configENS1_35radix_sort_onesweep_config_selectorIiNS0_10empty_typeEEEZZNS1_29radix_sort_onesweep_iterationIS3_Lb0EN6thrust23THRUST_200600_302600_NS6detail15normal_iteratorINS9_10device_ptrIiEEEESE_PS5_SF_jNS0_19identity_decomposerENS1_16block_id_wrapperIjLb1EEEEE10hipError_tT1_PNSt15iterator_traitsISK_E10value_typeET2_T3_PNSL_ISQ_E10value_typeET4_T5_PSV_SW_PNS1_23onesweep_lookback_stateEbbT6_jjT7_P12ihipStream_tbENKUlT_T0_SK_SP_E_clISE_PiSF_SF_EEDaS13_S14_SK_SP_EUlS13_E_NS1_11comp_targetILNS1_3genE3ELNS1_11target_archE908ELNS1_3gpuE7ELNS1_3repE0EEENS1_47radix_sort_onesweep_sort_config_static_selectorELNS0_4arch9wavefront6targetE0EEEvSK_.has_recursion, 0
	.set _ZN7rocprim17ROCPRIM_400000_NS6detail17trampoline_kernelINS0_14default_configENS1_35radix_sort_onesweep_config_selectorIiNS0_10empty_typeEEEZZNS1_29radix_sort_onesweep_iterationIS3_Lb0EN6thrust23THRUST_200600_302600_NS6detail15normal_iteratorINS9_10device_ptrIiEEEESE_PS5_SF_jNS0_19identity_decomposerENS1_16block_id_wrapperIjLb1EEEEE10hipError_tT1_PNSt15iterator_traitsISK_E10value_typeET2_T3_PNSL_ISQ_E10value_typeET4_T5_PSV_SW_PNS1_23onesweep_lookback_stateEbbT6_jjT7_P12ihipStream_tbENKUlT_T0_SK_SP_E_clISE_PiSF_SF_EEDaS13_S14_SK_SP_EUlS13_E_NS1_11comp_targetILNS1_3genE3ELNS1_11target_archE908ELNS1_3gpuE7ELNS1_3repE0EEENS1_47radix_sort_onesweep_sort_config_static_selectorELNS0_4arch9wavefront6targetE0EEEvSK_.has_indirect_call, 0
	.section	.AMDGPU.csdata,"",@progbits
; Kernel info:
; codeLenInByte = 0
; TotalNumSgprs: 0
; NumVgprs: 0
; ScratchSize: 0
; MemoryBound: 0
; FloatMode: 240
; IeeeMode: 1
; LDSByteSize: 0 bytes/workgroup (compile time only)
; SGPRBlocks: 0
; VGPRBlocks: 0
; NumSGPRsForWavesPerEU: 1
; NumVGPRsForWavesPerEU: 1
; Occupancy: 16
; WaveLimiterHint : 0
; COMPUTE_PGM_RSRC2:SCRATCH_EN: 0
; COMPUTE_PGM_RSRC2:USER_SGPR: 6
; COMPUTE_PGM_RSRC2:TRAP_HANDLER: 0
; COMPUTE_PGM_RSRC2:TGID_X_EN: 1
; COMPUTE_PGM_RSRC2:TGID_Y_EN: 0
; COMPUTE_PGM_RSRC2:TGID_Z_EN: 0
; COMPUTE_PGM_RSRC2:TIDIG_COMP_CNT: 0
	.section	.text._ZN7rocprim17ROCPRIM_400000_NS6detail17trampoline_kernelINS0_14default_configENS1_35radix_sort_onesweep_config_selectorIiNS0_10empty_typeEEEZZNS1_29radix_sort_onesweep_iterationIS3_Lb0EN6thrust23THRUST_200600_302600_NS6detail15normal_iteratorINS9_10device_ptrIiEEEESE_PS5_SF_jNS0_19identity_decomposerENS1_16block_id_wrapperIjLb1EEEEE10hipError_tT1_PNSt15iterator_traitsISK_E10value_typeET2_T3_PNSL_ISQ_E10value_typeET4_T5_PSV_SW_PNS1_23onesweep_lookback_stateEbbT6_jjT7_P12ihipStream_tbENKUlT_T0_SK_SP_E_clISE_PiSF_SF_EEDaS13_S14_SK_SP_EUlS13_E_NS1_11comp_targetILNS1_3genE10ELNS1_11target_archE1201ELNS1_3gpuE5ELNS1_3repE0EEENS1_47radix_sort_onesweep_sort_config_static_selectorELNS0_4arch9wavefront6targetE0EEEvSK_,"axG",@progbits,_ZN7rocprim17ROCPRIM_400000_NS6detail17trampoline_kernelINS0_14default_configENS1_35radix_sort_onesweep_config_selectorIiNS0_10empty_typeEEEZZNS1_29radix_sort_onesweep_iterationIS3_Lb0EN6thrust23THRUST_200600_302600_NS6detail15normal_iteratorINS9_10device_ptrIiEEEESE_PS5_SF_jNS0_19identity_decomposerENS1_16block_id_wrapperIjLb1EEEEE10hipError_tT1_PNSt15iterator_traitsISK_E10value_typeET2_T3_PNSL_ISQ_E10value_typeET4_T5_PSV_SW_PNS1_23onesweep_lookback_stateEbbT6_jjT7_P12ihipStream_tbENKUlT_T0_SK_SP_E_clISE_PiSF_SF_EEDaS13_S14_SK_SP_EUlS13_E_NS1_11comp_targetILNS1_3genE10ELNS1_11target_archE1201ELNS1_3gpuE5ELNS1_3repE0EEENS1_47radix_sort_onesweep_sort_config_static_selectorELNS0_4arch9wavefront6targetE0EEEvSK_,comdat
	.protected	_ZN7rocprim17ROCPRIM_400000_NS6detail17trampoline_kernelINS0_14default_configENS1_35radix_sort_onesweep_config_selectorIiNS0_10empty_typeEEEZZNS1_29radix_sort_onesweep_iterationIS3_Lb0EN6thrust23THRUST_200600_302600_NS6detail15normal_iteratorINS9_10device_ptrIiEEEESE_PS5_SF_jNS0_19identity_decomposerENS1_16block_id_wrapperIjLb1EEEEE10hipError_tT1_PNSt15iterator_traitsISK_E10value_typeET2_T3_PNSL_ISQ_E10value_typeET4_T5_PSV_SW_PNS1_23onesweep_lookback_stateEbbT6_jjT7_P12ihipStream_tbENKUlT_T0_SK_SP_E_clISE_PiSF_SF_EEDaS13_S14_SK_SP_EUlS13_E_NS1_11comp_targetILNS1_3genE10ELNS1_11target_archE1201ELNS1_3gpuE5ELNS1_3repE0EEENS1_47radix_sort_onesweep_sort_config_static_selectorELNS0_4arch9wavefront6targetE0EEEvSK_ ; -- Begin function _ZN7rocprim17ROCPRIM_400000_NS6detail17trampoline_kernelINS0_14default_configENS1_35radix_sort_onesweep_config_selectorIiNS0_10empty_typeEEEZZNS1_29radix_sort_onesweep_iterationIS3_Lb0EN6thrust23THRUST_200600_302600_NS6detail15normal_iteratorINS9_10device_ptrIiEEEESE_PS5_SF_jNS0_19identity_decomposerENS1_16block_id_wrapperIjLb1EEEEE10hipError_tT1_PNSt15iterator_traitsISK_E10value_typeET2_T3_PNSL_ISQ_E10value_typeET4_T5_PSV_SW_PNS1_23onesweep_lookback_stateEbbT6_jjT7_P12ihipStream_tbENKUlT_T0_SK_SP_E_clISE_PiSF_SF_EEDaS13_S14_SK_SP_EUlS13_E_NS1_11comp_targetILNS1_3genE10ELNS1_11target_archE1201ELNS1_3gpuE5ELNS1_3repE0EEENS1_47radix_sort_onesweep_sort_config_static_selectorELNS0_4arch9wavefront6targetE0EEEvSK_
	.globl	_ZN7rocprim17ROCPRIM_400000_NS6detail17trampoline_kernelINS0_14default_configENS1_35radix_sort_onesweep_config_selectorIiNS0_10empty_typeEEEZZNS1_29radix_sort_onesweep_iterationIS3_Lb0EN6thrust23THRUST_200600_302600_NS6detail15normal_iteratorINS9_10device_ptrIiEEEESE_PS5_SF_jNS0_19identity_decomposerENS1_16block_id_wrapperIjLb1EEEEE10hipError_tT1_PNSt15iterator_traitsISK_E10value_typeET2_T3_PNSL_ISQ_E10value_typeET4_T5_PSV_SW_PNS1_23onesweep_lookback_stateEbbT6_jjT7_P12ihipStream_tbENKUlT_T0_SK_SP_E_clISE_PiSF_SF_EEDaS13_S14_SK_SP_EUlS13_E_NS1_11comp_targetILNS1_3genE10ELNS1_11target_archE1201ELNS1_3gpuE5ELNS1_3repE0EEENS1_47radix_sort_onesweep_sort_config_static_selectorELNS0_4arch9wavefront6targetE0EEEvSK_
	.p2align	8
	.type	_ZN7rocprim17ROCPRIM_400000_NS6detail17trampoline_kernelINS0_14default_configENS1_35radix_sort_onesweep_config_selectorIiNS0_10empty_typeEEEZZNS1_29radix_sort_onesweep_iterationIS3_Lb0EN6thrust23THRUST_200600_302600_NS6detail15normal_iteratorINS9_10device_ptrIiEEEESE_PS5_SF_jNS0_19identity_decomposerENS1_16block_id_wrapperIjLb1EEEEE10hipError_tT1_PNSt15iterator_traitsISK_E10value_typeET2_T3_PNSL_ISQ_E10value_typeET4_T5_PSV_SW_PNS1_23onesweep_lookback_stateEbbT6_jjT7_P12ihipStream_tbENKUlT_T0_SK_SP_E_clISE_PiSF_SF_EEDaS13_S14_SK_SP_EUlS13_E_NS1_11comp_targetILNS1_3genE10ELNS1_11target_archE1201ELNS1_3gpuE5ELNS1_3repE0EEENS1_47radix_sort_onesweep_sort_config_static_selectorELNS0_4arch9wavefront6targetE0EEEvSK_,@function
_ZN7rocprim17ROCPRIM_400000_NS6detail17trampoline_kernelINS0_14default_configENS1_35radix_sort_onesweep_config_selectorIiNS0_10empty_typeEEEZZNS1_29radix_sort_onesweep_iterationIS3_Lb0EN6thrust23THRUST_200600_302600_NS6detail15normal_iteratorINS9_10device_ptrIiEEEESE_PS5_SF_jNS0_19identity_decomposerENS1_16block_id_wrapperIjLb1EEEEE10hipError_tT1_PNSt15iterator_traitsISK_E10value_typeET2_T3_PNSL_ISQ_E10value_typeET4_T5_PSV_SW_PNS1_23onesweep_lookback_stateEbbT6_jjT7_P12ihipStream_tbENKUlT_T0_SK_SP_E_clISE_PiSF_SF_EEDaS13_S14_SK_SP_EUlS13_E_NS1_11comp_targetILNS1_3genE10ELNS1_11target_archE1201ELNS1_3gpuE5ELNS1_3repE0EEENS1_47radix_sort_onesweep_sort_config_static_selectorELNS0_4arch9wavefront6targetE0EEEvSK_: ; @_ZN7rocprim17ROCPRIM_400000_NS6detail17trampoline_kernelINS0_14default_configENS1_35radix_sort_onesweep_config_selectorIiNS0_10empty_typeEEEZZNS1_29radix_sort_onesweep_iterationIS3_Lb0EN6thrust23THRUST_200600_302600_NS6detail15normal_iteratorINS9_10device_ptrIiEEEESE_PS5_SF_jNS0_19identity_decomposerENS1_16block_id_wrapperIjLb1EEEEE10hipError_tT1_PNSt15iterator_traitsISK_E10value_typeET2_T3_PNSL_ISQ_E10value_typeET4_T5_PSV_SW_PNS1_23onesweep_lookback_stateEbbT6_jjT7_P12ihipStream_tbENKUlT_T0_SK_SP_E_clISE_PiSF_SF_EEDaS13_S14_SK_SP_EUlS13_E_NS1_11comp_targetILNS1_3genE10ELNS1_11target_archE1201ELNS1_3gpuE5ELNS1_3repE0EEENS1_47radix_sort_onesweep_sort_config_static_selectorELNS0_4arch9wavefront6targetE0EEEvSK_
; %bb.0:
	.section	.rodata,"a",@progbits
	.p2align	6, 0x0
	.amdhsa_kernel _ZN7rocprim17ROCPRIM_400000_NS6detail17trampoline_kernelINS0_14default_configENS1_35radix_sort_onesweep_config_selectorIiNS0_10empty_typeEEEZZNS1_29radix_sort_onesweep_iterationIS3_Lb0EN6thrust23THRUST_200600_302600_NS6detail15normal_iteratorINS9_10device_ptrIiEEEESE_PS5_SF_jNS0_19identity_decomposerENS1_16block_id_wrapperIjLb1EEEEE10hipError_tT1_PNSt15iterator_traitsISK_E10value_typeET2_T3_PNSL_ISQ_E10value_typeET4_T5_PSV_SW_PNS1_23onesweep_lookback_stateEbbT6_jjT7_P12ihipStream_tbENKUlT_T0_SK_SP_E_clISE_PiSF_SF_EEDaS13_S14_SK_SP_EUlS13_E_NS1_11comp_targetILNS1_3genE10ELNS1_11target_archE1201ELNS1_3gpuE5ELNS1_3repE0EEENS1_47radix_sort_onesweep_sort_config_static_selectorELNS0_4arch9wavefront6targetE0EEEvSK_
		.amdhsa_group_segment_fixed_size 0
		.amdhsa_private_segment_fixed_size 0
		.amdhsa_kernarg_size 88
		.amdhsa_user_sgpr_count 6
		.amdhsa_user_sgpr_private_segment_buffer 1
		.amdhsa_user_sgpr_dispatch_ptr 0
		.amdhsa_user_sgpr_queue_ptr 0
		.amdhsa_user_sgpr_kernarg_segment_ptr 1
		.amdhsa_user_sgpr_dispatch_id 0
		.amdhsa_user_sgpr_flat_scratch_init 0
		.amdhsa_user_sgpr_private_segment_size 0
		.amdhsa_wavefront_size32 1
		.amdhsa_uses_dynamic_stack 0
		.amdhsa_system_sgpr_private_segment_wavefront_offset 0
		.amdhsa_system_sgpr_workgroup_id_x 1
		.amdhsa_system_sgpr_workgroup_id_y 0
		.amdhsa_system_sgpr_workgroup_id_z 0
		.amdhsa_system_sgpr_workgroup_info 0
		.amdhsa_system_vgpr_workitem_id 0
		.amdhsa_next_free_vgpr 1
		.amdhsa_next_free_sgpr 1
		.amdhsa_reserve_vcc 0
		.amdhsa_reserve_flat_scratch 0
		.amdhsa_float_round_mode_32 0
		.amdhsa_float_round_mode_16_64 0
		.amdhsa_float_denorm_mode_32 3
		.amdhsa_float_denorm_mode_16_64 3
		.amdhsa_dx10_clamp 1
		.amdhsa_ieee_mode 1
		.amdhsa_fp16_overflow 0
		.amdhsa_workgroup_processor_mode 1
		.amdhsa_memory_ordered 1
		.amdhsa_forward_progress 1
		.amdhsa_shared_vgpr_count 0
		.amdhsa_exception_fp_ieee_invalid_op 0
		.amdhsa_exception_fp_denorm_src 0
		.amdhsa_exception_fp_ieee_div_zero 0
		.amdhsa_exception_fp_ieee_overflow 0
		.amdhsa_exception_fp_ieee_underflow 0
		.amdhsa_exception_fp_ieee_inexact 0
		.amdhsa_exception_int_div_zero 0
	.end_amdhsa_kernel
	.section	.text._ZN7rocprim17ROCPRIM_400000_NS6detail17trampoline_kernelINS0_14default_configENS1_35radix_sort_onesweep_config_selectorIiNS0_10empty_typeEEEZZNS1_29radix_sort_onesweep_iterationIS3_Lb0EN6thrust23THRUST_200600_302600_NS6detail15normal_iteratorINS9_10device_ptrIiEEEESE_PS5_SF_jNS0_19identity_decomposerENS1_16block_id_wrapperIjLb1EEEEE10hipError_tT1_PNSt15iterator_traitsISK_E10value_typeET2_T3_PNSL_ISQ_E10value_typeET4_T5_PSV_SW_PNS1_23onesweep_lookback_stateEbbT6_jjT7_P12ihipStream_tbENKUlT_T0_SK_SP_E_clISE_PiSF_SF_EEDaS13_S14_SK_SP_EUlS13_E_NS1_11comp_targetILNS1_3genE10ELNS1_11target_archE1201ELNS1_3gpuE5ELNS1_3repE0EEENS1_47radix_sort_onesweep_sort_config_static_selectorELNS0_4arch9wavefront6targetE0EEEvSK_,"axG",@progbits,_ZN7rocprim17ROCPRIM_400000_NS6detail17trampoline_kernelINS0_14default_configENS1_35radix_sort_onesweep_config_selectorIiNS0_10empty_typeEEEZZNS1_29radix_sort_onesweep_iterationIS3_Lb0EN6thrust23THRUST_200600_302600_NS6detail15normal_iteratorINS9_10device_ptrIiEEEESE_PS5_SF_jNS0_19identity_decomposerENS1_16block_id_wrapperIjLb1EEEEE10hipError_tT1_PNSt15iterator_traitsISK_E10value_typeET2_T3_PNSL_ISQ_E10value_typeET4_T5_PSV_SW_PNS1_23onesweep_lookback_stateEbbT6_jjT7_P12ihipStream_tbENKUlT_T0_SK_SP_E_clISE_PiSF_SF_EEDaS13_S14_SK_SP_EUlS13_E_NS1_11comp_targetILNS1_3genE10ELNS1_11target_archE1201ELNS1_3gpuE5ELNS1_3repE0EEENS1_47radix_sort_onesweep_sort_config_static_selectorELNS0_4arch9wavefront6targetE0EEEvSK_,comdat
.Lfunc_end174:
	.size	_ZN7rocprim17ROCPRIM_400000_NS6detail17trampoline_kernelINS0_14default_configENS1_35radix_sort_onesweep_config_selectorIiNS0_10empty_typeEEEZZNS1_29radix_sort_onesweep_iterationIS3_Lb0EN6thrust23THRUST_200600_302600_NS6detail15normal_iteratorINS9_10device_ptrIiEEEESE_PS5_SF_jNS0_19identity_decomposerENS1_16block_id_wrapperIjLb1EEEEE10hipError_tT1_PNSt15iterator_traitsISK_E10value_typeET2_T3_PNSL_ISQ_E10value_typeET4_T5_PSV_SW_PNS1_23onesweep_lookback_stateEbbT6_jjT7_P12ihipStream_tbENKUlT_T0_SK_SP_E_clISE_PiSF_SF_EEDaS13_S14_SK_SP_EUlS13_E_NS1_11comp_targetILNS1_3genE10ELNS1_11target_archE1201ELNS1_3gpuE5ELNS1_3repE0EEENS1_47radix_sort_onesweep_sort_config_static_selectorELNS0_4arch9wavefront6targetE0EEEvSK_, .Lfunc_end174-_ZN7rocprim17ROCPRIM_400000_NS6detail17trampoline_kernelINS0_14default_configENS1_35radix_sort_onesweep_config_selectorIiNS0_10empty_typeEEEZZNS1_29radix_sort_onesweep_iterationIS3_Lb0EN6thrust23THRUST_200600_302600_NS6detail15normal_iteratorINS9_10device_ptrIiEEEESE_PS5_SF_jNS0_19identity_decomposerENS1_16block_id_wrapperIjLb1EEEEE10hipError_tT1_PNSt15iterator_traitsISK_E10value_typeET2_T3_PNSL_ISQ_E10value_typeET4_T5_PSV_SW_PNS1_23onesweep_lookback_stateEbbT6_jjT7_P12ihipStream_tbENKUlT_T0_SK_SP_E_clISE_PiSF_SF_EEDaS13_S14_SK_SP_EUlS13_E_NS1_11comp_targetILNS1_3genE10ELNS1_11target_archE1201ELNS1_3gpuE5ELNS1_3repE0EEENS1_47radix_sort_onesweep_sort_config_static_selectorELNS0_4arch9wavefront6targetE0EEEvSK_
                                        ; -- End function
	.set _ZN7rocprim17ROCPRIM_400000_NS6detail17trampoline_kernelINS0_14default_configENS1_35radix_sort_onesweep_config_selectorIiNS0_10empty_typeEEEZZNS1_29radix_sort_onesweep_iterationIS3_Lb0EN6thrust23THRUST_200600_302600_NS6detail15normal_iteratorINS9_10device_ptrIiEEEESE_PS5_SF_jNS0_19identity_decomposerENS1_16block_id_wrapperIjLb1EEEEE10hipError_tT1_PNSt15iterator_traitsISK_E10value_typeET2_T3_PNSL_ISQ_E10value_typeET4_T5_PSV_SW_PNS1_23onesweep_lookback_stateEbbT6_jjT7_P12ihipStream_tbENKUlT_T0_SK_SP_E_clISE_PiSF_SF_EEDaS13_S14_SK_SP_EUlS13_E_NS1_11comp_targetILNS1_3genE10ELNS1_11target_archE1201ELNS1_3gpuE5ELNS1_3repE0EEENS1_47radix_sort_onesweep_sort_config_static_selectorELNS0_4arch9wavefront6targetE0EEEvSK_.num_vgpr, 0
	.set _ZN7rocprim17ROCPRIM_400000_NS6detail17trampoline_kernelINS0_14default_configENS1_35radix_sort_onesweep_config_selectorIiNS0_10empty_typeEEEZZNS1_29radix_sort_onesweep_iterationIS3_Lb0EN6thrust23THRUST_200600_302600_NS6detail15normal_iteratorINS9_10device_ptrIiEEEESE_PS5_SF_jNS0_19identity_decomposerENS1_16block_id_wrapperIjLb1EEEEE10hipError_tT1_PNSt15iterator_traitsISK_E10value_typeET2_T3_PNSL_ISQ_E10value_typeET4_T5_PSV_SW_PNS1_23onesweep_lookback_stateEbbT6_jjT7_P12ihipStream_tbENKUlT_T0_SK_SP_E_clISE_PiSF_SF_EEDaS13_S14_SK_SP_EUlS13_E_NS1_11comp_targetILNS1_3genE10ELNS1_11target_archE1201ELNS1_3gpuE5ELNS1_3repE0EEENS1_47radix_sort_onesweep_sort_config_static_selectorELNS0_4arch9wavefront6targetE0EEEvSK_.num_agpr, 0
	.set _ZN7rocprim17ROCPRIM_400000_NS6detail17trampoline_kernelINS0_14default_configENS1_35radix_sort_onesweep_config_selectorIiNS0_10empty_typeEEEZZNS1_29radix_sort_onesweep_iterationIS3_Lb0EN6thrust23THRUST_200600_302600_NS6detail15normal_iteratorINS9_10device_ptrIiEEEESE_PS5_SF_jNS0_19identity_decomposerENS1_16block_id_wrapperIjLb1EEEEE10hipError_tT1_PNSt15iterator_traitsISK_E10value_typeET2_T3_PNSL_ISQ_E10value_typeET4_T5_PSV_SW_PNS1_23onesweep_lookback_stateEbbT6_jjT7_P12ihipStream_tbENKUlT_T0_SK_SP_E_clISE_PiSF_SF_EEDaS13_S14_SK_SP_EUlS13_E_NS1_11comp_targetILNS1_3genE10ELNS1_11target_archE1201ELNS1_3gpuE5ELNS1_3repE0EEENS1_47radix_sort_onesweep_sort_config_static_selectorELNS0_4arch9wavefront6targetE0EEEvSK_.numbered_sgpr, 0
	.set _ZN7rocprim17ROCPRIM_400000_NS6detail17trampoline_kernelINS0_14default_configENS1_35radix_sort_onesweep_config_selectorIiNS0_10empty_typeEEEZZNS1_29radix_sort_onesweep_iterationIS3_Lb0EN6thrust23THRUST_200600_302600_NS6detail15normal_iteratorINS9_10device_ptrIiEEEESE_PS5_SF_jNS0_19identity_decomposerENS1_16block_id_wrapperIjLb1EEEEE10hipError_tT1_PNSt15iterator_traitsISK_E10value_typeET2_T3_PNSL_ISQ_E10value_typeET4_T5_PSV_SW_PNS1_23onesweep_lookback_stateEbbT6_jjT7_P12ihipStream_tbENKUlT_T0_SK_SP_E_clISE_PiSF_SF_EEDaS13_S14_SK_SP_EUlS13_E_NS1_11comp_targetILNS1_3genE10ELNS1_11target_archE1201ELNS1_3gpuE5ELNS1_3repE0EEENS1_47radix_sort_onesweep_sort_config_static_selectorELNS0_4arch9wavefront6targetE0EEEvSK_.num_named_barrier, 0
	.set _ZN7rocprim17ROCPRIM_400000_NS6detail17trampoline_kernelINS0_14default_configENS1_35radix_sort_onesweep_config_selectorIiNS0_10empty_typeEEEZZNS1_29radix_sort_onesweep_iterationIS3_Lb0EN6thrust23THRUST_200600_302600_NS6detail15normal_iteratorINS9_10device_ptrIiEEEESE_PS5_SF_jNS0_19identity_decomposerENS1_16block_id_wrapperIjLb1EEEEE10hipError_tT1_PNSt15iterator_traitsISK_E10value_typeET2_T3_PNSL_ISQ_E10value_typeET4_T5_PSV_SW_PNS1_23onesweep_lookback_stateEbbT6_jjT7_P12ihipStream_tbENKUlT_T0_SK_SP_E_clISE_PiSF_SF_EEDaS13_S14_SK_SP_EUlS13_E_NS1_11comp_targetILNS1_3genE10ELNS1_11target_archE1201ELNS1_3gpuE5ELNS1_3repE0EEENS1_47radix_sort_onesweep_sort_config_static_selectorELNS0_4arch9wavefront6targetE0EEEvSK_.private_seg_size, 0
	.set _ZN7rocprim17ROCPRIM_400000_NS6detail17trampoline_kernelINS0_14default_configENS1_35radix_sort_onesweep_config_selectorIiNS0_10empty_typeEEEZZNS1_29radix_sort_onesweep_iterationIS3_Lb0EN6thrust23THRUST_200600_302600_NS6detail15normal_iteratorINS9_10device_ptrIiEEEESE_PS5_SF_jNS0_19identity_decomposerENS1_16block_id_wrapperIjLb1EEEEE10hipError_tT1_PNSt15iterator_traitsISK_E10value_typeET2_T3_PNSL_ISQ_E10value_typeET4_T5_PSV_SW_PNS1_23onesweep_lookback_stateEbbT6_jjT7_P12ihipStream_tbENKUlT_T0_SK_SP_E_clISE_PiSF_SF_EEDaS13_S14_SK_SP_EUlS13_E_NS1_11comp_targetILNS1_3genE10ELNS1_11target_archE1201ELNS1_3gpuE5ELNS1_3repE0EEENS1_47radix_sort_onesweep_sort_config_static_selectorELNS0_4arch9wavefront6targetE0EEEvSK_.uses_vcc, 0
	.set _ZN7rocprim17ROCPRIM_400000_NS6detail17trampoline_kernelINS0_14default_configENS1_35radix_sort_onesweep_config_selectorIiNS0_10empty_typeEEEZZNS1_29radix_sort_onesweep_iterationIS3_Lb0EN6thrust23THRUST_200600_302600_NS6detail15normal_iteratorINS9_10device_ptrIiEEEESE_PS5_SF_jNS0_19identity_decomposerENS1_16block_id_wrapperIjLb1EEEEE10hipError_tT1_PNSt15iterator_traitsISK_E10value_typeET2_T3_PNSL_ISQ_E10value_typeET4_T5_PSV_SW_PNS1_23onesweep_lookback_stateEbbT6_jjT7_P12ihipStream_tbENKUlT_T0_SK_SP_E_clISE_PiSF_SF_EEDaS13_S14_SK_SP_EUlS13_E_NS1_11comp_targetILNS1_3genE10ELNS1_11target_archE1201ELNS1_3gpuE5ELNS1_3repE0EEENS1_47radix_sort_onesweep_sort_config_static_selectorELNS0_4arch9wavefront6targetE0EEEvSK_.uses_flat_scratch, 0
	.set _ZN7rocprim17ROCPRIM_400000_NS6detail17trampoline_kernelINS0_14default_configENS1_35radix_sort_onesweep_config_selectorIiNS0_10empty_typeEEEZZNS1_29radix_sort_onesweep_iterationIS3_Lb0EN6thrust23THRUST_200600_302600_NS6detail15normal_iteratorINS9_10device_ptrIiEEEESE_PS5_SF_jNS0_19identity_decomposerENS1_16block_id_wrapperIjLb1EEEEE10hipError_tT1_PNSt15iterator_traitsISK_E10value_typeET2_T3_PNSL_ISQ_E10value_typeET4_T5_PSV_SW_PNS1_23onesweep_lookback_stateEbbT6_jjT7_P12ihipStream_tbENKUlT_T0_SK_SP_E_clISE_PiSF_SF_EEDaS13_S14_SK_SP_EUlS13_E_NS1_11comp_targetILNS1_3genE10ELNS1_11target_archE1201ELNS1_3gpuE5ELNS1_3repE0EEENS1_47radix_sort_onesweep_sort_config_static_selectorELNS0_4arch9wavefront6targetE0EEEvSK_.has_dyn_sized_stack, 0
	.set _ZN7rocprim17ROCPRIM_400000_NS6detail17trampoline_kernelINS0_14default_configENS1_35radix_sort_onesweep_config_selectorIiNS0_10empty_typeEEEZZNS1_29radix_sort_onesweep_iterationIS3_Lb0EN6thrust23THRUST_200600_302600_NS6detail15normal_iteratorINS9_10device_ptrIiEEEESE_PS5_SF_jNS0_19identity_decomposerENS1_16block_id_wrapperIjLb1EEEEE10hipError_tT1_PNSt15iterator_traitsISK_E10value_typeET2_T3_PNSL_ISQ_E10value_typeET4_T5_PSV_SW_PNS1_23onesweep_lookback_stateEbbT6_jjT7_P12ihipStream_tbENKUlT_T0_SK_SP_E_clISE_PiSF_SF_EEDaS13_S14_SK_SP_EUlS13_E_NS1_11comp_targetILNS1_3genE10ELNS1_11target_archE1201ELNS1_3gpuE5ELNS1_3repE0EEENS1_47radix_sort_onesweep_sort_config_static_selectorELNS0_4arch9wavefront6targetE0EEEvSK_.has_recursion, 0
	.set _ZN7rocprim17ROCPRIM_400000_NS6detail17trampoline_kernelINS0_14default_configENS1_35radix_sort_onesweep_config_selectorIiNS0_10empty_typeEEEZZNS1_29radix_sort_onesweep_iterationIS3_Lb0EN6thrust23THRUST_200600_302600_NS6detail15normal_iteratorINS9_10device_ptrIiEEEESE_PS5_SF_jNS0_19identity_decomposerENS1_16block_id_wrapperIjLb1EEEEE10hipError_tT1_PNSt15iterator_traitsISK_E10value_typeET2_T3_PNSL_ISQ_E10value_typeET4_T5_PSV_SW_PNS1_23onesweep_lookback_stateEbbT6_jjT7_P12ihipStream_tbENKUlT_T0_SK_SP_E_clISE_PiSF_SF_EEDaS13_S14_SK_SP_EUlS13_E_NS1_11comp_targetILNS1_3genE10ELNS1_11target_archE1201ELNS1_3gpuE5ELNS1_3repE0EEENS1_47radix_sort_onesweep_sort_config_static_selectorELNS0_4arch9wavefront6targetE0EEEvSK_.has_indirect_call, 0
	.section	.AMDGPU.csdata,"",@progbits
; Kernel info:
; codeLenInByte = 0
; TotalNumSgprs: 0
; NumVgprs: 0
; ScratchSize: 0
; MemoryBound: 0
; FloatMode: 240
; IeeeMode: 1
; LDSByteSize: 0 bytes/workgroup (compile time only)
; SGPRBlocks: 0
; VGPRBlocks: 0
; NumSGPRsForWavesPerEU: 1
; NumVGPRsForWavesPerEU: 1
; Occupancy: 16
; WaveLimiterHint : 0
; COMPUTE_PGM_RSRC2:SCRATCH_EN: 0
; COMPUTE_PGM_RSRC2:USER_SGPR: 6
; COMPUTE_PGM_RSRC2:TRAP_HANDLER: 0
; COMPUTE_PGM_RSRC2:TGID_X_EN: 1
; COMPUTE_PGM_RSRC2:TGID_Y_EN: 0
; COMPUTE_PGM_RSRC2:TGID_Z_EN: 0
; COMPUTE_PGM_RSRC2:TIDIG_COMP_CNT: 0
	.section	.text._ZN7rocprim17ROCPRIM_400000_NS6detail17trampoline_kernelINS0_14default_configENS1_35radix_sort_onesweep_config_selectorIiNS0_10empty_typeEEEZZNS1_29radix_sort_onesweep_iterationIS3_Lb0EN6thrust23THRUST_200600_302600_NS6detail15normal_iteratorINS9_10device_ptrIiEEEESE_PS5_SF_jNS0_19identity_decomposerENS1_16block_id_wrapperIjLb1EEEEE10hipError_tT1_PNSt15iterator_traitsISK_E10value_typeET2_T3_PNSL_ISQ_E10value_typeET4_T5_PSV_SW_PNS1_23onesweep_lookback_stateEbbT6_jjT7_P12ihipStream_tbENKUlT_T0_SK_SP_E_clISE_PiSF_SF_EEDaS13_S14_SK_SP_EUlS13_E_NS1_11comp_targetILNS1_3genE9ELNS1_11target_archE1100ELNS1_3gpuE3ELNS1_3repE0EEENS1_47radix_sort_onesweep_sort_config_static_selectorELNS0_4arch9wavefront6targetE0EEEvSK_,"axG",@progbits,_ZN7rocprim17ROCPRIM_400000_NS6detail17trampoline_kernelINS0_14default_configENS1_35radix_sort_onesweep_config_selectorIiNS0_10empty_typeEEEZZNS1_29radix_sort_onesweep_iterationIS3_Lb0EN6thrust23THRUST_200600_302600_NS6detail15normal_iteratorINS9_10device_ptrIiEEEESE_PS5_SF_jNS0_19identity_decomposerENS1_16block_id_wrapperIjLb1EEEEE10hipError_tT1_PNSt15iterator_traitsISK_E10value_typeET2_T3_PNSL_ISQ_E10value_typeET4_T5_PSV_SW_PNS1_23onesweep_lookback_stateEbbT6_jjT7_P12ihipStream_tbENKUlT_T0_SK_SP_E_clISE_PiSF_SF_EEDaS13_S14_SK_SP_EUlS13_E_NS1_11comp_targetILNS1_3genE9ELNS1_11target_archE1100ELNS1_3gpuE3ELNS1_3repE0EEENS1_47radix_sort_onesweep_sort_config_static_selectorELNS0_4arch9wavefront6targetE0EEEvSK_,comdat
	.protected	_ZN7rocprim17ROCPRIM_400000_NS6detail17trampoline_kernelINS0_14default_configENS1_35radix_sort_onesweep_config_selectorIiNS0_10empty_typeEEEZZNS1_29radix_sort_onesweep_iterationIS3_Lb0EN6thrust23THRUST_200600_302600_NS6detail15normal_iteratorINS9_10device_ptrIiEEEESE_PS5_SF_jNS0_19identity_decomposerENS1_16block_id_wrapperIjLb1EEEEE10hipError_tT1_PNSt15iterator_traitsISK_E10value_typeET2_T3_PNSL_ISQ_E10value_typeET4_T5_PSV_SW_PNS1_23onesweep_lookback_stateEbbT6_jjT7_P12ihipStream_tbENKUlT_T0_SK_SP_E_clISE_PiSF_SF_EEDaS13_S14_SK_SP_EUlS13_E_NS1_11comp_targetILNS1_3genE9ELNS1_11target_archE1100ELNS1_3gpuE3ELNS1_3repE0EEENS1_47radix_sort_onesweep_sort_config_static_selectorELNS0_4arch9wavefront6targetE0EEEvSK_ ; -- Begin function _ZN7rocprim17ROCPRIM_400000_NS6detail17trampoline_kernelINS0_14default_configENS1_35radix_sort_onesweep_config_selectorIiNS0_10empty_typeEEEZZNS1_29radix_sort_onesweep_iterationIS3_Lb0EN6thrust23THRUST_200600_302600_NS6detail15normal_iteratorINS9_10device_ptrIiEEEESE_PS5_SF_jNS0_19identity_decomposerENS1_16block_id_wrapperIjLb1EEEEE10hipError_tT1_PNSt15iterator_traitsISK_E10value_typeET2_T3_PNSL_ISQ_E10value_typeET4_T5_PSV_SW_PNS1_23onesweep_lookback_stateEbbT6_jjT7_P12ihipStream_tbENKUlT_T0_SK_SP_E_clISE_PiSF_SF_EEDaS13_S14_SK_SP_EUlS13_E_NS1_11comp_targetILNS1_3genE9ELNS1_11target_archE1100ELNS1_3gpuE3ELNS1_3repE0EEENS1_47radix_sort_onesweep_sort_config_static_selectorELNS0_4arch9wavefront6targetE0EEEvSK_
	.globl	_ZN7rocprim17ROCPRIM_400000_NS6detail17trampoline_kernelINS0_14default_configENS1_35radix_sort_onesweep_config_selectorIiNS0_10empty_typeEEEZZNS1_29radix_sort_onesweep_iterationIS3_Lb0EN6thrust23THRUST_200600_302600_NS6detail15normal_iteratorINS9_10device_ptrIiEEEESE_PS5_SF_jNS0_19identity_decomposerENS1_16block_id_wrapperIjLb1EEEEE10hipError_tT1_PNSt15iterator_traitsISK_E10value_typeET2_T3_PNSL_ISQ_E10value_typeET4_T5_PSV_SW_PNS1_23onesweep_lookback_stateEbbT6_jjT7_P12ihipStream_tbENKUlT_T0_SK_SP_E_clISE_PiSF_SF_EEDaS13_S14_SK_SP_EUlS13_E_NS1_11comp_targetILNS1_3genE9ELNS1_11target_archE1100ELNS1_3gpuE3ELNS1_3repE0EEENS1_47radix_sort_onesweep_sort_config_static_selectorELNS0_4arch9wavefront6targetE0EEEvSK_
	.p2align	8
	.type	_ZN7rocprim17ROCPRIM_400000_NS6detail17trampoline_kernelINS0_14default_configENS1_35radix_sort_onesweep_config_selectorIiNS0_10empty_typeEEEZZNS1_29radix_sort_onesweep_iterationIS3_Lb0EN6thrust23THRUST_200600_302600_NS6detail15normal_iteratorINS9_10device_ptrIiEEEESE_PS5_SF_jNS0_19identity_decomposerENS1_16block_id_wrapperIjLb1EEEEE10hipError_tT1_PNSt15iterator_traitsISK_E10value_typeET2_T3_PNSL_ISQ_E10value_typeET4_T5_PSV_SW_PNS1_23onesweep_lookback_stateEbbT6_jjT7_P12ihipStream_tbENKUlT_T0_SK_SP_E_clISE_PiSF_SF_EEDaS13_S14_SK_SP_EUlS13_E_NS1_11comp_targetILNS1_3genE9ELNS1_11target_archE1100ELNS1_3gpuE3ELNS1_3repE0EEENS1_47radix_sort_onesweep_sort_config_static_selectorELNS0_4arch9wavefront6targetE0EEEvSK_,@function
_ZN7rocprim17ROCPRIM_400000_NS6detail17trampoline_kernelINS0_14default_configENS1_35radix_sort_onesweep_config_selectorIiNS0_10empty_typeEEEZZNS1_29radix_sort_onesweep_iterationIS3_Lb0EN6thrust23THRUST_200600_302600_NS6detail15normal_iteratorINS9_10device_ptrIiEEEESE_PS5_SF_jNS0_19identity_decomposerENS1_16block_id_wrapperIjLb1EEEEE10hipError_tT1_PNSt15iterator_traitsISK_E10value_typeET2_T3_PNSL_ISQ_E10value_typeET4_T5_PSV_SW_PNS1_23onesweep_lookback_stateEbbT6_jjT7_P12ihipStream_tbENKUlT_T0_SK_SP_E_clISE_PiSF_SF_EEDaS13_S14_SK_SP_EUlS13_E_NS1_11comp_targetILNS1_3genE9ELNS1_11target_archE1100ELNS1_3gpuE3ELNS1_3repE0EEENS1_47radix_sort_onesweep_sort_config_static_selectorELNS0_4arch9wavefront6targetE0EEEvSK_: ; @_ZN7rocprim17ROCPRIM_400000_NS6detail17trampoline_kernelINS0_14default_configENS1_35radix_sort_onesweep_config_selectorIiNS0_10empty_typeEEEZZNS1_29radix_sort_onesweep_iterationIS3_Lb0EN6thrust23THRUST_200600_302600_NS6detail15normal_iteratorINS9_10device_ptrIiEEEESE_PS5_SF_jNS0_19identity_decomposerENS1_16block_id_wrapperIjLb1EEEEE10hipError_tT1_PNSt15iterator_traitsISK_E10value_typeET2_T3_PNSL_ISQ_E10value_typeET4_T5_PSV_SW_PNS1_23onesweep_lookback_stateEbbT6_jjT7_P12ihipStream_tbENKUlT_T0_SK_SP_E_clISE_PiSF_SF_EEDaS13_S14_SK_SP_EUlS13_E_NS1_11comp_targetILNS1_3genE9ELNS1_11target_archE1100ELNS1_3gpuE3ELNS1_3repE0EEENS1_47radix_sort_onesweep_sort_config_static_selectorELNS0_4arch9wavefront6targetE0EEEvSK_
; %bb.0:
	.section	.rodata,"a",@progbits
	.p2align	6, 0x0
	.amdhsa_kernel _ZN7rocprim17ROCPRIM_400000_NS6detail17trampoline_kernelINS0_14default_configENS1_35radix_sort_onesweep_config_selectorIiNS0_10empty_typeEEEZZNS1_29radix_sort_onesweep_iterationIS3_Lb0EN6thrust23THRUST_200600_302600_NS6detail15normal_iteratorINS9_10device_ptrIiEEEESE_PS5_SF_jNS0_19identity_decomposerENS1_16block_id_wrapperIjLb1EEEEE10hipError_tT1_PNSt15iterator_traitsISK_E10value_typeET2_T3_PNSL_ISQ_E10value_typeET4_T5_PSV_SW_PNS1_23onesweep_lookback_stateEbbT6_jjT7_P12ihipStream_tbENKUlT_T0_SK_SP_E_clISE_PiSF_SF_EEDaS13_S14_SK_SP_EUlS13_E_NS1_11comp_targetILNS1_3genE9ELNS1_11target_archE1100ELNS1_3gpuE3ELNS1_3repE0EEENS1_47radix_sort_onesweep_sort_config_static_selectorELNS0_4arch9wavefront6targetE0EEEvSK_
		.amdhsa_group_segment_fixed_size 0
		.amdhsa_private_segment_fixed_size 0
		.amdhsa_kernarg_size 88
		.amdhsa_user_sgpr_count 6
		.amdhsa_user_sgpr_private_segment_buffer 1
		.amdhsa_user_sgpr_dispatch_ptr 0
		.amdhsa_user_sgpr_queue_ptr 0
		.amdhsa_user_sgpr_kernarg_segment_ptr 1
		.amdhsa_user_sgpr_dispatch_id 0
		.amdhsa_user_sgpr_flat_scratch_init 0
		.amdhsa_user_sgpr_private_segment_size 0
		.amdhsa_wavefront_size32 1
		.amdhsa_uses_dynamic_stack 0
		.amdhsa_system_sgpr_private_segment_wavefront_offset 0
		.amdhsa_system_sgpr_workgroup_id_x 1
		.amdhsa_system_sgpr_workgroup_id_y 0
		.amdhsa_system_sgpr_workgroup_id_z 0
		.amdhsa_system_sgpr_workgroup_info 0
		.amdhsa_system_vgpr_workitem_id 0
		.amdhsa_next_free_vgpr 1
		.amdhsa_next_free_sgpr 1
		.amdhsa_reserve_vcc 0
		.amdhsa_reserve_flat_scratch 0
		.amdhsa_float_round_mode_32 0
		.amdhsa_float_round_mode_16_64 0
		.amdhsa_float_denorm_mode_32 3
		.amdhsa_float_denorm_mode_16_64 3
		.amdhsa_dx10_clamp 1
		.amdhsa_ieee_mode 1
		.amdhsa_fp16_overflow 0
		.amdhsa_workgroup_processor_mode 1
		.amdhsa_memory_ordered 1
		.amdhsa_forward_progress 1
		.amdhsa_shared_vgpr_count 0
		.amdhsa_exception_fp_ieee_invalid_op 0
		.amdhsa_exception_fp_denorm_src 0
		.amdhsa_exception_fp_ieee_div_zero 0
		.amdhsa_exception_fp_ieee_overflow 0
		.amdhsa_exception_fp_ieee_underflow 0
		.amdhsa_exception_fp_ieee_inexact 0
		.amdhsa_exception_int_div_zero 0
	.end_amdhsa_kernel
	.section	.text._ZN7rocprim17ROCPRIM_400000_NS6detail17trampoline_kernelINS0_14default_configENS1_35radix_sort_onesweep_config_selectorIiNS0_10empty_typeEEEZZNS1_29radix_sort_onesweep_iterationIS3_Lb0EN6thrust23THRUST_200600_302600_NS6detail15normal_iteratorINS9_10device_ptrIiEEEESE_PS5_SF_jNS0_19identity_decomposerENS1_16block_id_wrapperIjLb1EEEEE10hipError_tT1_PNSt15iterator_traitsISK_E10value_typeET2_T3_PNSL_ISQ_E10value_typeET4_T5_PSV_SW_PNS1_23onesweep_lookback_stateEbbT6_jjT7_P12ihipStream_tbENKUlT_T0_SK_SP_E_clISE_PiSF_SF_EEDaS13_S14_SK_SP_EUlS13_E_NS1_11comp_targetILNS1_3genE9ELNS1_11target_archE1100ELNS1_3gpuE3ELNS1_3repE0EEENS1_47radix_sort_onesweep_sort_config_static_selectorELNS0_4arch9wavefront6targetE0EEEvSK_,"axG",@progbits,_ZN7rocprim17ROCPRIM_400000_NS6detail17trampoline_kernelINS0_14default_configENS1_35radix_sort_onesweep_config_selectorIiNS0_10empty_typeEEEZZNS1_29radix_sort_onesweep_iterationIS3_Lb0EN6thrust23THRUST_200600_302600_NS6detail15normal_iteratorINS9_10device_ptrIiEEEESE_PS5_SF_jNS0_19identity_decomposerENS1_16block_id_wrapperIjLb1EEEEE10hipError_tT1_PNSt15iterator_traitsISK_E10value_typeET2_T3_PNSL_ISQ_E10value_typeET4_T5_PSV_SW_PNS1_23onesweep_lookback_stateEbbT6_jjT7_P12ihipStream_tbENKUlT_T0_SK_SP_E_clISE_PiSF_SF_EEDaS13_S14_SK_SP_EUlS13_E_NS1_11comp_targetILNS1_3genE9ELNS1_11target_archE1100ELNS1_3gpuE3ELNS1_3repE0EEENS1_47radix_sort_onesweep_sort_config_static_selectorELNS0_4arch9wavefront6targetE0EEEvSK_,comdat
.Lfunc_end175:
	.size	_ZN7rocprim17ROCPRIM_400000_NS6detail17trampoline_kernelINS0_14default_configENS1_35radix_sort_onesweep_config_selectorIiNS0_10empty_typeEEEZZNS1_29radix_sort_onesweep_iterationIS3_Lb0EN6thrust23THRUST_200600_302600_NS6detail15normal_iteratorINS9_10device_ptrIiEEEESE_PS5_SF_jNS0_19identity_decomposerENS1_16block_id_wrapperIjLb1EEEEE10hipError_tT1_PNSt15iterator_traitsISK_E10value_typeET2_T3_PNSL_ISQ_E10value_typeET4_T5_PSV_SW_PNS1_23onesweep_lookback_stateEbbT6_jjT7_P12ihipStream_tbENKUlT_T0_SK_SP_E_clISE_PiSF_SF_EEDaS13_S14_SK_SP_EUlS13_E_NS1_11comp_targetILNS1_3genE9ELNS1_11target_archE1100ELNS1_3gpuE3ELNS1_3repE0EEENS1_47radix_sort_onesweep_sort_config_static_selectorELNS0_4arch9wavefront6targetE0EEEvSK_, .Lfunc_end175-_ZN7rocprim17ROCPRIM_400000_NS6detail17trampoline_kernelINS0_14default_configENS1_35radix_sort_onesweep_config_selectorIiNS0_10empty_typeEEEZZNS1_29radix_sort_onesweep_iterationIS3_Lb0EN6thrust23THRUST_200600_302600_NS6detail15normal_iteratorINS9_10device_ptrIiEEEESE_PS5_SF_jNS0_19identity_decomposerENS1_16block_id_wrapperIjLb1EEEEE10hipError_tT1_PNSt15iterator_traitsISK_E10value_typeET2_T3_PNSL_ISQ_E10value_typeET4_T5_PSV_SW_PNS1_23onesweep_lookback_stateEbbT6_jjT7_P12ihipStream_tbENKUlT_T0_SK_SP_E_clISE_PiSF_SF_EEDaS13_S14_SK_SP_EUlS13_E_NS1_11comp_targetILNS1_3genE9ELNS1_11target_archE1100ELNS1_3gpuE3ELNS1_3repE0EEENS1_47radix_sort_onesweep_sort_config_static_selectorELNS0_4arch9wavefront6targetE0EEEvSK_
                                        ; -- End function
	.set _ZN7rocprim17ROCPRIM_400000_NS6detail17trampoline_kernelINS0_14default_configENS1_35radix_sort_onesweep_config_selectorIiNS0_10empty_typeEEEZZNS1_29radix_sort_onesweep_iterationIS3_Lb0EN6thrust23THRUST_200600_302600_NS6detail15normal_iteratorINS9_10device_ptrIiEEEESE_PS5_SF_jNS0_19identity_decomposerENS1_16block_id_wrapperIjLb1EEEEE10hipError_tT1_PNSt15iterator_traitsISK_E10value_typeET2_T3_PNSL_ISQ_E10value_typeET4_T5_PSV_SW_PNS1_23onesweep_lookback_stateEbbT6_jjT7_P12ihipStream_tbENKUlT_T0_SK_SP_E_clISE_PiSF_SF_EEDaS13_S14_SK_SP_EUlS13_E_NS1_11comp_targetILNS1_3genE9ELNS1_11target_archE1100ELNS1_3gpuE3ELNS1_3repE0EEENS1_47radix_sort_onesweep_sort_config_static_selectorELNS0_4arch9wavefront6targetE0EEEvSK_.num_vgpr, 0
	.set _ZN7rocprim17ROCPRIM_400000_NS6detail17trampoline_kernelINS0_14default_configENS1_35radix_sort_onesweep_config_selectorIiNS0_10empty_typeEEEZZNS1_29radix_sort_onesweep_iterationIS3_Lb0EN6thrust23THRUST_200600_302600_NS6detail15normal_iteratorINS9_10device_ptrIiEEEESE_PS5_SF_jNS0_19identity_decomposerENS1_16block_id_wrapperIjLb1EEEEE10hipError_tT1_PNSt15iterator_traitsISK_E10value_typeET2_T3_PNSL_ISQ_E10value_typeET4_T5_PSV_SW_PNS1_23onesweep_lookback_stateEbbT6_jjT7_P12ihipStream_tbENKUlT_T0_SK_SP_E_clISE_PiSF_SF_EEDaS13_S14_SK_SP_EUlS13_E_NS1_11comp_targetILNS1_3genE9ELNS1_11target_archE1100ELNS1_3gpuE3ELNS1_3repE0EEENS1_47radix_sort_onesweep_sort_config_static_selectorELNS0_4arch9wavefront6targetE0EEEvSK_.num_agpr, 0
	.set _ZN7rocprim17ROCPRIM_400000_NS6detail17trampoline_kernelINS0_14default_configENS1_35radix_sort_onesweep_config_selectorIiNS0_10empty_typeEEEZZNS1_29radix_sort_onesweep_iterationIS3_Lb0EN6thrust23THRUST_200600_302600_NS6detail15normal_iteratorINS9_10device_ptrIiEEEESE_PS5_SF_jNS0_19identity_decomposerENS1_16block_id_wrapperIjLb1EEEEE10hipError_tT1_PNSt15iterator_traitsISK_E10value_typeET2_T3_PNSL_ISQ_E10value_typeET4_T5_PSV_SW_PNS1_23onesweep_lookback_stateEbbT6_jjT7_P12ihipStream_tbENKUlT_T0_SK_SP_E_clISE_PiSF_SF_EEDaS13_S14_SK_SP_EUlS13_E_NS1_11comp_targetILNS1_3genE9ELNS1_11target_archE1100ELNS1_3gpuE3ELNS1_3repE0EEENS1_47radix_sort_onesweep_sort_config_static_selectorELNS0_4arch9wavefront6targetE0EEEvSK_.numbered_sgpr, 0
	.set _ZN7rocprim17ROCPRIM_400000_NS6detail17trampoline_kernelINS0_14default_configENS1_35radix_sort_onesweep_config_selectorIiNS0_10empty_typeEEEZZNS1_29radix_sort_onesweep_iterationIS3_Lb0EN6thrust23THRUST_200600_302600_NS6detail15normal_iteratorINS9_10device_ptrIiEEEESE_PS5_SF_jNS0_19identity_decomposerENS1_16block_id_wrapperIjLb1EEEEE10hipError_tT1_PNSt15iterator_traitsISK_E10value_typeET2_T3_PNSL_ISQ_E10value_typeET4_T5_PSV_SW_PNS1_23onesweep_lookback_stateEbbT6_jjT7_P12ihipStream_tbENKUlT_T0_SK_SP_E_clISE_PiSF_SF_EEDaS13_S14_SK_SP_EUlS13_E_NS1_11comp_targetILNS1_3genE9ELNS1_11target_archE1100ELNS1_3gpuE3ELNS1_3repE0EEENS1_47radix_sort_onesweep_sort_config_static_selectorELNS0_4arch9wavefront6targetE0EEEvSK_.num_named_barrier, 0
	.set _ZN7rocprim17ROCPRIM_400000_NS6detail17trampoline_kernelINS0_14default_configENS1_35radix_sort_onesweep_config_selectorIiNS0_10empty_typeEEEZZNS1_29radix_sort_onesweep_iterationIS3_Lb0EN6thrust23THRUST_200600_302600_NS6detail15normal_iteratorINS9_10device_ptrIiEEEESE_PS5_SF_jNS0_19identity_decomposerENS1_16block_id_wrapperIjLb1EEEEE10hipError_tT1_PNSt15iterator_traitsISK_E10value_typeET2_T3_PNSL_ISQ_E10value_typeET4_T5_PSV_SW_PNS1_23onesweep_lookback_stateEbbT6_jjT7_P12ihipStream_tbENKUlT_T0_SK_SP_E_clISE_PiSF_SF_EEDaS13_S14_SK_SP_EUlS13_E_NS1_11comp_targetILNS1_3genE9ELNS1_11target_archE1100ELNS1_3gpuE3ELNS1_3repE0EEENS1_47radix_sort_onesweep_sort_config_static_selectorELNS0_4arch9wavefront6targetE0EEEvSK_.private_seg_size, 0
	.set _ZN7rocprim17ROCPRIM_400000_NS6detail17trampoline_kernelINS0_14default_configENS1_35radix_sort_onesweep_config_selectorIiNS0_10empty_typeEEEZZNS1_29radix_sort_onesweep_iterationIS3_Lb0EN6thrust23THRUST_200600_302600_NS6detail15normal_iteratorINS9_10device_ptrIiEEEESE_PS5_SF_jNS0_19identity_decomposerENS1_16block_id_wrapperIjLb1EEEEE10hipError_tT1_PNSt15iterator_traitsISK_E10value_typeET2_T3_PNSL_ISQ_E10value_typeET4_T5_PSV_SW_PNS1_23onesweep_lookback_stateEbbT6_jjT7_P12ihipStream_tbENKUlT_T0_SK_SP_E_clISE_PiSF_SF_EEDaS13_S14_SK_SP_EUlS13_E_NS1_11comp_targetILNS1_3genE9ELNS1_11target_archE1100ELNS1_3gpuE3ELNS1_3repE0EEENS1_47radix_sort_onesweep_sort_config_static_selectorELNS0_4arch9wavefront6targetE0EEEvSK_.uses_vcc, 0
	.set _ZN7rocprim17ROCPRIM_400000_NS6detail17trampoline_kernelINS0_14default_configENS1_35radix_sort_onesweep_config_selectorIiNS0_10empty_typeEEEZZNS1_29radix_sort_onesweep_iterationIS3_Lb0EN6thrust23THRUST_200600_302600_NS6detail15normal_iteratorINS9_10device_ptrIiEEEESE_PS5_SF_jNS0_19identity_decomposerENS1_16block_id_wrapperIjLb1EEEEE10hipError_tT1_PNSt15iterator_traitsISK_E10value_typeET2_T3_PNSL_ISQ_E10value_typeET4_T5_PSV_SW_PNS1_23onesweep_lookback_stateEbbT6_jjT7_P12ihipStream_tbENKUlT_T0_SK_SP_E_clISE_PiSF_SF_EEDaS13_S14_SK_SP_EUlS13_E_NS1_11comp_targetILNS1_3genE9ELNS1_11target_archE1100ELNS1_3gpuE3ELNS1_3repE0EEENS1_47radix_sort_onesweep_sort_config_static_selectorELNS0_4arch9wavefront6targetE0EEEvSK_.uses_flat_scratch, 0
	.set _ZN7rocprim17ROCPRIM_400000_NS6detail17trampoline_kernelINS0_14default_configENS1_35radix_sort_onesweep_config_selectorIiNS0_10empty_typeEEEZZNS1_29radix_sort_onesweep_iterationIS3_Lb0EN6thrust23THRUST_200600_302600_NS6detail15normal_iteratorINS9_10device_ptrIiEEEESE_PS5_SF_jNS0_19identity_decomposerENS1_16block_id_wrapperIjLb1EEEEE10hipError_tT1_PNSt15iterator_traitsISK_E10value_typeET2_T3_PNSL_ISQ_E10value_typeET4_T5_PSV_SW_PNS1_23onesweep_lookback_stateEbbT6_jjT7_P12ihipStream_tbENKUlT_T0_SK_SP_E_clISE_PiSF_SF_EEDaS13_S14_SK_SP_EUlS13_E_NS1_11comp_targetILNS1_3genE9ELNS1_11target_archE1100ELNS1_3gpuE3ELNS1_3repE0EEENS1_47radix_sort_onesweep_sort_config_static_selectorELNS0_4arch9wavefront6targetE0EEEvSK_.has_dyn_sized_stack, 0
	.set _ZN7rocprim17ROCPRIM_400000_NS6detail17trampoline_kernelINS0_14default_configENS1_35radix_sort_onesweep_config_selectorIiNS0_10empty_typeEEEZZNS1_29radix_sort_onesweep_iterationIS3_Lb0EN6thrust23THRUST_200600_302600_NS6detail15normal_iteratorINS9_10device_ptrIiEEEESE_PS5_SF_jNS0_19identity_decomposerENS1_16block_id_wrapperIjLb1EEEEE10hipError_tT1_PNSt15iterator_traitsISK_E10value_typeET2_T3_PNSL_ISQ_E10value_typeET4_T5_PSV_SW_PNS1_23onesweep_lookback_stateEbbT6_jjT7_P12ihipStream_tbENKUlT_T0_SK_SP_E_clISE_PiSF_SF_EEDaS13_S14_SK_SP_EUlS13_E_NS1_11comp_targetILNS1_3genE9ELNS1_11target_archE1100ELNS1_3gpuE3ELNS1_3repE0EEENS1_47radix_sort_onesweep_sort_config_static_selectorELNS0_4arch9wavefront6targetE0EEEvSK_.has_recursion, 0
	.set _ZN7rocprim17ROCPRIM_400000_NS6detail17trampoline_kernelINS0_14default_configENS1_35radix_sort_onesweep_config_selectorIiNS0_10empty_typeEEEZZNS1_29radix_sort_onesweep_iterationIS3_Lb0EN6thrust23THRUST_200600_302600_NS6detail15normal_iteratorINS9_10device_ptrIiEEEESE_PS5_SF_jNS0_19identity_decomposerENS1_16block_id_wrapperIjLb1EEEEE10hipError_tT1_PNSt15iterator_traitsISK_E10value_typeET2_T3_PNSL_ISQ_E10value_typeET4_T5_PSV_SW_PNS1_23onesweep_lookback_stateEbbT6_jjT7_P12ihipStream_tbENKUlT_T0_SK_SP_E_clISE_PiSF_SF_EEDaS13_S14_SK_SP_EUlS13_E_NS1_11comp_targetILNS1_3genE9ELNS1_11target_archE1100ELNS1_3gpuE3ELNS1_3repE0EEENS1_47radix_sort_onesweep_sort_config_static_selectorELNS0_4arch9wavefront6targetE0EEEvSK_.has_indirect_call, 0
	.section	.AMDGPU.csdata,"",@progbits
; Kernel info:
; codeLenInByte = 0
; TotalNumSgprs: 0
; NumVgprs: 0
; ScratchSize: 0
; MemoryBound: 0
; FloatMode: 240
; IeeeMode: 1
; LDSByteSize: 0 bytes/workgroup (compile time only)
; SGPRBlocks: 0
; VGPRBlocks: 0
; NumSGPRsForWavesPerEU: 1
; NumVGPRsForWavesPerEU: 1
; Occupancy: 16
; WaveLimiterHint : 0
; COMPUTE_PGM_RSRC2:SCRATCH_EN: 0
; COMPUTE_PGM_RSRC2:USER_SGPR: 6
; COMPUTE_PGM_RSRC2:TRAP_HANDLER: 0
; COMPUTE_PGM_RSRC2:TGID_X_EN: 1
; COMPUTE_PGM_RSRC2:TGID_Y_EN: 0
; COMPUTE_PGM_RSRC2:TGID_Z_EN: 0
; COMPUTE_PGM_RSRC2:TIDIG_COMP_CNT: 0
	.section	.text._ZN7rocprim17ROCPRIM_400000_NS6detail17trampoline_kernelINS0_14default_configENS1_35radix_sort_onesweep_config_selectorIiNS0_10empty_typeEEEZZNS1_29radix_sort_onesweep_iterationIS3_Lb0EN6thrust23THRUST_200600_302600_NS6detail15normal_iteratorINS9_10device_ptrIiEEEESE_PS5_SF_jNS0_19identity_decomposerENS1_16block_id_wrapperIjLb1EEEEE10hipError_tT1_PNSt15iterator_traitsISK_E10value_typeET2_T3_PNSL_ISQ_E10value_typeET4_T5_PSV_SW_PNS1_23onesweep_lookback_stateEbbT6_jjT7_P12ihipStream_tbENKUlT_T0_SK_SP_E_clISE_PiSF_SF_EEDaS13_S14_SK_SP_EUlS13_E_NS1_11comp_targetILNS1_3genE8ELNS1_11target_archE1030ELNS1_3gpuE2ELNS1_3repE0EEENS1_47radix_sort_onesweep_sort_config_static_selectorELNS0_4arch9wavefront6targetE0EEEvSK_,"axG",@progbits,_ZN7rocprim17ROCPRIM_400000_NS6detail17trampoline_kernelINS0_14default_configENS1_35radix_sort_onesweep_config_selectorIiNS0_10empty_typeEEEZZNS1_29radix_sort_onesweep_iterationIS3_Lb0EN6thrust23THRUST_200600_302600_NS6detail15normal_iteratorINS9_10device_ptrIiEEEESE_PS5_SF_jNS0_19identity_decomposerENS1_16block_id_wrapperIjLb1EEEEE10hipError_tT1_PNSt15iterator_traitsISK_E10value_typeET2_T3_PNSL_ISQ_E10value_typeET4_T5_PSV_SW_PNS1_23onesweep_lookback_stateEbbT6_jjT7_P12ihipStream_tbENKUlT_T0_SK_SP_E_clISE_PiSF_SF_EEDaS13_S14_SK_SP_EUlS13_E_NS1_11comp_targetILNS1_3genE8ELNS1_11target_archE1030ELNS1_3gpuE2ELNS1_3repE0EEENS1_47radix_sort_onesweep_sort_config_static_selectorELNS0_4arch9wavefront6targetE0EEEvSK_,comdat
	.protected	_ZN7rocprim17ROCPRIM_400000_NS6detail17trampoline_kernelINS0_14default_configENS1_35radix_sort_onesweep_config_selectorIiNS0_10empty_typeEEEZZNS1_29radix_sort_onesweep_iterationIS3_Lb0EN6thrust23THRUST_200600_302600_NS6detail15normal_iteratorINS9_10device_ptrIiEEEESE_PS5_SF_jNS0_19identity_decomposerENS1_16block_id_wrapperIjLb1EEEEE10hipError_tT1_PNSt15iterator_traitsISK_E10value_typeET2_T3_PNSL_ISQ_E10value_typeET4_T5_PSV_SW_PNS1_23onesweep_lookback_stateEbbT6_jjT7_P12ihipStream_tbENKUlT_T0_SK_SP_E_clISE_PiSF_SF_EEDaS13_S14_SK_SP_EUlS13_E_NS1_11comp_targetILNS1_3genE8ELNS1_11target_archE1030ELNS1_3gpuE2ELNS1_3repE0EEENS1_47radix_sort_onesweep_sort_config_static_selectorELNS0_4arch9wavefront6targetE0EEEvSK_ ; -- Begin function _ZN7rocprim17ROCPRIM_400000_NS6detail17trampoline_kernelINS0_14default_configENS1_35radix_sort_onesweep_config_selectorIiNS0_10empty_typeEEEZZNS1_29radix_sort_onesweep_iterationIS3_Lb0EN6thrust23THRUST_200600_302600_NS6detail15normal_iteratorINS9_10device_ptrIiEEEESE_PS5_SF_jNS0_19identity_decomposerENS1_16block_id_wrapperIjLb1EEEEE10hipError_tT1_PNSt15iterator_traitsISK_E10value_typeET2_T3_PNSL_ISQ_E10value_typeET4_T5_PSV_SW_PNS1_23onesweep_lookback_stateEbbT6_jjT7_P12ihipStream_tbENKUlT_T0_SK_SP_E_clISE_PiSF_SF_EEDaS13_S14_SK_SP_EUlS13_E_NS1_11comp_targetILNS1_3genE8ELNS1_11target_archE1030ELNS1_3gpuE2ELNS1_3repE0EEENS1_47radix_sort_onesweep_sort_config_static_selectorELNS0_4arch9wavefront6targetE0EEEvSK_
	.globl	_ZN7rocprim17ROCPRIM_400000_NS6detail17trampoline_kernelINS0_14default_configENS1_35radix_sort_onesweep_config_selectorIiNS0_10empty_typeEEEZZNS1_29radix_sort_onesweep_iterationIS3_Lb0EN6thrust23THRUST_200600_302600_NS6detail15normal_iteratorINS9_10device_ptrIiEEEESE_PS5_SF_jNS0_19identity_decomposerENS1_16block_id_wrapperIjLb1EEEEE10hipError_tT1_PNSt15iterator_traitsISK_E10value_typeET2_T3_PNSL_ISQ_E10value_typeET4_T5_PSV_SW_PNS1_23onesweep_lookback_stateEbbT6_jjT7_P12ihipStream_tbENKUlT_T0_SK_SP_E_clISE_PiSF_SF_EEDaS13_S14_SK_SP_EUlS13_E_NS1_11comp_targetILNS1_3genE8ELNS1_11target_archE1030ELNS1_3gpuE2ELNS1_3repE0EEENS1_47radix_sort_onesweep_sort_config_static_selectorELNS0_4arch9wavefront6targetE0EEEvSK_
	.p2align	8
	.type	_ZN7rocprim17ROCPRIM_400000_NS6detail17trampoline_kernelINS0_14default_configENS1_35radix_sort_onesweep_config_selectorIiNS0_10empty_typeEEEZZNS1_29radix_sort_onesweep_iterationIS3_Lb0EN6thrust23THRUST_200600_302600_NS6detail15normal_iteratorINS9_10device_ptrIiEEEESE_PS5_SF_jNS0_19identity_decomposerENS1_16block_id_wrapperIjLb1EEEEE10hipError_tT1_PNSt15iterator_traitsISK_E10value_typeET2_T3_PNSL_ISQ_E10value_typeET4_T5_PSV_SW_PNS1_23onesweep_lookback_stateEbbT6_jjT7_P12ihipStream_tbENKUlT_T0_SK_SP_E_clISE_PiSF_SF_EEDaS13_S14_SK_SP_EUlS13_E_NS1_11comp_targetILNS1_3genE8ELNS1_11target_archE1030ELNS1_3gpuE2ELNS1_3repE0EEENS1_47radix_sort_onesweep_sort_config_static_selectorELNS0_4arch9wavefront6targetE0EEEvSK_,@function
_ZN7rocprim17ROCPRIM_400000_NS6detail17trampoline_kernelINS0_14default_configENS1_35radix_sort_onesweep_config_selectorIiNS0_10empty_typeEEEZZNS1_29radix_sort_onesweep_iterationIS3_Lb0EN6thrust23THRUST_200600_302600_NS6detail15normal_iteratorINS9_10device_ptrIiEEEESE_PS5_SF_jNS0_19identity_decomposerENS1_16block_id_wrapperIjLb1EEEEE10hipError_tT1_PNSt15iterator_traitsISK_E10value_typeET2_T3_PNSL_ISQ_E10value_typeET4_T5_PSV_SW_PNS1_23onesweep_lookback_stateEbbT6_jjT7_P12ihipStream_tbENKUlT_T0_SK_SP_E_clISE_PiSF_SF_EEDaS13_S14_SK_SP_EUlS13_E_NS1_11comp_targetILNS1_3genE8ELNS1_11target_archE1030ELNS1_3gpuE2ELNS1_3repE0EEENS1_47radix_sort_onesweep_sort_config_static_selectorELNS0_4arch9wavefront6targetE0EEEvSK_: ; @_ZN7rocprim17ROCPRIM_400000_NS6detail17trampoline_kernelINS0_14default_configENS1_35radix_sort_onesweep_config_selectorIiNS0_10empty_typeEEEZZNS1_29radix_sort_onesweep_iterationIS3_Lb0EN6thrust23THRUST_200600_302600_NS6detail15normal_iteratorINS9_10device_ptrIiEEEESE_PS5_SF_jNS0_19identity_decomposerENS1_16block_id_wrapperIjLb1EEEEE10hipError_tT1_PNSt15iterator_traitsISK_E10value_typeET2_T3_PNSL_ISQ_E10value_typeET4_T5_PSV_SW_PNS1_23onesweep_lookback_stateEbbT6_jjT7_P12ihipStream_tbENKUlT_T0_SK_SP_E_clISE_PiSF_SF_EEDaS13_S14_SK_SP_EUlS13_E_NS1_11comp_targetILNS1_3genE8ELNS1_11target_archE1030ELNS1_3gpuE2ELNS1_3repE0EEENS1_47radix_sort_onesweep_sort_config_static_selectorELNS0_4arch9wavefront6targetE0EEEvSK_
; %bb.0:
	s_clause 0x2
	s_load_dwordx4 s[12:15], s[4:5], 0x28
	s_load_dwordx2 s[10:11], s[4:5], 0x38
	s_load_dwordx4 s[20:23], s[4:5], 0x44
	v_cmp_eq_u32_e64 s0, 0, v0
	s_and_saveexec_b32 s1, s0
	s_cbranch_execz .LBB176_4
; %bb.1:
	s_mov_b32 s3, exec_lo
	s_mov_b32 s2, exec_lo
	v_mbcnt_lo_u32_b32 v3, s3, 0
                                        ; implicit-def: $vgpr4
	v_cmpx_eq_u32_e32 0, v3
	s_cbranch_execz .LBB176_3
; %bb.2:
	s_load_dwordx2 s[8:9], s[4:5], 0x50
	s_bcnt1_i32_b32 s3, s3
	v_mov_b32_e32 v4, 0
	v_mov_b32_e32 v5, s3
	s_waitcnt lgkmcnt(0)
	global_atomic_add v4, v4, v5, s[8:9] glc
.LBB176_3:
	s_or_b32 exec_lo, exec_lo, s2
	s_waitcnt vmcnt(0)
	v_readfirstlane_b32 s2, v4
	v_mov_b32_e32 v4, 0
	v_add_nc_u32_e32 v3, s2, v3
	ds_write_b32 v4, v3 offset:36992
.LBB176_4:
	s_or_b32 exec_lo, exec_lo, s1
	v_mov_b32_e32 v3, 0
	s_clause 0x1
	s_load_dwordx4 s[16:19], s[4:5], 0x0
	s_load_dword s1, s[4:5], 0x20
	s_waitcnt lgkmcnt(0)
	s_barrier
	buffer_gl0_inv
	ds_read_b32 v3, v3 offset:36992
	v_mbcnt_lo_u32_b32 v12, -1, 0
	v_lshlrev_b32_e32 v11, 2, v0
	s_mov_b32 s2, -1
	s_waitcnt lgkmcnt(0)
	s_barrier
	buffer_gl0_inv
	v_cmp_le_u32_e32 vcc_lo, s22, v3
	v_readfirstlane_b32 s23, v3
	s_cbranch_vccz .LBB176_52
; %bb.5:
	s_lshl_b32 s3, s22, 12
	s_lshl_b32 s2, s23, 12
	s_sub_i32 s22, s1, s3
	s_mov_b32 s3, 0
	v_and_b32_e32 v3, 0xf80, v11
	v_lshlrev_b32_e32 v4, 2, v12
	s_lshl_b64 s[2:3], s[2:3], 2
	s_add_u32 s1, s16, s2
	s_addc_u32 s2, s17, s3
	v_lshlrev_b32_e32 v5, 2, v3
	v_add_co_u32 v4, s1, s1, v4
	v_add_co_ci_u32_e64 v6, null, s2, 0, s1
	v_or_b32_e32 v9, v12, v3
	v_bfrev_b32_e32 v3, -2
	v_add_co_u32 v7, vcc_lo, v4, v5
	v_add_co_ci_u32_e64 v8, null, 0, v6, vcc_lo
	v_mov_b32_e32 v4, v3
	v_mov_b32_e32 v5, v3
	;; [unrolled: 1-line block ×3, first 2 shown]
	s_mov_b32 s1, exec_lo
	v_cmpx_gt_u32_e64 s22, v9
	s_cbranch_execz .LBB176_7
; %bb.6:
	global_load_dword v13, v[7:8], off
	v_mov_b32_e32 v14, v3
	v_mov_b32_e32 v15, v3
	;; [unrolled: 1-line block ×3, first 2 shown]
	s_waitcnt vmcnt(0)
	v_mov_b32_e32 v3, v13
	v_mov_b32_e32 v4, v14
	;; [unrolled: 1-line block ×4, first 2 shown]
.LBB176_7:
	s_or_b32 exec_lo, exec_lo, s1
	v_or_b32_e32 v10, 32, v9
	s_mov_b32 s1, exec_lo
	v_cmpx_gt_u32_e64 s22, v10
	s_cbranch_execz .LBB176_9
; %bb.8:
	global_load_dword v4, v[7:8], off offset:128
.LBB176_9:
	s_or_b32 exec_lo, exec_lo, s1
	v_or_b32_e32 v10, 64, v9
	s_mov_b32 s1, exec_lo
	v_cmpx_gt_u32_e64 s22, v10
	s_cbranch_execz .LBB176_11
; %bb.10:
	global_load_dword v5, v[7:8], off offset:256
.LBB176_11:
	;; [unrolled: 8-line block ×3, first 2 shown]
	s_or_b32 exec_lo, exec_lo, s1
	s_clause 0x1
	s_load_dword s1, s[4:5], 0x64
	s_load_dword s24, s[4:5], 0x58
	s_add_u32 s2, s4, 0x58
	s_addc_u32 s3, s5, 0
	v_mov_b32_e32 v10, 0
	v_xor_b32_e32 v13, 0x80000000, v3
	v_lshrrev_b32_e32 v3, s20, v13
	s_waitcnt lgkmcnt(0)
	s_lshr_b32 s7, s1, 16
	s_cmp_lt_u32 s6, s24
	s_cselect_b32 s1, 12, 18
	s_add_u32 s2, s2, s1
	s_addc_u32 s3, s3, 0
	s_lshl_b32 s1, -1, s21
	global_load_ushort v7, v10, s[2:3]
	s_not_b32 s25, s1
	v_and_b32_e32 v3, s25, v3
	v_and_b32_e32 v8, 1, v3
	v_lshlrev_b32_e32 v9, 30, v3
	v_lshlrev_b32_e32 v14, 29, v3
	;; [unrolled: 1-line block ×4, first 2 shown]
	v_add_co_u32 v8, s1, v8, -1
	v_cndmask_b32_e64 v15, 0, 1, s1
	v_not_b32_e32 v19, v9
	v_cmp_gt_i32_e64 s1, 0, v9
	v_not_b32_e32 v9, v14
	v_lshlrev_b32_e32 v18, 26, v3
	v_cmp_ne_u32_e32 vcc_lo, 0, v15
	v_ashrrev_i32_e32 v19, 31, v19
	v_lshlrev_b32_e32 v15, 25, v3
	v_ashrrev_i32_e32 v9, 31, v9
	v_xor_b32_e32 v8, vcc_lo, v8
	v_cmp_gt_i32_e32 vcc_lo, 0, v14
	v_not_b32_e32 v14, v16
	v_xor_b32_e32 v19, s1, v19
	v_cmp_gt_i32_e64 s1, 0, v16
	v_and_b32_e32 v8, exec_lo, v8
	v_not_b32_e32 v16, v17
	v_ashrrev_i32_e32 v14, 31, v14
	v_xor_b32_e32 v9, vcc_lo, v9
	v_cmp_gt_i32_e32 vcc_lo, 0, v17
	v_and_b32_e32 v8, v8, v19
	v_not_b32_e32 v17, v18
	v_ashrrev_i32_e32 v16, 31, v16
	v_xor_b32_e32 v14, s1, v14
	v_cmp_gt_i32_e64 s1, 0, v18
	v_and_b32_e32 v8, v8, v9
	v_not_b32_e32 v9, v15
	v_ashrrev_i32_e32 v17, 31, v17
	v_xor_b32_e32 v16, vcc_lo, v16
	v_cmp_gt_i32_e32 vcc_lo, 0, v15
	v_and_b32_e32 v8, v8, v14
	v_lshlrev_b32_e32 v14, 24, v3
	v_ashrrev_i32_e32 v9, 31, v9
	v_xor_b32_e32 v15, s1, v17
	v_and_b32_e32 v8, v8, v16
	v_not_b32_e32 v16, v14
	v_xor_b32_e32 v9, vcc_lo, v9
	v_cmp_gt_i32_e32 vcc_lo, 0, v14
	v_and_b32_e32 v8, v8, v15
	v_mad_u32_u24 v15, v2, s7, v1
	v_ashrrev_i32_e32 v14, 31, v16
	v_mul_u32_u24_e32 v16, 36, v0
	v_and_b32_e32 v17, v8, v9
	ds_write2_b32 v16, v10, v10 offset0:32 offset1:33
	ds_write2_b32 v16, v10, v10 offset0:34 offset1:35
	;; [unrolled: 1-line block ×4, first 2 shown]
	ds_write_b32 v16, v10 offset:160
	s_waitcnt vmcnt(0) lgkmcnt(0)
	s_barrier
	buffer_gl0_inv
	; wave barrier
	v_mad_u64_u32 v[8:9], null, v15, v7, v[0:1]
	v_xor_b32_e32 v7, vcc_lo, v14
	v_mul_lo_u32 v9, 0x84, v3
	v_and_b32_e32 v7, v17, v7
	v_lshrrev_b32_e32 v8, 3, v8
	v_mbcnt_lo_u32_b32 v14, v7, 0
	v_and_b32_e32 v3, 0x1ffffffc, v8
	v_cmp_ne_u32_e64 s1, 0, v7
	v_cmp_eq_u32_e32 vcc_lo, 0, v14
	v_add_nc_u32_e32 v17, v3, v9
	s_and_b32 s2, s1, vcc_lo
	s_and_saveexec_b32 s1, s2
; %bb.14:
	v_bcnt_u32_b32 v7, v7, 0
	ds_write_b32 v17, v7 offset:128
; %bb.15:
	s_or_b32 exec_lo, exec_lo, s1
	v_xor_b32_e32 v15, 0x80000000, v4
	; wave barrier
	v_lshrrev_b32_e32 v4, s20, v15
	v_and_b32_e32 v4, s25, v4
	v_and_b32_e32 v8, 1, v4
	v_lshlrev_b32_e32 v9, 30, v4
	v_lshlrev_b32_e32 v10, 29, v4
	;; [unrolled: 1-line block ×4, first 2 shown]
	v_add_co_u32 v8, s1, v8, -1
	v_cndmask_b32_e64 v19, 0, 1, s1
	v_not_b32_e32 v23, v9
	v_cmp_gt_i32_e64 s1, 0, v9
	v_not_b32_e32 v9, v10
	v_lshlrev_b32_e32 v21, 26, v4
	v_cmp_ne_u32_e32 vcc_lo, 0, v19
	v_ashrrev_i32_e32 v19, 31, v23
	v_lshlrev_b32_e32 v22, 25, v4
	v_ashrrev_i32_e32 v9, 31, v9
	v_mul_lo_u32 v7, 0x84, v4
	v_xor_b32_e32 v8, vcc_lo, v8
	v_cmp_gt_i32_e32 vcc_lo, 0, v10
	v_not_b32_e32 v10, v18
	v_xor_b32_e32 v19, s1, v19
	v_cmp_gt_i32_e64 s1, 0, v18
	v_and_b32_e32 v8, exec_lo, v8
	v_not_b32_e32 v18, v20
	v_ashrrev_i32_e32 v10, 31, v10
	v_xor_b32_e32 v9, vcc_lo, v9
	v_cmp_gt_i32_e32 vcc_lo, 0, v20
	v_and_b32_e32 v8, v8, v19
	v_not_b32_e32 v19, v21
	v_ashrrev_i32_e32 v18, 31, v18
	v_xor_b32_e32 v10, s1, v10
	v_lshlrev_b32_e32 v4, 24, v4
	v_and_b32_e32 v8, v8, v9
	v_cmp_gt_i32_e64 s1, 0, v21
	v_not_b32_e32 v9, v22
	v_ashrrev_i32_e32 v19, 31, v19
	v_xor_b32_e32 v18, vcc_lo, v18
	v_and_b32_e32 v8, v8, v10
	v_cmp_gt_i32_e32 vcc_lo, 0, v22
	v_not_b32_e32 v10, v4
	v_ashrrev_i32_e32 v9, 31, v9
	v_xor_b32_e32 v19, s1, v19
	v_and_b32_e32 v8, v8, v18
	v_cmp_gt_i32_e64 s1, 0, v4
	v_ashrrev_i32_e32 v4, 31, v10
	v_xor_b32_e32 v9, vcc_lo, v9
	v_add_nc_u32_e32 v21, v3, v7
	v_and_b32_e32 v8, v8, v19
	v_xor_b32_e32 v4, s1, v4
	ds_read_b32 v18, v21 offset:128
	v_and_b32_e32 v7, v8, v9
	; wave barrier
	v_and_b32_e32 v4, v7, v4
	v_mbcnt_lo_u32_b32 v20, v4, 0
	v_cmp_ne_u32_e64 s1, 0, v4
	v_cmp_eq_u32_e32 vcc_lo, 0, v20
	s_and_b32 s2, s1, vcc_lo
	s_and_saveexec_b32 s1, s2
	s_cbranch_execz .LBB176_17
; %bb.16:
	s_waitcnt lgkmcnt(0)
	v_bcnt_u32_b32 v4, v4, v18
	ds_write_b32 v21, v4 offset:128
.LBB176_17:
	s_or_b32 exec_lo, exec_lo, s1
	v_xor_b32_e32 v19, 0x80000000, v5
	; wave barrier
	v_lshrrev_b32_e32 v4, s20, v19
	v_and_b32_e32 v4, s25, v4
	v_and_b32_e32 v7, 1, v4
	v_lshlrev_b32_e32 v8, 30, v4
	v_lshlrev_b32_e32 v9, 29, v4
	;; [unrolled: 1-line block ×4, first 2 shown]
	v_add_co_u32 v7, s1, v7, -1
	v_cndmask_b32_e64 v22, 0, 1, s1
	v_not_b32_e32 v26, v8
	v_cmp_gt_i32_e64 s1, 0, v8
	v_not_b32_e32 v8, v9
	v_lshlrev_b32_e32 v24, 26, v4
	v_cmp_ne_u32_e32 vcc_lo, 0, v22
	v_ashrrev_i32_e32 v22, 31, v26
	v_lshlrev_b32_e32 v25, 25, v4
	v_ashrrev_i32_e32 v8, 31, v8
	v_mul_lo_u32 v5, 0x84, v4
	v_xor_b32_e32 v7, vcc_lo, v7
	v_cmp_gt_i32_e32 vcc_lo, 0, v9
	v_not_b32_e32 v9, v10
	v_xor_b32_e32 v22, s1, v22
	v_cmp_gt_i32_e64 s1, 0, v10
	v_and_b32_e32 v7, exec_lo, v7
	v_not_b32_e32 v10, v23
	v_ashrrev_i32_e32 v9, 31, v9
	v_xor_b32_e32 v8, vcc_lo, v8
	v_cmp_gt_i32_e32 vcc_lo, 0, v23
	v_and_b32_e32 v7, v7, v22
	v_not_b32_e32 v22, v24
	v_ashrrev_i32_e32 v10, 31, v10
	v_xor_b32_e32 v9, s1, v9
	v_lshlrev_b32_e32 v4, 24, v4
	v_and_b32_e32 v7, v7, v8
	v_cmp_gt_i32_e64 s1, 0, v24
	v_not_b32_e32 v8, v25
	v_ashrrev_i32_e32 v22, 31, v22
	v_xor_b32_e32 v10, vcc_lo, v10
	v_and_b32_e32 v7, v7, v9
	v_cmp_gt_i32_e32 vcc_lo, 0, v25
	v_not_b32_e32 v9, v4
	v_ashrrev_i32_e32 v8, 31, v8
	v_xor_b32_e32 v22, s1, v22
	v_and_b32_e32 v7, v7, v10
	v_cmp_gt_i32_e64 s1, 0, v4
	v_ashrrev_i32_e32 v4, 31, v9
	v_xor_b32_e32 v8, vcc_lo, v8
	v_add_nc_u32_e32 v25, v3, v5
	v_and_b32_e32 v7, v7, v22
	v_xor_b32_e32 v4, s1, v4
	ds_read_b32 v22, v25 offset:128
	v_and_b32_e32 v5, v7, v8
	; wave barrier
	v_and_b32_e32 v4, v5, v4
	v_mbcnt_lo_u32_b32 v24, v4, 0
	v_cmp_ne_u32_e64 s1, 0, v4
	v_cmp_eq_u32_e32 vcc_lo, 0, v24
	s_and_b32 s2, s1, vcc_lo
	s_and_saveexec_b32 s1, s2
	s_cbranch_execz .LBB176_19
; %bb.18:
	s_waitcnt lgkmcnt(0)
	v_bcnt_u32_b32 v4, v4, v22
	ds_write_b32 v25, v4 offset:128
.LBB176_19:
	s_or_b32 exec_lo, exec_lo, s1
	v_xor_b32_e32 v23, 0x80000000, v6
	; wave barrier
	v_lshrrev_b32_e32 v4, s20, v23
	v_and_b32_e32 v4, s25, v4
	v_and_b32_e32 v6, 1, v4
	v_lshlrev_b32_e32 v7, 30, v4
	v_lshlrev_b32_e32 v8, 29, v4
	;; [unrolled: 1-line block ×4, first 2 shown]
	v_add_co_u32 v6, s1, v6, -1
	v_cndmask_b32_e64 v10, 0, 1, s1
	v_not_b32_e32 v29, v7
	v_cmp_gt_i32_e64 s1, 0, v7
	v_not_b32_e32 v7, v8
	v_lshlrev_b32_e32 v27, 26, v4
	v_cmp_ne_u32_e32 vcc_lo, 0, v10
	v_ashrrev_i32_e32 v10, 31, v29
	v_lshlrev_b32_e32 v28, 25, v4
	v_ashrrev_i32_e32 v7, 31, v7
	v_mul_lo_u32 v5, 0x84, v4
	v_xor_b32_e32 v6, vcc_lo, v6
	v_cmp_gt_i32_e32 vcc_lo, 0, v8
	v_not_b32_e32 v8, v9
	v_xor_b32_e32 v10, s1, v10
	v_cmp_gt_i32_e64 s1, 0, v9
	v_and_b32_e32 v6, exec_lo, v6
	v_not_b32_e32 v9, v26
	v_ashrrev_i32_e32 v8, 31, v8
	v_xor_b32_e32 v7, vcc_lo, v7
	v_cmp_gt_i32_e32 vcc_lo, 0, v26
	v_and_b32_e32 v6, v6, v10
	v_not_b32_e32 v10, v27
	v_ashrrev_i32_e32 v9, 31, v9
	v_xor_b32_e32 v8, s1, v8
	v_lshlrev_b32_e32 v4, 24, v4
	v_and_b32_e32 v6, v6, v7
	v_cmp_gt_i32_e64 s1, 0, v27
	v_not_b32_e32 v7, v28
	v_ashrrev_i32_e32 v10, 31, v10
	v_xor_b32_e32 v9, vcc_lo, v9
	v_and_b32_e32 v6, v6, v8
	v_cmp_gt_i32_e32 vcc_lo, 0, v28
	v_not_b32_e32 v8, v4
	v_ashrrev_i32_e32 v7, 31, v7
	v_xor_b32_e32 v10, s1, v10
	v_and_b32_e32 v6, v6, v9
	v_cmp_gt_i32_e64 s1, 0, v4
	v_ashrrev_i32_e32 v4, 31, v8
	v_xor_b32_e32 v7, vcc_lo, v7
	v_add_nc_u32_e32 v28, v3, v5
	v_and_b32_e32 v6, v6, v10
	v_xor_b32_e32 v3, s1, v4
	ds_read_b32 v26, v28 offset:128
	v_and_b32_e32 v4, v6, v7
	; wave barrier
	v_and_b32_e32 v3, v4, v3
	v_mbcnt_lo_u32_b32 v27, v3, 0
	v_cmp_ne_u32_e64 s1, 0, v3
	v_cmp_eq_u32_e32 vcc_lo, 0, v27
	s_and_b32 s2, s1, vcc_lo
	s_and_saveexec_b32 s1, s2
	s_cbranch_execz .LBB176_21
; %bb.20:
	s_waitcnt lgkmcnt(0)
	v_bcnt_u32_b32 v3, v3, v26
	ds_write_b32 v28, v3 offset:128
.LBB176_21:
	s_or_b32 exec_lo, exec_lo, s1
	; wave barrier
	s_waitcnt lgkmcnt(0)
	s_barrier
	buffer_gl0_inv
	ds_read2_b32 v[9:10], v16 offset0:32 offset1:33
	ds_read2_b32 v[7:8], v16 offset0:34 offset1:35
	ds_read2_b32 v[5:6], v16 offset0:36 offset1:37
	ds_read2_b32 v[3:4], v16 offset0:38 offset1:39
	ds_read_b32 v29, v16 offset:160
	v_and_b32_e32 v32, 16, v12
	v_and_b32_e32 v33, 31, v0
	s_mov_b32 s9, exec_lo
	v_cmp_eq_u32_e64 s7, 0, v32
	s_waitcnt lgkmcnt(3)
	v_add3_u32 v30, v10, v9, v7
	s_waitcnt lgkmcnt(2)
	v_add3_u32 v30, v30, v8, v5
	;; [unrolled: 2-line block ×4, first 2 shown]
	v_and_b32_e32 v30, 15, v12
	v_mov_b32_dpp v31, v29 row_shr:1 row_mask:0xf bank_mask:0xf
	v_cmp_eq_u32_e32 vcc_lo, 0, v30
	v_cmp_lt_u32_e64 s1, 1, v30
	v_cmp_lt_u32_e64 s2, 3, v30
	;; [unrolled: 1-line block ×3, first 2 shown]
	v_cndmask_b32_e64 v31, v31, 0, vcc_lo
	v_add_nc_u32_e32 v29, v31, v29
	v_mov_b32_dpp v31, v29 row_shr:2 row_mask:0xf bank_mask:0xf
	v_cndmask_b32_e64 v31, 0, v31, s1
	v_add_nc_u32_e32 v29, v29, v31
	v_mov_b32_dpp v31, v29 row_shr:4 row_mask:0xf bank_mask:0xf
	v_cndmask_b32_e64 v31, 0, v31, s2
	;; [unrolled: 3-line block ×3, first 2 shown]
	v_bfe_i32 v31, v12, 4, 1
	v_add_nc_u32_e32 v29, v29, v30
	ds_swizzle_b32 v30, v29 offset:swizzle(BROADCAST,32,15)
	s_waitcnt lgkmcnt(0)
	v_and_b32_e32 v31, v31, v30
	v_lshrrev_b32_e32 v30, 5, v0
	v_add_nc_u32_e32 v29, v29, v31
	v_cmpx_eq_u32_e32 31, v33
; %bb.22:
	v_lshlrev_b32_e32 v31, 2, v30
	ds_write_b32 v31, v29
; %bb.23:
	s_or_b32 exec_lo, exec_lo, s9
	v_cmp_lt_u32_e64 s8, 31, v0
	s_mov_b32 s26, exec_lo
	s_waitcnt lgkmcnt(0)
	s_barrier
	buffer_gl0_inv
	v_cmpx_gt_u32_e32 32, v0
	s_cbranch_execz .LBB176_25
; %bb.24:
	ds_read_b32 v31, v11
	s_waitcnt lgkmcnt(0)
	v_mov_b32_dpp v32, v31 row_shr:1 row_mask:0xf bank_mask:0xf
	v_cndmask_b32_e64 v32, v32, 0, vcc_lo
	v_add_nc_u32_e32 v31, v32, v31
	v_mov_b32_dpp v32, v31 row_shr:2 row_mask:0xf bank_mask:0xf
	v_cndmask_b32_e64 v32, 0, v32, s1
	v_add_nc_u32_e32 v31, v31, v32
	v_mov_b32_dpp v32, v31 row_shr:4 row_mask:0xf bank_mask:0xf
	v_cndmask_b32_e64 v32, 0, v32, s2
	;; [unrolled: 3-line block ×3, first 2 shown]
	v_add_nc_u32_e32 v31, v31, v32
	ds_swizzle_b32 v32, v31 offset:swizzle(BROADCAST,32,15)
	s_waitcnt lgkmcnt(0)
	v_cndmask_b32_e64 v32, v32, 0, s7
	v_add_nc_u32_e32 v31, v31, v32
	ds_write_b32 v11, v31
.LBB176_25:
	s_or_b32 exec_lo, exec_lo, s26
	v_mov_b32_e32 v31, 0
	s_waitcnt lgkmcnt(0)
	s_barrier
	buffer_gl0_inv
	s_and_saveexec_b32 s1, s8
; %bb.26:
	v_lshl_add_u32 v30, v30, 2, -4
	ds_read_b32 v31, v30
; %bb.27:
	s_or_b32 exec_lo, exec_lo, s1
	v_sub_co_u32 v30, vcc_lo, v12, 1
	s_waitcnt lgkmcnt(0)
	v_add_nc_u32_e32 v29, v31, v29
	v_cmp_gt_i32_e64 s1, 0, v30
	v_cndmask_b32_e64 v30, v30, v12, s1
	v_cmp_gt_u32_e64 s1, 0x100, v0
	v_lshlrev_b32_e32 v30, 2, v30
	ds_bpermute_b32 v29, v30, v29
	s_waitcnt lgkmcnt(0)
	v_cndmask_b32_e32 v29, v29, v31, vcc_lo
	v_cmp_lt_u32_e32 vcc_lo, 0xff, v0
	v_cndmask_b32_e64 v29, v29, 0, s0
	v_add_nc_u32_e32 v9, v29, v9
	v_add_nc_u32_e32 v10, v9, v10
	;; [unrolled: 1-line block ×8, first 2 shown]
	ds_write2_b32 v16, v29, v9 offset0:32 offset1:33
	ds_write2_b32 v16, v10, v7 offset0:34 offset1:35
	;; [unrolled: 1-line block ×4, first 2 shown]
	ds_write_b32 v16, v4 offset:160
	s_waitcnt lgkmcnt(0)
	s_barrier
	buffer_gl0_inv
	ds_read_b32 v3, v17 offset:128
	ds_read_b32 v6, v21 offset:128
	;; [unrolled: 1-line block ×4, first 2 shown]
                                        ; implicit-def: $vgpr9
                                        ; implicit-def: $vgpr10
	s_and_saveexec_b32 s3, s1
	s_cbranch_execz .LBB176_31
; %bb.28:
	v_mul_u32_u24_e32 v7, 0x84, v0
	v_add_nc_u32_e32 v8, 1, v0
	s_mov_b32 s7, exec_lo
	ds_read_b32 v9, v7 offset:128
	v_mov_b32_e32 v7, 0x1000
	v_cmpx_ne_u32_e32 0x100, v8
; %bb.29:
	v_mul_u32_u24_e32 v7, 0x84, v8
	ds_read_b32 v7, v7 offset:128
; %bb.30:
	s_or_b32 exec_lo, exec_lo, s7
	s_waitcnt lgkmcnt(0)
	v_sub_nc_u32_e32 v10, v7, v9
.LBB176_31:
	s_or_b32 exec_lo, exec_lo, s3
	v_lshlrev_b32_e32 v7, 2, v14
	v_lshlrev_b32_e32 v8, 2, v20
	;; [unrolled: 1-line block ×5, first 2 shown]
	s_waitcnt lgkmcnt(0)
	v_lshlrev_b32_e32 v4, 2, v4
	v_lshlrev_b32_e32 v6, 2, v6
	;; [unrolled: 1-line block ×5, first 2 shown]
	v_lshl_add_u32 v3, v3, 2, v7
	v_add3_u32 v7, v18, v20, v4
	v_mov_b32_e32 v4, 0
	v_add3_u32 v6, v8, v14, v6
	v_add3_u32 v5, v16, v17, v5
	s_barrier
	buffer_gl0_inv
	ds_write_b32 v3, v13 offset:1024
	ds_write_b32 v6, v15 offset:1024
	;; [unrolled: 1-line block ×4, first 2 shown]
	s_and_saveexec_b32 s2, s1
	s_cbranch_execz .LBB176_41
; %bb.32:
	v_lshl_add_u32 v3, s23, 8, v0
	v_mov_b32_e32 v13, 0
	s_mov_b32 s3, 0
	s_mov_b32 s7, s23
	v_lshlrev_b64 v[5:6], 2, v[3:4]
	v_or_b32_e32 v3, 2.0, v10
	v_add_co_u32 v5, s1, s10, v5
	v_add_co_ci_u32_e64 v6, null, s11, v6, s1
                                        ; implicit-def: $sgpr1
	global_store_dword v[5:6], v3, off
	s_branch .LBB176_35
	.p2align	6
.LBB176_33:                             ;   in Loop: Header=BB176_35 Depth=1
	s_or_b32 exec_lo, exec_lo, s9
.LBB176_34:                             ;   in Loop: Header=BB176_35 Depth=1
	s_or_b32 exec_lo, exec_lo, s8
	v_and_b32_e32 v7, 0x3fffffff, v3
	v_cmp_gt_i32_e64 s1, -2.0, v3
	v_add_nc_u32_e32 v13, v7, v13
	s_and_b32 s8, exec_lo, s1
	s_or_b32 s3, s8, s3
	s_andn2_b32 exec_lo, exec_lo, s3
	s_cbranch_execz .LBB176_40
.LBB176_35:                             ; =>This Loop Header: Depth=1
                                        ;     Child Loop BB176_38 Depth 2
	s_or_b32 s1, s1, exec_lo
	s_cmp_eq_u32 s7, 0
	s_cbranch_scc1 .LBB176_39
; %bb.36:                               ;   in Loop: Header=BB176_35 Depth=1
	s_add_i32 s7, s7, -1
	s_mov_b32 s8, exec_lo
	v_lshl_or_b32 v3, s7, 8, v0
	v_lshlrev_b64 v[7:8], 2, v[3:4]
	v_add_co_u32 v7, s1, s10, v7
	v_add_co_ci_u32_e64 v8, null, s11, v8, s1
	global_load_dword v3, v[7:8], off glc dlc
	s_waitcnt vmcnt(0)
	v_cmpx_gt_u32_e32 2.0, v3
	s_cbranch_execz .LBB176_34
; %bb.37:                               ;   in Loop: Header=BB176_35 Depth=1
	s_mov_b32 s9, 0
.LBB176_38:                             ;   Parent Loop BB176_35 Depth=1
                                        ; =>  This Inner Loop Header: Depth=2
	global_load_dword v3, v[7:8], off glc dlc
	s_waitcnt vmcnt(0)
	v_cmp_lt_u32_e64 s1, 0x3fffffff, v3
	s_or_b32 s9, s1, s9
	s_andn2_b32 exec_lo, exec_lo, s9
	s_cbranch_execnz .LBB176_38
	s_branch .LBB176_33
.LBB176_39:                             ;   in Loop: Header=BB176_35 Depth=1
                                        ; implicit-def: $sgpr7
	s_and_b32 s8, exec_lo, s1
	s_or_b32 s3, s8, s3
	s_andn2_b32 exec_lo, exec_lo, s3
	s_cbranch_execnz .LBB176_35
.LBB176_40:
	s_or_b32 exec_lo, exec_lo, s3
	v_add_nc_u32_e32 v3, v13, v10
	v_sub_nc_u32_e32 v4, v13, v9
	v_or_b32_e32 v3, 0x80000000, v3
	global_store_dword v[5:6], v3, off
	global_load_dword v3, v11, s[12:13]
	s_waitcnt vmcnt(0)
	v_add_nc_u32_e32 v3, v4, v3
	ds_write_b32 v11, v3
.LBB176_41:
	s_or_b32 exec_lo, exec_lo, s2
	s_mov_b32 s2, exec_lo
	s_waitcnt lgkmcnt(0)
	s_waitcnt_vscnt null, 0x0
	s_barrier
	buffer_gl0_inv
	v_cmpx_gt_u32_e64 s22, v0
	s_cbranch_execz .LBB176_43
; %bb.42:
	ds_read_b32 v5, v11 offset:1024
	v_mov_b32_e32 v4, 0
	s_waitcnt lgkmcnt(0)
	v_lshrrev_b32_e32 v3, s20, v5
	v_xor_b32_e32 v5, 0x80000000, v5
	v_and_b32_e32 v3, s25, v3
	v_lshlrev_b32_e32 v3, 2, v3
	ds_read_b32 v3, v3
	s_waitcnt lgkmcnt(0)
	v_add_nc_u32_e32 v3, v3, v0
	v_lshlrev_b64 v[3:4], 2, v[3:4]
	v_add_co_u32 v3, s1, s18, v3
	v_add_co_ci_u32_e64 v4, null, s19, v4, s1
	global_store_dword v[3:4], v5, off
.LBB176_43:
	s_or_b32 exec_lo, exec_lo, s2
	v_or_b32_e32 v3, 0x400, v0
	s_mov_b32 s2, exec_lo
	v_cmpx_gt_u32_e64 s22, v3
	s_cbranch_execz .LBB176_45
; %bb.44:
	ds_read_b32 v5, v11 offset:5120
	s_waitcnt lgkmcnt(0)
	v_lshrrev_b32_e32 v4, s20, v5
	v_xor_b32_e32 v5, 0x80000000, v5
	v_and_b32_e32 v4, s25, v4
	v_lshlrev_b32_e32 v4, 2, v4
	ds_read_b32 v6, v4
	v_mov_b32_e32 v4, 0
	s_waitcnt lgkmcnt(0)
	v_add_nc_u32_e32 v3, v6, v3
	v_lshlrev_b64 v[3:4], 2, v[3:4]
	v_add_co_u32 v3, s1, s18, v3
	v_add_co_ci_u32_e64 v4, null, s19, v4, s1
	global_store_dword v[3:4], v5, off
.LBB176_45:
	s_or_b32 exec_lo, exec_lo, s2
	v_or_b32_e32 v3, 0x800, v0
	s_mov_b32 s2, exec_lo
	v_cmpx_gt_u32_e64 s22, v3
	s_cbranch_execz .LBB176_47
; %bb.46:
	ds_read_b32 v5, v11 offset:9216
	s_waitcnt lgkmcnt(0)
	v_lshrrev_b32_e32 v4, s20, v5
	v_xor_b32_e32 v5, 0x80000000, v5
	v_and_b32_e32 v4, s25, v4
	v_lshlrev_b32_e32 v4, 2, v4
	ds_read_b32 v6, v4
	v_mov_b32_e32 v4, 0
	s_waitcnt lgkmcnt(0)
	v_add_nc_u32_e32 v3, v6, v3
	v_lshlrev_b64 v[3:4], 2, v[3:4]
	v_add_co_u32 v3, s1, s18, v3
	v_add_co_ci_u32_e64 v4, null, s19, v4, s1
	global_store_dword v[3:4], v5, off
.LBB176_47:
	;; [unrolled: 21-line block ×3, first 2 shown]
	s_or_b32 exec_lo, exec_lo, s2
	s_add_i32 s24, s24, -1
	s_cmp_eq_u32 s23, s24
	s_cselect_b32 s1, -1, 0
	s_xor_b32 s2, vcc_lo, -1
	s_and_b32 s2, s2, s1
	s_and_saveexec_b32 s1, s2
	s_cbranch_execz .LBB176_51
; %bb.50:
	ds_read_b32 v3, v11
	s_waitcnt lgkmcnt(0)
	v_add3_u32 v3, v9, v10, v3
	global_store_dword v11, v3, s[14:15]
.LBB176_51:
	s_or_b32 exec_lo, exec_lo, s1
	s_mov_b32 s2, 0
.LBB176_52:
	s_and_b32 vcc_lo, exec_lo, s2
	s_cbranch_vccz .LBB176_83
; %bb.53:
	s_lshl_b32 s2, s23, 12
	s_mov_b32 s3, 0
	v_lshlrev_b32_e32 v3, 4, v0
	v_lshlrev_b32_e32 v4, 2, v12
	s_lshl_b64 s[2:3], s[2:3], 2
	v_mov_b32_e32 v13, 0
	s_add_u32 s1, s16, s2
	s_addc_u32 s2, s17, s3
	v_and_b32_e32 v3, 0x3e00, v3
	v_add_co_u32 v4, s1, s1, v4
	v_add_co_ci_u32_e64 v5, null, s2, 0, s1
	s_add_u32 s2, s4, 0x58
	v_add_co_u32 v6, vcc_lo, v4, v3
	v_add_co_ci_u32_e64 v7, null, 0, v5, vcc_lo
	s_addc_u32 s3, s5, 0
	global_load_dword v8, v[6:7], off
	s_clause 0x1
	s_load_dword s1, s[4:5], 0x64
	s_load_dword s7, s[4:5], 0x58
	s_waitcnt lgkmcnt(0)
	s_lshr_b32 s4, s1, 16
	s_cmp_lt_u32 s6, s7
	v_mad_u32_u24 v1, v2, s4, v1
	s_cselect_b32 s1, 12, 18
	s_add_u32 s2, s2, s1
	s_addc_u32 s3, s3, 0
	global_load_ushort v10, v13, s[2:3]
	s_clause 0x2
	global_load_dword v5, v[6:7], off offset:128
	global_load_dword v4, v[6:7], off offset:256
	;; [unrolled: 1-line block ×3, first 2 shown]
	s_lshl_b32 s1, -1, s21
	s_not_b32 s8, s1
	s_waitcnt vmcnt(4)
	v_xor_b32_e32 v9, 0x80000000, v8
	v_lshrrev_b32_e32 v6, s20, v9
	v_and_b32_e32 v6, s8, v6
	v_and_b32_e32 v7, 1, v6
	v_lshlrev_b32_e32 v8, 30, v6
	v_lshlrev_b32_e32 v14, 29, v6
	;; [unrolled: 1-line block ×4, first 2 shown]
	v_add_co_u32 v7, s1, v7, -1
	v_cndmask_b32_e64 v16, 0, 1, s1
	v_not_b32_e32 v20, v8
	v_cmp_gt_i32_e64 s1, 0, v8
	v_not_b32_e32 v8, v14
	v_lshlrev_b32_e32 v18, 26, v6
	v_cmp_ne_u32_e32 vcc_lo, 0, v16
	v_ashrrev_i32_e32 v20, 31, v20
	v_lshlrev_b32_e32 v19, 25, v6
	v_ashrrev_i32_e32 v8, 31, v8
	v_lshlrev_b32_e32 v16, 24, v6
	v_xor_b32_e32 v7, vcc_lo, v7
	v_cmp_gt_i32_e32 vcc_lo, 0, v14
	v_not_b32_e32 v14, v15
	v_xor_b32_e32 v20, s1, v20
	v_cmp_gt_i32_e64 s1, 0, v15
	v_and_b32_e32 v7, exec_lo, v7
	v_not_b32_e32 v15, v17
	v_ashrrev_i32_e32 v14, 31, v14
	v_xor_b32_e32 v8, vcc_lo, v8
	v_cmp_gt_i32_e32 vcc_lo, 0, v17
	v_and_b32_e32 v7, v7, v20
	v_not_b32_e32 v17, v18
	v_ashrrev_i32_e32 v15, 31, v15
	v_xor_b32_e32 v14, s1, v14
	v_cmp_gt_i32_e64 s1, 0, v18
	v_and_b32_e32 v7, v7, v8
	v_not_b32_e32 v8, v19
	v_ashrrev_i32_e32 v17, 31, v17
	v_xor_b32_e32 v15, vcc_lo, v15
	v_cmp_gt_i32_e32 vcc_lo, 0, v19
	v_and_b32_e32 v7, v7, v14
	v_not_b32_e32 v14, v16
	v_ashrrev_i32_e32 v8, 31, v8
	v_xor_b32_e32 v17, s1, v17
	v_cmp_gt_i32_e64 s1, 0, v16
	v_and_b32_e32 v7, v7, v15
	v_ashrrev_i32_e32 v15, 31, v14
	v_xor_b32_e32 v8, vcc_lo, v8
	s_waitcnt vmcnt(3)
	v_mad_u64_u32 v[1:2], null, v1, v10, v[0:1]
	v_and_b32_e32 v7, v7, v17
	v_xor_b32_e32 v2, s1, v15
	v_mul_lo_u32 v6, 0x84, v6
	v_mul_u32_u24_e32 v14, 36, v0
	v_and_b32_e32 v7, v7, v8
	v_lshrrev_b32_e32 v1, 3, v1
	ds_write2_b32 v14, v13, v13 offset0:32 offset1:33
	ds_write2_b32 v14, v13, v13 offset0:34 offset1:35
	;; [unrolled: 1-line block ×3, first 2 shown]
	v_and_b32_e32 v2, v7, v2
	v_and_b32_e32 v1, 0x1ffffffc, v1
	ds_write2_b32 v14, v13, v13 offset0:38 offset1:39
	ds_write_b32 v14, v13 offset:160
	s_waitcnt vmcnt(0) lgkmcnt(0)
	s_waitcnt_vscnt null, 0x0
	s_barrier
	v_mbcnt_lo_u32_b32 v10, v2, 0
	v_cmp_ne_u32_e64 s1, 0, v2
	v_add_nc_u32_e32 v15, v1, v6
	buffer_gl0_inv
	v_cmp_eq_u32_e32 vcc_lo, 0, v10
	; wave barrier
	s_and_b32 s2, s1, vcc_lo
	s_and_saveexec_b32 s1, s2
; %bb.54:
	v_bcnt_u32_b32 v2, v2, 0
	ds_write_b32 v15, v2 offset:128
; %bb.55:
	s_or_b32 exec_lo, exec_lo, s1
	v_xor_b32_e32 v13, 0x80000000, v5
	; wave barrier
	v_lshrrev_b32_e32 v2, s20, v13
	v_and_b32_e32 v2, s8, v2
	v_and_b32_e32 v6, 1, v2
	v_lshlrev_b32_e32 v7, 30, v2
	v_lshlrev_b32_e32 v8, 29, v2
	;; [unrolled: 1-line block ×4, first 2 shown]
	v_add_co_u32 v6, s1, v6, -1
	v_cndmask_b32_e64 v17, 0, 1, s1
	v_not_b32_e32 v21, v7
	v_cmp_gt_i32_e64 s1, 0, v7
	v_not_b32_e32 v7, v8
	v_lshlrev_b32_e32 v19, 26, v2
	v_cmp_ne_u32_e32 vcc_lo, 0, v17
	v_ashrrev_i32_e32 v17, 31, v21
	v_lshlrev_b32_e32 v20, 25, v2
	v_ashrrev_i32_e32 v7, 31, v7
	v_mul_lo_u32 v5, 0x84, v2
	v_xor_b32_e32 v6, vcc_lo, v6
	v_cmp_gt_i32_e32 vcc_lo, 0, v8
	v_not_b32_e32 v8, v16
	v_xor_b32_e32 v17, s1, v17
	v_cmp_gt_i32_e64 s1, 0, v16
	v_and_b32_e32 v6, exec_lo, v6
	v_not_b32_e32 v16, v18
	v_ashrrev_i32_e32 v8, 31, v8
	v_xor_b32_e32 v7, vcc_lo, v7
	v_cmp_gt_i32_e32 vcc_lo, 0, v18
	v_and_b32_e32 v6, v6, v17
	v_not_b32_e32 v17, v19
	v_ashrrev_i32_e32 v16, 31, v16
	v_xor_b32_e32 v8, s1, v8
	v_lshlrev_b32_e32 v2, 24, v2
	v_and_b32_e32 v6, v6, v7
	v_cmp_gt_i32_e64 s1, 0, v19
	v_not_b32_e32 v7, v20
	v_ashrrev_i32_e32 v17, 31, v17
	v_xor_b32_e32 v16, vcc_lo, v16
	v_and_b32_e32 v6, v6, v8
	v_cmp_gt_i32_e32 vcc_lo, 0, v20
	v_not_b32_e32 v8, v2
	v_ashrrev_i32_e32 v7, 31, v7
	v_xor_b32_e32 v17, s1, v17
	v_and_b32_e32 v6, v6, v16
	v_cmp_gt_i32_e64 s1, 0, v2
	v_ashrrev_i32_e32 v2, 31, v8
	v_xor_b32_e32 v7, vcc_lo, v7
	v_add_nc_u32_e32 v19, v1, v5
	v_and_b32_e32 v6, v6, v17
	v_xor_b32_e32 v2, s1, v2
	ds_read_b32 v16, v19 offset:128
	v_and_b32_e32 v5, v6, v7
	; wave barrier
	v_and_b32_e32 v2, v5, v2
	v_mbcnt_lo_u32_b32 v18, v2, 0
	v_cmp_ne_u32_e64 s1, 0, v2
	v_cmp_eq_u32_e32 vcc_lo, 0, v18
	s_and_b32 s2, s1, vcc_lo
	s_and_saveexec_b32 s1, s2
	s_cbranch_execz .LBB176_57
; %bb.56:
	s_waitcnt lgkmcnt(0)
	v_bcnt_u32_b32 v2, v2, v16
	ds_write_b32 v19, v2 offset:128
.LBB176_57:
	s_or_b32 exec_lo, exec_lo, s1
	v_xor_b32_e32 v17, 0x80000000, v4
	; wave barrier
	v_lshrrev_b32_e32 v2, s20, v17
	v_and_b32_e32 v2, s8, v2
	v_and_b32_e32 v5, 1, v2
	v_lshlrev_b32_e32 v6, 30, v2
	v_lshlrev_b32_e32 v7, 29, v2
	;; [unrolled: 1-line block ×4, first 2 shown]
	v_add_co_u32 v5, s1, v5, -1
	v_cndmask_b32_e64 v20, 0, 1, s1
	v_not_b32_e32 v24, v6
	v_cmp_gt_i32_e64 s1, 0, v6
	v_not_b32_e32 v6, v7
	v_lshlrev_b32_e32 v22, 26, v2
	v_cmp_ne_u32_e32 vcc_lo, 0, v20
	v_ashrrev_i32_e32 v20, 31, v24
	v_lshlrev_b32_e32 v23, 25, v2
	v_ashrrev_i32_e32 v6, 31, v6
	v_mul_lo_u32 v4, 0x84, v2
	v_xor_b32_e32 v5, vcc_lo, v5
	v_cmp_gt_i32_e32 vcc_lo, 0, v7
	v_not_b32_e32 v7, v8
	v_xor_b32_e32 v20, s1, v20
	v_cmp_gt_i32_e64 s1, 0, v8
	v_and_b32_e32 v5, exec_lo, v5
	v_not_b32_e32 v8, v21
	v_ashrrev_i32_e32 v7, 31, v7
	v_xor_b32_e32 v6, vcc_lo, v6
	v_cmp_gt_i32_e32 vcc_lo, 0, v21
	v_and_b32_e32 v5, v5, v20
	v_not_b32_e32 v20, v22
	v_ashrrev_i32_e32 v8, 31, v8
	v_xor_b32_e32 v7, s1, v7
	v_lshlrev_b32_e32 v2, 24, v2
	v_and_b32_e32 v5, v5, v6
	v_cmp_gt_i32_e64 s1, 0, v22
	v_not_b32_e32 v6, v23
	v_ashrrev_i32_e32 v20, 31, v20
	v_xor_b32_e32 v8, vcc_lo, v8
	v_and_b32_e32 v5, v5, v7
	v_cmp_gt_i32_e32 vcc_lo, 0, v23
	v_not_b32_e32 v7, v2
	v_ashrrev_i32_e32 v6, 31, v6
	v_xor_b32_e32 v20, s1, v20
	v_and_b32_e32 v5, v5, v8
	v_cmp_gt_i32_e64 s1, 0, v2
	v_ashrrev_i32_e32 v2, 31, v7
	v_xor_b32_e32 v6, vcc_lo, v6
	v_add_nc_u32_e32 v23, v1, v4
	v_and_b32_e32 v5, v5, v20
	v_xor_b32_e32 v2, s1, v2
	ds_read_b32 v20, v23 offset:128
	v_and_b32_e32 v4, v5, v6
	; wave barrier
	v_and_b32_e32 v2, v4, v2
	v_mbcnt_lo_u32_b32 v22, v2, 0
	v_cmp_ne_u32_e64 s1, 0, v2
	v_cmp_eq_u32_e32 vcc_lo, 0, v22
	s_and_b32 s2, s1, vcc_lo
	s_and_saveexec_b32 s1, s2
	s_cbranch_execz .LBB176_59
; %bb.58:
	s_waitcnt lgkmcnt(0)
	v_bcnt_u32_b32 v2, v2, v20
	ds_write_b32 v23, v2 offset:128
.LBB176_59:
	s_or_b32 exec_lo, exec_lo, s1
	v_xor_b32_e32 v21, 0x80000000, v3
	; wave barrier
	v_lshrrev_b32_e32 v2, s20, v21
	v_and_b32_e32 v2, s8, v2
	v_and_b32_e32 v4, 1, v2
	v_lshlrev_b32_e32 v5, 30, v2
	v_lshlrev_b32_e32 v6, 29, v2
	;; [unrolled: 1-line block ×4, first 2 shown]
	v_add_co_u32 v4, s1, v4, -1
	v_cndmask_b32_e64 v8, 0, 1, s1
	v_not_b32_e32 v27, v5
	v_cmp_gt_i32_e64 s1, 0, v5
	v_not_b32_e32 v5, v6
	v_lshlrev_b32_e32 v25, 26, v2
	v_cmp_ne_u32_e32 vcc_lo, 0, v8
	v_ashrrev_i32_e32 v8, 31, v27
	v_lshlrev_b32_e32 v26, 25, v2
	v_ashrrev_i32_e32 v5, 31, v5
	v_mul_lo_u32 v3, 0x84, v2
	v_xor_b32_e32 v4, vcc_lo, v4
	v_cmp_gt_i32_e32 vcc_lo, 0, v6
	v_not_b32_e32 v6, v7
	v_xor_b32_e32 v8, s1, v8
	v_cmp_gt_i32_e64 s1, 0, v7
	v_and_b32_e32 v4, exec_lo, v4
	v_not_b32_e32 v7, v24
	v_ashrrev_i32_e32 v6, 31, v6
	v_xor_b32_e32 v5, vcc_lo, v5
	v_cmp_gt_i32_e32 vcc_lo, 0, v24
	v_and_b32_e32 v4, v4, v8
	v_not_b32_e32 v8, v25
	v_ashrrev_i32_e32 v7, 31, v7
	v_xor_b32_e32 v6, s1, v6
	v_lshlrev_b32_e32 v2, 24, v2
	v_and_b32_e32 v4, v4, v5
	v_cmp_gt_i32_e64 s1, 0, v25
	v_not_b32_e32 v5, v26
	v_ashrrev_i32_e32 v8, 31, v8
	v_xor_b32_e32 v7, vcc_lo, v7
	v_and_b32_e32 v4, v4, v6
	v_cmp_gt_i32_e32 vcc_lo, 0, v26
	v_not_b32_e32 v6, v2
	v_ashrrev_i32_e32 v5, 31, v5
	v_xor_b32_e32 v8, s1, v8
	v_and_b32_e32 v4, v4, v7
	v_cmp_gt_i32_e64 s1, 0, v2
	v_ashrrev_i32_e32 v2, 31, v6
	v_xor_b32_e32 v5, vcc_lo, v5
	v_add_nc_u32_e32 v26, v1, v3
	v_and_b32_e32 v4, v4, v8
	v_xor_b32_e32 v1, s1, v2
	ds_read_b32 v24, v26 offset:128
	v_and_b32_e32 v2, v4, v5
	; wave barrier
	v_and_b32_e32 v1, v2, v1
	v_mbcnt_lo_u32_b32 v25, v1, 0
	v_cmp_ne_u32_e64 s1, 0, v1
	v_cmp_eq_u32_e32 vcc_lo, 0, v25
	s_and_b32 s2, s1, vcc_lo
	s_and_saveexec_b32 s1, s2
	s_cbranch_execz .LBB176_61
; %bb.60:
	s_waitcnt lgkmcnt(0)
	v_bcnt_u32_b32 v1, v1, v24
	ds_write_b32 v26, v1 offset:128
.LBB176_61:
	s_or_b32 exec_lo, exec_lo, s1
	; wave barrier
	s_waitcnt lgkmcnt(0)
	s_barrier
	buffer_gl0_inv
	ds_read2_b32 v[7:8], v14 offset0:32 offset1:33
	ds_read2_b32 v[5:6], v14 offset0:34 offset1:35
	;; [unrolled: 1-line block ×4, first 2 shown]
	ds_read_b32 v27, v14 offset:160
	v_and_b32_e32 v30, 16, v12
	v_and_b32_e32 v31, 31, v0
	s_mov_b32 s6, exec_lo
	v_cmp_eq_u32_e64 s4, 0, v30
	s_waitcnt lgkmcnt(3)
	v_add3_u32 v28, v8, v7, v5
	s_waitcnt lgkmcnt(2)
	v_add3_u32 v28, v28, v6, v3
	;; [unrolled: 2-line block ×4, first 2 shown]
	v_and_b32_e32 v28, 15, v12
	v_mov_b32_dpp v29, v27 row_shr:1 row_mask:0xf bank_mask:0xf
	v_cmp_eq_u32_e32 vcc_lo, 0, v28
	v_cmp_lt_u32_e64 s1, 1, v28
	v_cmp_lt_u32_e64 s2, 3, v28
	;; [unrolled: 1-line block ×3, first 2 shown]
	v_cndmask_b32_e64 v29, v29, 0, vcc_lo
	v_add_nc_u32_e32 v27, v29, v27
	v_mov_b32_dpp v29, v27 row_shr:2 row_mask:0xf bank_mask:0xf
	v_cndmask_b32_e64 v29, 0, v29, s1
	v_add_nc_u32_e32 v27, v27, v29
	v_mov_b32_dpp v29, v27 row_shr:4 row_mask:0xf bank_mask:0xf
	v_cndmask_b32_e64 v29, 0, v29, s2
	;; [unrolled: 3-line block ×3, first 2 shown]
	v_bfe_i32 v29, v12, 4, 1
	v_add_nc_u32_e32 v27, v27, v28
	ds_swizzle_b32 v28, v27 offset:swizzle(BROADCAST,32,15)
	s_waitcnt lgkmcnt(0)
	v_and_b32_e32 v29, v29, v28
	v_lshrrev_b32_e32 v28, 5, v0
	v_add_nc_u32_e32 v27, v27, v29
	v_cmpx_eq_u32_e32 31, v31
; %bb.62:
	v_lshlrev_b32_e32 v29, 2, v28
	ds_write_b32 v29, v27
; %bb.63:
	s_or_b32 exec_lo, exec_lo, s6
	v_cmp_lt_u32_e64 s5, 31, v0
	s_mov_b32 s9, exec_lo
	s_waitcnt lgkmcnt(0)
	s_barrier
	buffer_gl0_inv
	v_cmpx_gt_u32_e32 32, v0
	s_cbranch_execz .LBB176_65
; %bb.64:
	ds_read_b32 v29, v11
	s_waitcnt lgkmcnt(0)
	v_mov_b32_dpp v30, v29 row_shr:1 row_mask:0xf bank_mask:0xf
	v_cndmask_b32_e64 v30, v30, 0, vcc_lo
	v_add_nc_u32_e32 v29, v30, v29
	v_mov_b32_dpp v30, v29 row_shr:2 row_mask:0xf bank_mask:0xf
	v_cndmask_b32_e64 v30, 0, v30, s1
	v_add_nc_u32_e32 v29, v29, v30
	v_mov_b32_dpp v30, v29 row_shr:4 row_mask:0xf bank_mask:0xf
	v_cndmask_b32_e64 v30, 0, v30, s2
	;; [unrolled: 3-line block ×3, first 2 shown]
	v_add_nc_u32_e32 v29, v29, v30
	ds_swizzle_b32 v30, v29 offset:swizzle(BROADCAST,32,15)
	s_waitcnt lgkmcnt(0)
	v_cndmask_b32_e64 v30, v30, 0, s4
	v_add_nc_u32_e32 v29, v29, v30
	ds_write_b32 v11, v29
.LBB176_65:
	s_or_b32 exec_lo, exec_lo, s9
	v_mov_b32_e32 v29, 0
	s_waitcnt lgkmcnt(0)
	s_barrier
	buffer_gl0_inv
	s_and_saveexec_b32 s1, s5
; %bb.66:
	v_lshl_add_u32 v28, v28, 2, -4
	ds_read_b32 v29, v28
; %bb.67:
	s_or_b32 exec_lo, exec_lo, s1
	v_sub_co_u32 v28, vcc_lo, v12, 1
	s_waitcnt lgkmcnt(0)
	v_add_nc_u32_e32 v27, v29, v27
	v_cmp_gt_i32_e64 s1, 0, v28
	v_cndmask_b32_e64 v12, v28, v12, s1
	v_lshlrev_b32_e32 v12, 2, v12
	ds_bpermute_b32 v12, v12, v27
	s_waitcnt lgkmcnt(0)
	v_cndmask_b32_e32 v12, v12, v29, vcc_lo
	v_cmp_lt_u32_e32 vcc_lo, 0xff, v0
	v_cndmask_b32_e64 v12, v12, 0, s0
	v_cmp_gt_u32_e64 s0, 0x100, v0
	v_add_nc_u32_e32 v7, v12, v7
	v_add_nc_u32_e32 v8, v7, v8
	;; [unrolled: 1-line block ×8, first 2 shown]
	ds_write2_b32 v14, v12, v7 offset0:32 offset1:33
	ds_write2_b32 v14, v8, v5 offset0:34 offset1:35
	;; [unrolled: 1-line block ×4, first 2 shown]
	ds_write_b32 v14, v2 offset:160
	s_waitcnt lgkmcnt(0)
	s_barrier
	buffer_gl0_inv
	ds_read_b32 v1, v15 offset:128
	ds_read_b32 v4, v19 offset:128
	ds_read_b32 v3, v23 offset:128
	ds_read_b32 v2, v26 offset:128
                                        ; implicit-def: $vgpr7
                                        ; implicit-def: $vgpr8
	s_and_saveexec_b32 s2, s0
	s_cbranch_execz .LBB176_71
; %bb.68:
	v_mul_u32_u24_e32 v5, 0x84, v0
	v_add_nc_u32_e32 v6, 1, v0
	s_mov_b32 s3, exec_lo
	ds_read_b32 v7, v5 offset:128
	v_mov_b32_e32 v5, 0x1000
	v_cmpx_ne_u32_e32 0x100, v6
; %bb.69:
	v_mul_u32_u24_e32 v5, 0x84, v6
	ds_read_b32 v5, v5 offset:128
; %bb.70:
	s_or_b32 exec_lo, exec_lo, s3
	s_waitcnt lgkmcnt(0)
	v_sub_nc_u32_e32 v8, v5, v7
.LBB176_71:
	s_or_b32 exec_lo, exec_lo, s2
	v_lshlrev_b32_e32 v5, 2, v10
	v_lshlrev_b32_e32 v10, 2, v16
	;; [unrolled: 1-line block ×4, first 2 shown]
	s_waitcnt lgkmcnt(0)
	v_lshlrev_b32_e32 v2, 2, v2
	v_lshlrev_b32_e32 v6, 2, v18
	;; [unrolled: 1-line block ×6, first 2 shown]
	v_lshl_add_u32 v1, v1, 2, v5
	v_add3_u32 v5, v15, v16, v2
	v_mov_b32_e32 v2, 0
	v_add3_u32 v4, v6, v10, v4
	v_add3_u32 v3, v12, v14, v3
	s_barrier
	buffer_gl0_inv
	ds_write_b32 v1, v9 offset:1024
	ds_write_b32 v4, v13 offset:1024
	;; [unrolled: 1-line block ×4, first 2 shown]
	s_and_saveexec_b32 s1, s0
	s_cbranch_execz .LBB176_81
; %bb.72:
	v_lshl_add_u32 v1, s23, 8, v0
	v_mov_b32_e32 v9, 0
	s_mov_b32 s2, 0
	s_mov_b32 s3, s23
	v_lshlrev_b64 v[3:4], 2, v[1:2]
	v_or_b32_e32 v1, 2.0, v8
	v_add_co_u32 v3, s0, s10, v3
	v_add_co_ci_u32_e64 v4, null, s11, v4, s0
                                        ; implicit-def: $sgpr0
	global_store_dword v[3:4], v1, off
	s_branch .LBB176_75
	.p2align	6
.LBB176_73:                             ;   in Loop: Header=BB176_75 Depth=1
	s_or_b32 exec_lo, exec_lo, s5
.LBB176_74:                             ;   in Loop: Header=BB176_75 Depth=1
	s_or_b32 exec_lo, exec_lo, s4
	v_and_b32_e32 v5, 0x3fffffff, v1
	v_cmp_gt_i32_e64 s0, -2.0, v1
	v_add_nc_u32_e32 v9, v5, v9
	s_and_b32 s4, exec_lo, s0
	s_or_b32 s2, s4, s2
	s_andn2_b32 exec_lo, exec_lo, s2
	s_cbranch_execz .LBB176_80
.LBB176_75:                             ; =>This Loop Header: Depth=1
                                        ;     Child Loop BB176_78 Depth 2
	s_or_b32 s0, s0, exec_lo
	s_cmp_eq_u32 s3, 0
	s_cbranch_scc1 .LBB176_79
; %bb.76:                               ;   in Loop: Header=BB176_75 Depth=1
	s_add_i32 s3, s3, -1
	s_mov_b32 s4, exec_lo
	v_lshl_or_b32 v1, s3, 8, v0
	v_lshlrev_b64 v[5:6], 2, v[1:2]
	v_add_co_u32 v5, s0, s10, v5
	v_add_co_ci_u32_e64 v6, null, s11, v6, s0
	global_load_dword v1, v[5:6], off glc dlc
	s_waitcnt vmcnt(0)
	v_cmpx_gt_u32_e32 2.0, v1
	s_cbranch_execz .LBB176_74
; %bb.77:                               ;   in Loop: Header=BB176_75 Depth=1
	s_mov_b32 s5, 0
.LBB176_78:                             ;   Parent Loop BB176_75 Depth=1
                                        ; =>  This Inner Loop Header: Depth=2
	global_load_dword v1, v[5:6], off glc dlc
	s_waitcnt vmcnt(0)
	v_cmp_lt_u32_e64 s0, 0x3fffffff, v1
	s_or_b32 s5, s0, s5
	s_andn2_b32 exec_lo, exec_lo, s5
	s_cbranch_execnz .LBB176_78
	s_branch .LBB176_73
.LBB176_79:                             ;   in Loop: Header=BB176_75 Depth=1
                                        ; implicit-def: $sgpr3
	s_and_b32 s4, exec_lo, s0
	s_or_b32 s2, s4, s2
	s_andn2_b32 exec_lo, exec_lo, s2
	s_cbranch_execnz .LBB176_75
.LBB176_80:
	s_or_b32 exec_lo, exec_lo, s2
	v_add_nc_u32_e32 v1, v9, v8
	v_sub_nc_u32_e32 v2, v9, v7
	v_or_b32_e32 v1, 0x80000000, v1
	global_store_dword v[3:4], v1, off
	global_load_dword v1, v11, s[12:13]
	s_waitcnt vmcnt(0)
	v_add_nc_u32_e32 v1, v2, v1
	ds_write_b32 v11, v1
.LBB176_81:
	s_or_b32 exec_lo, exec_lo, s1
	s_waitcnt lgkmcnt(0)
	s_waitcnt_vscnt null, 0x0
	s_barrier
	buffer_gl0_inv
	ds_read2st64_b32 v[1:2], v11 offset0:4 offset1:20
	ds_read2st64_b32 v[3:4], v11 offset0:36 offset1:52
	s_add_i32 s7, s7, -1
	s_cmp_eq_u32 s23, s7
	s_waitcnt lgkmcnt(1)
	v_lshrrev_b32_e32 v5, s20, v1
	v_lshrrev_b32_e32 v6, s20, v2
	s_waitcnt lgkmcnt(0)
	v_lshrrev_b32_e32 v9, s20, v3
	v_lshrrev_b32_e32 v10, s20, v4
	v_xor_b32_e32 v15, 0x80000000, v1
	v_and_b32_e32 v5, s8, v5
	v_and_b32_e32 v6, s8, v6
	;; [unrolled: 1-line block ×3, first 2 shown]
	v_xor_b32_e32 v16, 0x80000000, v2
	v_xor_b32_e32 v4, 0x80000000, v4
	v_lshlrev_b32_e32 v5, 2, v5
	v_lshlrev_b32_e32 v6, 2, v6
	ds_read_b32 v5, v5
	ds_read_b32 v12, v6
	v_lshlrev_b32_e32 v6, 2, v9
	v_and_b32_e32 v9, s8, v10
	ds_read_b32 v13, v6
	v_lshlrev_b32_e32 v6, 2, v9
	ds_read_b32 v14, v6
	v_mov_b32_e32 v6, 0
	s_waitcnt lgkmcnt(3)
	v_add_nc_u32_e32 v5, v5, v0
	v_lshlrev_b64 v[9:10], 2, v[5:6]
	s_waitcnt lgkmcnt(2)
	v_add3_u32 v5, v12, v0, 0x400
	v_lshlrev_b64 v[1:2], 2, v[5:6]
	s_waitcnt lgkmcnt(1)
	v_add3_u32 v5, v13, v0, 0x800
	v_add_co_u32 v9, s0, s18, v9
	v_add_co_ci_u32_e64 v10, null, s19, v10, s0
	v_lshlrev_b64 v[12:13], 2, v[5:6]
	s_waitcnt lgkmcnt(0)
	v_add3_u32 v5, v14, v0, 0xc00
	v_add_co_u32 v0, s0, s18, v1
	v_add_co_ci_u32_e64 v1, null, s19, v2, s0
	v_xor_b32_e32 v14, 0x80000000, v3
	v_lshlrev_b64 v[2:3], 2, v[5:6]
	global_store_dword v[9:10], v15, off
	global_store_dword v[0:1], v16, off
	v_add_co_u32 v0, s0, s18, v12
	v_add_co_ci_u32_e64 v1, null, s19, v13, s0
	v_add_co_u32 v2, s0, s18, v2
	v_add_co_ci_u32_e64 v3, null, s19, v3, s0
	s_cselect_b32 s0, -1, 0
	s_xor_b32 s1, vcc_lo, -1
	global_store_dword v[0:1], v14, off
	s_and_b32 s0, s1, s0
	global_store_dword v[2:3], v4, off
	s_and_saveexec_b32 s1, s0
	s_cbranch_execz .LBB176_83
; %bb.82:
	ds_read_b32 v0, v11
	s_waitcnt lgkmcnt(0)
	v_add3_u32 v0, v7, v8, v0
	global_store_dword v11, v0, s[14:15]
.LBB176_83:
	s_endpgm
	.section	.rodata,"a",@progbits
	.p2align	6, 0x0
	.amdhsa_kernel _ZN7rocprim17ROCPRIM_400000_NS6detail17trampoline_kernelINS0_14default_configENS1_35radix_sort_onesweep_config_selectorIiNS0_10empty_typeEEEZZNS1_29radix_sort_onesweep_iterationIS3_Lb0EN6thrust23THRUST_200600_302600_NS6detail15normal_iteratorINS9_10device_ptrIiEEEESE_PS5_SF_jNS0_19identity_decomposerENS1_16block_id_wrapperIjLb1EEEEE10hipError_tT1_PNSt15iterator_traitsISK_E10value_typeET2_T3_PNSL_ISQ_E10value_typeET4_T5_PSV_SW_PNS1_23onesweep_lookback_stateEbbT6_jjT7_P12ihipStream_tbENKUlT_T0_SK_SP_E_clISE_PiSF_SF_EEDaS13_S14_SK_SP_EUlS13_E_NS1_11comp_targetILNS1_3genE8ELNS1_11target_archE1030ELNS1_3gpuE2ELNS1_3repE0EEENS1_47radix_sort_onesweep_sort_config_static_selectorELNS0_4arch9wavefront6targetE0EEEvSK_
		.amdhsa_group_segment_fixed_size 37000
		.amdhsa_private_segment_fixed_size 0
		.amdhsa_kernarg_size 344
		.amdhsa_user_sgpr_count 6
		.amdhsa_user_sgpr_private_segment_buffer 1
		.amdhsa_user_sgpr_dispatch_ptr 0
		.amdhsa_user_sgpr_queue_ptr 0
		.amdhsa_user_sgpr_kernarg_segment_ptr 1
		.amdhsa_user_sgpr_dispatch_id 0
		.amdhsa_user_sgpr_flat_scratch_init 0
		.amdhsa_user_sgpr_private_segment_size 0
		.amdhsa_wavefront_size32 1
		.amdhsa_uses_dynamic_stack 0
		.amdhsa_system_sgpr_private_segment_wavefront_offset 0
		.amdhsa_system_sgpr_workgroup_id_x 1
		.amdhsa_system_sgpr_workgroup_id_y 0
		.amdhsa_system_sgpr_workgroup_id_z 0
		.amdhsa_system_sgpr_workgroup_info 0
		.amdhsa_system_vgpr_workitem_id 2
		.amdhsa_next_free_vgpr 34
		.amdhsa_next_free_sgpr 27
		.amdhsa_reserve_vcc 1
		.amdhsa_reserve_flat_scratch 0
		.amdhsa_float_round_mode_32 0
		.amdhsa_float_round_mode_16_64 0
		.amdhsa_float_denorm_mode_32 3
		.amdhsa_float_denorm_mode_16_64 3
		.amdhsa_dx10_clamp 1
		.amdhsa_ieee_mode 1
		.amdhsa_fp16_overflow 0
		.amdhsa_workgroup_processor_mode 1
		.amdhsa_memory_ordered 1
		.amdhsa_forward_progress 1
		.amdhsa_shared_vgpr_count 0
		.amdhsa_exception_fp_ieee_invalid_op 0
		.amdhsa_exception_fp_denorm_src 0
		.amdhsa_exception_fp_ieee_div_zero 0
		.amdhsa_exception_fp_ieee_overflow 0
		.amdhsa_exception_fp_ieee_underflow 0
		.amdhsa_exception_fp_ieee_inexact 0
		.amdhsa_exception_int_div_zero 0
	.end_amdhsa_kernel
	.section	.text._ZN7rocprim17ROCPRIM_400000_NS6detail17trampoline_kernelINS0_14default_configENS1_35radix_sort_onesweep_config_selectorIiNS0_10empty_typeEEEZZNS1_29radix_sort_onesweep_iterationIS3_Lb0EN6thrust23THRUST_200600_302600_NS6detail15normal_iteratorINS9_10device_ptrIiEEEESE_PS5_SF_jNS0_19identity_decomposerENS1_16block_id_wrapperIjLb1EEEEE10hipError_tT1_PNSt15iterator_traitsISK_E10value_typeET2_T3_PNSL_ISQ_E10value_typeET4_T5_PSV_SW_PNS1_23onesweep_lookback_stateEbbT6_jjT7_P12ihipStream_tbENKUlT_T0_SK_SP_E_clISE_PiSF_SF_EEDaS13_S14_SK_SP_EUlS13_E_NS1_11comp_targetILNS1_3genE8ELNS1_11target_archE1030ELNS1_3gpuE2ELNS1_3repE0EEENS1_47radix_sort_onesweep_sort_config_static_selectorELNS0_4arch9wavefront6targetE0EEEvSK_,"axG",@progbits,_ZN7rocprim17ROCPRIM_400000_NS6detail17trampoline_kernelINS0_14default_configENS1_35radix_sort_onesweep_config_selectorIiNS0_10empty_typeEEEZZNS1_29radix_sort_onesweep_iterationIS3_Lb0EN6thrust23THRUST_200600_302600_NS6detail15normal_iteratorINS9_10device_ptrIiEEEESE_PS5_SF_jNS0_19identity_decomposerENS1_16block_id_wrapperIjLb1EEEEE10hipError_tT1_PNSt15iterator_traitsISK_E10value_typeET2_T3_PNSL_ISQ_E10value_typeET4_T5_PSV_SW_PNS1_23onesweep_lookback_stateEbbT6_jjT7_P12ihipStream_tbENKUlT_T0_SK_SP_E_clISE_PiSF_SF_EEDaS13_S14_SK_SP_EUlS13_E_NS1_11comp_targetILNS1_3genE8ELNS1_11target_archE1030ELNS1_3gpuE2ELNS1_3repE0EEENS1_47radix_sort_onesweep_sort_config_static_selectorELNS0_4arch9wavefront6targetE0EEEvSK_,comdat
.Lfunc_end176:
	.size	_ZN7rocprim17ROCPRIM_400000_NS6detail17trampoline_kernelINS0_14default_configENS1_35radix_sort_onesweep_config_selectorIiNS0_10empty_typeEEEZZNS1_29radix_sort_onesweep_iterationIS3_Lb0EN6thrust23THRUST_200600_302600_NS6detail15normal_iteratorINS9_10device_ptrIiEEEESE_PS5_SF_jNS0_19identity_decomposerENS1_16block_id_wrapperIjLb1EEEEE10hipError_tT1_PNSt15iterator_traitsISK_E10value_typeET2_T3_PNSL_ISQ_E10value_typeET4_T5_PSV_SW_PNS1_23onesweep_lookback_stateEbbT6_jjT7_P12ihipStream_tbENKUlT_T0_SK_SP_E_clISE_PiSF_SF_EEDaS13_S14_SK_SP_EUlS13_E_NS1_11comp_targetILNS1_3genE8ELNS1_11target_archE1030ELNS1_3gpuE2ELNS1_3repE0EEENS1_47radix_sort_onesweep_sort_config_static_selectorELNS0_4arch9wavefront6targetE0EEEvSK_, .Lfunc_end176-_ZN7rocprim17ROCPRIM_400000_NS6detail17trampoline_kernelINS0_14default_configENS1_35radix_sort_onesweep_config_selectorIiNS0_10empty_typeEEEZZNS1_29radix_sort_onesweep_iterationIS3_Lb0EN6thrust23THRUST_200600_302600_NS6detail15normal_iteratorINS9_10device_ptrIiEEEESE_PS5_SF_jNS0_19identity_decomposerENS1_16block_id_wrapperIjLb1EEEEE10hipError_tT1_PNSt15iterator_traitsISK_E10value_typeET2_T3_PNSL_ISQ_E10value_typeET4_T5_PSV_SW_PNS1_23onesweep_lookback_stateEbbT6_jjT7_P12ihipStream_tbENKUlT_T0_SK_SP_E_clISE_PiSF_SF_EEDaS13_S14_SK_SP_EUlS13_E_NS1_11comp_targetILNS1_3genE8ELNS1_11target_archE1030ELNS1_3gpuE2ELNS1_3repE0EEENS1_47radix_sort_onesweep_sort_config_static_selectorELNS0_4arch9wavefront6targetE0EEEvSK_
                                        ; -- End function
	.set _ZN7rocprim17ROCPRIM_400000_NS6detail17trampoline_kernelINS0_14default_configENS1_35radix_sort_onesweep_config_selectorIiNS0_10empty_typeEEEZZNS1_29radix_sort_onesweep_iterationIS3_Lb0EN6thrust23THRUST_200600_302600_NS6detail15normal_iteratorINS9_10device_ptrIiEEEESE_PS5_SF_jNS0_19identity_decomposerENS1_16block_id_wrapperIjLb1EEEEE10hipError_tT1_PNSt15iterator_traitsISK_E10value_typeET2_T3_PNSL_ISQ_E10value_typeET4_T5_PSV_SW_PNS1_23onesweep_lookback_stateEbbT6_jjT7_P12ihipStream_tbENKUlT_T0_SK_SP_E_clISE_PiSF_SF_EEDaS13_S14_SK_SP_EUlS13_E_NS1_11comp_targetILNS1_3genE8ELNS1_11target_archE1030ELNS1_3gpuE2ELNS1_3repE0EEENS1_47radix_sort_onesweep_sort_config_static_selectorELNS0_4arch9wavefront6targetE0EEEvSK_.num_vgpr, 34
	.set _ZN7rocprim17ROCPRIM_400000_NS6detail17trampoline_kernelINS0_14default_configENS1_35radix_sort_onesweep_config_selectorIiNS0_10empty_typeEEEZZNS1_29radix_sort_onesweep_iterationIS3_Lb0EN6thrust23THRUST_200600_302600_NS6detail15normal_iteratorINS9_10device_ptrIiEEEESE_PS5_SF_jNS0_19identity_decomposerENS1_16block_id_wrapperIjLb1EEEEE10hipError_tT1_PNSt15iterator_traitsISK_E10value_typeET2_T3_PNSL_ISQ_E10value_typeET4_T5_PSV_SW_PNS1_23onesweep_lookback_stateEbbT6_jjT7_P12ihipStream_tbENKUlT_T0_SK_SP_E_clISE_PiSF_SF_EEDaS13_S14_SK_SP_EUlS13_E_NS1_11comp_targetILNS1_3genE8ELNS1_11target_archE1030ELNS1_3gpuE2ELNS1_3repE0EEENS1_47radix_sort_onesweep_sort_config_static_selectorELNS0_4arch9wavefront6targetE0EEEvSK_.num_agpr, 0
	.set _ZN7rocprim17ROCPRIM_400000_NS6detail17trampoline_kernelINS0_14default_configENS1_35radix_sort_onesweep_config_selectorIiNS0_10empty_typeEEEZZNS1_29radix_sort_onesweep_iterationIS3_Lb0EN6thrust23THRUST_200600_302600_NS6detail15normal_iteratorINS9_10device_ptrIiEEEESE_PS5_SF_jNS0_19identity_decomposerENS1_16block_id_wrapperIjLb1EEEEE10hipError_tT1_PNSt15iterator_traitsISK_E10value_typeET2_T3_PNSL_ISQ_E10value_typeET4_T5_PSV_SW_PNS1_23onesweep_lookback_stateEbbT6_jjT7_P12ihipStream_tbENKUlT_T0_SK_SP_E_clISE_PiSF_SF_EEDaS13_S14_SK_SP_EUlS13_E_NS1_11comp_targetILNS1_3genE8ELNS1_11target_archE1030ELNS1_3gpuE2ELNS1_3repE0EEENS1_47radix_sort_onesweep_sort_config_static_selectorELNS0_4arch9wavefront6targetE0EEEvSK_.numbered_sgpr, 27
	.set _ZN7rocprim17ROCPRIM_400000_NS6detail17trampoline_kernelINS0_14default_configENS1_35radix_sort_onesweep_config_selectorIiNS0_10empty_typeEEEZZNS1_29radix_sort_onesweep_iterationIS3_Lb0EN6thrust23THRUST_200600_302600_NS6detail15normal_iteratorINS9_10device_ptrIiEEEESE_PS5_SF_jNS0_19identity_decomposerENS1_16block_id_wrapperIjLb1EEEEE10hipError_tT1_PNSt15iterator_traitsISK_E10value_typeET2_T3_PNSL_ISQ_E10value_typeET4_T5_PSV_SW_PNS1_23onesweep_lookback_stateEbbT6_jjT7_P12ihipStream_tbENKUlT_T0_SK_SP_E_clISE_PiSF_SF_EEDaS13_S14_SK_SP_EUlS13_E_NS1_11comp_targetILNS1_3genE8ELNS1_11target_archE1030ELNS1_3gpuE2ELNS1_3repE0EEENS1_47radix_sort_onesweep_sort_config_static_selectorELNS0_4arch9wavefront6targetE0EEEvSK_.num_named_barrier, 0
	.set _ZN7rocprim17ROCPRIM_400000_NS6detail17trampoline_kernelINS0_14default_configENS1_35radix_sort_onesweep_config_selectorIiNS0_10empty_typeEEEZZNS1_29radix_sort_onesweep_iterationIS3_Lb0EN6thrust23THRUST_200600_302600_NS6detail15normal_iteratorINS9_10device_ptrIiEEEESE_PS5_SF_jNS0_19identity_decomposerENS1_16block_id_wrapperIjLb1EEEEE10hipError_tT1_PNSt15iterator_traitsISK_E10value_typeET2_T3_PNSL_ISQ_E10value_typeET4_T5_PSV_SW_PNS1_23onesweep_lookback_stateEbbT6_jjT7_P12ihipStream_tbENKUlT_T0_SK_SP_E_clISE_PiSF_SF_EEDaS13_S14_SK_SP_EUlS13_E_NS1_11comp_targetILNS1_3genE8ELNS1_11target_archE1030ELNS1_3gpuE2ELNS1_3repE0EEENS1_47radix_sort_onesweep_sort_config_static_selectorELNS0_4arch9wavefront6targetE0EEEvSK_.private_seg_size, 0
	.set _ZN7rocprim17ROCPRIM_400000_NS6detail17trampoline_kernelINS0_14default_configENS1_35radix_sort_onesweep_config_selectorIiNS0_10empty_typeEEEZZNS1_29radix_sort_onesweep_iterationIS3_Lb0EN6thrust23THRUST_200600_302600_NS6detail15normal_iteratorINS9_10device_ptrIiEEEESE_PS5_SF_jNS0_19identity_decomposerENS1_16block_id_wrapperIjLb1EEEEE10hipError_tT1_PNSt15iterator_traitsISK_E10value_typeET2_T3_PNSL_ISQ_E10value_typeET4_T5_PSV_SW_PNS1_23onesweep_lookback_stateEbbT6_jjT7_P12ihipStream_tbENKUlT_T0_SK_SP_E_clISE_PiSF_SF_EEDaS13_S14_SK_SP_EUlS13_E_NS1_11comp_targetILNS1_3genE8ELNS1_11target_archE1030ELNS1_3gpuE2ELNS1_3repE0EEENS1_47radix_sort_onesweep_sort_config_static_selectorELNS0_4arch9wavefront6targetE0EEEvSK_.uses_vcc, 1
	.set _ZN7rocprim17ROCPRIM_400000_NS6detail17trampoline_kernelINS0_14default_configENS1_35radix_sort_onesweep_config_selectorIiNS0_10empty_typeEEEZZNS1_29radix_sort_onesweep_iterationIS3_Lb0EN6thrust23THRUST_200600_302600_NS6detail15normal_iteratorINS9_10device_ptrIiEEEESE_PS5_SF_jNS0_19identity_decomposerENS1_16block_id_wrapperIjLb1EEEEE10hipError_tT1_PNSt15iterator_traitsISK_E10value_typeET2_T3_PNSL_ISQ_E10value_typeET4_T5_PSV_SW_PNS1_23onesweep_lookback_stateEbbT6_jjT7_P12ihipStream_tbENKUlT_T0_SK_SP_E_clISE_PiSF_SF_EEDaS13_S14_SK_SP_EUlS13_E_NS1_11comp_targetILNS1_3genE8ELNS1_11target_archE1030ELNS1_3gpuE2ELNS1_3repE0EEENS1_47radix_sort_onesweep_sort_config_static_selectorELNS0_4arch9wavefront6targetE0EEEvSK_.uses_flat_scratch, 0
	.set _ZN7rocprim17ROCPRIM_400000_NS6detail17trampoline_kernelINS0_14default_configENS1_35radix_sort_onesweep_config_selectorIiNS0_10empty_typeEEEZZNS1_29radix_sort_onesweep_iterationIS3_Lb0EN6thrust23THRUST_200600_302600_NS6detail15normal_iteratorINS9_10device_ptrIiEEEESE_PS5_SF_jNS0_19identity_decomposerENS1_16block_id_wrapperIjLb1EEEEE10hipError_tT1_PNSt15iterator_traitsISK_E10value_typeET2_T3_PNSL_ISQ_E10value_typeET4_T5_PSV_SW_PNS1_23onesweep_lookback_stateEbbT6_jjT7_P12ihipStream_tbENKUlT_T0_SK_SP_E_clISE_PiSF_SF_EEDaS13_S14_SK_SP_EUlS13_E_NS1_11comp_targetILNS1_3genE8ELNS1_11target_archE1030ELNS1_3gpuE2ELNS1_3repE0EEENS1_47radix_sort_onesweep_sort_config_static_selectorELNS0_4arch9wavefront6targetE0EEEvSK_.has_dyn_sized_stack, 0
	.set _ZN7rocprim17ROCPRIM_400000_NS6detail17trampoline_kernelINS0_14default_configENS1_35radix_sort_onesweep_config_selectorIiNS0_10empty_typeEEEZZNS1_29radix_sort_onesweep_iterationIS3_Lb0EN6thrust23THRUST_200600_302600_NS6detail15normal_iteratorINS9_10device_ptrIiEEEESE_PS5_SF_jNS0_19identity_decomposerENS1_16block_id_wrapperIjLb1EEEEE10hipError_tT1_PNSt15iterator_traitsISK_E10value_typeET2_T3_PNSL_ISQ_E10value_typeET4_T5_PSV_SW_PNS1_23onesweep_lookback_stateEbbT6_jjT7_P12ihipStream_tbENKUlT_T0_SK_SP_E_clISE_PiSF_SF_EEDaS13_S14_SK_SP_EUlS13_E_NS1_11comp_targetILNS1_3genE8ELNS1_11target_archE1030ELNS1_3gpuE2ELNS1_3repE0EEENS1_47radix_sort_onesweep_sort_config_static_selectorELNS0_4arch9wavefront6targetE0EEEvSK_.has_recursion, 0
	.set _ZN7rocprim17ROCPRIM_400000_NS6detail17trampoline_kernelINS0_14default_configENS1_35radix_sort_onesweep_config_selectorIiNS0_10empty_typeEEEZZNS1_29radix_sort_onesweep_iterationIS3_Lb0EN6thrust23THRUST_200600_302600_NS6detail15normal_iteratorINS9_10device_ptrIiEEEESE_PS5_SF_jNS0_19identity_decomposerENS1_16block_id_wrapperIjLb1EEEEE10hipError_tT1_PNSt15iterator_traitsISK_E10value_typeET2_T3_PNSL_ISQ_E10value_typeET4_T5_PSV_SW_PNS1_23onesweep_lookback_stateEbbT6_jjT7_P12ihipStream_tbENKUlT_T0_SK_SP_E_clISE_PiSF_SF_EEDaS13_S14_SK_SP_EUlS13_E_NS1_11comp_targetILNS1_3genE8ELNS1_11target_archE1030ELNS1_3gpuE2ELNS1_3repE0EEENS1_47radix_sort_onesweep_sort_config_static_selectorELNS0_4arch9wavefront6targetE0EEEvSK_.has_indirect_call, 0
	.section	.AMDGPU.csdata,"",@progbits
; Kernel info:
; codeLenInByte = 6780
; TotalNumSgprs: 29
; NumVgprs: 34
; ScratchSize: 0
; MemoryBound: 0
; FloatMode: 240
; IeeeMode: 1
; LDSByteSize: 37000 bytes/workgroup (compile time only)
; SGPRBlocks: 0
; VGPRBlocks: 4
; NumSGPRsForWavesPerEU: 29
; NumVGPRsForWavesPerEU: 34
; Occupancy: 16
; WaveLimiterHint : 1
; COMPUTE_PGM_RSRC2:SCRATCH_EN: 0
; COMPUTE_PGM_RSRC2:USER_SGPR: 6
; COMPUTE_PGM_RSRC2:TRAP_HANDLER: 0
; COMPUTE_PGM_RSRC2:TGID_X_EN: 1
; COMPUTE_PGM_RSRC2:TGID_Y_EN: 0
; COMPUTE_PGM_RSRC2:TGID_Z_EN: 0
; COMPUTE_PGM_RSRC2:TIDIG_COMP_CNT: 2
	.section	.text._ZN7rocprim17ROCPRIM_400000_NS6detail17trampoline_kernelINS0_14default_configENS1_35radix_sort_onesweep_config_selectorIiNS0_10empty_typeEEEZZNS1_29radix_sort_onesweep_iterationIS3_Lb0EN6thrust23THRUST_200600_302600_NS6detail15normal_iteratorINS9_10device_ptrIiEEEESE_PS5_SF_jNS0_19identity_decomposerENS1_16block_id_wrapperIjLb1EEEEE10hipError_tT1_PNSt15iterator_traitsISK_E10value_typeET2_T3_PNSL_ISQ_E10value_typeET4_T5_PSV_SW_PNS1_23onesweep_lookback_stateEbbT6_jjT7_P12ihipStream_tbENKUlT_T0_SK_SP_E_clIPiSE_SF_SF_EEDaS13_S14_SK_SP_EUlS13_E_NS1_11comp_targetILNS1_3genE0ELNS1_11target_archE4294967295ELNS1_3gpuE0ELNS1_3repE0EEENS1_47radix_sort_onesweep_sort_config_static_selectorELNS0_4arch9wavefront6targetE0EEEvSK_,"axG",@progbits,_ZN7rocprim17ROCPRIM_400000_NS6detail17trampoline_kernelINS0_14default_configENS1_35radix_sort_onesweep_config_selectorIiNS0_10empty_typeEEEZZNS1_29radix_sort_onesweep_iterationIS3_Lb0EN6thrust23THRUST_200600_302600_NS6detail15normal_iteratorINS9_10device_ptrIiEEEESE_PS5_SF_jNS0_19identity_decomposerENS1_16block_id_wrapperIjLb1EEEEE10hipError_tT1_PNSt15iterator_traitsISK_E10value_typeET2_T3_PNSL_ISQ_E10value_typeET4_T5_PSV_SW_PNS1_23onesweep_lookback_stateEbbT6_jjT7_P12ihipStream_tbENKUlT_T0_SK_SP_E_clIPiSE_SF_SF_EEDaS13_S14_SK_SP_EUlS13_E_NS1_11comp_targetILNS1_3genE0ELNS1_11target_archE4294967295ELNS1_3gpuE0ELNS1_3repE0EEENS1_47radix_sort_onesweep_sort_config_static_selectorELNS0_4arch9wavefront6targetE0EEEvSK_,comdat
	.protected	_ZN7rocprim17ROCPRIM_400000_NS6detail17trampoline_kernelINS0_14default_configENS1_35radix_sort_onesweep_config_selectorIiNS0_10empty_typeEEEZZNS1_29radix_sort_onesweep_iterationIS3_Lb0EN6thrust23THRUST_200600_302600_NS6detail15normal_iteratorINS9_10device_ptrIiEEEESE_PS5_SF_jNS0_19identity_decomposerENS1_16block_id_wrapperIjLb1EEEEE10hipError_tT1_PNSt15iterator_traitsISK_E10value_typeET2_T3_PNSL_ISQ_E10value_typeET4_T5_PSV_SW_PNS1_23onesweep_lookback_stateEbbT6_jjT7_P12ihipStream_tbENKUlT_T0_SK_SP_E_clIPiSE_SF_SF_EEDaS13_S14_SK_SP_EUlS13_E_NS1_11comp_targetILNS1_3genE0ELNS1_11target_archE4294967295ELNS1_3gpuE0ELNS1_3repE0EEENS1_47radix_sort_onesweep_sort_config_static_selectorELNS0_4arch9wavefront6targetE0EEEvSK_ ; -- Begin function _ZN7rocprim17ROCPRIM_400000_NS6detail17trampoline_kernelINS0_14default_configENS1_35radix_sort_onesweep_config_selectorIiNS0_10empty_typeEEEZZNS1_29radix_sort_onesweep_iterationIS3_Lb0EN6thrust23THRUST_200600_302600_NS6detail15normal_iteratorINS9_10device_ptrIiEEEESE_PS5_SF_jNS0_19identity_decomposerENS1_16block_id_wrapperIjLb1EEEEE10hipError_tT1_PNSt15iterator_traitsISK_E10value_typeET2_T3_PNSL_ISQ_E10value_typeET4_T5_PSV_SW_PNS1_23onesweep_lookback_stateEbbT6_jjT7_P12ihipStream_tbENKUlT_T0_SK_SP_E_clIPiSE_SF_SF_EEDaS13_S14_SK_SP_EUlS13_E_NS1_11comp_targetILNS1_3genE0ELNS1_11target_archE4294967295ELNS1_3gpuE0ELNS1_3repE0EEENS1_47radix_sort_onesweep_sort_config_static_selectorELNS0_4arch9wavefront6targetE0EEEvSK_
	.globl	_ZN7rocprim17ROCPRIM_400000_NS6detail17trampoline_kernelINS0_14default_configENS1_35radix_sort_onesweep_config_selectorIiNS0_10empty_typeEEEZZNS1_29radix_sort_onesweep_iterationIS3_Lb0EN6thrust23THRUST_200600_302600_NS6detail15normal_iteratorINS9_10device_ptrIiEEEESE_PS5_SF_jNS0_19identity_decomposerENS1_16block_id_wrapperIjLb1EEEEE10hipError_tT1_PNSt15iterator_traitsISK_E10value_typeET2_T3_PNSL_ISQ_E10value_typeET4_T5_PSV_SW_PNS1_23onesweep_lookback_stateEbbT6_jjT7_P12ihipStream_tbENKUlT_T0_SK_SP_E_clIPiSE_SF_SF_EEDaS13_S14_SK_SP_EUlS13_E_NS1_11comp_targetILNS1_3genE0ELNS1_11target_archE4294967295ELNS1_3gpuE0ELNS1_3repE0EEENS1_47radix_sort_onesweep_sort_config_static_selectorELNS0_4arch9wavefront6targetE0EEEvSK_
	.p2align	8
	.type	_ZN7rocprim17ROCPRIM_400000_NS6detail17trampoline_kernelINS0_14default_configENS1_35radix_sort_onesweep_config_selectorIiNS0_10empty_typeEEEZZNS1_29radix_sort_onesweep_iterationIS3_Lb0EN6thrust23THRUST_200600_302600_NS6detail15normal_iteratorINS9_10device_ptrIiEEEESE_PS5_SF_jNS0_19identity_decomposerENS1_16block_id_wrapperIjLb1EEEEE10hipError_tT1_PNSt15iterator_traitsISK_E10value_typeET2_T3_PNSL_ISQ_E10value_typeET4_T5_PSV_SW_PNS1_23onesweep_lookback_stateEbbT6_jjT7_P12ihipStream_tbENKUlT_T0_SK_SP_E_clIPiSE_SF_SF_EEDaS13_S14_SK_SP_EUlS13_E_NS1_11comp_targetILNS1_3genE0ELNS1_11target_archE4294967295ELNS1_3gpuE0ELNS1_3repE0EEENS1_47radix_sort_onesweep_sort_config_static_selectorELNS0_4arch9wavefront6targetE0EEEvSK_,@function
_ZN7rocprim17ROCPRIM_400000_NS6detail17trampoline_kernelINS0_14default_configENS1_35radix_sort_onesweep_config_selectorIiNS0_10empty_typeEEEZZNS1_29radix_sort_onesweep_iterationIS3_Lb0EN6thrust23THRUST_200600_302600_NS6detail15normal_iteratorINS9_10device_ptrIiEEEESE_PS5_SF_jNS0_19identity_decomposerENS1_16block_id_wrapperIjLb1EEEEE10hipError_tT1_PNSt15iterator_traitsISK_E10value_typeET2_T3_PNSL_ISQ_E10value_typeET4_T5_PSV_SW_PNS1_23onesweep_lookback_stateEbbT6_jjT7_P12ihipStream_tbENKUlT_T0_SK_SP_E_clIPiSE_SF_SF_EEDaS13_S14_SK_SP_EUlS13_E_NS1_11comp_targetILNS1_3genE0ELNS1_11target_archE4294967295ELNS1_3gpuE0ELNS1_3repE0EEENS1_47radix_sort_onesweep_sort_config_static_selectorELNS0_4arch9wavefront6targetE0EEEvSK_: ; @_ZN7rocprim17ROCPRIM_400000_NS6detail17trampoline_kernelINS0_14default_configENS1_35radix_sort_onesweep_config_selectorIiNS0_10empty_typeEEEZZNS1_29radix_sort_onesweep_iterationIS3_Lb0EN6thrust23THRUST_200600_302600_NS6detail15normal_iteratorINS9_10device_ptrIiEEEESE_PS5_SF_jNS0_19identity_decomposerENS1_16block_id_wrapperIjLb1EEEEE10hipError_tT1_PNSt15iterator_traitsISK_E10value_typeET2_T3_PNSL_ISQ_E10value_typeET4_T5_PSV_SW_PNS1_23onesweep_lookback_stateEbbT6_jjT7_P12ihipStream_tbENKUlT_T0_SK_SP_E_clIPiSE_SF_SF_EEDaS13_S14_SK_SP_EUlS13_E_NS1_11comp_targetILNS1_3genE0ELNS1_11target_archE4294967295ELNS1_3gpuE0ELNS1_3repE0EEENS1_47radix_sort_onesweep_sort_config_static_selectorELNS0_4arch9wavefront6targetE0EEEvSK_
; %bb.0:
	.section	.rodata,"a",@progbits
	.p2align	6, 0x0
	.amdhsa_kernel _ZN7rocprim17ROCPRIM_400000_NS6detail17trampoline_kernelINS0_14default_configENS1_35radix_sort_onesweep_config_selectorIiNS0_10empty_typeEEEZZNS1_29radix_sort_onesweep_iterationIS3_Lb0EN6thrust23THRUST_200600_302600_NS6detail15normal_iteratorINS9_10device_ptrIiEEEESE_PS5_SF_jNS0_19identity_decomposerENS1_16block_id_wrapperIjLb1EEEEE10hipError_tT1_PNSt15iterator_traitsISK_E10value_typeET2_T3_PNSL_ISQ_E10value_typeET4_T5_PSV_SW_PNS1_23onesweep_lookback_stateEbbT6_jjT7_P12ihipStream_tbENKUlT_T0_SK_SP_E_clIPiSE_SF_SF_EEDaS13_S14_SK_SP_EUlS13_E_NS1_11comp_targetILNS1_3genE0ELNS1_11target_archE4294967295ELNS1_3gpuE0ELNS1_3repE0EEENS1_47radix_sort_onesweep_sort_config_static_selectorELNS0_4arch9wavefront6targetE0EEEvSK_
		.amdhsa_group_segment_fixed_size 0
		.amdhsa_private_segment_fixed_size 0
		.amdhsa_kernarg_size 88
		.amdhsa_user_sgpr_count 6
		.amdhsa_user_sgpr_private_segment_buffer 1
		.amdhsa_user_sgpr_dispatch_ptr 0
		.amdhsa_user_sgpr_queue_ptr 0
		.amdhsa_user_sgpr_kernarg_segment_ptr 1
		.amdhsa_user_sgpr_dispatch_id 0
		.amdhsa_user_sgpr_flat_scratch_init 0
		.amdhsa_user_sgpr_private_segment_size 0
		.amdhsa_wavefront_size32 1
		.amdhsa_uses_dynamic_stack 0
		.amdhsa_system_sgpr_private_segment_wavefront_offset 0
		.amdhsa_system_sgpr_workgroup_id_x 1
		.amdhsa_system_sgpr_workgroup_id_y 0
		.amdhsa_system_sgpr_workgroup_id_z 0
		.amdhsa_system_sgpr_workgroup_info 0
		.amdhsa_system_vgpr_workitem_id 0
		.amdhsa_next_free_vgpr 1
		.amdhsa_next_free_sgpr 1
		.amdhsa_reserve_vcc 0
		.amdhsa_reserve_flat_scratch 0
		.amdhsa_float_round_mode_32 0
		.amdhsa_float_round_mode_16_64 0
		.amdhsa_float_denorm_mode_32 3
		.amdhsa_float_denorm_mode_16_64 3
		.amdhsa_dx10_clamp 1
		.amdhsa_ieee_mode 1
		.amdhsa_fp16_overflow 0
		.amdhsa_workgroup_processor_mode 1
		.amdhsa_memory_ordered 1
		.amdhsa_forward_progress 1
		.amdhsa_shared_vgpr_count 0
		.amdhsa_exception_fp_ieee_invalid_op 0
		.amdhsa_exception_fp_denorm_src 0
		.amdhsa_exception_fp_ieee_div_zero 0
		.amdhsa_exception_fp_ieee_overflow 0
		.amdhsa_exception_fp_ieee_underflow 0
		.amdhsa_exception_fp_ieee_inexact 0
		.amdhsa_exception_int_div_zero 0
	.end_amdhsa_kernel
	.section	.text._ZN7rocprim17ROCPRIM_400000_NS6detail17trampoline_kernelINS0_14default_configENS1_35radix_sort_onesweep_config_selectorIiNS0_10empty_typeEEEZZNS1_29radix_sort_onesweep_iterationIS3_Lb0EN6thrust23THRUST_200600_302600_NS6detail15normal_iteratorINS9_10device_ptrIiEEEESE_PS5_SF_jNS0_19identity_decomposerENS1_16block_id_wrapperIjLb1EEEEE10hipError_tT1_PNSt15iterator_traitsISK_E10value_typeET2_T3_PNSL_ISQ_E10value_typeET4_T5_PSV_SW_PNS1_23onesweep_lookback_stateEbbT6_jjT7_P12ihipStream_tbENKUlT_T0_SK_SP_E_clIPiSE_SF_SF_EEDaS13_S14_SK_SP_EUlS13_E_NS1_11comp_targetILNS1_3genE0ELNS1_11target_archE4294967295ELNS1_3gpuE0ELNS1_3repE0EEENS1_47radix_sort_onesweep_sort_config_static_selectorELNS0_4arch9wavefront6targetE0EEEvSK_,"axG",@progbits,_ZN7rocprim17ROCPRIM_400000_NS6detail17trampoline_kernelINS0_14default_configENS1_35radix_sort_onesweep_config_selectorIiNS0_10empty_typeEEEZZNS1_29radix_sort_onesweep_iterationIS3_Lb0EN6thrust23THRUST_200600_302600_NS6detail15normal_iteratorINS9_10device_ptrIiEEEESE_PS5_SF_jNS0_19identity_decomposerENS1_16block_id_wrapperIjLb1EEEEE10hipError_tT1_PNSt15iterator_traitsISK_E10value_typeET2_T3_PNSL_ISQ_E10value_typeET4_T5_PSV_SW_PNS1_23onesweep_lookback_stateEbbT6_jjT7_P12ihipStream_tbENKUlT_T0_SK_SP_E_clIPiSE_SF_SF_EEDaS13_S14_SK_SP_EUlS13_E_NS1_11comp_targetILNS1_3genE0ELNS1_11target_archE4294967295ELNS1_3gpuE0ELNS1_3repE0EEENS1_47radix_sort_onesweep_sort_config_static_selectorELNS0_4arch9wavefront6targetE0EEEvSK_,comdat
.Lfunc_end177:
	.size	_ZN7rocprim17ROCPRIM_400000_NS6detail17trampoline_kernelINS0_14default_configENS1_35radix_sort_onesweep_config_selectorIiNS0_10empty_typeEEEZZNS1_29radix_sort_onesweep_iterationIS3_Lb0EN6thrust23THRUST_200600_302600_NS6detail15normal_iteratorINS9_10device_ptrIiEEEESE_PS5_SF_jNS0_19identity_decomposerENS1_16block_id_wrapperIjLb1EEEEE10hipError_tT1_PNSt15iterator_traitsISK_E10value_typeET2_T3_PNSL_ISQ_E10value_typeET4_T5_PSV_SW_PNS1_23onesweep_lookback_stateEbbT6_jjT7_P12ihipStream_tbENKUlT_T0_SK_SP_E_clIPiSE_SF_SF_EEDaS13_S14_SK_SP_EUlS13_E_NS1_11comp_targetILNS1_3genE0ELNS1_11target_archE4294967295ELNS1_3gpuE0ELNS1_3repE0EEENS1_47radix_sort_onesweep_sort_config_static_selectorELNS0_4arch9wavefront6targetE0EEEvSK_, .Lfunc_end177-_ZN7rocprim17ROCPRIM_400000_NS6detail17trampoline_kernelINS0_14default_configENS1_35radix_sort_onesweep_config_selectorIiNS0_10empty_typeEEEZZNS1_29radix_sort_onesweep_iterationIS3_Lb0EN6thrust23THRUST_200600_302600_NS6detail15normal_iteratorINS9_10device_ptrIiEEEESE_PS5_SF_jNS0_19identity_decomposerENS1_16block_id_wrapperIjLb1EEEEE10hipError_tT1_PNSt15iterator_traitsISK_E10value_typeET2_T3_PNSL_ISQ_E10value_typeET4_T5_PSV_SW_PNS1_23onesweep_lookback_stateEbbT6_jjT7_P12ihipStream_tbENKUlT_T0_SK_SP_E_clIPiSE_SF_SF_EEDaS13_S14_SK_SP_EUlS13_E_NS1_11comp_targetILNS1_3genE0ELNS1_11target_archE4294967295ELNS1_3gpuE0ELNS1_3repE0EEENS1_47radix_sort_onesweep_sort_config_static_selectorELNS0_4arch9wavefront6targetE0EEEvSK_
                                        ; -- End function
	.set _ZN7rocprim17ROCPRIM_400000_NS6detail17trampoline_kernelINS0_14default_configENS1_35radix_sort_onesweep_config_selectorIiNS0_10empty_typeEEEZZNS1_29radix_sort_onesweep_iterationIS3_Lb0EN6thrust23THRUST_200600_302600_NS6detail15normal_iteratorINS9_10device_ptrIiEEEESE_PS5_SF_jNS0_19identity_decomposerENS1_16block_id_wrapperIjLb1EEEEE10hipError_tT1_PNSt15iterator_traitsISK_E10value_typeET2_T3_PNSL_ISQ_E10value_typeET4_T5_PSV_SW_PNS1_23onesweep_lookback_stateEbbT6_jjT7_P12ihipStream_tbENKUlT_T0_SK_SP_E_clIPiSE_SF_SF_EEDaS13_S14_SK_SP_EUlS13_E_NS1_11comp_targetILNS1_3genE0ELNS1_11target_archE4294967295ELNS1_3gpuE0ELNS1_3repE0EEENS1_47radix_sort_onesweep_sort_config_static_selectorELNS0_4arch9wavefront6targetE0EEEvSK_.num_vgpr, 0
	.set _ZN7rocprim17ROCPRIM_400000_NS6detail17trampoline_kernelINS0_14default_configENS1_35radix_sort_onesweep_config_selectorIiNS0_10empty_typeEEEZZNS1_29radix_sort_onesweep_iterationIS3_Lb0EN6thrust23THRUST_200600_302600_NS6detail15normal_iteratorINS9_10device_ptrIiEEEESE_PS5_SF_jNS0_19identity_decomposerENS1_16block_id_wrapperIjLb1EEEEE10hipError_tT1_PNSt15iterator_traitsISK_E10value_typeET2_T3_PNSL_ISQ_E10value_typeET4_T5_PSV_SW_PNS1_23onesweep_lookback_stateEbbT6_jjT7_P12ihipStream_tbENKUlT_T0_SK_SP_E_clIPiSE_SF_SF_EEDaS13_S14_SK_SP_EUlS13_E_NS1_11comp_targetILNS1_3genE0ELNS1_11target_archE4294967295ELNS1_3gpuE0ELNS1_3repE0EEENS1_47radix_sort_onesweep_sort_config_static_selectorELNS0_4arch9wavefront6targetE0EEEvSK_.num_agpr, 0
	.set _ZN7rocprim17ROCPRIM_400000_NS6detail17trampoline_kernelINS0_14default_configENS1_35radix_sort_onesweep_config_selectorIiNS0_10empty_typeEEEZZNS1_29radix_sort_onesweep_iterationIS3_Lb0EN6thrust23THRUST_200600_302600_NS6detail15normal_iteratorINS9_10device_ptrIiEEEESE_PS5_SF_jNS0_19identity_decomposerENS1_16block_id_wrapperIjLb1EEEEE10hipError_tT1_PNSt15iterator_traitsISK_E10value_typeET2_T3_PNSL_ISQ_E10value_typeET4_T5_PSV_SW_PNS1_23onesweep_lookback_stateEbbT6_jjT7_P12ihipStream_tbENKUlT_T0_SK_SP_E_clIPiSE_SF_SF_EEDaS13_S14_SK_SP_EUlS13_E_NS1_11comp_targetILNS1_3genE0ELNS1_11target_archE4294967295ELNS1_3gpuE0ELNS1_3repE0EEENS1_47radix_sort_onesweep_sort_config_static_selectorELNS0_4arch9wavefront6targetE0EEEvSK_.numbered_sgpr, 0
	.set _ZN7rocprim17ROCPRIM_400000_NS6detail17trampoline_kernelINS0_14default_configENS1_35radix_sort_onesweep_config_selectorIiNS0_10empty_typeEEEZZNS1_29radix_sort_onesweep_iterationIS3_Lb0EN6thrust23THRUST_200600_302600_NS6detail15normal_iteratorINS9_10device_ptrIiEEEESE_PS5_SF_jNS0_19identity_decomposerENS1_16block_id_wrapperIjLb1EEEEE10hipError_tT1_PNSt15iterator_traitsISK_E10value_typeET2_T3_PNSL_ISQ_E10value_typeET4_T5_PSV_SW_PNS1_23onesweep_lookback_stateEbbT6_jjT7_P12ihipStream_tbENKUlT_T0_SK_SP_E_clIPiSE_SF_SF_EEDaS13_S14_SK_SP_EUlS13_E_NS1_11comp_targetILNS1_3genE0ELNS1_11target_archE4294967295ELNS1_3gpuE0ELNS1_3repE0EEENS1_47radix_sort_onesweep_sort_config_static_selectorELNS0_4arch9wavefront6targetE0EEEvSK_.num_named_barrier, 0
	.set _ZN7rocprim17ROCPRIM_400000_NS6detail17trampoline_kernelINS0_14default_configENS1_35radix_sort_onesweep_config_selectorIiNS0_10empty_typeEEEZZNS1_29radix_sort_onesweep_iterationIS3_Lb0EN6thrust23THRUST_200600_302600_NS6detail15normal_iteratorINS9_10device_ptrIiEEEESE_PS5_SF_jNS0_19identity_decomposerENS1_16block_id_wrapperIjLb1EEEEE10hipError_tT1_PNSt15iterator_traitsISK_E10value_typeET2_T3_PNSL_ISQ_E10value_typeET4_T5_PSV_SW_PNS1_23onesweep_lookback_stateEbbT6_jjT7_P12ihipStream_tbENKUlT_T0_SK_SP_E_clIPiSE_SF_SF_EEDaS13_S14_SK_SP_EUlS13_E_NS1_11comp_targetILNS1_3genE0ELNS1_11target_archE4294967295ELNS1_3gpuE0ELNS1_3repE0EEENS1_47radix_sort_onesweep_sort_config_static_selectorELNS0_4arch9wavefront6targetE0EEEvSK_.private_seg_size, 0
	.set _ZN7rocprim17ROCPRIM_400000_NS6detail17trampoline_kernelINS0_14default_configENS1_35radix_sort_onesweep_config_selectorIiNS0_10empty_typeEEEZZNS1_29radix_sort_onesweep_iterationIS3_Lb0EN6thrust23THRUST_200600_302600_NS6detail15normal_iteratorINS9_10device_ptrIiEEEESE_PS5_SF_jNS0_19identity_decomposerENS1_16block_id_wrapperIjLb1EEEEE10hipError_tT1_PNSt15iterator_traitsISK_E10value_typeET2_T3_PNSL_ISQ_E10value_typeET4_T5_PSV_SW_PNS1_23onesweep_lookback_stateEbbT6_jjT7_P12ihipStream_tbENKUlT_T0_SK_SP_E_clIPiSE_SF_SF_EEDaS13_S14_SK_SP_EUlS13_E_NS1_11comp_targetILNS1_3genE0ELNS1_11target_archE4294967295ELNS1_3gpuE0ELNS1_3repE0EEENS1_47radix_sort_onesweep_sort_config_static_selectorELNS0_4arch9wavefront6targetE0EEEvSK_.uses_vcc, 0
	.set _ZN7rocprim17ROCPRIM_400000_NS6detail17trampoline_kernelINS0_14default_configENS1_35radix_sort_onesweep_config_selectorIiNS0_10empty_typeEEEZZNS1_29radix_sort_onesweep_iterationIS3_Lb0EN6thrust23THRUST_200600_302600_NS6detail15normal_iteratorINS9_10device_ptrIiEEEESE_PS5_SF_jNS0_19identity_decomposerENS1_16block_id_wrapperIjLb1EEEEE10hipError_tT1_PNSt15iterator_traitsISK_E10value_typeET2_T3_PNSL_ISQ_E10value_typeET4_T5_PSV_SW_PNS1_23onesweep_lookback_stateEbbT6_jjT7_P12ihipStream_tbENKUlT_T0_SK_SP_E_clIPiSE_SF_SF_EEDaS13_S14_SK_SP_EUlS13_E_NS1_11comp_targetILNS1_3genE0ELNS1_11target_archE4294967295ELNS1_3gpuE0ELNS1_3repE0EEENS1_47radix_sort_onesweep_sort_config_static_selectorELNS0_4arch9wavefront6targetE0EEEvSK_.uses_flat_scratch, 0
	.set _ZN7rocprim17ROCPRIM_400000_NS6detail17trampoline_kernelINS0_14default_configENS1_35radix_sort_onesweep_config_selectorIiNS0_10empty_typeEEEZZNS1_29radix_sort_onesweep_iterationIS3_Lb0EN6thrust23THRUST_200600_302600_NS6detail15normal_iteratorINS9_10device_ptrIiEEEESE_PS5_SF_jNS0_19identity_decomposerENS1_16block_id_wrapperIjLb1EEEEE10hipError_tT1_PNSt15iterator_traitsISK_E10value_typeET2_T3_PNSL_ISQ_E10value_typeET4_T5_PSV_SW_PNS1_23onesweep_lookback_stateEbbT6_jjT7_P12ihipStream_tbENKUlT_T0_SK_SP_E_clIPiSE_SF_SF_EEDaS13_S14_SK_SP_EUlS13_E_NS1_11comp_targetILNS1_3genE0ELNS1_11target_archE4294967295ELNS1_3gpuE0ELNS1_3repE0EEENS1_47radix_sort_onesweep_sort_config_static_selectorELNS0_4arch9wavefront6targetE0EEEvSK_.has_dyn_sized_stack, 0
	.set _ZN7rocprim17ROCPRIM_400000_NS6detail17trampoline_kernelINS0_14default_configENS1_35radix_sort_onesweep_config_selectorIiNS0_10empty_typeEEEZZNS1_29radix_sort_onesweep_iterationIS3_Lb0EN6thrust23THRUST_200600_302600_NS6detail15normal_iteratorINS9_10device_ptrIiEEEESE_PS5_SF_jNS0_19identity_decomposerENS1_16block_id_wrapperIjLb1EEEEE10hipError_tT1_PNSt15iterator_traitsISK_E10value_typeET2_T3_PNSL_ISQ_E10value_typeET4_T5_PSV_SW_PNS1_23onesweep_lookback_stateEbbT6_jjT7_P12ihipStream_tbENKUlT_T0_SK_SP_E_clIPiSE_SF_SF_EEDaS13_S14_SK_SP_EUlS13_E_NS1_11comp_targetILNS1_3genE0ELNS1_11target_archE4294967295ELNS1_3gpuE0ELNS1_3repE0EEENS1_47radix_sort_onesweep_sort_config_static_selectorELNS0_4arch9wavefront6targetE0EEEvSK_.has_recursion, 0
	.set _ZN7rocprim17ROCPRIM_400000_NS6detail17trampoline_kernelINS0_14default_configENS1_35radix_sort_onesweep_config_selectorIiNS0_10empty_typeEEEZZNS1_29radix_sort_onesweep_iterationIS3_Lb0EN6thrust23THRUST_200600_302600_NS6detail15normal_iteratorINS9_10device_ptrIiEEEESE_PS5_SF_jNS0_19identity_decomposerENS1_16block_id_wrapperIjLb1EEEEE10hipError_tT1_PNSt15iterator_traitsISK_E10value_typeET2_T3_PNSL_ISQ_E10value_typeET4_T5_PSV_SW_PNS1_23onesweep_lookback_stateEbbT6_jjT7_P12ihipStream_tbENKUlT_T0_SK_SP_E_clIPiSE_SF_SF_EEDaS13_S14_SK_SP_EUlS13_E_NS1_11comp_targetILNS1_3genE0ELNS1_11target_archE4294967295ELNS1_3gpuE0ELNS1_3repE0EEENS1_47radix_sort_onesweep_sort_config_static_selectorELNS0_4arch9wavefront6targetE0EEEvSK_.has_indirect_call, 0
	.section	.AMDGPU.csdata,"",@progbits
; Kernel info:
; codeLenInByte = 0
; TotalNumSgprs: 0
; NumVgprs: 0
; ScratchSize: 0
; MemoryBound: 0
; FloatMode: 240
; IeeeMode: 1
; LDSByteSize: 0 bytes/workgroup (compile time only)
; SGPRBlocks: 0
; VGPRBlocks: 0
; NumSGPRsForWavesPerEU: 1
; NumVGPRsForWavesPerEU: 1
; Occupancy: 16
; WaveLimiterHint : 0
; COMPUTE_PGM_RSRC2:SCRATCH_EN: 0
; COMPUTE_PGM_RSRC2:USER_SGPR: 6
; COMPUTE_PGM_RSRC2:TRAP_HANDLER: 0
; COMPUTE_PGM_RSRC2:TGID_X_EN: 1
; COMPUTE_PGM_RSRC2:TGID_Y_EN: 0
; COMPUTE_PGM_RSRC2:TGID_Z_EN: 0
; COMPUTE_PGM_RSRC2:TIDIG_COMP_CNT: 0
	.section	.text._ZN7rocprim17ROCPRIM_400000_NS6detail17trampoline_kernelINS0_14default_configENS1_35radix_sort_onesweep_config_selectorIiNS0_10empty_typeEEEZZNS1_29radix_sort_onesweep_iterationIS3_Lb0EN6thrust23THRUST_200600_302600_NS6detail15normal_iteratorINS9_10device_ptrIiEEEESE_PS5_SF_jNS0_19identity_decomposerENS1_16block_id_wrapperIjLb1EEEEE10hipError_tT1_PNSt15iterator_traitsISK_E10value_typeET2_T3_PNSL_ISQ_E10value_typeET4_T5_PSV_SW_PNS1_23onesweep_lookback_stateEbbT6_jjT7_P12ihipStream_tbENKUlT_T0_SK_SP_E_clIPiSE_SF_SF_EEDaS13_S14_SK_SP_EUlS13_E_NS1_11comp_targetILNS1_3genE6ELNS1_11target_archE950ELNS1_3gpuE13ELNS1_3repE0EEENS1_47radix_sort_onesweep_sort_config_static_selectorELNS0_4arch9wavefront6targetE0EEEvSK_,"axG",@progbits,_ZN7rocprim17ROCPRIM_400000_NS6detail17trampoline_kernelINS0_14default_configENS1_35radix_sort_onesweep_config_selectorIiNS0_10empty_typeEEEZZNS1_29radix_sort_onesweep_iterationIS3_Lb0EN6thrust23THRUST_200600_302600_NS6detail15normal_iteratorINS9_10device_ptrIiEEEESE_PS5_SF_jNS0_19identity_decomposerENS1_16block_id_wrapperIjLb1EEEEE10hipError_tT1_PNSt15iterator_traitsISK_E10value_typeET2_T3_PNSL_ISQ_E10value_typeET4_T5_PSV_SW_PNS1_23onesweep_lookback_stateEbbT6_jjT7_P12ihipStream_tbENKUlT_T0_SK_SP_E_clIPiSE_SF_SF_EEDaS13_S14_SK_SP_EUlS13_E_NS1_11comp_targetILNS1_3genE6ELNS1_11target_archE950ELNS1_3gpuE13ELNS1_3repE0EEENS1_47radix_sort_onesweep_sort_config_static_selectorELNS0_4arch9wavefront6targetE0EEEvSK_,comdat
	.protected	_ZN7rocprim17ROCPRIM_400000_NS6detail17trampoline_kernelINS0_14default_configENS1_35radix_sort_onesweep_config_selectorIiNS0_10empty_typeEEEZZNS1_29radix_sort_onesweep_iterationIS3_Lb0EN6thrust23THRUST_200600_302600_NS6detail15normal_iteratorINS9_10device_ptrIiEEEESE_PS5_SF_jNS0_19identity_decomposerENS1_16block_id_wrapperIjLb1EEEEE10hipError_tT1_PNSt15iterator_traitsISK_E10value_typeET2_T3_PNSL_ISQ_E10value_typeET4_T5_PSV_SW_PNS1_23onesweep_lookback_stateEbbT6_jjT7_P12ihipStream_tbENKUlT_T0_SK_SP_E_clIPiSE_SF_SF_EEDaS13_S14_SK_SP_EUlS13_E_NS1_11comp_targetILNS1_3genE6ELNS1_11target_archE950ELNS1_3gpuE13ELNS1_3repE0EEENS1_47radix_sort_onesweep_sort_config_static_selectorELNS0_4arch9wavefront6targetE0EEEvSK_ ; -- Begin function _ZN7rocprim17ROCPRIM_400000_NS6detail17trampoline_kernelINS0_14default_configENS1_35radix_sort_onesweep_config_selectorIiNS0_10empty_typeEEEZZNS1_29radix_sort_onesweep_iterationIS3_Lb0EN6thrust23THRUST_200600_302600_NS6detail15normal_iteratorINS9_10device_ptrIiEEEESE_PS5_SF_jNS0_19identity_decomposerENS1_16block_id_wrapperIjLb1EEEEE10hipError_tT1_PNSt15iterator_traitsISK_E10value_typeET2_T3_PNSL_ISQ_E10value_typeET4_T5_PSV_SW_PNS1_23onesweep_lookback_stateEbbT6_jjT7_P12ihipStream_tbENKUlT_T0_SK_SP_E_clIPiSE_SF_SF_EEDaS13_S14_SK_SP_EUlS13_E_NS1_11comp_targetILNS1_3genE6ELNS1_11target_archE950ELNS1_3gpuE13ELNS1_3repE0EEENS1_47radix_sort_onesweep_sort_config_static_selectorELNS0_4arch9wavefront6targetE0EEEvSK_
	.globl	_ZN7rocprim17ROCPRIM_400000_NS6detail17trampoline_kernelINS0_14default_configENS1_35radix_sort_onesweep_config_selectorIiNS0_10empty_typeEEEZZNS1_29radix_sort_onesweep_iterationIS3_Lb0EN6thrust23THRUST_200600_302600_NS6detail15normal_iteratorINS9_10device_ptrIiEEEESE_PS5_SF_jNS0_19identity_decomposerENS1_16block_id_wrapperIjLb1EEEEE10hipError_tT1_PNSt15iterator_traitsISK_E10value_typeET2_T3_PNSL_ISQ_E10value_typeET4_T5_PSV_SW_PNS1_23onesweep_lookback_stateEbbT6_jjT7_P12ihipStream_tbENKUlT_T0_SK_SP_E_clIPiSE_SF_SF_EEDaS13_S14_SK_SP_EUlS13_E_NS1_11comp_targetILNS1_3genE6ELNS1_11target_archE950ELNS1_3gpuE13ELNS1_3repE0EEENS1_47radix_sort_onesweep_sort_config_static_selectorELNS0_4arch9wavefront6targetE0EEEvSK_
	.p2align	8
	.type	_ZN7rocprim17ROCPRIM_400000_NS6detail17trampoline_kernelINS0_14default_configENS1_35radix_sort_onesweep_config_selectorIiNS0_10empty_typeEEEZZNS1_29radix_sort_onesweep_iterationIS3_Lb0EN6thrust23THRUST_200600_302600_NS6detail15normal_iteratorINS9_10device_ptrIiEEEESE_PS5_SF_jNS0_19identity_decomposerENS1_16block_id_wrapperIjLb1EEEEE10hipError_tT1_PNSt15iterator_traitsISK_E10value_typeET2_T3_PNSL_ISQ_E10value_typeET4_T5_PSV_SW_PNS1_23onesweep_lookback_stateEbbT6_jjT7_P12ihipStream_tbENKUlT_T0_SK_SP_E_clIPiSE_SF_SF_EEDaS13_S14_SK_SP_EUlS13_E_NS1_11comp_targetILNS1_3genE6ELNS1_11target_archE950ELNS1_3gpuE13ELNS1_3repE0EEENS1_47radix_sort_onesweep_sort_config_static_selectorELNS0_4arch9wavefront6targetE0EEEvSK_,@function
_ZN7rocprim17ROCPRIM_400000_NS6detail17trampoline_kernelINS0_14default_configENS1_35radix_sort_onesweep_config_selectorIiNS0_10empty_typeEEEZZNS1_29radix_sort_onesweep_iterationIS3_Lb0EN6thrust23THRUST_200600_302600_NS6detail15normal_iteratorINS9_10device_ptrIiEEEESE_PS5_SF_jNS0_19identity_decomposerENS1_16block_id_wrapperIjLb1EEEEE10hipError_tT1_PNSt15iterator_traitsISK_E10value_typeET2_T3_PNSL_ISQ_E10value_typeET4_T5_PSV_SW_PNS1_23onesweep_lookback_stateEbbT6_jjT7_P12ihipStream_tbENKUlT_T0_SK_SP_E_clIPiSE_SF_SF_EEDaS13_S14_SK_SP_EUlS13_E_NS1_11comp_targetILNS1_3genE6ELNS1_11target_archE950ELNS1_3gpuE13ELNS1_3repE0EEENS1_47radix_sort_onesweep_sort_config_static_selectorELNS0_4arch9wavefront6targetE0EEEvSK_: ; @_ZN7rocprim17ROCPRIM_400000_NS6detail17trampoline_kernelINS0_14default_configENS1_35radix_sort_onesweep_config_selectorIiNS0_10empty_typeEEEZZNS1_29radix_sort_onesweep_iterationIS3_Lb0EN6thrust23THRUST_200600_302600_NS6detail15normal_iteratorINS9_10device_ptrIiEEEESE_PS5_SF_jNS0_19identity_decomposerENS1_16block_id_wrapperIjLb1EEEEE10hipError_tT1_PNSt15iterator_traitsISK_E10value_typeET2_T3_PNSL_ISQ_E10value_typeET4_T5_PSV_SW_PNS1_23onesweep_lookback_stateEbbT6_jjT7_P12ihipStream_tbENKUlT_T0_SK_SP_E_clIPiSE_SF_SF_EEDaS13_S14_SK_SP_EUlS13_E_NS1_11comp_targetILNS1_3genE6ELNS1_11target_archE950ELNS1_3gpuE13ELNS1_3repE0EEENS1_47radix_sort_onesweep_sort_config_static_selectorELNS0_4arch9wavefront6targetE0EEEvSK_
; %bb.0:
	.section	.rodata,"a",@progbits
	.p2align	6, 0x0
	.amdhsa_kernel _ZN7rocprim17ROCPRIM_400000_NS6detail17trampoline_kernelINS0_14default_configENS1_35radix_sort_onesweep_config_selectorIiNS0_10empty_typeEEEZZNS1_29radix_sort_onesweep_iterationIS3_Lb0EN6thrust23THRUST_200600_302600_NS6detail15normal_iteratorINS9_10device_ptrIiEEEESE_PS5_SF_jNS0_19identity_decomposerENS1_16block_id_wrapperIjLb1EEEEE10hipError_tT1_PNSt15iterator_traitsISK_E10value_typeET2_T3_PNSL_ISQ_E10value_typeET4_T5_PSV_SW_PNS1_23onesweep_lookback_stateEbbT6_jjT7_P12ihipStream_tbENKUlT_T0_SK_SP_E_clIPiSE_SF_SF_EEDaS13_S14_SK_SP_EUlS13_E_NS1_11comp_targetILNS1_3genE6ELNS1_11target_archE950ELNS1_3gpuE13ELNS1_3repE0EEENS1_47radix_sort_onesweep_sort_config_static_selectorELNS0_4arch9wavefront6targetE0EEEvSK_
		.amdhsa_group_segment_fixed_size 0
		.amdhsa_private_segment_fixed_size 0
		.amdhsa_kernarg_size 88
		.amdhsa_user_sgpr_count 6
		.amdhsa_user_sgpr_private_segment_buffer 1
		.amdhsa_user_sgpr_dispatch_ptr 0
		.amdhsa_user_sgpr_queue_ptr 0
		.amdhsa_user_sgpr_kernarg_segment_ptr 1
		.amdhsa_user_sgpr_dispatch_id 0
		.amdhsa_user_sgpr_flat_scratch_init 0
		.amdhsa_user_sgpr_private_segment_size 0
		.amdhsa_wavefront_size32 1
		.amdhsa_uses_dynamic_stack 0
		.amdhsa_system_sgpr_private_segment_wavefront_offset 0
		.amdhsa_system_sgpr_workgroup_id_x 1
		.amdhsa_system_sgpr_workgroup_id_y 0
		.amdhsa_system_sgpr_workgroup_id_z 0
		.amdhsa_system_sgpr_workgroup_info 0
		.amdhsa_system_vgpr_workitem_id 0
		.amdhsa_next_free_vgpr 1
		.amdhsa_next_free_sgpr 1
		.amdhsa_reserve_vcc 0
		.amdhsa_reserve_flat_scratch 0
		.amdhsa_float_round_mode_32 0
		.amdhsa_float_round_mode_16_64 0
		.amdhsa_float_denorm_mode_32 3
		.amdhsa_float_denorm_mode_16_64 3
		.amdhsa_dx10_clamp 1
		.amdhsa_ieee_mode 1
		.amdhsa_fp16_overflow 0
		.amdhsa_workgroup_processor_mode 1
		.amdhsa_memory_ordered 1
		.amdhsa_forward_progress 1
		.amdhsa_shared_vgpr_count 0
		.amdhsa_exception_fp_ieee_invalid_op 0
		.amdhsa_exception_fp_denorm_src 0
		.amdhsa_exception_fp_ieee_div_zero 0
		.amdhsa_exception_fp_ieee_overflow 0
		.amdhsa_exception_fp_ieee_underflow 0
		.amdhsa_exception_fp_ieee_inexact 0
		.amdhsa_exception_int_div_zero 0
	.end_amdhsa_kernel
	.section	.text._ZN7rocprim17ROCPRIM_400000_NS6detail17trampoline_kernelINS0_14default_configENS1_35radix_sort_onesweep_config_selectorIiNS0_10empty_typeEEEZZNS1_29radix_sort_onesweep_iterationIS3_Lb0EN6thrust23THRUST_200600_302600_NS6detail15normal_iteratorINS9_10device_ptrIiEEEESE_PS5_SF_jNS0_19identity_decomposerENS1_16block_id_wrapperIjLb1EEEEE10hipError_tT1_PNSt15iterator_traitsISK_E10value_typeET2_T3_PNSL_ISQ_E10value_typeET4_T5_PSV_SW_PNS1_23onesweep_lookback_stateEbbT6_jjT7_P12ihipStream_tbENKUlT_T0_SK_SP_E_clIPiSE_SF_SF_EEDaS13_S14_SK_SP_EUlS13_E_NS1_11comp_targetILNS1_3genE6ELNS1_11target_archE950ELNS1_3gpuE13ELNS1_3repE0EEENS1_47radix_sort_onesweep_sort_config_static_selectorELNS0_4arch9wavefront6targetE0EEEvSK_,"axG",@progbits,_ZN7rocprim17ROCPRIM_400000_NS6detail17trampoline_kernelINS0_14default_configENS1_35radix_sort_onesweep_config_selectorIiNS0_10empty_typeEEEZZNS1_29radix_sort_onesweep_iterationIS3_Lb0EN6thrust23THRUST_200600_302600_NS6detail15normal_iteratorINS9_10device_ptrIiEEEESE_PS5_SF_jNS0_19identity_decomposerENS1_16block_id_wrapperIjLb1EEEEE10hipError_tT1_PNSt15iterator_traitsISK_E10value_typeET2_T3_PNSL_ISQ_E10value_typeET4_T5_PSV_SW_PNS1_23onesweep_lookback_stateEbbT6_jjT7_P12ihipStream_tbENKUlT_T0_SK_SP_E_clIPiSE_SF_SF_EEDaS13_S14_SK_SP_EUlS13_E_NS1_11comp_targetILNS1_3genE6ELNS1_11target_archE950ELNS1_3gpuE13ELNS1_3repE0EEENS1_47radix_sort_onesweep_sort_config_static_selectorELNS0_4arch9wavefront6targetE0EEEvSK_,comdat
.Lfunc_end178:
	.size	_ZN7rocprim17ROCPRIM_400000_NS6detail17trampoline_kernelINS0_14default_configENS1_35radix_sort_onesweep_config_selectorIiNS0_10empty_typeEEEZZNS1_29radix_sort_onesweep_iterationIS3_Lb0EN6thrust23THRUST_200600_302600_NS6detail15normal_iteratorINS9_10device_ptrIiEEEESE_PS5_SF_jNS0_19identity_decomposerENS1_16block_id_wrapperIjLb1EEEEE10hipError_tT1_PNSt15iterator_traitsISK_E10value_typeET2_T3_PNSL_ISQ_E10value_typeET4_T5_PSV_SW_PNS1_23onesweep_lookback_stateEbbT6_jjT7_P12ihipStream_tbENKUlT_T0_SK_SP_E_clIPiSE_SF_SF_EEDaS13_S14_SK_SP_EUlS13_E_NS1_11comp_targetILNS1_3genE6ELNS1_11target_archE950ELNS1_3gpuE13ELNS1_3repE0EEENS1_47radix_sort_onesweep_sort_config_static_selectorELNS0_4arch9wavefront6targetE0EEEvSK_, .Lfunc_end178-_ZN7rocprim17ROCPRIM_400000_NS6detail17trampoline_kernelINS0_14default_configENS1_35radix_sort_onesweep_config_selectorIiNS0_10empty_typeEEEZZNS1_29radix_sort_onesweep_iterationIS3_Lb0EN6thrust23THRUST_200600_302600_NS6detail15normal_iteratorINS9_10device_ptrIiEEEESE_PS5_SF_jNS0_19identity_decomposerENS1_16block_id_wrapperIjLb1EEEEE10hipError_tT1_PNSt15iterator_traitsISK_E10value_typeET2_T3_PNSL_ISQ_E10value_typeET4_T5_PSV_SW_PNS1_23onesweep_lookback_stateEbbT6_jjT7_P12ihipStream_tbENKUlT_T0_SK_SP_E_clIPiSE_SF_SF_EEDaS13_S14_SK_SP_EUlS13_E_NS1_11comp_targetILNS1_3genE6ELNS1_11target_archE950ELNS1_3gpuE13ELNS1_3repE0EEENS1_47radix_sort_onesweep_sort_config_static_selectorELNS0_4arch9wavefront6targetE0EEEvSK_
                                        ; -- End function
	.set _ZN7rocprim17ROCPRIM_400000_NS6detail17trampoline_kernelINS0_14default_configENS1_35radix_sort_onesweep_config_selectorIiNS0_10empty_typeEEEZZNS1_29radix_sort_onesweep_iterationIS3_Lb0EN6thrust23THRUST_200600_302600_NS6detail15normal_iteratorINS9_10device_ptrIiEEEESE_PS5_SF_jNS0_19identity_decomposerENS1_16block_id_wrapperIjLb1EEEEE10hipError_tT1_PNSt15iterator_traitsISK_E10value_typeET2_T3_PNSL_ISQ_E10value_typeET4_T5_PSV_SW_PNS1_23onesweep_lookback_stateEbbT6_jjT7_P12ihipStream_tbENKUlT_T0_SK_SP_E_clIPiSE_SF_SF_EEDaS13_S14_SK_SP_EUlS13_E_NS1_11comp_targetILNS1_3genE6ELNS1_11target_archE950ELNS1_3gpuE13ELNS1_3repE0EEENS1_47radix_sort_onesweep_sort_config_static_selectorELNS0_4arch9wavefront6targetE0EEEvSK_.num_vgpr, 0
	.set _ZN7rocprim17ROCPRIM_400000_NS6detail17trampoline_kernelINS0_14default_configENS1_35radix_sort_onesweep_config_selectorIiNS0_10empty_typeEEEZZNS1_29radix_sort_onesweep_iterationIS3_Lb0EN6thrust23THRUST_200600_302600_NS6detail15normal_iteratorINS9_10device_ptrIiEEEESE_PS5_SF_jNS0_19identity_decomposerENS1_16block_id_wrapperIjLb1EEEEE10hipError_tT1_PNSt15iterator_traitsISK_E10value_typeET2_T3_PNSL_ISQ_E10value_typeET4_T5_PSV_SW_PNS1_23onesweep_lookback_stateEbbT6_jjT7_P12ihipStream_tbENKUlT_T0_SK_SP_E_clIPiSE_SF_SF_EEDaS13_S14_SK_SP_EUlS13_E_NS1_11comp_targetILNS1_3genE6ELNS1_11target_archE950ELNS1_3gpuE13ELNS1_3repE0EEENS1_47radix_sort_onesweep_sort_config_static_selectorELNS0_4arch9wavefront6targetE0EEEvSK_.num_agpr, 0
	.set _ZN7rocprim17ROCPRIM_400000_NS6detail17trampoline_kernelINS0_14default_configENS1_35radix_sort_onesweep_config_selectorIiNS0_10empty_typeEEEZZNS1_29radix_sort_onesweep_iterationIS3_Lb0EN6thrust23THRUST_200600_302600_NS6detail15normal_iteratorINS9_10device_ptrIiEEEESE_PS5_SF_jNS0_19identity_decomposerENS1_16block_id_wrapperIjLb1EEEEE10hipError_tT1_PNSt15iterator_traitsISK_E10value_typeET2_T3_PNSL_ISQ_E10value_typeET4_T5_PSV_SW_PNS1_23onesweep_lookback_stateEbbT6_jjT7_P12ihipStream_tbENKUlT_T0_SK_SP_E_clIPiSE_SF_SF_EEDaS13_S14_SK_SP_EUlS13_E_NS1_11comp_targetILNS1_3genE6ELNS1_11target_archE950ELNS1_3gpuE13ELNS1_3repE0EEENS1_47radix_sort_onesweep_sort_config_static_selectorELNS0_4arch9wavefront6targetE0EEEvSK_.numbered_sgpr, 0
	.set _ZN7rocprim17ROCPRIM_400000_NS6detail17trampoline_kernelINS0_14default_configENS1_35radix_sort_onesweep_config_selectorIiNS0_10empty_typeEEEZZNS1_29radix_sort_onesweep_iterationIS3_Lb0EN6thrust23THRUST_200600_302600_NS6detail15normal_iteratorINS9_10device_ptrIiEEEESE_PS5_SF_jNS0_19identity_decomposerENS1_16block_id_wrapperIjLb1EEEEE10hipError_tT1_PNSt15iterator_traitsISK_E10value_typeET2_T3_PNSL_ISQ_E10value_typeET4_T5_PSV_SW_PNS1_23onesweep_lookback_stateEbbT6_jjT7_P12ihipStream_tbENKUlT_T0_SK_SP_E_clIPiSE_SF_SF_EEDaS13_S14_SK_SP_EUlS13_E_NS1_11comp_targetILNS1_3genE6ELNS1_11target_archE950ELNS1_3gpuE13ELNS1_3repE0EEENS1_47radix_sort_onesweep_sort_config_static_selectorELNS0_4arch9wavefront6targetE0EEEvSK_.num_named_barrier, 0
	.set _ZN7rocprim17ROCPRIM_400000_NS6detail17trampoline_kernelINS0_14default_configENS1_35radix_sort_onesweep_config_selectorIiNS0_10empty_typeEEEZZNS1_29radix_sort_onesweep_iterationIS3_Lb0EN6thrust23THRUST_200600_302600_NS6detail15normal_iteratorINS9_10device_ptrIiEEEESE_PS5_SF_jNS0_19identity_decomposerENS1_16block_id_wrapperIjLb1EEEEE10hipError_tT1_PNSt15iterator_traitsISK_E10value_typeET2_T3_PNSL_ISQ_E10value_typeET4_T5_PSV_SW_PNS1_23onesweep_lookback_stateEbbT6_jjT7_P12ihipStream_tbENKUlT_T0_SK_SP_E_clIPiSE_SF_SF_EEDaS13_S14_SK_SP_EUlS13_E_NS1_11comp_targetILNS1_3genE6ELNS1_11target_archE950ELNS1_3gpuE13ELNS1_3repE0EEENS1_47radix_sort_onesweep_sort_config_static_selectorELNS0_4arch9wavefront6targetE0EEEvSK_.private_seg_size, 0
	.set _ZN7rocprim17ROCPRIM_400000_NS6detail17trampoline_kernelINS0_14default_configENS1_35radix_sort_onesweep_config_selectorIiNS0_10empty_typeEEEZZNS1_29radix_sort_onesweep_iterationIS3_Lb0EN6thrust23THRUST_200600_302600_NS6detail15normal_iteratorINS9_10device_ptrIiEEEESE_PS5_SF_jNS0_19identity_decomposerENS1_16block_id_wrapperIjLb1EEEEE10hipError_tT1_PNSt15iterator_traitsISK_E10value_typeET2_T3_PNSL_ISQ_E10value_typeET4_T5_PSV_SW_PNS1_23onesweep_lookback_stateEbbT6_jjT7_P12ihipStream_tbENKUlT_T0_SK_SP_E_clIPiSE_SF_SF_EEDaS13_S14_SK_SP_EUlS13_E_NS1_11comp_targetILNS1_3genE6ELNS1_11target_archE950ELNS1_3gpuE13ELNS1_3repE0EEENS1_47radix_sort_onesweep_sort_config_static_selectorELNS0_4arch9wavefront6targetE0EEEvSK_.uses_vcc, 0
	.set _ZN7rocprim17ROCPRIM_400000_NS6detail17trampoline_kernelINS0_14default_configENS1_35radix_sort_onesweep_config_selectorIiNS0_10empty_typeEEEZZNS1_29radix_sort_onesweep_iterationIS3_Lb0EN6thrust23THRUST_200600_302600_NS6detail15normal_iteratorINS9_10device_ptrIiEEEESE_PS5_SF_jNS0_19identity_decomposerENS1_16block_id_wrapperIjLb1EEEEE10hipError_tT1_PNSt15iterator_traitsISK_E10value_typeET2_T3_PNSL_ISQ_E10value_typeET4_T5_PSV_SW_PNS1_23onesweep_lookback_stateEbbT6_jjT7_P12ihipStream_tbENKUlT_T0_SK_SP_E_clIPiSE_SF_SF_EEDaS13_S14_SK_SP_EUlS13_E_NS1_11comp_targetILNS1_3genE6ELNS1_11target_archE950ELNS1_3gpuE13ELNS1_3repE0EEENS1_47radix_sort_onesweep_sort_config_static_selectorELNS0_4arch9wavefront6targetE0EEEvSK_.uses_flat_scratch, 0
	.set _ZN7rocprim17ROCPRIM_400000_NS6detail17trampoline_kernelINS0_14default_configENS1_35radix_sort_onesweep_config_selectorIiNS0_10empty_typeEEEZZNS1_29radix_sort_onesweep_iterationIS3_Lb0EN6thrust23THRUST_200600_302600_NS6detail15normal_iteratorINS9_10device_ptrIiEEEESE_PS5_SF_jNS0_19identity_decomposerENS1_16block_id_wrapperIjLb1EEEEE10hipError_tT1_PNSt15iterator_traitsISK_E10value_typeET2_T3_PNSL_ISQ_E10value_typeET4_T5_PSV_SW_PNS1_23onesweep_lookback_stateEbbT6_jjT7_P12ihipStream_tbENKUlT_T0_SK_SP_E_clIPiSE_SF_SF_EEDaS13_S14_SK_SP_EUlS13_E_NS1_11comp_targetILNS1_3genE6ELNS1_11target_archE950ELNS1_3gpuE13ELNS1_3repE0EEENS1_47radix_sort_onesweep_sort_config_static_selectorELNS0_4arch9wavefront6targetE0EEEvSK_.has_dyn_sized_stack, 0
	.set _ZN7rocprim17ROCPRIM_400000_NS6detail17trampoline_kernelINS0_14default_configENS1_35radix_sort_onesweep_config_selectorIiNS0_10empty_typeEEEZZNS1_29radix_sort_onesweep_iterationIS3_Lb0EN6thrust23THRUST_200600_302600_NS6detail15normal_iteratorINS9_10device_ptrIiEEEESE_PS5_SF_jNS0_19identity_decomposerENS1_16block_id_wrapperIjLb1EEEEE10hipError_tT1_PNSt15iterator_traitsISK_E10value_typeET2_T3_PNSL_ISQ_E10value_typeET4_T5_PSV_SW_PNS1_23onesweep_lookback_stateEbbT6_jjT7_P12ihipStream_tbENKUlT_T0_SK_SP_E_clIPiSE_SF_SF_EEDaS13_S14_SK_SP_EUlS13_E_NS1_11comp_targetILNS1_3genE6ELNS1_11target_archE950ELNS1_3gpuE13ELNS1_3repE0EEENS1_47radix_sort_onesweep_sort_config_static_selectorELNS0_4arch9wavefront6targetE0EEEvSK_.has_recursion, 0
	.set _ZN7rocprim17ROCPRIM_400000_NS6detail17trampoline_kernelINS0_14default_configENS1_35radix_sort_onesweep_config_selectorIiNS0_10empty_typeEEEZZNS1_29radix_sort_onesweep_iterationIS3_Lb0EN6thrust23THRUST_200600_302600_NS6detail15normal_iteratorINS9_10device_ptrIiEEEESE_PS5_SF_jNS0_19identity_decomposerENS1_16block_id_wrapperIjLb1EEEEE10hipError_tT1_PNSt15iterator_traitsISK_E10value_typeET2_T3_PNSL_ISQ_E10value_typeET4_T5_PSV_SW_PNS1_23onesweep_lookback_stateEbbT6_jjT7_P12ihipStream_tbENKUlT_T0_SK_SP_E_clIPiSE_SF_SF_EEDaS13_S14_SK_SP_EUlS13_E_NS1_11comp_targetILNS1_3genE6ELNS1_11target_archE950ELNS1_3gpuE13ELNS1_3repE0EEENS1_47radix_sort_onesweep_sort_config_static_selectorELNS0_4arch9wavefront6targetE0EEEvSK_.has_indirect_call, 0
	.section	.AMDGPU.csdata,"",@progbits
; Kernel info:
; codeLenInByte = 0
; TotalNumSgprs: 0
; NumVgprs: 0
; ScratchSize: 0
; MemoryBound: 0
; FloatMode: 240
; IeeeMode: 1
; LDSByteSize: 0 bytes/workgroup (compile time only)
; SGPRBlocks: 0
; VGPRBlocks: 0
; NumSGPRsForWavesPerEU: 1
; NumVGPRsForWavesPerEU: 1
; Occupancy: 16
; WaveLimiterHint : 0
; COMPUTE_PGM_RSRC2:SCRATCH_EN: 0
; COMPUTE_PGM_RSRC2:USER_SGPR: 6
; COMPUTE_PGM_RSRC2:TRAP_HANDLER: 0
; COMPUTE_PGM_RSRC2:TGID_X_EN: 1
; COMPUTE_PGM_RSRC2:TGID_Y_EN: 0
; COMPUTE_PGM_RSRC2:TGID_Z_EN: 0
; COMPUTE_PGM_RSRC2:TIDIG_COMP_CNT: 0
	.section	.text._ZN7rocprim17ROCPRIM_400000_NS6detail17trampoline_kernelINS0_14default_configENS1_35radix_sort_onesweep_config_selectorIiNS0_10empty_typeEEEZZNS1_29radix_sort_onesweep_iterationIS3_Lb0EN6thrust23THRUST_200600_302600_NS6detail15normal_iteratorINS9_10device_ptrIiEEEESE_PS5_SF_jNS0_19identity_decomposerENS1_16block_id_wrapperIjLb1EEEEE10hipError_tT1_PNSt15iterator_traitsISK_E10value_typeET2_T3_PNSL_ISQ_E10value_typeET4_T5_PSV_SW_PNS1_23onesweep_lookback_stateEbbT6_jjT7_P12ihipStream_tbENKUlT_T0_SK_SP_E_clIPiSE_SF_SF_EEDaS13_S14_SK_SP_EUlS13_E_NS1_11comp_targetILNS1_3genE5ELNS1_11target_archE942ELNS1_3gpuE9ELNS1_3repE0EEENS1_47radix_sort_onesweep_sort_config_static_selectorELNS0_4arch9wavefront6targetE0EEEvSK_,"axG",@progbits,_ZN7rocprim17ROCPRIM_400000_NS6detail17trampoline_kernelINS0_14default_configENS1_35radix_sort_onesweep_config_selectorIiNS0_10empty_typeEEEZZNS1_29radix_sort_onesweep_iterationIS3_Lb0EN6thrust23THRUST_200600_302600_NS6detail15normal_iteratorINS9_10device_ptrIiEEEESE_PS5_SF_jNS0_19identity_decomposerENS1_16block_id_wrapperIjLb1EEEEE10hipError_tT1_PNSt15iterator_traitsISK_E10value_typeET2_T3_PNSL_ISQ_E10value_typeET4_T5_PSV_SW_PNS1_23onesweep_lookback_stateEbbT6_jjT7_P12ihipStream_tbENKUlT_T0_SK_SP_E_clIPiSE_SF_SF_EEDaS13_S14_SK_SP_EUlS13_E_NS1_11comp_targetILNS1_3genE5ELNS1_11target_archE942ELNS1_3gpuE9ELNS1_3repE0EEENS1_47radix_sort_onesweep_sort_config_static_selectorELNS0_4arch9wavefront6targetE0EEEvSK_,comdat
	.protected	_ZN7rocprim17ROCPRIM_400000_NS6detail17trampoline_kernelINS0_14default_configENS1_35radix_sort_onesweep_config_selectorIiNS0_10empty_typeEEEZZNS1_29radix_sort_onesweep_iterationIS3_Lb0EN6thrust23THRUST_200600_302600_NS6detail15normal_iteratorINS9_10device_ptrIiEEEESE_PS5_SF_jNS0_19identity_decomposerENS1_16block_id_wrapperIjLb1EEEEE10hipError_tT1_PNSt15iterator_traitsISK_E10value_typeET2_T3_PNSL_ISQ_E10value_typeET4_T5_PSV_SW_PNS1_23onesweep_lookback_stateEbbT6_jjT7_P12ihipStream_tbENKUlT_T0_SK_SP_E_clIPiSE_SF_SF_EEDaS13_S14_SK_SP_EUlS13_E_NS1_11comp_targetILNS1_3genE5ELNS1_11target_archE942ELNS1_3gpuE9ELNS1_3repE0EEENS1_47radix_sort_onesweep_sort_config_static_selectorELNS0_4arch9wavefront6targetE0EEEvSK_ ; -- Begin function _ZN7rocprim17ROCPRIM_400000_NS6detail17trampoline_kernelINS0_14default_configENS1_35radix_sort_onesweep_config_selectorIiNS0_10empty_typeEEEZZNS1_29radix_sort_onesweep_iterationIS3_Lb0EN6thrust23THRUST_200600_302600_NS6detail15normal_iteratorINS9_10device_ptrIiEEEESE_PS5_SF_jNS0_19identity_decomposerENS1_16block_id_wrapperIjLb1EEEEE10hipError_tT1_PNSt15iterator_traitsISK_E10value_typeET2_T3_PNSL_ISQ_E10value_typeET4_T5_PSV_SW_PNS1_23onesweep_lookback_stateEbbT6_jjT7_P12ihipStream_tbENKUlT_T0_SK_SP_E_clIPiSE_SF_SF_EEDaS13_S14_SK_SP_EUlS13_E_NS1_11comp_targetILNS1_3genE5ELNS1_11target_archE942ELNS1_3gpuE9ELNS1_3repE0EEENS1_47radix_sort_onesweep_sort_config_static_selectorELNS0_4arch9wavefront6targetE0EEEvSK_
	.globl	_ZN7rocprim17ROCPRIM_400000_NS6detail17trampoline_kernelINS0_14default_configENS1_35radix_sort_onesweep_config_selectorIiNS0_10empty_typeEEEZZNS1_29radix_sort_onesweep_iterationIS3_Lb0EN6thrust23THRUST_200600_302600_NS6detail15normal_iteratorINS9_10device_ptrIiEEEESE_PS5_SF_jNS0_19identity_decomposerENS1_16block_id_wrapperIjLb1EEEEE10hipError_tT1_PNSt15iterator_traitsISK_E10value_typeET2_T3_PNSL_ISQ_E10value_typeET4_T5_PSV_SW_PNS1_23onesweep_lookback_stateEbbT6_jjT7_P12ihipStream_tbENKUlT_T0_SK_SP_E_clIPiSE_SF_SF_EEDaS13_S14_SK_SP_EUlS13_E_NS1_11comp_targetILNS1_3genE5ELNS1_11target_archE942ELNS1_3gpuE9ELNS1_3repE0EEENS1_47radix_sort_onesweep_sort_config_static_selectorELNS0_4arch9wavefront6targetE0EEEvSK_
	.p2align	8
	.type	_ZN7rocprim17ROCPRIM_400000_NS6detail17trampoline_kernelINS0_14default_configENS1_35radix_sort_onesweep_config_selectorIiNS0_10empty_typeEEEZZNS1_29radix_sort_onesweep_iterationIS3_Lb0EN6thrust23THRUST_200600_302600_NS6detail15normal_iteratorINS9_10device_ptrIiEEEESE_PS5_SF_jNS0_19identity_decomposerENS1_16block_id_wrapperIjLb1EEEEE10hipError_tT1_PNSt15iterator_traitsISK_E10value_typeET2_T3_PNSL_ISQ_E10value_typeET4_T5_PSV_SW_PNS1_23onesweep_lookback_stateEbbT6_jjT7_P12ihipStream_tbENKUlT_T0_SK_SP_E_clIPiSE_SF_SF_EEDaS13_S14_SK_SP_EUlS13_E_NS1_11comp_targetILNS1_3genE5ELNS1_11target_archE942ELNS1_3gpuE9ELNS1_3repE0EEENS1_47radix_sort_onesweep_sort_config_static_selectorELNS0_4arch9wavefront6targetE0EEEvSK_,@function
_ZN7rocprim17ROCPRIM_400000_NS6detail17trampoline_kernelINS0_14default_configENS1_35radix_sort_onesweep_config_selectorIiNS0_10empty_typeEEEZZNS1_29radix_sort_onesweep_iterationIS3_Lb0EN6thrust23THRUST_200600_302600_NS6detail15normal_iteratorINS9_10device_ptrIiEEEESE_PS5_SF_jNS0_19identity_decomposerENS1_16block_id_wrapperIjLb1EEEEE10hipError_tT1_PNSt15iterator_traitsISK_E10value_typeET2_T3_PNSL_ISQ_E10value_typeET4_T5_PSV_SW_PNS1_23onesweep_lookback_stateEbbT6_jjT7_P12ihipStream_tbENKUlT_T0_SK_SP_E_clIPiSE_SF_SF_EEDaS13_S14_SK_SP_EUlS13_E_NS1_11comp_targetILNS1_3genE5ELNS1_11target_archE942ELNS1_3gpuE9ELNS1_3repE0EEENS1_47radix_sort_onesweep_sort_config_static_selectorELNS0_4arch9wavefront6targetE0EEEvSK_: ; @_ZN7rocprim17ROCPRIM_400000_NS6detail17trampoline_kernelINS0_14default_configENS1_35radix_sort_onesweep_config_selectorIiNS0_10empty_typeEEEZZNS1_29radix_sort_onesweep_iterationIS3_Lb0EN6thrust23THRUST_200600_302600_NS6detail15normal_iteratorINS9_10device_ptrIiEEEESE_PS5_SF_jNS0_19identity_decomposerENS1_16block_id_wrapperIjLb1EEEEE10hipError_tT1_PNSt15iterator_traitsISK_E10value_typeET2_T3_PNSL_ISQ_E10value_typeET4_T5_PSV_SW_PNS1_23onesweep_lookback_stateEbbT6_jjT7_P12ihipStream_tbENKUlT_T0_SK_SP_E_clIPiSE_SF_SF_EEDaS13_S14_SK_SP_EUlS13_E_NS1_11comp_targetILNS1_3genE5ELNS1_11target_archE942ELNS1_3gpuE9ELNS1_3repE0EEENS1_47radix_sort_onesweep_sort_config_static_selectorELNS0_4arch9wavefront6targetE0EEEvSK_
; %bb.0:
	.section	.rodata,"a",@progbits
	.p2align	6, 0x0
	.amdhsa_kernel _ZN7rocprim17ROCPRIM_400000_NS6detail17trampoline_kernelINS0_14default_configENS1_35radix_sort_onesweep_config_selectorIiNS0_10empty_typeEEEZZNS1_29radix_sort_onesweep_iterationIS3_Lb0EN6thrust23THRUST_200600_302600_NS6detail15normal_iteratorINS9_10device_ptrIiEEEESE_PS5_SF_jNS0_19identity_decomposerENS1_16block_id_wrapperIjLb1EEEEE10hipError_tT1_PNSt15iterator_traitsISK_E10value_typeET2_T3_PNSL_ISQ_E10value_typeET4_T5_PSV_SW_PNS1_23onesweep_lookback_stateEbbT6_jjT7_P12ihipStream_tbENKUlT_T0_SK_SP_E_clIPiSE_SF_SF_EEDaS13_S14_SK_SP_EUlS13_E_NS1_11comp_targetILNS1_3genE5ELNS1_11target_archE942ELNS1_3gpuE9ELNS1_3repE0EEENS1_47radix_sort_onesweep_sort_config_static_selectorELNS0_4arch9wavefront6targetE0EEEvSK_
		.amdhsa_group_segment_fixed_size 0
		.amdhsa_private_segment_fixed_size 0
		.amdhsa_kernarg_size 88
		.amdhsa_user_sgpr_count 6
		.amdhsa_user_sgpr_private_segment_buffer 1
		.amdhsa_user_sgpr_dispatch_ptr 0
		.amdhsa_user_sgpr_queue_ptr 0
		.amdhsa_user_sgpr_kernarg_segment_ptr 1
		.amdhsa_user_sgpr_dispatch_id 0
		.amdhsa_user_sgpr_flat_scratch_init 0
		.amdhsa_user_sgpr_private_segment_size 0
		.amdhsa_wavefront_size32 1
		.amdhsa_uses_dynamic_stack 0
		.amdhsa_system_sgpr_private_segment_wavefront_offset 0
		.amdhsa_system_sgpr_workgroup_id_x 1
		.amdhsa_system_sgpr_workgroup_id_y 0
		.amdhsa_system_sgpr_workgroup_id_z 0
		.amdhsa_system_sgpr_workgroup_info 0
		.amdhsa_system_vgpr_workitem_id 0
		.amdhsa_next_free_vgpr 1
		.amdhsa_next_free_sgpr 1
		.amdhsa_reserve_vcc 0
		.amdhsa_reserve_flat_scratch 0
		.amdhsa_float_round_mode_32 0
		.amdhsa_float_round_mode_16_64 0
		.amdhsa_float_denorm_mode_32 3
		.amdhsa_float_denorm_mode_16_64 3
		.amdhsa_dx10_clamp 1
		.amdhsa_ieee_mode 1
		.amdhsa_fp16_overflow 0
		.amdhsa_workgroup_processor_mode 1
		.amdhsa_memory_ordered 1
		.amdhsa_forward_progress 1
		.amdhsa_shared_vgpr_count 0
		.amdhsa_exception_fp_ieee_invalid_op 0
		.amdhsa_exception_fp_denorm_src 0
		.amdhsa_exception_fp_ieee_div_zero 0
		.amdhsa_exception_fp_ieee_overflow 0
		.amdhsa_exception_fp_ieee_underflow 0
		.amdhsa_exception_fp_ieee_inexact 0
		.amdhsa_exception_int_div_zero 0
	.end_amdhsa_kernel
	.section	.text._ZN7rocprim17ROCPRIM_400000_NS6detail17trampoline_kernelINS0_14default_configENS1_35radix_sort_onesweep_config_selectorIiNS0_10empty_typeEEEZZNS1_29radix_sort_onesweep_iterationIS3_Lb0EN6thrust23THRUST_200600_302600_NS6detail15normal_iteratorINS9_10device_ptrIiEEEESE_PS5_SF_jNS0_19identity_decomposerENS1_16block_id_wrapperIjLb1EEEEE10hipError_tT1_PNSt15iterator_traitsISK_E10value_typeET2_T3_PNSL_ISQ_E10value_typeET4_T5_PSV_SW_PNS1_23onesweep_lookback_stateEbbT6_jjT7_P12ihipStream_tbENKUlT_T0_SK_SP_E_clIPiSE_SF_SF_EEDaS13_S14_SK_SP_EUlS13_E_NS1_11comp_targetILNS1_3genE5ELNS1_11target_archE942ELNS1_3gpuE9ELNS1_3repE0EEENS1_47radix_sort_onesweep_sort_config_static_selectorELNS0_4arch9wavefront6targetE0EEEvSK_,"axG",@progbits,_ZN7rocprim17ROCPRIM_400000_NS6detail17trampoline_kernelINS0_14default_configENS1_35radix_sort_onesweep_config_selectorIiNS0_10empty_typeEEEZZNS1_29radix_sort_onesweep_iterationIS3_Lb0EN6thrust23THRUST_200600_302600_NS6detail15normal_iteratorINS9_10device_ptrIiEEEESE_PS5_SF_jNS0_19identity_decomposerENS1_16block_id_wrapperIjLb1EEEEE10hipError_tT1_PNSt15iterator_traitsISK_E10value_typeET2_T3_PNSL_ISQ_E10value_typeET4_T5_PSV_SW_PNS1_23onesweep_lookback_stateEbbT6_jjT7_P12ihipStream_tbENKUlT_T0_SK_SP_E_clIPiSE_SF_SF_EEDaS13_S14_SK_SP_EUlS13_E_NS1_11comp_targetILNS1_3genE5ELNS1_11target_archE942ELNS1_3gpuE9ELNS1_3repE0EEENS1_47radix_sort_onesweep_sort_config_static_selectorELNS0_4arch9wavefront6targetE0EEEvSK_,comdat
.Lfunc_end179:
	.size	_ZN7rocprim17ROCPRIM_400000_NS6detail17trampoline_kernelINS0_14default_configENS1_35radix_sort_onesweep_config_selectorIiNS0_10empty_typeEEEZZNS1_29radix_sort_onesweep_iterationIS3_Lb0EN6thrust23THRUST_200600_302600_NS6detail15normal_iteratorINS9_10device_ptrIiEEEESE_PS5_SF_jNS0_19identity_decomposerENS1_16block_id_wrapperIjLb1EEEEE10hipError_tT1_PNSt15iterator_traitsISK_E10value_typeET2_T3_PNSL_ISQ_E10value_typeET4_T5_PSV_SW_PNS1_23onesweep_lookback_stateEbbT6_jjT7_P12ihipStream_tbENKUlT_T0_SK_SP_E_clIPiSE_SF_SF_EEDaS13_S14_SK_SP_EUlS13_E_NS1_11comp_targetILNS1_3genE5ELNS1_11target_archE942ELNS1_3gpuE9ELNS1_3repE0EEENS1_47radix_sort_onesweep_sort_config_static_selectorELNS0_4arch9wavefront6targetE0EEEvSK_, .Lfunc_end179-_ZN7rocprim17ROCPRIM_400000_NS6detail17trampoline_kernelINS0_14default_configENS1_35radix_sort_onesweep_config_selectorIiNS0_10empty_typeEEEZZNS1_29radix_sort_onesweep_iterationIS3_Lb0EN6thrust23THRUST_200600_302600_NS6detail15normal_iteratorINS9_10device_ptrIiEEEESE_PS5_SF_jNS0_19identity_decomposerENS1_16block_id_wrapperIjLb1EEEEE10hipError_tT1_PNSt15iterator_traitsISK_E10value_typeET2_T3_PNSL_ISQ_E10value_typeET4_T5_PSV_SW_PNS1_23onesweep_lookback_stateEbbT6_jjT7_P12ihipStream_tbENKUlT_T0_SK_SP_E_clIPiSE_SF_SF_EEDaS13_S14_SK_SP_EUlS13_E_NS1_11comp_targetILNS1_3genE5ELNS1_11target_archE942ELNS1_3gpuE9ELNS1_3repE0EEENS1_47radix_sort_onesweep_sort_config_static_selectorELNS0_4arch9wavefront6targetE0EEEvSK_
                                        ; -- End function
	.set _ZN7rocprim17ROCPRIM_400000_NS6detail17trampoline_kernelINS0_14default_configENS1_35radix_sort_onesweep_config_selectorIiNS0_10empty_typeEEEZZNS1_29radix_sort_onesweep_iterationIS3_Lb0EN6thrust23THRUST_200600_302600_NS6detail15normal_iteratorINS9_10device_ptrIiEEEESE_PS5_SF_jNS0_19identity_decomposerENS1_16block_id_wrapperIjLb1EEEEE10hipError_tT1_PNSt15iterator_traitsISK_E10value_typeET2_T3_PNSL_ISQ_E10value_typeET4_T5_PSV_SW_PNS1_23onesweep_lookback_stateEbbT6_jjT7_P12ihipStream_tbENKUlT_T0_SK_SP_E_clIPiSE_SF_SF_EEDaS13_S14_SK_SP_EUlS13_E_NS1_11comp_targetILNS1_3genE5ELNS1_11target_archE942ELNS1_3gpuE9ELNS1_3repE0EEENS1_47radix_sort_onesweep_sort_config_static_selectorELNS0_4arch9wavefront6targetE0EEEvSK_.num_vgpr, 0
	.set _ZN7rocprim17ROCPRIM_400000_NS6detail17trampoline_kernelINS0_14default_configENS1_35radix_sort_onesweep_config_selectorIiNS0_10empty_typeEEEZZNS1_29radix_sort_onesweep_iterationIS3_Lb0EN6thrust23THRUST_200600_302600_NS6detail15normal_iteratorINS9_10device_ptrIiEEEESE_PS5_SF_jNS0_19identity_decomposerENS1_16block_id_wrapperIjLb1EEEEE10hipError_tT1_PNSt15iterator_traitsISK_E10value_typeET2_T3_PNSL_ISQ_E10value_typeET4_T5_PSV_SW_PNS1_23onesweep_lookback_stateEbbT6_jjT7_P12ihipStream_tbENKUlT_T0_SK_SP_E_clIPiSE_SF_SF_EEDaS13_S14_SK_SP_EUlS13_E_NS1_11comp_targetILNS1_3genE5ELNS1_11target_archE942ELNS1_3gpuE9ELNS1_3repE0EEENS1_47radix_sort_onesweep_sort_config_static_selectorELNS0_4arch9wavefront6targetE0EEEvSK_.num_agpr, 0
	.set _ZN7rocprim17ROCPRIM_400000_NS6detail17trampoline_kernelINS0_14default_configENS1_35radix_sort_onesweep_config_selectorIiNS0_10empty_typeEEEZZNS1_29radix_sort_onesweep_iterationIS3_Lb0EN6thrust23THRUST_200600_302600_NS6detail15normal_iteratorINS9_10device_ptrIiEEEESE_PS5_SF_jNS0_19identity_decomposerENS1_16block_id_wrapperIjLb1EEEEE10hipError_tT1_PNSt15iterator_traitsISK_E10value_typeET2_T3_PNSL_ISQ_E10value_typeET4_T5_PSV_SW_PNS1_23onesweep_lookback_stateEbbT6_jjT7_P12ihipStream_tbENKUlT_T0_SK_SP_E_clIPiSE_SF_SF_EEDaS13_S14_SK_SP_EUlS13_E_NS1_11comp_targetILNS1_3genE5ELNS1_11target_archE942ELNS1_3gpuE9ELNS1_3repE0EEENS1_47radix_sort_onesweep_sort_config_static_selectorELNS0_4arch9wavefront6targetE0EEEvSK_.numbered_sgpr, 0
	.set _ZN7rocprim17ROCPRIM_400000_NS6detail17trampoline_kernelINS0_14default_configENS1_35radix_sort_onesweep_config_selectorIiNS0_10empty_typeEEEZZNS1_29radix_sort_onesweep_iterationIS3_Lb0EN6thrust23THRUST_200600_302600_NS6detail15normal_iteratorINS9_10device_ptrIiEEEESE_PS5_SF_jNS0_19identity_decomposerENS1_16block_id_wrapperIjLb1EEEEE10hipError_tT1_PNSt15iterator_traitsISK_E10value_typeET2_T3_PNSL_ISQ_E10value_typeET4_T5_PSV_SW_PNS1_23onesweep_lookback_stateEbbT6_jjT7_P12ihipStream_tbENKUlT_T0_SK_SP_E_clIPiSE_SF_SF_EEDaS13_S14_SK_SP_EUlS13_E_NS1_11comp_targetILNS1_3genE5ELNS1_11target_archE942ELNS1_3gpuE9ELNS1_3repE0EEENS1_47radix_sort_onesweep_sort_config_static_selectorELNS0_4arch9wavefront6targetE0EEEvSK_.num_named_barrier, 0
	.set _ZN7rocprim17ROCPRIM_400000_NS6detail17trampoline_kernelINS0_14default_configENS1_35radix_sort_onesweep_config_selectorIiNS0_10empty_typeEEEZZNS1_29radix_sort_onesweep_iterationIS3_Lb0EN6thrust23THRUST_200600_302600_NS6detail15normal_iteratorINS9_10device_ptrIiEEEESE_PS5_SF_jNS0_19identity_decomposerENS1_16block_id_wrapperIjLb1EEEEE10hipError_tT1_PNSt15iterator_traitsISK_E10value_typeET2_T3_PNSL_ISQ_E10value_typeET4_T5_PSV_SW_PNS1_23onesweep_lookback_stateEbbT6_jjT7_P12ihipStream_tbENKUlT_T0_SK_SP_E_clIPiSE_SF_SF_EEDaS13_S14_SK_SP_EUlS13_E_NS1_11comp_targetILNS1_3genE5ELNS1_11target_archE942ELNS1_3gpuE9ELNS1_3repE0EEENS1_47radix_sort_onesweep_sort_config_static_selectorELNS0_4arch9wavefront6targetE0EEEvSK_.private_seg_size, 0
	.set _ZN7rocprim17ROCPRIM_400000_NS6detail17trampoline_kernelINS0_14default_configENS1_35radix_sort_onesweep_config_selectorIiNS0_10empty_typeEEEZZNS1_29radix_sort_onesweep_iterationIS3_Lb0EN6thrust23THRUST_200600_302600_NS6detail15normal_iteratorINS9_10device_ptrIiEEEESE_PS5_SF_jNS0_19identity_decomposerENS1_16block_id_wrapperIjLb1EEEEE10hipError_tT1_PNSt15iterator_traitsISK_E10value_typeET2_T3_PNSL_ISQ_E10value_typeET4_T5_PSV_SW_PNS1_23onesweep_lookback_stateEbbT6_jjT7_P12ihipStream_tbENKUlT_T0_SK_SP_E_clIPiSE_SF_SF_EEDaS13_S14_SK_SP_EUlS13_E_NS1_11comp_targetILNS1_3genE5ELNS1_11target_archE942ELNS1_3gpuE9ELNS1_3repE0EEENS1_47radix_sort_onesweep_sort_config_static_selectorELNS0_4arch9wavefront6targetE0EEEvSK_.uses_vcc, 0
	.set _ZN7rocprim17ROCPRIM_400000_NS6detail17trampoline_kernelINS0_14default_configENS1_35radix_sort_onesweep_config_selectorIiNS0_10empty_typeEEEZZNS1_29radix_sort_onesweep_iterationIS3_Lb0EN6thrust23THRUST_200600_302600_NS6detail15normal_iteratorINS9_10device_ptrIiEEEESE_PS5_SF_jNS0_19identity_decomposerENS1_16block_id_wrapperIjLb1EEEEE10hipError_tT1_PNSt15iterator_traitsISK_E10value_typeET2_T3_PNSL_ISQ_E10value_typeET4_T5_PSV_SW_PNS1_23onesweep_lookback_stateEbbT6_jjT7_P12ihipStream_tbENKUlT_T0_SK_SP_E_clIPiSE_SF_SF_EEDaS13_S14_SK_SP_EUlS13_E_NS1_11comp_targetILNS1_3genE5ELNS1_11target_archE942ELNS1_3gpuE9ELNS1_3repE0EEENS1_47radix_sort_onesweep_sort_config_static_selectorELNS0_4arch9wavefront6targetE0EEEvSK_.uses_flat_scratch, 0
	.set _ZN7rocprim17ROCPRIM_400000_NS6detail17trampoline_kernelINS0_14default_configENS1_35radix_sort_onesweep_config_selectorIiNS0_10empty_typeEEEZZNS1_29radix_sort_onesweep_iterationIS3_Lb0EN6thrust23THRUST_200600_302600_NS6detail15normal_iteratorINS9_10device_ptrIiEEEESE_PS5_SF_jNS0_19identity_decomposerENS1_16block_id_wrapperIjLb1EEEEE10hipError_tT1_PNSt15iterator_traitsISK_E10value_typeET2_T3_PNSL_ISQ_E10value_typeET4_T5_PSV_SW_PNS1_23onesweep_lookback_stateEbbT6_jjT7_P12ihipStream_tbENKUlT_T0_SK_SP_E_clIPiSE_SF_SF_EEDaS13_S14_SK_SP_EUlS13_E_NS1_11comp_targetILNS1_3genE5ELNS1_11target_archE942ELNS1_3gpuE9ELNS1_3repE0EEENS1_47radix_sort_onesweep_sort_config_static_selectorELNS0_4arch9wavefront6targetE0EEEvSK_.has_dyn_sized_stack, 0
	.set _ZN7rocprim17ROCPRIM_400000_NS6detail17trampoline_kernelINS0_14default_configENS1_35radix_sort_onesweep_config_selectorIiNS0_10empty_typeEEEZZNS1_29radix_sort_onesweep_iterationIS3_Lb0EN6thrust23THRUST_200600_302600_NS6detail15normal_iteratorINS9_10device_ptrIiEEEESE_PS5_SF_jNS0_19identity_decomposerENS1_16block_id_wrapperIjLb1EEEEE10hipError_tT1_PNSt15iterator_traitsISK_E10value_typeET2_T3_PNSL_ISQ_E10value_typeET4_T5_PSV_SW_PNS1_23onesweep_lookback_stateEbbT6_jjT7_P12ihipStream_tbENKUlT_T0_SK_SP_E_clIPiSE_SF_SF_EEDaS13_S14_SK_SP_EUlS13_E_NS1_11comp_targetILNS1_3genE5ELNS1_11target_archE942ELNS1_3gpuE9ELNS1_3repE0EEENS1_47radix_sort_onesweep_sort_config_static_selectorELNS0_4arch9wavefront6targetE0EEEvSK_.has_recursion, 0
	.set _ZN7rocprim17ROCPRIM_400000_NS6detail17trampoline_kernelINS0_14default_configENS1_35radix_sort_onesweep_config_selectorIiNS0_10empty_typeEEEZZNS1_29radix_sort_onesweep_iterationIS3_Lb0EN6thrust23THRUST_200600_302600_NS6detail15normal_iteratorINS9_10device_ptrIiEEEESE_PS5_SF_jNS0_19identity_decomposerENS1_16block_id_wrapperIjLb1EEEEE10hipError_tT1_PNSt15iterator_traitsISK_E10value_typeET2_T3_PNSL_ISQ_E10value_typeET4_T5_PSV_SW_PNS1_23onesweep_lookback_stateEbbT6_jjT7_P12ihipStream_tbENKUlT_T0_SK_SP_E_clIPiSE_SF_SF_EEDaS13_S14_SK_SP_EUlS13_E_NS1_11comp_targetILNS1_3genE5ELNS1_11target_archE942ELNS1_3gpuE9ELNS1_3repE0EEENS1_47radix_sort_onesweep_sort_config_static_selectorELNS0_4arch9wavefront6targetE0EEEvSK_.has_indirect_call, 0
	.section	.AMDGPU.csdata,"",@progbits
; Kernel info:
; codeLenInByte = 0
; TotalNumSgprs: 0
; NumVgprs: 0
; ScratchSize: 0
; MemoryBound: 0
; FloatMode: 240
; IeeeMode: 1
; LDSByteSize: 0 bytes/workgroup (compile time only)
; SGPRBlocks: 0
; VGPRBlocks: 0
; NumSGPRsForWavesPerEU: 1
; NumVGPRsForWavesPerEU: 1
; Occupancy: 16
; WaveLimiterHint : 0
; COMPUTE_PGM_RSRC2:SCRATCH_EN: 0
; COMPUTE_PGM_RSRC2:USER_SGPR: 6
; COMPUTE_PGM_RSRC2:TRAP_HANDLER: 0
; COMPUTE_PGM_RSRC2:TGID_X_EN: 1
; COMPUTE_PGM_RSRC2:TGID_Y_EN: 0
; COMPUTE_PGM_RSRC2:TGID_Z_EN: 0
; COMPUTE_PGM_RSRC2:TIDIG_COMP_CNT: 0
	.section	.text._ZN7rocprim17ROCPRIM_400000_NS6detail17trampoline_kernelINS0_14default_configENS1_35radix_sort_onesweep_config_selectorIiNS0_10empty_typeEEEZZNS1_29radix_sort_onesweep_iterationIS3_Lb0EN6thrust23THRUST_200600_302600_NS6detail15normal_iteratorINS9_10device_ptrIiEEEESE_PS5_SF_jNS0_19identity_decomposerENS1_16block_id_wrapperIjLb1EEEEE10hipError_tT1_PNSt15iterator_traitsISK_E10value_typeET2_T3_PNSL_ISQ_E10value_typeET4_T5_PSV_SW_PNS1_23onesweep_lookback_stateEbbT6_jjT7_P12ihipStream_tbENKUlT_T0_SK_SP_E_clIPiSE_SF_SF_EEDaS13_S14_SK_SP_EUlS13_E_NS1_11comp_targetILNS1_3genE2ELNS1_11target_archE906ELNS1_3gpuE6ELNS1_3repE0EEENS1_47radix_sort_onesweep_sort_config_static_selectorELNS0_4arch9wavefront6targetE0EEEvSK_,"axG",@progbits,_ZN7rocprim17ROCPRIM_400000_NS6detail17trampoline_kernelINS0_14default_configENS1_35radix_sort_onesweep_config_selectorIiNS0_10empty_typeEEEZZNS1_29radix_sort_onesweep_iterationIS3_Lb0EN6thrust23THRUST_200600_302600_NS6detail15normal_iteratorINS9_10device_ptrIiEEEESE_PS5_SF_jNS0_19identity_decomposerENS1_16block_id_wrapperIjLb1EEEEE10hipError_tT1_PNSt15iterator_traitsISK_E10value_typeET2_T3_PNSL_ISQ_E10value_typeET4_T5_PSV_SW_PNS1_23onesweep_lookback_stateEbbT6_jjT7_P12ihipStream_tbENKUlT_T0_SK_SP_E_clIPiSE_SF_SF_EEDaS13_S14_SK_SP_EUlS13_E_NS1_11comp_targetILNS1_3genE2ELNS1_11target_archE906ELNS1_3gpuE6ELNS1_3repE0EEENS1_47radix_sort_onesweep_sort_config_static_selectorELNS0_4arch9wavefront6targetE0EEEvSK_,comdat
	.protected	_ZN7rocprim17ROCPRIM_400000_NS6detail17trampoline_kernelINS0_14default_configENS1_35radix_sort_onesweep_config_selectorIiNS0_10empty_typeEEEZZNS1_29radix_sort_onesweep_iterationIS3_Lb0EN6thrust23THRUST_200600_302600_NS6detail15normal_iteratorINS9_10device_ptrIiEEEESE_PS5_SF_jNS0_19identity_decomposerENS1_16block_id_wrapperIjLb1EEEEE10hipError_tT1_PNSt15iterator_traitsISK_E10value_typeET2_T3_PNSL_ISQ_E10value_typeET4_T5_PSV_SW_PNS1_23onesweep_lookback_stateEbbT6_jjT7_P12ihipStream_tbENKUlT_T0_SK_SP_E_clIPiSE_SF_SF_EEDaS13_S14_SK_SP_EUlS13_E_NS1_11comp_targetILNS1_3genE2ELNS1_11target_archE906ELNS1_3gpuE6ELNS1_3repE0EEENS1_47radix_sort_onesweep_sort_config_static_selectorELNS0_4arch9wavefront6targetE0EEEvSK_ ; -- Begin function _ZN7rocprim17ROCPRIM_400000_NS6detail17trampoline_kernelINS0_14default_configENS1_35radix_sort_onesweep_config_selectorIiNS0_10empty_typeEEEZZNS1_29radix_sort_onesweep_iterationIS3_Lb0EN6thrust23THRUST_200600_302600_NS6detail15normal_iteratorINS9_10device_ptrIiEEEESE_PS5_SF_jNS0_19identity_decomposerENS1_16block_id_wrapperIjLb1EEEEE10hipError_tT1_PNSt15iterator_traitsISK_E10value_typeET2_T3_PNSL_ISQ_E10value_typeET4_T5_PSV_SW_PNS1_23onesweep_lookback_stateEbbT6_jjT7_P12ihipStream_tbENKUlT_T0_SK_SP_E_clIPiSE_SF_SF_EEDaS13_S14_SK_SP_EUlS13_E_NS1_11comp_targetILNS1_3genE2ELNS1_11target_archE906ELNS1_3gpuE6ELNS1_3repE0EEENS1_47radix_sort_onesweep_sort_config_static_selectorELNS0_4arch9wavefront6targetE0EEEvSK_
	.globl	_ZN7rocprim17ROCPRIM_400000_NS6detail17trampoline_kernelINS0_14default_configENS1_35radix_sort_onesweep_config_selectorIiNS0_10empty_typeEEEZZNS1_29radix_sort_onesweep_iterationIS3_Lb0EN6thrust23THRUST_200600_302600_NS6detail15normal_iteratorINS9_10device_ptrIiEEEESE_PS5_SF_jNS0_19identity_decomposerENS1_16block_id_wrapperIjLb1EEEEE10hipError_tT1_PNSt15iterator_traitsISK_E10value_typeET2_T3_PNSL_ISQ_E10value_typeET4_T5_PSV_SW_PNS1_23onesweep_lookback_stateEbbT6_jjT7_P12ihipStream_tbENKUlT_T0_SK_SP_E_clIPiSE_SF_SF_EEDaS13_S14_SK_SP_EUlS13_E_NS1_11comp_targetILNS1_3genE2ELNS1_11target_archE906ELNS1_3gpuE6ELNS1_3repE0EEENS1_47radix_sort_onesweep_sort_config_static_selectorELNS0_4arch9wavefront6targetE0EEEvSK_
	.p2align	8
	.type	_ZN7rocprim17ROCPRIM_400000_NS6detail17trampoline_kernelINS0_14default_configENS1_35radix_sort_onesweep_config_selectorIiNS0_10empty_typeEEEZZNS1_29radix_sort_onesweep_iterationIS3_Lb0EN6thrust23THRUST_200600_302600_NS6detail15normal_iteratorINS9_10device_ptrIiEEEESE_PS5_SF_jNS0_19identity_decomposerENS1_16block_id_wrapperIjLb1EEEEE10hipError_tT1_PNSt15iterator_traitsISK_E10value_typeET2_T3_PNSL_ISQ_E10value_typeET4_T5_PSV_SW_PNS1_23onesweep_lookback_stateEbbT6_jjT7_P12ihipStream_tbENKUlT_T0_SK_SP_E_clIPiSE_SF_SF_EEDaS13_S14_SK_SP_EUlS13_E_NS1_11comp_targetILNS1_3genE2ELNS1_11target_archE906ELNS1_3gpuE6ELNS1_3repE0EEENS1_47radix_sort_onesweep_sort_config_static_selectorELNS0_4arch9wavefront6targetE0EEEvSK_,@function
_ZN7rocprim17ROCPRIM_400000_NS6detail17trampoline_kernelINS0_14default_configENS1_35radix_sort_onesweep_config_selectorIiNS0_10empty_typeEEEZZNS1_29radix_sort_onesweep_iterationIS3_Lb0EN6thrust23THRUST_200600_302600_NS6detail15normal_iteratorINS9_10device_ptrIiEEEESE_PS5_SF_jNS0_19identity_decomposerENS1_16block_id_wrapperIjLb1EEEEE10hipError_tT1_PNSt15iterator_traitsISK_E10value_typeET2_T3_PNSL_ISQ_E10value_typeET4_T5_PSV_SW_PNS1_23onesweep_lookback_stateEbbT6_jjT7_P12ihipStream_tbENKUlT_T0_SK_SP_E_clIPiSE_SF_SF_EEDaS13_S14_SK_SP_EUlS13_E_NS1_11comp_targetILNS1_3genE2ELNS1_11target_archE906ELNS1_3gpuE6ELNS1_3repE0EEENS1_47radix_sort_onesweep_sort_config_static_selectorELNS0_4arch9wavefront6targetE0EEEvSK_: ; @_ZN7rocprim17ROCPRIM_400000_NS6detail17trampoline_kernelINS0_14default_configENS1_35radix_sort_onesweep_config_selectorIiNS0_10empty_typeEEEZZNS1_29radix_sort_onesweep_iterationIS3_Lb0EN6thrust23THRUST_200600_302600_NS6detail15normal_iteratorINS9_10device_ptrIiEEEESE_PS5_SF_jNS0_19identity_decomposerENS1_16block_id_wrapperIjLb1EEEEE10hipError_tT1_PNSt15iterator_traitsISK_E10value_typeET2_T3_PNSL_ISQ_E10value_typeET4_T5_PSV_SW_PNS1_23onesweep_lookback_stateEbbT6_jjT7_P12ihipStream_tbENKUlT_T0_SK_SP_E_clIPiSE_SF_SF_EEDaS13_S14_SK_SP_EUlS13_E_NS1_11comp_targetILNS1_3genE2ELNS1_11target_archE906ELNS1_3gpuE6ELNS1_3repE0EEENS1_47radix_sort_onesweep_sort_config_static_selectorELNS0_4arch9wavefront6targetE0EEEvSK_
; %bb.0:
	.section	.rodata,"a",@progbits
	.p2align	6, 0x0
	.amdhsa_kernel _ZN7rocprim17ROCPRIM_400000_NS6detail17trampoline_kernelINS0_14default_configENS1_35radix_sort_onesweep_config_selectorIiNS0_10empty_typeEEEZZNS1_29radix_sort_onesweep_iterationIS3_Lb0EN6thrust23THRUST_200600_302600_NS6detail15normal_iteratorINS9_10device_ptrIiEEEESE_PS5_SF_jNS0_19identity_decomposerENS1_16block_id_wrapperIjLb1EEEEE10hipError_tT1_PNSt15iterator_traitsISK_E10value_typeET2_T3_PNSL_ISQ_E10value_typeET4_T5_PSV_SW_PNS1_23onesweep_lookback_stateEbbT6_jjT7_P12ihipStream_tbENKUlT_T0_SK_SP_E_clIPiSE_SF_SF_EEDaS13_S14_SK_SP_EUlS13_E_NS1_11comp_targetILNS1_3genE2ELNS1_11target_archE906ELNS1_3gpuE6ELNS1_3repE0EEENS1_47radix_sort_onesweep_sort_config_static_selectorELNS0_4arch9wavefront6targetE0EEEvSK_
		.amdhsa_group_segment_fixed_size 0
		.amdhsa_private_segment_fixed_size 0
		.amdhsa_kernarg_size 88
		.amdhsa_user_sgpr_count 6
		.amdhsa_user_sgpr_private_segment_buffer 1
		.amdhsa_user_sgpr_dispatch_ptr 0
		.amdhsa_user_sgpr_queue_ptr 0
		.amdhsa_user_sgpr_kernarg_segment_ptr 1
		.amdhsa_user_sgpr_dispatch_id 0
		.amdhsa_user_sgpr_flat_scratch_init 0
		.amdhsa_user_sgpr_private_segment_size 0
		.amdhsa_wavefront_size32 1
		.amdhsa_uses_dynamic_stack 0
		.amdhsa_system_sgpr_private_segment_wavefront_offset 0
		.amdhsa_system_sgpr_workgroup_id_x 1
		.amdhsa_system_sgpr_workgroup_id_y 0
		.amdhsa_system_sgpr_workgroup_id_z 0
		.amdhsa_system_sgpr_workgroup_info 0
		.amdhsa_system_vgpr_workitem_id 0
		.amdhsa_next_free_vgpr 1
		.amdhsa_next_free_sgpr 1
		.amdhsa_reserve_vcc 0
		.amdhsa_reserve_flat_scratch 0
		.amdhsa_float_round_mode_32 0
		.amdhsa_float_round_mode_16_64 0
		.amdhsa_float_denorm_mode_32 3
		.amdhsa_float_denorm_mode_16_64 3
		.amdhsa_dx10_clamp 1
		.amdhsa_ieee_mode 1
		.amdhsa_fp16_overflow 0
		.amdhsa_workgroup_processor_mode 1
		.amdhsa_memory_ordered 1
		.amdhsa_forward_progress 1
		.amdhsa_shared_vgpr_count 0
		.amdhsa_exception_fp_ieee_invalid_op 0
		.amdhsa_exception_fp_denorm_src 0
		.amdhsa_exception_fp_ieee_div_zero 0
		.amdhsa_exception_fp_ieee_overflow 0
		.amdhsa_exception_fp_ieee_underflow 0
		.amdhsa_exception_fp_ieee_inexact 0
		.amdhsa_exception_int_div_zero 0
	.end_amdhsa_kernel
	.section	.text._ZN7rocprim17ROCPRIM_400000_NS6detail17trampoline_kernelINS0_14default_configENS1_35radix_sort_onesweep_config_selectorIiNS0_10empty_typeEEEZZNS1_29radix_sort_onesweep_iterationIS3_Lb0EN6thrust23THRUST_200600_302600_NS6detail15normal_iteratorINS9_10device_ptrIiEEEESE_PS5_SF_jNS0_19identity_decomposerENS1_16block_id_wrapperIjLb1EEEEE10hipError_tT1_PNSt15iterator_traitsISK_E10value_typeET2_T3_PNSL_ISQ_E10value_typeET4_T5_PSV_SW_PNS1_23onesweep_lookback_stateEbbT6_jjT7_P12ihipStream_tbENKUlT_T0_SK_SP_E_clIPiSE_SF_SF_EEDaS13_S14_SK_SP_EUlS13_E_NS1_11comp_targetILNS1_3genE2ELNS1_11target_archE906ELNS1_3gpuE6ELNS1_3repE0EEENS1_47radix_sort_onesweep_sort_config_static_selectorELNS0_4arch9wavefront6targetE0EEEvSK_,"axG",@progbits,_ZN7rocprim17ROCPRIM_400000_NS6detail17trampoline_kernelINS0_14default_configENS1_35radix_sort_onesweep_config_selectorIiNS0_10empty_typeEEEZZNS1_29radix_sort_onesweep_iterationIS3_Lb0EN6thrust23THRUST_200600_302600_NS6detail15normal_iteratorINS9_10device_ptrIiEEEESE_PS5_SF_jNS0_19identity_decomposerENS1_16block_id_wrapperIjLb1EEEEE10hipError_tT1_PNSt15iterator_traitsISK_E10value_typeET2_T3_PNSL_ISQ_E10value_typeET4_T5_PSV_SW_PNS1_23onesweep_lookback_stateEbbT6_jjT7_P12ihipStream_tbENKUlT_T0_SK_SP_E_clIPiSE_SF_SF_EEDaS13_S14_SK_SP_EUlS13_E_NS1_11comp_targetILNS1_3genE2ELNS1_11target_archE906ELNS1_3gpuE6ELNS1_3repE0EEENS1_47radix_sort_onesweep_sort_config_static_selectorELNS0_4arch9wavefront6targetE0EEEvSK_,comdat
.Lfunc_end180:
	.size	_ZN7rocprim17ROCPRIM_400000_NS6detail17trampoline_kernelINS0_14default_configENS1_35radix_sort_onesweep_config_selectorIiNS0_10empty_typeEEEZZNS1_29radix_sort_onesweep_iterationIS3_Lb0EN6thrust23THRUST_200600_302600_NS6detail15normal_iteratorINS9_10device_ptrIiEEEESE_PS5_SF_jNS0_19identity_decomposerENS1_16block_id_wrapperIjLb1EEEEE10hipError_tT1_PNSt15iterator_traitsISK_E10value_typeET2_T3_PNSL_ISQ_E10value_typeET4_T5_PSV_SW_PNS1_23onesweep_lookback_stateEbbT6_jjT7_P12ihipStream_tbENKUlT_T0_SK_SP_E_clIPiSE_SF_SF_EEDaS13_S14_SK_SP_EUlS13_E_NS1_11comp_targetILNS1_3genE2ELNS1_11target_archE906ELNS1_3gpuE6ELNS1_3repE0EEENS1_47radix_sort_onesweep_sort_config_static_selectorELNS0_4arch9wavefront6targetE0EEEvSK_, .Lfunc_end180-_ZN7rocprim17ROCPRIM_400000_NS6detail17trampoline_kernelINS0_14default_configENS1_35radix_sort_onesweep_config_selectorIiNS0_10empty_typeEEEZZNS1_29radix_sort_onesweep_iterationIS3_Lb0EN6thrust23THRUST_200600_302600_NS6detail15normal_iteratorINS9_10device_ptrIiEEEESE_PS5_SF_jNS0_19identity_decomposerENS1_16block_id_wrapperIjLb1EEEEE10hipError_tT1_PNSt15iterator_traitsISK_E10value_typeET2_T3_PNSL_ISQ_E10value_typeET4_T5_PSV_SW_PNS1_23onesweep_lookback_stateEbbT6_jjT7_P12ihipStream_tbENKUlT_T0_SK_SP_E_clIPiSE_SF_SF_EEDaS13_S14_SK_SP_EUlS13_E_NS1_11comp_targetILNS1_3genE2ELNS1_11target_archE906ELNS1_3gpuE6ELNS1_3repE0EEENS1_47radix_sort_onesweep_sort_config_static_selectorELNS0_4arch9wavefront6targetE0EEEvSK_
                                        ; -- End function
	.set _ZN7rocprim17ROCPRIM_400000_NS6detail17trampoline_kernelINS0_14default_configENS1_35radix_sort_onesweep_config_selectorIiNS0_10empty_typeEEEZZNS1_29radix_sort_onesweep_iterationIS3_Lb0EN6thrust23THRUST_200600_302600_NS6detail15normal_iteratorINS9_10device_ptrIiEEEESE_PS5_SF_jNS0_19identity_decomposerENS1_16block_id_wrapperIjLb1EEEEE10hipError_tT1_PNSt15iterator_traitsISK_E10value_typeET2_T3_PNSL_ISQ_E10value_typeET4_T5_PSV_SW_PNS1_23onesweep_lookback_stateEbbT6_jjT7_P12ihipStream_tbENKUlT_T0_SK_SP_E_clIPiSE_SF_SF_EEDaS13_S14_SK_SP_EUlS13_E_NS1_11comp_targetILNS1_3genE2ELNS1_11target_archE906ELNS1_3gpuE6ELNS1_3repE0EEENS1_47radix_sort_onesweep_sort_config_static_selectorELNS0_4arch9wavefront6targetE0EEEvSK_.num_vgpr, 0
	.set _ZN7rocprim17ROCPRIM_400000_NS6detail17trampoline_kernelINS0_14default_configENS1_35radix_sort_onesweep_config_selectorIiNS0_10empty_typeEEEZZNS1_29radix_sort_onesweep_iterationIS3_Lb0EN6thrust23THRUST_200600_302600_NS6detail15normal_iteratorINS9_10device_ptrIiEEEESE_PS5_SF_jNS0_19identity_decomposerENS1_16block_id_wrapperIjLb1EEEEE10hipError_tT1_PNSt15iterator_traitsISK_E10value_typeET2_T3_PNSL_ISQ_E10value_typeET4_T5_PSV_SW_PNS1_23onesweep_lookback_stateEbbT6_jjT7_P12ihipStream_tbENKUlT_T0_SK_SP_E_clIPiSE_SF_SF_EEDaS13_S14_SK_SP_EUlS13_E_NS1_11comp_targetILNS1_3genE2ELNS1_11target_archE906ELNS1_3gpuE6ELNS1_3repE0EEENS1_47radix_sort_onesweep_sort_config_static_selectorELNS0_4arch9wavefront6targetE0EEEvSK_.num_agpr, 0
	.set _ZN7rocprim17ROCPRIM_400000_NS6detail17trampoline_kernelINS0_14default_configENS1_35radix_sort_onesweep_config_selectorIiNS0_10empty_typeEEEZZNS1_29radix_sort_onesweep_iterationIS3_Lb0EN6thrust23THRUST_200600_302600_NS6detail15normal_iteratorINS9_10device_ptrIiEEEESE_PS5_SF_jNS0_19identity_decomposerENS1_16block_id_wrapperIjLb1EEEEE10hipError_tT1_PNSt15iterator_traitsISK_E10value_typeET2_T3_PNSL_ISQ_E10value_typeET4_T5_PSV_SW_PNS1_23onesweep_lookback_stateEbbT6_jjT7_P12ihipStream_tbENKUlT_T0_SK_SP_E_clIPiSE_SF_SF_EEDaS13_S14_SK_SP_EUlS13_E_NS1_11comp_targetILNS1_3genE2ELNS1_11target_archE906ELNS1_3gpuE6ELNS1_3repE0EEENS1_47radix_sort_onesweep_sort_config_static_selectorELNS0_4arch9wavefront6targetE0EEEvSK_.numbered_sgpr, 0
	.set _ZN7rocprim17ROCPRIM_400000_NS6detail17trampoline_kernelINS0_14default_configENS1_35radix_sort_onesweep_config_selectorIiNS0_10empty_typeEEEZZNS1_29radix_sort_onesweep_iterationIS3_Lb0EN6thrust23THRUST_200600_302600_NS6detail15normal_iteratorINS9_10device_ptrIiEEEESE_PS5_SF_jNS0_19identity_decomposerENS1_16block_id_wrapperIjLb1EEEEE10hipError_tT1_PNSt15iterator_traitsISK_E10value_typeET2_T3_PNSL_ISQ_E10value_typeET4_T5_PSV_SW_PNS1_23onesweep_lookback_stateEbbT6_jjT7_P12ihipStream_tbENKUlT_T0_SK_SP_E_clIPiSE_SF_SF_EEDaS13_S14_SK_SP_EUlS13_E_NS1_11comp_targetILNS1_3genE2ELNS1_11target_archE906ELNS1_3gpuE6ELNS1_3repE0EEENS1_47radix_sort_onesweep_sort_config_static_selectorELNS0_4arch9wavefront6targetE0EEEvSK_.num_named_barrier, 0
	.set _ZN7rocprim17ROCPRIM_400000_NS6detail17trampoline_kernelINS0_14default_configENS1_35radix_sort_onesweep_config_selectorIiNS0_10empty_typeEEEZZNS1_29radix_sort_onesweep_iterationIS3_Lb0EN6thrust23THRUST_200600_302600_NS6detail15normal_iteratorINS9_10device_ptrIiEEEESE_PS5_SF_jNS0_19identity_decomposerENS1_16block_id_wrapperIjLb1EEEEE10hipError_tT1_PNSt15iterator_traitsISK_E10value_typeET2_T3_PNSL_ISQ_E10value_typeET4_T5_PSV_SW_PNS1_23onesweep_lookback_stateEbbT6_jjT7_P12ihipStream_tbENKUlT_T0_SK_SP_E_clIPiSE_SF_SF_EEDaS13_S14_SK_SP_EUlS13_E_NS1_11comp_targetILNS1_3genE2ELNS1_11target_archE906ELNS1_3gpuE6ELNS1_3repE0EEENS1_47radix_sort_onesweep_sort_config_static_selectorELNS0_4arch9wavefront6targetE0EEEvSK_.private_seg_size, 0
	.set _ZN7rocprim17ROCPRIM_400000_NS6detail17trampoline_kernelINS0_14default_configENS1_35radix_sort_onesweep_config_selectorIiNS0_10empty_typeEEEZZNS1_29radix_sort_onesweep_iterationIS3_Lb0EN6thrust23THRUST_200600_302600_NS6detail15normal_iteratorINS9_10device_ptrIiEEEESE_PS5_SF_jNS0_19identity_decomposerENS1_16block_id_wrapperIjLb1EEEEE10hipError_tT1_PNSt15iterator_traitsISK_E10value_typeET2_T3_PNSL_ISQ_E10value_typeET4_T5_PSV_SW_PNS1_23onesweep_lookback_stateEbbT6_jjT7_P12ihipStream_tbENKUlT_T0_SK_SP_E_clIPiSE_SF_SF_EEDaS13_S14_SK_SP_EUlS13_E_NS1_11comp_targetILNS1_3genE2ELNS1_11target_archE906ELNS1_3gpuE6ELNS1_3repE0EEENS1_47radix_sort_onesweep_sort_config_static_selectorELNS0_4arch9wavefront6targetE0EEEvSK_.uses_vcc, 0
	.set _ZN7rocprim17ROCPRIM_400000_NS6detail17trampoline_kernelINS0_14default_configENS1_35radix_sort_onesweep_config_selectorIiNS0_10empty_typeEEEZZNS1_29radix_sort_onesweep_iterationIS3_Lb0EN6thrust23THRUST_200600_302600_NS6detail15normal_iteratorINS9_10device_ptrIiEEEESE_PS5_SF_jNS0_19identity_decomposerENS1_16block_id_wrapperIjLb1EEEEE10hipError_tT1_PNSt15iterator_traitsISK_E10value_typeET2_T3_PNSL_ISQ_E10value_typeET4_T5_PSV_SW_PNS1_23onesweep_lookback_stateEbbT6_jjT7_P12ihipStream_tbENKUlT_T0_SK_SP_E_clIPiSE_SF_SF_EEDaS13_S14_SK_SP_EUlS13_E_NS1_11comp_targetILNS1_3genE2ELNS1_11target_archE906ELNS1_3gpuE6ELNS1_3repE0EEENS1_47radix_sort_onesweep_sort_config_static_selectorELNS0_4arch9wavefront6targetE0EEEvSK_.uses_flat_scratch, 0
	.set _ZN7rocprim17ROCPRIM_400000_NS6detail17trampoline_kernelINS0_14default_configENS1_35radix_sort_onesweep_config_selectorIiNS0_10empty_typeEEEZZNS1_29radix_sort_onesweep_iterationIS3_Lb0EN6thrust23THRUST_200600_302600_NS6detail15normal_iteratorINS9_10device_ptrIiEEEESE_PS5_SF_jNS0_19identity_decomposerENS1_16block_id_wrapperIjLb1EEEEE10hipError_tT1_PNSt15iterator_traitsISK_E10value_typeET2_T3_PNSL_ISQ_E10value_typeET4_T5_PSV_SW_PNS1_23onesweep_lookback_stateEbbT6_jjT7_P12ihipStream_tbENKUlT_T0_SK_SP_E_clIPiSE_SF_SF_EEDaS13_S14_SK_SP_EUlS13_E_NS1_11comp_targetILNS1_3genE2ELNS1_11target_archE906ELNS1_3gpuE6ELNS1_3repE0EEENS1_47radix_sort_onesweep_sort_config_static_selectorELNS0_4arch9wavefront6targetE0EEEvSK_.has_dyn_sized_stack, 0
	.set _ZN7rocprim17ROCPRIM_400000_NS6detail17trampoline_kernelINS0_14default_configENS1_35radix_sort_onesweep_config_selectorIiNS0_10empty_typeEEEZZNS1_29radix_sort_onesweep_iterationIS3_Lb0EN6thrust23THRUST_200600_302600_NS6detail15normal_iteratorINS9_10device_ptrIiEEEESE_PS5_SF_jNS0_19identity_decomposerENS1_16block_id_wrapperIjLb1EEEEE10hipError_tT1_PNSt15iterator_traitsISK_E10value_typeET2_T3_PNSL_ISQ_E10value_typeET4_T5_PSV_SW_PNS1_23onesweep_lookback_stateEbbT6_jjT7_P12ihipStream_tbENKUlT_T0_SK_SP_E_clIPiSE_SF_SF_EEDaS13_S14_SK_SP_EUlS13_E_NS1_11comp_targetILNS1_3genE2ELNS1_11target_archE906ELNS1_3gpuE6ELNS1_3repE0EEENS1_47radix_sort_onesweep_sort_config_static_selectorELNS0_4arch9wavefront6targetE0EEEvSK_.has_recursion, 0
	.set _ZN7rocprim17ROCPRIM_400000_NS6detail17trampoline_kernelINS0_14default_configENS1_35radix_sort_onesweep_config_selectorIiNS0_10empty_typeEEEZZNS1_29radix_sort_onesweep_iterationIS3_Lb0EN6thrust23THRUST_200600_302600_NS6detail15normal_iteratorINS9_10device_ptrIiEEEESE_PS5_SF_jNS0_19identity_decomposerENS1_16block_id_wrapperIjLb1EEEEE10hipError_tT1_PNSt15iterator_traitsISK_E10value_typeET2_T3_PNSL_ISQ_E10value_typeET4_T5_PSV_SW_PNS1_23onesweep_lookback_stateEbbT6_jjT7_P12ihipStream_tbENKUlT_T0_SK_SP_E_clIPiSE_SF_SF_EEDaS13_S14_SK_SP_EUlS13_E_NS1_11comp_targetILNS1_3genE2ELNS1_11target_archE906ELNS1_3gpuE6ELNS1_3repE0EEENS1_47radix_sort_onesweep_sort_config_static_selectorELNS0_4arch9wavefront6targetE0EEEvSK_.has_indirect_call, 0
	.section	.AMDGPU.csdata,"",@progbits
; Kernel info:
; codeLenInByte = 0
; TotalNumSgprs: 0
; NumVgprs: 0
; ScratchSize: 0
; MemoryBound: 0
; FloatMode: 240
; IeeeMode: 1
; LDSByteSize: 0 bytes/workgroup (compile time only)
; SGPRBlocks: 0
; VGPRBlocks: 0
; NumSGPRsForWavesPerEU: 1
; NumVGPRsForWavesPerEU: 1
; Occupancy: 16
; WaveLimiterHint : 0
; COMPUTE_PGM_RSRC2:SCRATCH_EN: 0
; COMPUTE_PGM_RSRC2:USER_SGPR: 6
; COMPUTE_PGM_RSRC2:TRAP_HANDLER: 0
; COMPUTE_PGM_RSRC2:TGID_X_EN: 1
; COMPUTE_PGM_RSRC2:TGID_Y_EN: 0
; COMPUTE_PGM_RSRC2:TGID_Z_EN: 0
; COMPUTE_PGM_RSRC2:TIDIG_COMP_CNT: 0
	.section	.text._ZN7rocprim17ROCPRIM_400000_NS6detail17trampoline_kernelINS0_14default_configENS1_35radix_sort_onesweep_config_selectorIiNS0_10empty_typeEEEZZNS1_29radix_sort_onesweep_iterationIS3_Lb0EN6thrust23THRUST_200600_302600_NS6detail15normal_iteratorINS9_10device_ptrIiEEEESE_PS5_SF_jNS0_19identity_decomposerENS1_16block_id_wrapperIjLb1EEEEE10hipError_tT1_PNSt15iterator_traitsISK_E10value_typeET2_T3_PNSL_ISQ_E10value_typeET4_T5_PSV_SW_PNS1_23onesweep_lookback_stateEbbT6_jjT7_P12ihipStream_tbENKUlT_T0_SK_SP_E_clIPiSE_SF_SF_EEDaS13_S14_SK_SP_EUlS13_E_NS1_11comp_targetILNS1_3genE4ELNS1_11target_archE910ELNS1_3gpuE8ELNS1_3repE0EEENS1_47radix_sort_onesweep_sort_config_static_selectorELNS0_4arch9wavefront6targetE0EEEvSK_,"axG",@progbits,_ZN7rocprim17ROCPRIM_400000_NS6detail17trampoline_kernelINS0_14default_configENS1_35radix_sort_onesweep_config_selectorIiNS0_10empty_typeEEEZZNS1_29radix_sort_onesweep_iterationIS3_Lb0EN6thrust23THRUST_200600_302600_NS6detail15normal_iteratorINS9_10device_ptrIiEEEESE_PS5_SF_jNS0_19identity_decomposerENS1_16block_id_wrapperIjLb1EEEEE10hipError_tT1_PNSt15iterator_traitsISK_E10value_typeET2_T3_PNSL_ISQ_E10value_typeET4_T5_PSV_SW_PNS1_23onesweep_lookback_stateEbbT6_jjT7_P12ihipStream_tbENKUlT_T0_SK_SP_E_clIPiSE_SF_SF_EEDaS13_S14_SK_SP_EUlS13_E_NS1_11comp_targetILNS1_3genE4ELNS1_11target_archE910ELNS1_3gpuE8ELNS1_3repE0EEENS1_47radix_sort_onesweep_sort_config_static_selectorELNS0_4arch9wavefront6targetE0EEEvSK_,comdat
	.protected	_ZN7rocprim17ROCPRIM_400000_NS6detail17trampoline_kernelINS0_14default_configENS1_35radix_sort_onesweep_config_selectorIiNS0_10empty_typeEEEZZNS1_29radix_sort_onesweep_iterationIS3_Lb0EN6thrust23THRUST_200600_302600_NS6detail15normal_iteratorINS9_10device_ptrIiEEEESE_PS5_SF_jNS0_19identity_decomposerENS1_16block_id_wrapperIjLb1EEEEE10hipError_tT1_PNSt15iterator_traitsISK_E10value_typeET2_T3_PNSL_ISQ_E10value_typeET4_T5_PSV_SW_PNS1_23onesweep_lookback_stateEbbT6_jjT7_P12ihipStream_tbENKUlT_T0_SK_SP_E_clIPiSE_SF_SF_EEDaS13_S14_SK_SP_EUlS13_E_NS1_11comp_targetILNS1_3genE4ELNS1_11target_archE910ELNS1_3gpuE8ELNS1_3repE0EEENS1_47radix_sort_onesweep_sort_config_static_selectorELNS0_4arch9wavefront6targetE0EEEvSK_ ; -- Begin function _ZN7rocprim17ROCPRIM_400000_NS6detail17trampoline_kernelINS0_14default_configENS1_35radix_sort_onesweep_config_selectorIiNS0_10empty_typeEEEZZNS1_29radix_sort_onesweep_iterationIS3_Lb0EN6thrust23THRUST_200600_302600_NS6detail15normal_iteratorINS9_10device_ptrIiEEEESE_PS5_SF_jNS0_19identity_decomposerENS1_16block_id_wrapperIjLb1EEEEE10hipError_tT1_PNSt15iterator_traitsISK_E10value_typeET2_T3_PNSL_ISQ_E10value_typeET4_T5_PSV_SW_PNS1_23onesweep_lookback_stateEbbT6_jjT7_P12ihipStream_tbENKUlT_T0_SK_SP_E_clIPiSE_SF_SF_EEDaS13_S14_SK_SP_EUlS13_E_NS1_11comp_targetILNS1_3genE4ELNS1_11target_archE910ELNS1_3gpuE8ELNS1_3repE0EEENS1_47radix_sort_onesweep_sort_config_static_selectorELNS0_4arch9wavefront6targetE0EEEvSK_
	.globl	_ZN7rocprim17ROCPRIM_400000_NS6detail17trampoline_kernelINS0_14default_configENS1_35radix_sort_onesweep_config_selectorIiNS0_10empty_typeEEEZZNS1_29radix_sort_onesweep_iterationIS3_Lb0EN6thrust23THRUST_200600_302600_NS6detail15normal_iteratorINS9_10device_ptrIiEEEESE_PS5_SF_jNS0_19identity_decomposerENS1_16block_id_wrapperIjLb1EEEEE10hipError_tT1_PNSt15iterator_traitsISK_E10value_typeET2_T3_PNSL_ISQ_E10value_typeET4_T5_PSV_SW_PNS1_23onesweep_lookback_stateEbbT6_jjT7_P12ihipStream_tbENKUlT_T0_SK_SP_E_clIPiSE_SF_SF_EEDaS13_S14_SK_SP_EUlS13_E_NS1_11comp_targetILNS1_3genE4ELNS1_11target_archE910ELNS1_3gpuE8ELNS1_3repE0EEENS1_47radix_sort_onesweep_sort_config_static_selectorELNS0_4arch9wavefront6targetE0EEEvSK_
	.p2align	8
	.type	_ZN7rocprim17ROCPRIM_400000_NS6detail17trampoline_kernelINS0_14default_configENS1_35radix_sort_onesweep_config_selectorIiNS0_10empty_typeEEEZZNS1_29radix_sort_onesweep_iterationIS3_Lb0EN6thrust23THRUST_200600_302600_NS6detail15normal_iteratorINS9_10device_ptrIiEEEESE_PS5_SF_jNS0_19identity_decomposerENS1_16block_id_wrapperIjLb1EEEEE10hipError_tT1_PNSt15iterator_traitsISK_E10value_typeET2_T3_PNSL_ISQ_E10value_typeET4_T5_PSV_SW_PNS1_23onesweep_lookback_stateEbbT6_jjT7_P12ihipStream_tbENKUlT_T0_SK_SP_E_clIPiSE_SF_SF_EEDaS13_S14_SK_SP_EUlS13_E_NS1_11comp_targetILNS1_3genE4ELNS1_11target_archE910ELNS1_3gpuE8ELNS1_3repE0EEENS1_47radix_sort_onesweep_sort_config_static_selectorELNS0_4arch9wavefront6targetE0EEEvSK_,@function
_ZN7rocprim17ROCPRIM_400000_NS6detail17trampoline_kernelINS0_14default_configENS1_35radix_sort_onesweep_config_selectorIiNS0_10empty_typeEEEZZNS1_29radix_sort_onesweep_iterationIS3_Lb0EN6thrust23THRUST_200600_302600_NS6detail15normal_iteratorINS9_10device_ptrIiEEEESE_PS5_SF_jNS0_19identity_decomposerENS1_16block_id_wrapperIjLb1EEEEE10hipError_tT1_PNSt15iterator_traitsISK_E10value_typeET2_T3_PNSL_ISQ_E10value_typeET4_T5_PSV_SW_PNS1_23onesweep_lookback_stateEbbT6_jjT7_P12ihipStream_tbENKUlT_T0_SK_SP_E_clIPiSE_SF_SF_EEDaS13_S14_SK_SP_EUlS13_E_NS1_11comp_targetILNS1_3genE4ELNS1_11target_archE910ELNS1_3gpuE8ELNS1_3repE0EEENS1_47radix_sort_onesweep_sort_config_static_selectorELNS0_4arch9wavefront6targetE0EEEvSK_: ; @_ZN7rocprim17ROCPRIM_400000_NS6detail17trampoline_kernelINS0_14default_configENS1_35radix_sort_onesweep_config_selectorIiNS0_10empty_typeEEEZZNS1_29radix_sort_onesweep_iterationIS3_Lb0EN6thrust23THRUST_200600_302600_NS6detail15normal_iteratorINS9_10device_ptrIiEEEESE_PS5_SF_jNS0_19identity_decomposerENS1_16block_id_wrapperIjLb1EEEEE10hipError_tT1_PNSt15iterator_traitsISK_E10value_typeET2_T3_PNSL_ISQ_E10value_typeET4_T5_PSV_SW_PNS1_23onesweep_lookback_stateEbbT6_jjT7_P12ihipStream_tbENKUlT_T0_SK_SP_E_clIPiSE_SF_SF_EEDaS13_S14_SK_SP_EUlS13_E_NS1_11comp_targetILNS1_3genE4ELNS1_11target_archE910ELNS1_3gpuE8ELNS1_3repE0EEENS1_47radix_sort_onesweep_sort_config_static_selectorELNS0_4arch9wavefront6targetE0EEEvSK_
; %bb.0:
	.section	.rodata,"a",@progbits
	.p2align	6, 0x0
	.amdhsa_kernel _ZN7rocprim17ROCPRIM_400000_NS6detail17trampoline_kernelINS0_14default_configENS1_35radix_sort_onesweep_config_selectorIiNS0_10empty_typeEEEZZNS1_29radix_sort_onesweep_iterationIS3_Lb0EN6thrust23THRUST_200600_302600_NS6detail15normal_iteratorINS9_10device_ptrIiEEEESE_PS5_SF_jNS0_19identity_decomposerENS1_16block_id_wrapperIjLb1EEEEE10hipError_tT1_PNSt15iterator_traitsISK_E10value_typeET2_T3_PNSL_ISQ_E10value_typeET4_T5_PSV_SW_PNS1_23onesweep_lookback_stateEbbT6_jjT7_P12ihipStream_tbENKUlT_T0_SK_SP_E_clIPiSE_SF_SF_EEDaS13_S14_SK_SP_EUlS13_E_NS1_11comp_targetILNS1_3genE4ELNS1_11target_archE910ELNS1_3gpuE8ELNS1_3repE0EEENS1_47radix_sort_onesweep_sort_config_static_selectorELNS0_4arch9wavefront6targetE0EEEvSK_
		.amdhsa_group_segment_fixed_size 0
		.amdhsa_private_segment_fixed_size 0
		.amdhsa_kernarg_size 88
		.amdhsa_user_sgpr_count 6
		.amdhsa_user_sgpr_private_segment_buffer 1
		.amdhsa_user_sgpr_dispatch_ptr 0
		.amdhsa_user_sgpr_queue_ptr 0
		.amdhsa_user_sgpr_kernarg_segment_ptr 1
		.amdhsa_user_sgpr_dispatch_id 0
		.amdhsa_user_sgpr_flat_scratch_init 0
		.amdhsa_user_sgpr_private_segment_size 0
		.amdhsa_wavefront_size32 1
		.amdhsa_uses_dynamic_stack 0
		.amdhsa_system_sgpr_private_segment_wavefront_offset 0
		.amdhsa_system_sgpr_workgroup_id_x 1
		.amdhsa_system_sgpr_workgroup_id_y 0
		.amdhsa_system_sgpr_workgroup_id_z 0
		.amdhsa_system_sgpr_workgroup_info 0
		.amdhsa_system_vgpr_workitem_id 0
		.amdhsa_next_free_vgpr 1
		.amdhsa_next_free_sgpr 1
		.amdhsa_reserve_vcc 0
		.amdhsa_reserve_flat_scratch 0
		.amdhsa_float_round_mode_32 0
		.amdhsa_float_round_mode_16_64 0
		.amdhsa_float_denorm_mode_32 3
		.amdhsa_float_denorm_mode_16_64 3
		.amdhsa_dx10_clamp 1
		.amdhsa_ieee_mode 1
		.amdhsa_fp16_overflow 0
		.amdhsa_workgroup_processor_mode 1
		.amdhsa_memory_ordered 1
		.amdhsa_forward_progress 1
		.amdhsa_shared_vgpr_count 0
		.amdhsa_exception_fp_ieee_invalid_op 0
		.amdhsa_exception_fp_denorm_src 0
		.amdhsa_exception_fp_ieee_div_zero 0
		.amdhsa_exception_fp_ieee_overflow 0
		.amdhsa_exception_fp_ieee_underflow 0
		.amdhsa_exception_fp_ieee_inexact 0
		.amdhsa_exception_int_div_zero 0
	.end_amdhsa_kernel
	.section	.text._ZN7rocprim17ROCPRIM_400000_NS6detail17trampoline_kernelINS0_14default_configENS1_35radix_sort_onesweep_config_selectorIiNS0_10empty_typeEEEZZNS1_29radix_sort_onesweep_iterationIS3_Lb0EN6thrust23THRUST_200600_302600_NS6detail15normal_iteratorINS9_10device_ptrIiEEEESE_PS5_SF_jNS0_19identity_decomposerENS1_16block_id_wrapperIjLb1EEEEE10hipError_tT1_PNSt15iterator_traitsISK_E10value_typeET2_T3_PNSL_ISQ_E10value_typeET4_T5_PSV_SW_PNS1_23onesweep_lookback_stateEbbT6_jjT7_P12ihipStream_tbENKUlT_T0_SK_SP_E_clIPiSE_SF_SF_EEDaS13_S14_SK_SP_EUlS13_E_NS1_11comp_targetILNS1_3genE4ELNS1_11target_archE910ELNS1_3gpuE8ELNS1_3repE0EEENS1_47radix_sort_onesweep_sort_config_static_selectorELNS0_4arch9wavefront6targetE0EEEvSK_,"axG",@progbits,_ZN7rocprim17ROCPRIM_400000_NS6detail17trampoline_kernelINS0_14default_configENS1_35radix_sort_onesweep_config_selectorIiNS0_10empty_typeEEEZZNS1_29radix_sort_onesweep_iterationIS3_Lb0EN6thrust23THRUST_200600_302600_NS6detail15normal_iteratorINS9_10device_ptrIiEEEESE_PS5_SF_jNS0_19identity_decomposerENS1_16block_id_wrapperIjLb1EEEEE10hipError_tT1_PNSt15iterator_traitsISK_E10value_typeET2_T3_PNSL_ISQ_E10value_typeET4_T5_PSV_SW_PNS1_23onesweep_lookback_stateEbbT6_jjT7_P12ihipStream_tbENKUlT_T0_SK_SP_E_clIPiSE_SF_SF_EEDaS13_S14_SK_SP_EUlS13_E_NS1_11comp_targetILNS1_3genE4ELNS1_11target_archE910ELNS1_3gpuE8ELNS1_3repE0EEENS1_47radix_sort_onesweep_sort_config_static_selectorELNS0_4arch9wavefront6targetE0EEEvSK_,comdat
.Lfunc_end181:
	.size	_ZN7rocprim17ROCPRIM_400000_NS6detail17trampoline_kernelINS0_14default_configENS1_35radix_sort_onesweep_config_selectorIiNS0_10empty_typeEEEZZNS1_29radix_sort_onesweep_iterationIS3_Lb0EN6thrust23THRUST_200600_302600_NS6detail15normal_iteratorINS9_10device_ptrIiEEEESE_PS5_SF_jNS0_19identity_decomposerENS1_16block_id_wrapperIjLb1EEEEE10hipError_tT1_PNSt15iterator_traitsISK_E10value_typeET2_T3_PNSL_ISQ_E10value_typeET4_T5_PSV_SW_PNS1_23onesweep_lookback_stateEbbT6_jjT7_P12ihipStream_tbENKUlT_T0_SK_SP_E_clIPiSE_SF_SF_EEDaS13_S14_SK_SP_EUlS13_E_NS1_11comp_targetILNS1_3genE4ELNS1_11target_archE910ELNS1_3gpuE8ELNS1_3repE0EEENS1_47radix_sort_onesweep_sort_config_static_selectorELNS0_4arch9wavefront6targetE0EEEvSK_, .Lfunc_end181-_ZN7rocprim17ROCPRIM_400000_NS6detail17trampoline_kernelINS0_14default_configENS1_35radix_sort_onesweep_config_selectorIiNS0_10empty_typeEEEZZNS1_29radix_sort_onesweep_iterationIS3_Lb0EN6thrust23THRUST_200600_302600_NS6detail15normal_iteratorINS9_10device_ptrIiEEEESE_PS5_SF_jNS0_19identity_decomposerENS1_16block_id_wrapperIjLb1EEEEE10hipError_tT1_PNSt15iterator_traitsISK_E10value_typeET2_T3_PNSL_ISQ_E10value_typeET4_T5_PSV_SW_PNS1_23onesweep_lookback_stateEbbT6_jjT7_P12ihipStream_tbENKUlT_T0_SK_SP_E_clIPiSE_SF_SF_EEDaS13_S14_SK_SP_EUlS13_E_NS1_11comp_targetILNS1_3genE4ELNS1_11target_archE910ELNS1_3gpuE8ELNS1_3repE0EEENS1_47radix_sort_onesweep_sort_config_static_selectorELNS0_4arch9wavefront6targetE0EEEvSK_
                                        ; -- End function
	.set _ZN7rocprim17ROCPRIM_400000_NS6detail17trampoline_kernelINS0_14default_configENS1_35radix_sort_onesweep_config_selectorIiNS0_10empty_typeEEEZZNS1_29radix_sort_onesweep_iterationIS3_Lb0EN6thrust23THRUST_200600_302600_NS6detail15normal_iteratorINS9_10device_ptrIiEEEESE_PS5_SF_jNS0_19identity_decomposerENS1_16block_id_wrapperIjLb1EEEEE10hipError_tT1_PNSt15iterator_traitsISK_E10value_typeET2_T3_PNSL_ISQ_E10value_typeET4_T5_PSV_SW_PNS1_23onesweep_lookback_stateEbbT6_jjT7_P12ihipStream_tbENKUlT_T0_SK_SP_E_clIPiSE_SF_SF_EEDaS13_S14_SK_SP_EUlS13_E_NS1_11comp_targetILNS1_3genE4ELNS1_11target_archE910ELNS1_3gpuE8ELNS1_3repE0EEENS1_47radix_sort_onesweep_sort_config_static_selectorELNS0_4arch9wavefront6targetE0EEEvSK_.num_vgpr, 0
	.set _ZN7rocprim17ROCPRIM_400000_NS6detail17trampoline_kernelINS0_14default_configENS1_35radix_sort_onesweep_config_selectorIiNS0_10empty_typeEEEZZNS1_29radix_sort_onesweep_iterationIS3_Lb0EN6thrust23THRUST_200600_302600_NS6detail15normal_iteratorINS9_10device_ptrIiEEEESE_PS5_SF_jNS0_19identity_decomposerENS1_16block_id_wrapperIjLb1EEEEE10hipError_tT1_PNSt15iterator_traitsISK_E10value_typeET2_T3_PNSL_ISQ_E10value_typeET4_T5_PSV_SW_PNS1_23onesweep_lookback_stateEbbT6_jjT7_P12ihipStream_tbENKUlT_T0_SK_SP_E_clIPiSE_SF_SF_EEDaS13_S14_SK_SP_EUlS13_E_NS1_11comp_targetILNS1_3genE4ELNS1_11target_archE910ELNS1_3gpuE8ELNS1_3repE0EEENS1_47radix_sort_onesweep_sort_config_static_selectorELNS0_4arch9wavefront6targetE0EEEvSK_.num_agpr, 0
	.set _ZN7rocprim17ROCPRIM_400000_NS6detail17trampoline_kernelINS0_14default_configENS1_35radix_sort_onesweep_config_selectorIiNS0_10empty_typeEEEZZNS1_29radix_sort_onesweep_iterationIS3_Lb0EN6thrust23THRUST_200600_302600_NS6detail15normal_iteratorINS9_10device_ptrIiEEEESE_PS5_SF_jNS0_19identity_decomposerENS1_16block_id_wrapperIjLb1EEEEE10hipError_tT1_PNSt15iterator_traitsISK_E10value_typeET2_T3_PNSL_ISQ_E10value_typeET4_T5_PSV_SW_PNS1_23onesweep_lookback_stateEbbT6_jjT7_P12ihipStream_tbENKUlT_T0_SK_SP_E_clIPiSE_SF_SF_EEDaS13_S14_SK_SP_EUlS13_E_NS1_11comp_targetILNS1_3genE4ELNS1_11target_archE910ELNS1_3gpuE8ELNS1_3repE0EEENS1_47radix_sort_onesweep_sort_config_static_selectorELNS0_4arch9wavefront6targetE0EEEvSK_.numbered_sgpr, 0
	.set _ZN7rocprim17ROCPRIM_400000_NS6detail17trampoline_kernelINS0_14default_configENS1_35radix_sort_onesweep_config_selectorIiNS0_10empty_typeEEEZZNS1_29radix_sort_onesweep_iterationIS3_Lb0EN6thrust23THRUST_200600_302600_NS6detail15normal_iteratorINS9_10device_ptrIiEEEESE_PS5_SF_jNS0_19identity_decomposerENS1_16block_id_wrapperIjLb1EEEEE10hipError_tT1_PNSt15iterator_traitsISK_E10value_typeET2_T3_PNSL_ISQ_E10value_typeET4_T5_PSV_SW_PNS1_23onesweep_lookback_stateEbbT6_jjT7_P12ihipStream_tbENKUlT_T0_SK_SP_E_clIPiSE_SF_SF_EEDaS13_S14_SK_SP_EUlS13_E_NS1_11comp_targetILNS1_3genE4ELNS1_11target_archE910ELNS1_3gpuE8ELNS1_3repE0EEENS1_47radix_sort_onesweep_sort_config_static_selectorELNS0_4arch9wavefront6targetE0EEEvSK_.num_named_barrier, 0
	.set _ZN7rocprim17ROCPRIM_400000_NS6detail17trampoline_kernelINS0_14default_configENS1_35radix_sort_onesweep_config_selectorIiNS0_10empty_typeEEEZZNS1_29radix_sort_onesweep_iterationIS3_Lb0EN6thrust23THRUST_200600_302600_NS6detail15normal_iteratorINS9_10device_ptrIiEEEESE_PS5_SF_jNS0_19identity_decomposerENS1_16block_id_wrapperIjLb1EEEEE10hipError_tT1_PNSt15iterator_traitsISK_E10value_typeET2_T3_PNSL_ISQ_E10value_typeET4_T5_PSV_SW_PNS1_23onesweep_lookback_stateEbbT6_jjT7_P12ihipStream_tbENKUlT_T0_SK_SP_E_clIPiSE_SF_SF_EEDaS13_S14_SK_SP_EUlS13_E_NS1_11comp_targetILNS1_3genE4ELNS1_11target_archE910ELNS1_3gpuE8ELNS1_3repE0EEENS1_47radix_sort_onesweep_sort_config_static_selectorELNS0_4arch9wavefront6targetE0EEEvSK_.private_seg_size, 0
	.set _ZN7rocprim17ROCPRIM_400000_NS6detail17trampoline_kernelINS0_14default_configENS1_35radix_sort_onesweep_config_selectorIiNS0_10empty_typeEEEZZNS1_29radix_sort_onesweep_iterationIS3_Lb0EN6thrust23THRUST_200600_302600_NS6detail15normal_iteratorINS9_10device_ptrIiEEEESE_PS5_SF_jNS0_19identity_decomposerENS1_16block_id_wrapperIjLb1EEEEE10hipError_tT1_PNSt15iterator_traitsISK_E10value_typeET2_T3_PNSL_ISQ_E10value_typeET4_T5_PSV_SW_PNS1_23onesweep_lookback_stateEbbT6_jjT7_P12ihipStream_tbENKUlT_T0_SK_SP_E_clIPiSE_SF_SF_EEDaS13_S14_SK_SP_EUlS13_E_NS1_11comp_targetILNS1_3genE4ELNS1_11target_archE910ELNS1_3gpuE8ELNS1_3repE0EEENS1_47radix_sort_onesweep_sort_config_static_selectorELNS0_4arch9wavefront6targetE0EEEvSK_.uses_vcc, 0
	.set _ZN7rocprim17ROCPRIM_400000_NS6detail17trampoline_kernelINS0_14default_configENS1_35radix_sort_onesweep_config_selectorIiNS0_10empty_typeEEEZZNS1_29radix_sort_onesweep_iterationIS3_Lb0EN6thrust23THRUST_200600_302600_NS6detail15normal_iteratorINS9_10device_ptrIiEEEESE_PS5_SF_jNS0_19identity_decomposerENS1_16block_id_wrapperIjLb1EEEEE10hipError_tT1_PNSt15iterator_traitsISK_E10value_typeET2_T3_PNSL_ISQ_E10value_typeET4_T5_PSV_SW_PNS1_23onesweep_lookback_stateEbbT6_jjT7_P12ihipStream_tbENKUlT_T0_SK_SP_E_clIPiSE_SF_SF_EEDaS13_S14_SK_SP_EUlS13_E_NS1_11comp_targetILNS1_3genE4ELNS1_11target_archE910ELNS1_3gpuE8ELNS1_3repE0EEENS1_47radix_sort_onesweep_sort_config_static_selectorELNS0_4arch9wavefront6targetE0EEEvSK_.uses_flat_scratch, 0
	.set _ZN7rocprim17ROCPRIM_400000_NS6detail17trampoline_kernelINS0_14default_configENS1_35radix_sort_onesweep_config_selectorIiNS0_10empty_typeEEEZZNS1_29radix_sort_onesweep_iterationIS3_Lb0EN6thrust23THRUST_200600_302600_NS6detail15normal_iteratorINS9_10device_ptrIiEEEESE_PS5_SF_jNS0_19identity_decomposerENS1_16block_id_wrapperIjLb1EEEEE10hipError_tT1_PNSt15iterator_traitsISK_E10value_typeET2_T3_PNSL_ISQ_E10value_typeET4_T5_PSV_SW_PNS1_23onesweep_lookback_stateEbbT6_jjT7_P12ihipStream_tbENKUlT_T0_SK_SP_E_clIPiSE_SF_SF_EEDaS13_S14_SK_SP_EUlS13_E_NS1_11comp_targetILNS1_3genE4ELNS1_11target_archE910ELNS1_3gpuE8ELNS1_3repE0EEENS1_47radix_sort_onesweep_sort_config_static_selectorELNS0_4arch9wavefront6targetE0EEEvSK_.has_dyn_sized_stack, 0
	.set _ZN7rocprim17ROCPRIM_400000_NS6detail17trampoline_kernelINS0_14default_configENS1_35radix_sort_onesweep_config_selectorIiNS0_10empty_typeEEEZZNS1_29radix_sort_onesweep_iterationIS3_Lb0EN6thrust23THRUST_200600_302600_NS6detail15normal_iteratorINS9_10device_ptrIiEEEESE_PS5_SF_jNS0_19identity_decomposerENS1_16block_id_wrapperIjLb1EEEEE10hipError_tT1_PNSt15iterator_traitsISK_E10value_typeET2_T3_PNSL_ISQ_E10value_typeET4_T5_PSV_SW_PNS1_23onesweep_lookback_stateEbbT6_jjT7_P12ihipStream_tbENKUlT_T0_SK_SP_E_clIPiSE_SF_SF_EEDaS13_S14_SK_SP_EUlS13_E_NS1_11comp_targetILNS1_3genE4ELNS1_11target_archE910ELNS1_3gpuE8ELNS1_3repE0EEENS1_47radix_sort_onesweep_sort_config_static_selectorELNS0_4arch9wavefront6targetE0EEEvSK_.has_recursion, 0
	.set _ZN7rocprim17ROCPRIM_400000_NS6detail17trampoline_kernelINS0_14default_configENS1_35radix_sort_onesweep_config_selectorIiNS0_10empty_typeEEEZZNS1_29radix_sort_onesweep_iterationIS3_Lb0EN6thrust23THRUST_200600_302600_NS6detail15normal_iteratorINS9_10device_ptrIiEEEESE_PS5_SF_jNS0_19identity_decomposerENS1_16block_id_wrapperIjLb1EEEEE10hipError_tT1_PNSt15iterator_traitsISK_E10value_typeET2_T3_PNSL_ISQ_E10value_typeET4_T5_PSV_SW_PNS1_23onesweep_lookback_stateEbbT6_jjT7_P12ihipStream_tbENKUlT_T0_SK_SP_E_clIPiSE_SF_SF_EEDaS13_S14_SK_SP_EUlS13_E_NS1_11comp_targetILNS1_3genE4ELNS1_11target_archE910ELNS1_3gpuE8ELNS1_3repE0EEENS1_47radix_sort_onesweep_sort_config_static_selectorELNS0_4arch9wavefront6targetE0EEEvSK_.has_indirect_call, 0
	.section	.AMDGPU.csdata,"",@progbits
; Kernel info:
; codeLenInByte = 0
; TotalNumSgprs: 0
; NumVgprs: 0
; ScratchSize: 0
; MemoryBound: 0
; FloatMode: 240
; IeeeMode: 1
; LDSByteSize: 0 bytes/workgroup (compile time only)
; SGPRBlocks: 0
; VGPRBlocks: 0
; NumSGPRsForWavesPerEU: 1
; NumVGPRsForWavesPerEU: 1
; Occupancy: 16
; WaveLimiterHint : 0
; COMPUTE_PGM_RSRC2:SCRATCH_EN: 0
; COMPUTE_PGM_RSRC2:USER_SGPR: 6
; COMPUTE_PGM_RSRC2:TRAP_HANDLER: 0
; COMPUTE_PGM_RSRC2:TGID_X_EN: 1
; COMPUTE_PGM_RSRC2:TGID_Y_EN: 0
; COMPUTE_PGM_RSRC2:TGID_Z_EN: 0
; COMPUTE_PGM_RSRC2:TIDIG_COMP_CNT: 0
	.section	.text._ZN7rocprim17ROCPRIM_400000_NS6detail17trampoline_kernelINS0_14default_configENS1_35radix_sort_onesweep_config_selectorIiNS0_10empty_typeEEEZZNS1_29radix_sort_onesweep_iterationIS3_Lb0EN6thrust23THRUST_200600_302600_NS6detail15normal_iteratorINS9_10device_ptrIiEEEESE_PS5_SF_jNS0_19identity_decomposerENS1_16block_id_wrapperIjLb1EEEEE10hipError_tT1_PNSt15iterator_traitsISK_E10value_typeET2_T3_PNSL_ISQ_E10value_typeET4_T5_PSV_SW_PNS1_23onesweep_lookback_stateEbbT6_jjT7_P12ihipStream_tbENKUlT_T0_SK_SP_E_clIPiSE_SF_SF_EEDaS13_S14_SK_SP_EUlS13_E_NS1_11comp_targetILNS1_3genE3ELNS1_11target_archE908ELNS1_3gpuE7ELNS1_3repE0EEENS1_47radix_sort_onesweep_sort_config_static_selectorELNS0_4arch9wavefront6targetE0EEEvSK_,"axG",@progbits,_ZN7rocprim17ROCPRIM_400000_NS6detail17trampoline_kernelINS0_14default_configENS1_35radix_sort_onesweep_config_selectorIiNS0_10empty_typeEEEZZNS1_29radix_sort_onesweep_iterationIS3_Lb0EN6thrust23THRUST_200600_302600_NS6detail15normal_iteratorINS9_10device_ptrIiEEEESE_PS5_SF_jNS0_19identity_decomposerENS1_16block_id_wrapperIjLb1EEEEE10hipError_tT1_PNSt15iterator_traitsISK_E10value_typeET2_T3_PNSL_ISQ_E10value_typeET4_T5_PSV_SW_PNS1_23onesweep_lookback_stateEbbT6_jjT7_P12ihipStream_tbENKUlT_T0_SK_SP_E_clIPiSE_SF_SF_EEDaS13_S14_SK_SP_EUlS13_E_NS1_11comp_targetILNS1_3genE3ELNS1_11target_archE908ELNS1_3gpuE7ELNS1_3repE0EEENS1_47radix_sort_onesweep_sort_config_static_selectorELNS0_4arch9wavefront6targetE0EEEvSK_,comdat
	.protected	_ZN7rocprim17ROCPRIM_400000_NS6detail17trampoline_kernelINS0_14default_configENS1_35radix_sort_onesweep_config_selectorIiNS0_10empty_typeEEEZZNS1_29radix_sort_onesweep_iterationIS3_Lb0EN6thrust23THRUST_200600_302600_NS6detail15normal_iteratorINS9_10device_ptrIiEEEESE_PS5_SF_jNS0_19identity_decomposerENS1_16block_id_wrapperIjLb1EEEEE10hipError_tT1_PNSt15iterator_traitsISK_E10value_typeET2_T3_PNSL_ISQ_E10value_typeET4_T5_PSV_SW_PNS1_23onesweep_lookback_stateEbbT6_jjT7_P12ihipStream_tbENKUlT_T0_SK_SP_E_clIPiSE_SF_SF_EEDaS13_S14_SK_SP_EUlS13_E_NS1_11comp_targetILNS1_3genE3ELNS1_11target_archE908ELNS1_3gpuE7ELNS1_3repE0EEENS1_47radix_sort_onesweep_sort_config_static_selectorELNS0_4arch9wavefront6targetE0EEEvSK_ ; -- Begin function _ZN7rocprim17ROCPRIM_400000_NS6detail17trampoline_kernelINS0_14default_configENS1_35radix_sort_onesweep_config_selectorIiNS0_10empty_typeEEEZZNS1_29radix_sort_onesweep_iterationIS3_Lb0EN6thrust23THRUST_200600_302600_NS6detail15normal_iteratorINS9_10device_ptrIiEEEESE_PS5_SF_jNS0_19identity_decomposerENS1_16block_id_wrapperIjLb1EEEEE10hipError_tT1_PNSt15iterator_traitsISK_E10value_typeET2_T3_PNSL_ISQ_E10value_typeET4_T5_PSV_SW_PNS1_23onesweep_lookback_stateEbbT6_jjT7_P12ihipStream_tbENKUlT_T0_SK_SP_E_clIPiSE_SF_SF_EEDaS13_S14_SK_SP_EUlS13_E_NS1_11comp_targetILNS1_3genE3ELNS1_11target_archE908ELNS1_3gpuE7ELNS1_3repE0EEENS1_47radix_sort_onesweep_sort_config_static_selectorELNS0_4arch9wavefront6targetE0EEEvSK_
	.globl	_ZN7rocprim17ROCPRIM_400000_NS6detail17trampoline_kernelINS0_14default_configENS1_35radix_sort_onesweep_config_selectorIiNS0_10empty_typeEEEZZNS1_29radix_sort_onesweep_iterationIS3_Lb0EN6thrust23THRUST_200600_302600_NS6detail15normal_iteratorINS9_10device_ptrIiEEEESE_PS5_SF_jNS0_19identity_decomposerENS1_16block_id_wrapperIjLb1EEEEE10hipError_tT1_PNSt15iterator_traitsISK_E10value_typeET2_T3_PNSL_ISQ_E10value_typeET4_T5_PSV_SW_PNS1_23onesweep_lookback_stateEbbT6_jjT7_P12ihipStream_tbENKUlT_T0_SK_SP_E_clIPiSE_SF_SF_EEDaS13_S14_SK_SP_EUlS13_E_NS1_11comp_targetILNS1_3genE3ELNS1_11target_archE908ELNS1_3gpuE7ELNS1_3repE0EEENS1_47radix_sort_onesweep_sort_config_static_selectorELNS0_4arch9wavefront6targetE0EEEvSK_
	.p2align	8
	.type	_ZN7rocprim17ROCPRIM_400000_NS6detail17trampoline_kernelINS0_14default_configENS1_35radix_sort_onesweep_config_selectorIiNS0_10empty_typeEEEZZNS1_29radix_sort_onesweep_iterationIS3_Lb0EN6thrust23THRUST_200600_302600_NS6detail15normal_iteratorINS9_10device_ptrIiEEEESE_PS5_SF_jNS0_19identity_decomposerENS1_16block_id_wrapperIjLb1EEEEE10hipError_tT1_PNSt15iterator_traitsISK_E10value_typeET2_T3_PNSL_ISQ_E10value_typeET4_T5_PSV_SW_PNS1_23onesweep_lookback_stateEbbT6_jjT7_P12ihipStream_tbENKUlT_T0_SK_SP_E_clIPiSE_SF_SF_EEDaS13_S14_SK_SP_EUlS13_E_NS1_11comp_targetILNS1_3genE3ELNS1_11target_archE908ELNS1_3gpuE7ELNS1_3repE0EEENS1_47radix_sort_onesweep_sort_config_static_selectorELNS0_4arch9wavefront6targetE0EEEvSK_,@function
_ZN7rocprim17ROCPRIM_400000_NS6detail17trampoline_kernelINS0_14default_configENS1_35radix_sort_onesweep_config_selectorIiNS0_10empty_typeEEEZZNS1_29radix_sort_onesweep_iterationIS3_Lb0EN6thrust23THRUST_200600_302600_NS6detail15normal_iteratorINS9_10device_ptrIiEEEESE_PS5_SF_jNS0_19identity_decomposerENS1_16block_id_wrapperIjLb1EEEEE10hipError_tT1_PNSt15iterator_traitsISK_E10value_typeET2_T3_PNSL_ISQ_E10value_typeET4_T5_PSV_SW_PNS1_23onesweep_lookback_stateEbbT6_jjT7_P12ihipStream_tbENKUlT_T0_SK_SP_E_clIPiSE_SF_SF_EEDaS13_S14_SK_SP_EUlS13_E_NS1_11comp_targetILNS1_3genE3ELNS1_11target_archE908ELNS1_3gpuE7ELNS1_3repE0EEENS1_47radix_sort_onesweep_sort_config_static_selectorELNS0_4arch9wavefront6targetE0EEEvSK_: ; @_ZN7rocprim17ROCPRIM_400000_NS6detail17trampoline_kernelINS0_14default_configENS1_35radix_sort_onesweep_config_selectorIiNS0_10empty_typeEEEZZNS1_29radix_sort_onesweep_iterationIS3_Lb0EN6thrust23THRUST_200600_302600_NS6detail15normal_iteratorINS9_10device_ptrIiEEEESE_PS5_SF_jNS0_19identity_decomposerENS1_16block_id_wrapperIjLb1EEEEE10hipError_tT1_PNSt15iterator_traitsISK_E10value_typeET2_T3_PNSL_ISQ_E10value_typeET4_T5_PSV_SW_PNS1_23onesweep_lookback_stateEbbT6_jjT7_P12ihipStream_tbENKUlT_T0_SK_SP_E_clIPiSE_SF_SF_EEDaS13_S14_SK_SP_EUlS13_E_NS1_11comp_targetILNS1_3genE3ELNS1_11target_archE908ELNS1_3gpuE7ELNS1_3repE0EEENS1_47radix_sort_onesweep_sort_config_static_selectorELNS0_4arch9wavefront6targetE0EEEvSK_
; %bb.0:
	.section	.rodata,"a",@progbits
	.p2align	6, 0x0
	.amdhsa_kernel _ZN7rocprim17ROCPRIM_400000_NS6detail17trampoline_kernelINS0_14default_configENS1_35radix_sort_onesweep_config_selectorIiNS0_10empty_typeEEEZZNS1_29radix_sort_onesweep_iterationIS3_Lb0EN6thrust23THRUST_200600_302600_NS6detail15normal_iteratorINS9_10device_ptrIiEEEESE_PS5_SF_jNS0_19identity_decomposerENS1_16block_id_wrapperIjLb1EEEEE10hipError_tT1_PNSt15iterator_traitsISK_E10value_typeET2_T3_PNSL_ISQ_E10value_typeET4_T5_PSV_SW_PNS1_23onesweep_lookback_stateEbbT6_jjT7_P12ihipStream_tbENKUlT_T0_SK_SP_E_clIPiSE_SF_SF_EEDaS13_S14_SK_SP_EUlS13_E_NS1_11comp_targetILNS1_3genE3ELNS1_11target_archE908ELNS1_3gpuE7ELNS1_3repE0EEENS1_47radix_sort_onesweep_sort_config_static_selectorELNS0_4arch9wavefront6targetE0EEEvSK_
		.amdhsa_group_segment_fixed_size 0
		.amdhsa_private_segment_fixed_size 0
		.amdhsa_kernarg_size 88
		.amdhsa_user_sgpr_count 6
		.amdhsa_user_sgpr_private_segment_buffer 1
		.amdhsa_user_sgpr_dispatch_ptr 0
		.amdhsa_user_sgpr_queue_ptr 0
		.amdhsa_user_sgpr_kernarg_segment_ptr 1
		.amdhsa_user_sgpr_dispatch_id 0
		.amdhsa_user_sgpr_flat_scratch_init 0
		.amdhsa_user_sgpr_private_segment_size 0
		.amdhsa_wavefront_size32 1
		.amdhsa_uses_dynamic_stack 0
		.amdhsa_system_sgpr_private_segment_wavefront_offset 0
		.amdhsa_system_sgpr_workgroup_id_x 1
		.amdhsa_system_sgpr_workgroup_id_y 0
		.amdhsa_system_sgpr_workgroup_id_z 0
		.amdhsa_system_sgpr_workgroup_info 0
		.amdhsa_system_vgpr_workitem_id 0
		.amdhsa_next_free_vgpr 1
		.amdhsa_next_free_sgpr 1
		.amdhsa_reserve_vcc 0
		.amdhsa_reserve_flat_scratch 0
		.amdhsa_float_round_mode_32 0
		.amdhsa_float_round_mode_16_64 0
		.amdhsa_float_denorm_mode_32 3
		.amdhsa_float_denorm_mode_16_64 3
		.amdhsa_dx10_clamp 1
		.amdhsa_ieee_mode 1
		.amdhsa_fp16_overflow 0
		.amdhsa_workgroup_processor_mode 1
		.amdhsa_memory_ordered 1
		.amdhsa_forward_progress 1
		.amdhsa_shared_vgpr_count 0
		.amdhsa_exception_fp_ieee_invalid_op 0
		.amdhsa_exception_fp_denorm_src 0
		.amdhsa_exception_fp_ieee_div_zero 0
		.amdhsa_exception_fp_ieee_overflow 0
		.amdhsa_exception_fp_ieee_underflow 0
		.amdhsa_exception_fp_ieee_inexact 0
		.amdhsa_exception_int_div_zero 0
	.end_amdhsa_kernel
	.section	.text._ZN7rocprim17ROCPRIM_400000_NS6detail17trampoline_kernelINS0_14default_configENS1_35radix_sort_onesweep_config_selectorIiNS0_10empty_typeEEEZZNS1_29radix_sort_onesweep_iterationIS3_Lb0EN6thrust23THRUST_200600_302600_NS6detail15normal_iteratorINS9_10device_ptrIiEEEESE_PS5_SF_jNS0_19identity_decomposerENS1_16block_id_wrapperIjLb1EEEEE10hipError_tT1_PNSt15iterator_traitsISK_E10value_typeET2_T3_PNSL_ISQ_E10value_typeET4_T5_PSV_SW_PNS1_23onesweep_lookback_stateEbbT6_jjT7_P12ihipStream_tbENKUlT_T0_SK_SP_E_clIPiSE_SF_SF_EEDaS13_S14_SK_SP_EUlS13_E_NS1_11comp_targetILNS1_3genE3ELNS1_11target_archE908ELNS1_3gpuE7ELNS1_3repE0EEENS1_47radix_sort_onesweep_sort_config_static_selectorELNS0_4arch9wavefront6targetE0EEEvSK_,"axG",@progbits,_ZN7rocprim17ROCPRIM_400000_NS6detail17trampoline_kernelINS0_14default_configENS1_35radix_sort_onesweep_config_selectorIiNS0_10empty_typeEEEZZNS1_29radix_sort_onesweep_iterationIS3_Lb0EN6thrust23THRUST_200600_302600_NS6detail15normal_iteratorINS9_10device_ptrIiEEEESE_PS5_SF_jNS0_19identity_decomposerENS1_16block_id_wrapperIjLb1EEEEE10hipError_tT1_PNSt15iterator_traitsISK_E10value_typeET2_T3_PNSL_ISQ_E10value_typeET4_T5_PSV_SW_PNS1_23onesweep_lookback_stateEbbT6_jjT7_P12ihipStream_tbENKUlT_T0_SK_SP_E_clIPiSE_SF_SF_EEDaS13_S14_SK_SP_EUlS13_E_NS1_11comp_targetILNS1_3genE3ELNS1_11target_archE908ELNS1_3gpuE7ELNS1_3repE0EEENS1_47radix_sort_onesweep_sort_config_static_selectorELNS0_4arch9wavefront6targetE0EEEvSK_,comdat
.Lfunc_end182:
	.size	_ZN7rocprim17ROCPRIM_400000_NS6detail17trampoline_kernelINS0_14default_configENS1_35radix_sort_onesweep_config_selectorIiNS0_10empty_typeEEEZZNS1_29radix_sort_onesweep_iterationIS3_Lb0EN6thrust23THRUST_200600_302600_NS6detail15normal_iteratorINS9_10device_ptrIiEEEESE_PS5_SF_jNS0_19identity_decomposerENS1_16block_id_wrapperIjLb1EEEEE10hipError_tT1_PNSt15iterator_traitsISK_E10value_typeET2_T3_PNSL_ISQ_E10value_typeET4_T5_PSV_SW_PNS1_23onesweep_lookback_stateEbbT6_jjT7_P12ihipStream_tbENKUlT_T0_SK_SP_E_clIPiSE_SF_SF_EEDaS13_S14_SK_SP_EUlS13_E_NS1_11comp_targetILNS1_3genE3ELNS1_11target_archE908ELNS1_3gpuE7ELNS1_3repE0EEENS1_47radix_sort_onesweep_sort_config_static_selectorELNS0_4arch9wavefront6targetE0EEEvSK_, .Lfunc_end182-_ZN7rocprim17ROCPRIM_400000_NS6detail17trampoline_kernelINS0_14default_configENS1_35radix_sort_onesweep_config_selectorIiNS0_10empty_typeEEEZZNS1_29radix_sort_onesweep_iterationIS3_Lb0EN6thrust23THRUST_200600_302600_NS6detail15normal_iteratorINS9_10device_ptrIiEEEESE_PS5_SF_jNS0_19identity_decomposerENS1_16block_id_wrapperIjLb1EEEEE10hipError_tT1_PNSt15iterator_traitsISK_E10value_typeET2_T3_PNSL_ISQ_E10value_typeET4_T5_PSV_SW_PNS1_23onesweep_lookback_stateEbbT6_jjT7_P12ihipStream_tbENKUlT_T0_SK_SP_E_clIPiSE_SF_SF_EEDaS13_S14_SK_SP_EUlS13_E_NS1_11comp_targetILNS1_3genE3ELNS1_11target_archE908ELNS1_3gpuE7ELNS1_3repE0EEENS1_47radix_sort_onesweep_sort_config_static_selectorELNS0_4arch9wavefront6targetE0EEEvSK_
                                        ; -- End function
	.set _ZN7rocprim17ROCPRIM_400000_NS6detail17trampoline_kernelINS0_14default_configENS1_35radix_sort_onesweep_config_selectorIiNS0_10empty_typeEEEZZNS1_29radix_sort_onesweep_iterationIS3_Lb0EN6thrust23THRUST_200600_302600_NS6detail15normal_iteratorINS9_10device_ptrIiEEEESE_PS5_SF_jNS0_19identity_decomposerENS1_16block_id_wrapperIjLb1EEEEE10hipError_tT1_PNSt15iterator_traitsISK_E10value_typeET2_T3_PNSL_ISQ_E10value_typeET4_T5_PSV_SW_PNS1_23onesweep_lookback_stateEbbT6_jjT7_P12ihipStream_tbENKUlT_T0_SK_SP_E_clIPiSE_SF_SF_EEDaS13_S14_SK_SP_EUlS13_E_NS1_11comp_targetILNS1_3genE3ELNS1_11target_archE908ELNS1_3gpuE7ELNS1_3repE0EEENS1_47radix_sort_onesweep_sort_config_static_selectorELNS0_4arch9wavefront6targetE0EEEvSK_.num_vgpr, 0
	.set _ZN7rocprim17ROCPRIM_400000_NS6detail17trampoline_kernelINS0_14default_configENS1_35radix_sort_onesweep_config_selectorIiNS0_10empty_typeEEEZZNS1_29radix_sort_onesweep_iterationIS3_Lb0EN6thrust23THRUST_200600_302600_NS6detail15normal_iteratorINS9_10device_ptrIiEEEESE_PS5_SF_jNS0_19identity_decomposerENS1_16block_id_wrapperIjLb1EEEEE10hipError_tT1_PNSt15iterator_traitsISK_E10value_typeET2_T3_PNSL_ISQ_E10value_typeET4_T5_PSV_SW_PNS1_23onesweep_lookback_stateEbbT6_jjT7_P12ihipStream_tbENKUlT_T0_SK_SP_E_clIPiSE_SF_SF_EEDaS13_S14_SK_SP_EUlS13_E_NS1_11comp_targetILNS1_3genE3ELNS1_11target_archE908ELNS1_3gpuE7ELNS1_3repE0EEENS1_47radix_sort_onesweep_sort_config_static_selectorELNS0_4arch9wavefront6targetE0EEEvSK_.num_agpr, 0
	.set _ZN7rocprim17ROCPRIM_400000_NS6detail17trampoline_kernelINS0_14default_configENS1_35radix_sort_onesweep_config_selectorIiNS0_10empty_typeEEEZZNS1_29radix_sort_onesweep_iterationIS3_Lb0EN6thrust23THRUST_200600_302600_NS6detail15normal_iteratorINS9_10device_ptrIiEEEESE_PS5_SF_jNS0_19identity_decomposerENS1_16block_id_wrapperIjLb1EEEEE10hipError_tT1_PNSt15iterator_traitsISK_E10value_typeET2_T3_PNSL_ISQ_E10value_typeET4_T5_PSV_SW_PNS1_23onesweep_lookback_stateEbbT6_jjT7_P12ihipStream_tbENKUlT_T0_SK_SP_E_clIPiSE_SF_SF_EEDaS13_S14_SK_SP_EUlS13_E_NS1_11comp_targetILNS1_3genE3ELNS1_11target_archE908ELNS1_3gpuE7ELNS1_3repE0EEENS1_47radix_sort_onesweep_sort_config_static_selectorELNS0_4arch9wavefront6targetE0EEEvSK_.numbered_sgpr, 0
	.set _ZN7rocprim17ROCPRIM_400000_NS6detail17trampoline_kernelINS0_14default_configENS1_35radix_sort_onesweep_config_selectorIiNS0_10empty_typeEEEZZNS1_29radix_sort_onesweep_iterationIS3_Lb0EN6thrust23THRUST_200600_302600_NS6detail15normal_iteratorINS9_10device_ptrIiEEEESE_PS5_SF_jNS0_19identity_decomposerENS1_16block_id_wrapperIjLb1EEEEE10hipError_tT1_PNSt15iterator_traitsISK_E10value_typeET2_T3_PNSL_ISQ_E10value_typeET4_T5_PSV_SW_PNS1_23onesweep_lookback_stateEbbT6_jjT7_P12ihipStream_tbENKUlT_T0_SK_SP_E_clIPiSE_SF_SF_EEDaS13_S14_SK_SP_EUlS13_E_NS1_11comp_targetILNS1_3genE3ELNS1_11target_archE908ELNS1_3gpuE7ELNS1_3repE0EEENS1_47radix_sort_onesweep_sort_config_static_selectorELNS0_4arch9wavefront6targetE0EEEvSK_.num_named_barrier, 0
	.set _ZN7rocprim17ROCPRIM_400000_NS6detail17trampoline_kernelINS0_14default_configENS1_35radix_sort_onesweep_config_selectorIiNS0_10empty_typeEEEZZNS1_29radix_sort_onesweep_iterationIS3_Lb0EN6thrust23THRUST_200600_302600_NS6detail15normal_iteratorINS9_10device_ptrIiEEEESE_PS5_SF_jNS0_19identity_decomposerENS1_16block_id_wrapperIjLb1EEEEE10hipError_tT1_PNSt15iterator_traitsISK_E10value_typeET2_T3_PNSL_ISQ_E10value_typeET4_T5_PSV_SW_PNS1_23onesweep_lookback_stateEbbT6_jjT7_P12ihipStream_tbENKUlT_T0_SK_SP_E_clIPiSE_SF_SF_EEDaS13_S14_SK_SP_EUlS13_E_NS1_11comp_targetILNS1_3genE3ELNS1_11target_archE908ELNS1_3gpuE7ELNS1_3repE0EEENS1_47radix_sort_onesweep_sort_config_static_selectorELNS0_4arch9wavefront6targetE0EEEvSK_.private_seg_size, 0
	.set _ZN7rocprim17ROCPRIM_400000_NS6detail17trampoline_kernelINS0_14default_configENS1_35radix_sort_onesweep_config_selectorIiNS0_10empty_typeEEEZZNS1_29radix_sort_onesweep_iterationIS3_Lb0EN6thrust23THRUST_200600_302600_NS6detail15normal_iteratorINS9_10device_ptrIiEEEESE_PS5_SF_jNS0_19identity_decomposerENS1_16block_id_wrapperIjLb1EEEEE10hipError_tT1_PNSt15iterator_traitsISK_E10value_typeET2_T3_PNSL_ISQ_E10value_typeET4_T5_PSV_SW_PNS1_23onesweep_lookback_stateEbbT6_jjT7_P12ihipStream_tbENKUlT_T0_SK_SP_E_clIPiSE_SF_SF_EEDaS13_S14_SK_SP_EUlS13_E_NS1_11comp_targetILNS1_3genE3ELNS1_11target_archE908ELNS1_3gpuE7ELNS1_3repE0EEENS1_47radix_sort_onesweep_sort_config_static_selectorELNS0_4arch9wavefront6targetE0EEEvSK_.uses_vcc, 0
	.set _ZN7rocprim17ROCPRIM_400000_NS6detail17trampoline_kernelINS0_14default_configENS1_35radix_sort_onesweep_config_selectorIiNS0_10empty_typeEEEZZNS1_29radix_sort_onesweep_iterationIS3_Lb0EN6thrust23THRUST_200600_302600_NS6detail15normal_iteratorINS9_10device_ptrIiEEEESE_PS5_SF_jNS0_19identity_decomposerENS1_16block_id_wrapperIjLb1EEEEE10hipError_tT1_PNSt15iterator_traitsISK_E10value_typeET2_T3_PNSL_ISQ_E10value_typeET4_T5_PSV_SW_PNS1_23onesweep_lookback_stateEbbT6_jjT7_P12ihipStream_tbENKUlT_T0_SK_SP_E_clIPiSE_SF_SF_EEDaS13_S14_SK_SP_EUlS13_E_NS1_11comp_targetILNS1_3genE3ELNS1_11target_archE908ELNS1_3gpuE7ELNS1_3repE0EEENS1_47radix_sort_onesweep_sort_config_static_selectorELNS0_4arch9wavefront6targetE0EEEvSK_.uses_flat_scratch, 0
	.set _ZN7rocprim17ROCPRIM_400000_NS6detail17trampoline_kernelINS0_14default_configENS1_35radix_sort_onesweep_config_selectorIiNS0_10empty_typeEEEZZNS1_29radix_sort_onesweep_iterationIS3_Lb0EN6thrust23THRUST_200600_302600_NS6detail15normal_iteratorINS9_10device_ptrIiEEEESE_PS5_SF_jNS0_19identity_decomposerENS1_16block_id_wrapperIjLb1EEEEE10hipError_tT1_PNSt15iterator_traitsISK_E10value_typeET2_T3_PNSL_ISQ_E10value_typeET4_T5_PSV_SW_PNS1_23onesweep_lookback_stateEbbT6_jjT7_P12ihipStream_tbENKUlT_T0_SK_SP_E_clIPiSE_SF_SF_EEDaS13_S14_SK_SP_EUlS13_E_NS1_11comp_targetILNS1_3genE3ELNS1_11target_archE908ELNS1_3gpuE7ELNS1_3repE0EEENS1_47radix_sort_onesweep_sort_config_static_selectorELNS0_4arch9wavefront6targetE0EEEvSK_.has_dyn_sized_stack, 0
	.set _ZN7rocprim17ROCPRIM_400000_NS6detail17trampoline_kernelINS0_14default_configENS1_35radix_sort_onesweep_config_selectorIiNS0_10empty_typeEEEZZNS1_29radix_sort_onesweep_iterationIS3_Lb0EN6thrust23THRUST_200600_302600_NS6detail15normal_iteratorINS9_10device_ptrIiEEEESE_PS5_SF_jNS0_19identity_decomposerENS1_16block_id_wrapperIjLb1EEEEE10hipError_tT1_PNSt15iterator_traitsISK_E10value_typeET2_T3_PNSL_ISQ_E10value_typeET4_T5_PSV_SW_PNS1_23onesweep_lookback_stateEbbT6_jjT7_P12ihipStream_tbENKUlT_T0_SK_SP_E_clIPiSE_SF_SF_EEDaS13_S14_SK_SP_EUlS13_E_NS1_11comp_targetILNS1_3genE3ELNS1_11target_archE908ELNS1_3gpuE7ELNS1_3repE0EEENS1_47radix_sort_onesweep_sort_config_static_selectorELNS0_4arch9wavefront6targetE0EEEvSK_.has_recursion, 0
	.set _ZN7rocprim17ROCPRIM_400000_NS6detail17trampoline_kernelINS0_14default_configENS1_35radix_sort_onesweep_config_selectorIiNS0_10empty_typeEEEZZNS1_29radix_sort_onesweep_iterationIS3_Lb0EN6thrust23THRUST_200600_302600_NS6detail15normal_iteratorINS9_10device_ptrIiEEEESE_PS5_SF_jNS0_19identity_decomposerENS1_16block_id_wrapperIjLb1EEEEE10hipError_tT1_PNSt15iterator_traitsISK_E10value_typeET2_T3_PNSL_ISQ_E10value_typeET4_T5_PSV_SW_PNS1_23onesweep_lookback_stateEbbT6_jjT7_P12ihipStream_tbENKUlT_T0_SK_SP_E_clIPiSE_SF_SF_EEDaS13_S14_SK_SP_EUlS13_E_NS1_11comp_targetILNS1_3genE3ELNS1_11target_archE908ELNS1_3gpuE7ELNS1_3repE0EEENS1_47radix_sort_onesweep_sort_config_static_selectorELNS0_4arch9wavefront6targetE0EEEvSK_.has_indirect_call, 0
	.section	.AMDGPU.csdata,"",@progbits
; Kernel info:
; codeLenInByte = 0
; TotalNumSgprs: 0
; NumVgprs: 0
; ScratchSize: 0
; MemoryBound: 0
; FloatMode: 240
; IeeeMode: 1
; LDSByteSize: 0 bytes/workgroup (compile time only)
; SGPRBlocks: 0
; VGPRBlocks: 0
; NumSGPRsForWavesPerEU: 1
; NumVGPRsForWavesPerEU: 1
; Occupancy: 16
; WaveLimiterHint : 0
; COMPUTE_PGM_RSRC2:SCRATCH_EN: 0
; COMPUTE_PGM_RSRC2:USER_SGPR: 6
; COMPUTE_PGM_RSRC2:TRAP_HANDLER: 0
; COMPUTE_PGM_RSRC2:TGID_X_EN: 1
; COMPUTE_PGM_RSRC2:TGID_Y_EN: 0
; COMPUTE_PGM_RSRC2:TGID_Z_EN: 0
; COMPUTE_PGM_RSRC2:TIDIG_COMP_CNT: 0
	.section	.text._ZN7rocprim17ROCPRIM_400000_NS6detail17trampoline_kernelINS0_14default_configENS1_35radix_sort_onesweep_config_selectorIiNS0_10empty_typeEEEZZNS1_29radix_sort_onesweep_iterationIS3_Lb0EN6thrust23THRUST_200600_302600_NS6detail15normal_iteratorINS9_10device_ptrIiEEEESE_PS5_SF_jNS0_19identity_decomposerENS1_16block_id_wrapperIjLb1EEEEE10hipError_tT1_PNSt15iterator_traitsISK_E10value_typeET2_T3_PNSL_ISQ_E10value_typeET4_T5_PSV_SW_PNS1_23onesweep_lookback_stateEbbT6_jjT7_P12ihipStream_tbENKUlT_T0_SK_SP_E_clIPiSE_SF_SF_EEDaS13_S14_SK_SP_EUlS13_E_NS1_11comp_targetILNS1_3genE10ELNS1_11target_archE1201ELNS1_3gpuE5ELNS1_3repE0EEENS1_47radix_sort_onesweep_sort_config_static_selectorELNS0_4arch9wavefront6targetE0EEEvSK_,"axG",@progbits,_ZN7rocprim17ROCPRIM_400000_NS6detail17trampoline_kernelINS0_14default_configENS1_35radix_sort_onesweep_config_selectorIiNS0_10empty_typeEEEZZNS1_29radix_sort_onesweep_iterationIS3_Lb0EN6thrust23THRUST_200600_302600_NS6detail15normal_iteratorINS9_10device_ptrIiEEEESE_PS5_SF_jNS0_19identity_decomposerENS1_16block_id_wrapperIjLb1EEEEE10hipError_tT1_PNSt15iterator_traitsISK_E10value_typeET2_T3_PNSL_ISQ_E10value_typeET4_T5_PSV_SW_PNS1_23onesweep_lookback_stateEbbT6_jjT7_P12ihipStream_tbENKUlT_T0_SK_SP_E_clIPiSE_SF_SF_EEDaS13_S14_SK_SP_EUlS13_E_NS1_11comp_targetILNS1_3genE10ELNS1_11target_archE1201ELNS1_3gpuE5ELNS1_3repE0EEENS1_47radix_sort_onesweep_sort_config_static_selectorELNS0_4arch9wavefront6targetE0EEEvSK_,comdat
	.protected	_ZN7rocprim17ROCPRIM_400000_NS6detail17trampoline_kernelINS0_14default_configENS1_35radix_sort_onesweep_config_selectorIiNS0_10empty_typeEEEZZNS1_29radix_sort_onesweep_iterationIS3_Lb0EN6thrust23THRUST_200600_302600_NS6detail15normal_iteratorINS9_10device_ptrIiEEEESE_PS5_SF_jNS0_19identity_decomposerENS1_16block_id_wrapperIjLb1EEEEE10hipError_tT1_PNSt15iterator_traitsISK_E10value_typeET2_T3_PNSL_ISQ_E10value_typeET4_T5_PSV_SW_PNS1_23onesweep_lookback_stateEbbT6_jjT7_P12ihipStream_tbENKUlT_T0_SK_SP_E_clIPiSE_SF_SF_EEDaS13_S14_SK_SP_EUlS13_E_NS1_11comp_targetILNS1_3genE10ELNS1_11target_archE1201ELNS1_3gpuE5ELNS1_3repE0EEENS1_47radix_sort_onesweep_sort_config_static_selectorELNS0_4arch9wavefront6targetE0EEEvSK_ ; -- Begin function _ZN7rocprim17ROCPRIM_400000_NS6detail17trampoline_kernelINS0_14default_configENS1_35radix_sort_onesweep_config_selectorIiNS0_10empty_typeEEEZZNS1_29radix_sort_onesweep_iterationIS3_Lb0EN6thrust23THRUST_200600_302600_NS6detail15normal_iteratorINS9_10device_ptrIiEEEESE_PS5_SF_jNS0_19identity_decomposerENS1_16block_id_wrapperIjLb1EEEEE10hipError_tT1_PNSt15iterator_traitsISK_E10value_typeET2_T3_PNSL_ISQ_E10value_typeET4_T5_PSV_SW_PNS1_23onesweep_lookback_stateEbbT6_jjT7_P12ihipStream_tbENKUlT_T0_SK_SP_E_clIPiSE_SF_SF_EEDaS13_S14_SK_SP_EUlS13_E_NS1_11comp_targetILNS1_3genE10ELNS1_11target_archE1201ELNS1_3gpuE5ELNS1_3repE0EEENS1_47radix_sort_onesweep_sort_config_static_selectorELNS0_4arch9wavefront6targetE0EEEvSK_
	.globl	_ZN7rocprim17ROCPRIM_400000_NS6detail17trampoline_kernelINS0_14default_configENS1_35radix_sort_onesweep_config_selectorIiNS0_10empty_typeEEEZZNS1_29radix_sort_onesweep_iterationIS3_Lb0EN6thrust23THRUST_200600_302600_NS6detail15normal_iteratorINS9_10device_ptrIiEEEESE_PS5_SF_jNS0_19identity_decomposerENS1_16block_id_wrapperIjLb1EEEEE10hipError_tT1_PNSt15iterator_traitsISK_E10value_typeET2_T3_PNSL_ISQ_E10value_typeET4_T5_PSV_SW_PNS1_23onesweep_lookback_stateEbbT6_jjT7_P12ihipStream_tbENKUlT_T0_SK_SP_E_clIPiSE_SF_SF_EEDaS13_S14_SK_SP_EUlS13_E_NS1_11comp_targetILNS1_3genE10ELNS1_11target_archE1201ELNS1_3gpuE5ELNS1_3repE0EEENS1_47radix_sort_onesweep_sort_config_static_selectorELNS0_4arch9wavefront6targetE0EEEvSK_
	.p2align	8
	.type	_ZN7rocprim17ROCPRIM_400000_NS6detail17trampoline_kernelINS0_14default_configENS1_35radix_sort_onesweep_config_selectorIiNS0_10empty_typeEEEZZNS1_29radix_sort_onesweep_iterationIS3_Lb0EN6thrust23THRUST_200600_302600_NS6detail15normal_iteratorINS9_10device_ptrIiEEEESE_PS5_SF_jNS0_19identity_decomposerENS1_16block_id_wrapperIjLb1EEEEE10hipError_tT1_PNSt15iterator_traitsISK_E10value_typeET2_T3_PNSL_ISQ_E10value_typeET4_T5_PSV_SW_PNS1_23onesweep_lookback_stateEbbT6_jjT7_P12ihipStream_tbENKUlT_T0_SK_SP_E_clIPiSE_SF_SF_EEDaS13_S14_SK_SP_EUlS13_E_NS1_11comp_targetILNS1_3genE10ELNS1_11target_archE1201ELNS1_3gpuE5ELNS1_3repE0EEENS1_47radix_sort_onesweep_sort_config_static_selectorELNS0_4arch9wavefront6targetE0EEEvSK_,@function
_ZN7rocprim17ROCPRIM_400000_NS6detail17trampoline_kernelINS0_14default_configENS1_35radix_sort_onesweep_config_selectorIiNS0_10empty_typeEEEZZNS1_29radix_sort_onesweep_iterationIS3_Lb0EN6thrust23THRUST_200600_302600_NS6detail15normal_iteratorINS9_10device_ptrIiEEEESE_PS5_SF_jNS0_19identity_decomposerENS1_16block_id_wrapperIjLb1EEEEE10hipError_tT1_PNSt15iterator_traitsISK_E10value_typeET2_T3_PNSL_ISQ_E10value_typeET4_T5_PSV_SW_PNS1_23onesweep_lookback_stateEbbT6_jjT7_P12ihipStream_tbENKUlT_T0_SK_SP_E_clIPiSE_SF_SF_EEDaS13_S14_SK_SP_EUlS13_E_NS1_11comp_targetILNS1_3genE10ELNS1_11target_archE1201ELNS1_3gpuE5ELNS1_3repE0EEENS1_47radix_sort_onesweep_sort_config_static_selectorELNS0_4arch9wavefront6targetE0EEEvSK_: ; @_ZN7rocprim17ROCPRIM_400000_NS6detail17trampoline_kernelINS0_14default_configENS1_35radix_sort_onesweep_config_selectorIiNS0_10empty_typeEEEZZNS1_29radix_sort_onesweep_iterationIS3_Lb0EN6thrust23THRUST_200600_302600_NS6detail15normal_iteratorINS9_10device_ptrIiEEEESE_PS5_SF_jNS0_19identity_decomposerENS1_16block_id_wrapperIjLb1EEEEE10hipError_tT1_PNSt15iterator_traitsISK_E10value_typeET2_T3_PNSL_ISQ_E10value_typeET4_T5_PSV_SW_PNS1_23onesweep_lookback_stateEbbT6_jjT7_P12ihipStream_tbENKUlT_T0_SK_SP_E_clIPiSE_SF_SF_EEDaS13_S14_SK_SP_EUlS13_E_NS1_11comp_targetILNS1_3genE10ELNS1_11target_archE1201ELNS1_3gpuE5ELNS1_3repE0EEENS1_47radix_sort_onesweep_sort_config_static_selectorELNS0_4arch9wavefront6targetE0EEEvSK_
; %bb.0:
	.section	.rodata,"a",@progbits
	.p2align	6, 0x0
	.amdhsa_kernel _ZN7rocprim17ROCPRIM_400000_NS6detail17trampoline_kernelINS0_14default_configENS1_35radix_sort_onesweep_config_selectorIiNS0_10empty_typeEEEZZNS1_29radix_sort_onesweep_iterationIS3_Lb0EN6thrust23THRUST_200600_302600_NS6detail15normal_iteratorINS9_10device_ptrIiEEEESE_PS5_SF_jNS0_19identity_decomposerENS1_16block_id_wrapperIjLb1EEEEE10hipError_tT1_PNSt15iterator_traitsISK_E10value_typeET2_T3_PNSL_ISQ_E10value_typeET4_T5_PSV_SW_PNS1_23onesweep_lookback_stateEbbT6_jjT7_P12ihipStream_tbENKUlT_T0_SK_SP_E_clIPiSE_SF_SF_EEDaS13_S14_SK_SP_EUlS13_E_NS1_11comp_targetILNS1_3genE10ELNS1_11target_archE1201ELNS1_3gpuE5ELNS1_3repE0EEENS1_47radix_sort_onesweep_sort_config_static_selectorELNS0_4arch9wavefront6targetE0EEEvSK_
		.amdhsa_group_segment_fixed_size 0
		.amdhsa_private_segment_fixed_size 0
		.amdhsa_kernarg_size 88
		.amdhsa_user_sgpr_count 6
		.amdhsa_user_sgpr_private_segment_buffer 1
		.amdhsa_user_sgpr_dispatch_ptr 0
		.amdhsa_user_sgpr_queue_ptr 0
		.amdhsa_user_sgpr_kernarg_segment_ptr 1
		.amdhsa_user_sgpr_dispatch_id 0
		.amdhsa_user_sgpr_flat_scratch_init 0
		.amdhsa_user_sgpr_private_segment_size 0
		.amdhsa_wavefront_size32 1
		.amdhsa_uses_dynamic_stack 0
		.amdhsa_system_sgpr_private_segment_wavefront_offset 0
		.amdhsa_system_sgpr_workgroup_id_x 1
		.amdhsa_system_sgpr_workgroup_id_y 0
		.amdhsa_system_sgpr_workgroup_id_z 0
		.amdhsa_system_sgpr_workgroup_info 0
		.amdhsa_system_vgpr_workitem_id 0
		.amdhsa_next_free_vgpr 1
		.amdhsa_next_free_sgpr 1
		.amdhsa_reserve_vcc 0
		.amdhsa_reserve_flat_scratch 0
		.amdhsa_float_round_mode_32 0
		.amdhsa_float_round_mode_16_64 0
		.amdhsa_float_denorm_mode_32 3
		.amdhsa_float_denorm_mode_16_64 3
		.amdhsa_dx10_clamp 1
		.amdhsa_ieee_mode 1
		.amdhsa_fp16_overflow 0
		.amdhsa_workgroup_processor_mode 1
		.amdhsa_memory_ordered 1
		.amdhsa_forward_progress 1
		.amdhsa_shared_vgpr_count 0
		.amdhsa_exception_fp_ieee_invalid_op 0
		.amdhsa_exception_fp_denorm_src 0
		.amdhsa_exception_fp_ieee_div_zero 0
		.amdhsa_exception_fp_ieee_overflow 0
		.amdhsa_exception_fp_ieee_underflow 0
		.amdhsa_exception_fp_ieee_inexact 0
		.amdhsa_exception_int_div_zero 0
	.end_amdhsa_kernel
	.section	.text._ZN7rocprim17ROCPRIM_400000_NS6detail17trampoline_kernelINS0_14default_configENS1_35radix_sort_onesweep_config_selectorIiNS0_10empty_typeEEEZZNS1_29radix_sort_onesweep_iterationIS3_Lb0EN6thrust23THRUST_200600_302600_NS6detail15normal_iteratorINS9_10device_ptrIiEEEESE_PS5_SF_jNS0_19identity_decomposerENS1_16block_id_wrapperIjLb1EEEEE10hipError_tT1_PNSt15iterator_traitsISK_E10value_typeET2_T3_PNSL_ISQ_E10value_typeET4_T5_PSV_SW_PNS1_23onesweep_lookback_stateEbbT6_jjT7_P12ihipStream_tbENKUlT_T0_SK_SP_E_clIPiSE_SF_SF_EEDaS13_S14_SK_SP_EUlS13_E_NS1_11comp_targetILNS1_3genE10ELNS1_11target_archE1201ELNS1_3gpuE5ELNS1_3repE0EEENS1_47radix_sort_onesweep_sort_config_static_selectorELNS0_4arch9wavefront6targetE0EEEvSK_,"axG",@progbits,_ZN7rocprim17ROCPRIM_400000_NS6detail17trampoline_kernelINS0_14default_configENS1_35radix_sort_onesweep_config_selectorIiNS0_10empty_typeEEEZZNS1_29radix_sort_onesweep_iterationIS3_Lb0EN6thrust23THRUST_200600_302600_NS6detail15normal_iteratorINS9_10device_ptrIiEEEESE_PS5_SF_jNS0_19identity_decomposerENS1_16block_id_wrapperIjLb1EEEEE10hipError_tT1_PNSt15iterator_traitsISK_E10value_typeET2_T3_PNSL_ISQ_E10value_typeET4_T5_PSV_SW_PNS1_23onesweep_lookback_stateEbbT6_jjT7_P12ihipStream_tbENKUlT_T0_SK_SP_E_clIPiSE_SF_SF_EEDaS13_S14_SK_SP_EUlS13_E_NS1_11comp_targetILNS1_3genE10ELNS1_11target_archE1201ELNS1_3gpuE5ELNS1_3repE0EEENS1_47radix_sort_onesweep_sort_config_static_selectorELNS0_4arch9wavefront6targetE0EEEvSK_,comdat
.Lfunc_end183:
	.size	_ZN7rocprim17ROCPRIM_400000_NS6detail17trampoline_kernelINS0_14default_configENS1_35radix_sort_onesweep_config_selectorIiNS0_10empty_typeEEEZZNS1_29radix_sort_onesweep_iterationIS3_Lb0EN6thrust23THRUST_200600_302600_NS6detail15normal_iteratorINS9_10device_ptrIiEEEESE_PS5_SF_jNS0_19identity_decomposerENS1_16block_id_wrapperIjLb1EEEEE10hipError_tT1_PNSt15iterator_traitsISK_E10value_typeET2_T3_PNSL_ISQ_E10value_typeET4_T5_PSV_SW_PNS1_23onesweep_lookback_stateEbbT6_jjT7_P12ihipStream_tbENKUlT_T0_SK_SP_E_clIPiSE_SF_SF_EEDaS13_S14_SK_SP_EUlS13_E_NS1_11comp_targetILNS1_3genE10ELNS1_11target_archE1201ELNS1_3gpuE5ELNS1_3repE0EEENS1_47radix_sort_onesweep_sort_config_static_selectorELNS0_4arch9wavefront6targetE0EEEvSK_, .Lfunc_end183-_ZN7rocprim17ROCPRIM_400000_NS6detail17trampoline_kernelINS0_14default_configENS1_35radix_sort_onesweep_config_selectorIiNS0_10empty_typeEEEZZNS1_29radix_sort_onesweep_iterationIS3_Lb0EN6thrust23THRUST_200600_302600_NS6detail15normal_iteratorINS9_10device_ptrIiEEEESE_PS5_SF_jNS0_19identity_decomposerENS1_16block_id_wrapperIjLb1EEEEE10hipError_tT1_PNSt15iterator_traitsISK_E10value_typeET2_T3_PNSL_ISQ_E10value_typeET4_T5_PSV_SW_PNS1_23onesweep_lookback_stateEbbT6_jjT7_P12ihipStream_tbENKUlT_T0_SK_SP_E_clIPiSE_SF_SF_EEDaS13_S14_SK_SP_EUlS13_E_NS1_11comp_targetILNS1_3genE10ELNS1_11target_archE1201ELNS1_3gpuE5ELNS1_3repE0EEENS1_47radix_sort_onesweep_sort_config_static_selectorELNS0_4arch9wavefront6targetE0EEEvSK_
                                        ; -- End function
	.set _ZN7rocprim17ROCPRIM_400000_NS6detail17trampoline_kernelINS0_14default_configENS1_35radix_sort_onesweep_config_selectorIiNS0_10empty_typeEEEZZNS1_29radix_sort_onesweep_iterationIS3_Lb0EN6thrust23THRUST_200600_302600_NS6detail15normal_iteratorINS9_10device_ptrIiEEEESE_PS5_SF_jNS0_19identity_decomposerENS1_16block_id_wrapperIjLb1EEEEE10hipError_tT1_PNSt15iterator_traitsISK_E10value_typeET2_T3_PNSL_ISQ_E10value_typeET4_T5_PSV_SW_PNS1_23onesweep_lookback_stateEbbT6_jjT7_P12ihipStream_tbENKUlT_T0_SK_SP_E_clIPiSE_SF_SF_EEDaS13_S14_SK_SP_EUlS13_E_NS1_11comp_targetILNS1_3genE10ELNS1_11target_archE1201ELNS1_3gpuE5ELNS1_3repE0EEENS1_47radix_sort_onesweep_sort_config_static_selectorELNS0_4arch9wavefront6targetE0EEEvSK_.num_vgpr, 0
	.set _ZN7rocprim17ROCPRIM_400000_NS6detail17trampoline_kernelINS0_14default_configENS1_35radix_sort_onesweep_config_selectorIiNS0_10empty_typeEEEZZNS1_29radix_sort_onesweep_iterationIS3_Lb0EN6thrust23THRUST_200600_302600_NS6detail15normal_iteratorINS9_10device_ptrIiEEEESE_PS5_SF_jNS0_19identity_decomposerENS1_16block_id_wrapperIjLb1EEEEE10hipError_tT1_PNSt15iterator_traitsISK_E10value_typeET2_T3_PNSL_ISQ_E10value_typeET4_T5_PSV_SW_PNS1_23onesweep_lookback_stateEbbT6_jjT7_P12ihipStream_tbENKUlT_T0_SK_SP_E_clIPiSE_SF_SF_EEDaS13_S14_SK_SP_EUlS13_E_NS1_11comp_targetILNS1_3genE10ELNS1_11target_archE1201ELNS1_3gpuE5ELNS1_3repE0EEENS1_47radix_sort_onesweep_sort_config_static_selectorELNS0_4arch9wavefront6targetE0EEEvSK_.num_agpr, 0
	.set _ZN7rocprim17ROCPRIM_400000_NS6detail17trampoline_kernelINS0_14default_configENS1_35radix_sort_onesweep_config_selectorIiNS0_10empty_typeEEEZZNS1_29radix_sort_onesweep_iterationIS3_Lb0EN6thrust23THRUST_200600_302600_NS6detail15normal_iteratorINS9_10device_ptrIiEEEESE_PS5_SF_jNS0_19identity_decomposerENS1_16block_id_wrapperIjLb1EEEEE10hipError_tT1_PNSt15iterator_traitsISK_E10value_typeET2_T3_PNSL_ISQ_E10value_typeET4_T5_PSV_SW_PNS1_23onesweep_lookback_stateEbbT6_jjT7_P12ihipStream_tbENKUlT_T0_SK_SP_E_clIPiSE_SF_SF_EEDaS13_S14_SK_SP_EUlS13_E_NS1_11comp_targetILNS1_3genE10ELNS1_11target_archE1201ELNS1_3gpuE5ELNS1_3repE0EEENS1_47radix_sort_onesweep_sort_config_static_selectorELNS0_4arch9wavefront6targetE0EEEvSK_.numbered_sgpr, 0
	.set _ZN7rocprim17ROCPRIM_400000_NS6detail17trampoline_kernelINS0_14default_configENS1_35radix_sort_onesweep_config_selectorIiNS0_10empty_typeEEEZZNS1_29radix_sort_onesweep_iterationIS3_Lb0EN6thrust23THRUST_200600_302600_NS6detail15normal_iteratorINS9_10device_ptrIiEEEESE_PS5_SF_jNS0_19identity_decomposerENS1_16block_id_wrapperIjLb1EEEEE10hipError_tT1_PNSt15iterator_traitsISK_E10value_typeET2_T3_PNSL_ISQ_E10value_typeET4_T5_PSV_SW_PNS1_23onesweep_lookback_stateEbbT6_jjT7_P12ihipStream_tbENKUlT_T0_SK_SP_E_clIPiSE_SF_SF_EEDaS13_S14_SK_SP_EUlS13_E_NS1_11comp_targetILNS1_3genE10ELNS1_11target_archE1201ELNS1_3gpuE5ELNS1_3repE0EEENS1_47radix_sort_onesweep_sort_config_static_selectorELNS0_4arch9wavefront6targetE0EEEvSK_.num_named_barrier, 0
	.set _ZN7rocprim17ROCPRIM_400000_NS6detail17trampoline_kernelINS0_14default_configENS1_35radix_sort_onesweep_config_selectorIiNS0_10empty_typeEEEZZNS1_29radix_sort_onesweep_iterationIS3_Lb0EN6thrust23THRUST_200600_302600_NS6detail15normal_iteratorINS9_10device_ptrIiEEEESE_PS5_SF_jNS0_19identity_decomposerENS1_16block_id_wrapperIjLb1EEEEE10hipError_tT1_PNSt15iterator_traitsISK_E10value_typeET2_T3_PNSL_ISQ_E10value_typeET4_T5_PSV_SW_PNS1_23onesweep_lookback_stateEbbT6_jjT7_P12ihipStream_tbENKUlT_T0_SK_SP_E_clIPiSE_SF_SF_EEDaS13_S14_SK_SP_EUlS13_E_NS1_11comp_targetILNS1_3genE10ELNS1_11target_archE1201ELNS1_3gpuE5ELNS1_3repE0EEENS1_47radix_sort_onesweep_sort_config_static_selectorELNS0_4arch9wavefront6targetE0EEEvSK_.private_seg_size, 0
	.set _ZN7rocprim17ROCPRIM_400000_NS6detail17trampoline_kernelINS0_14default_configENS1_35radix_sort_onesweep_config_selectorIiNS0_10empty_typeEEEZZNS1_29radix_sort_onesweep_iterationIS3_Lb0EN6thrust23THRUST_200600_302600_NS6detail15normal_iteratorINS9_10device_ptrIiEEEESE_PS5_SF_jNS0_19identity_decomposerENS1_16block_id_wrapperIjLb1EEEEE10hipError_tT1_PNSt15iterator_traitsISK_E10value_typeET2_T3_PNSL_ISQ_E10value_typeET4_T5_PSV_SW_PNS1_23onesweep_lookback_stateEbbT6_jjT7_P12ihipStream_tbENKUlT_T0_SK_SP_E_clIPiSE_SF_SF_EEDaS13_S14_SK_SP_EUlS13_E_NS1_11comp_targetILNS1_3genE10ELNS1_11target_archE1201ELNS1_3gpuE5ELNS1_3repE0EEENS1_47radix_sort_onesweep_sort_config_static_selectorELNS0_4arch9wavefront6targetE0EEEvSK_.uses_vcc, 0
	.set _ZN7rocprim17ROCPRIM_400000_NS6detail17trampoline_kernelINS0_14default_configENS1_35radix_sort_onesweep_config_selectorIiNS0_10empty_typeEEEZZNS1_29radix_sort_onesweep_iterationIS3_Lb0EN6thrust23THRUST_200600_302600_NS6detail15normal_iteratorINS9_10device_ptrIiEEEESE_PS5_SF_jNS0_19identity_decomposerENS1_16block_id_wrapperIjLb1EEEEE10hipError_tT1_PNSt15iterator_traitsISK_E10value_typeET2_T3_PNSL_ISQ_E10value_typeET4_T5_PSV_SW_PNS1_23onesweep_lookback_stateEbbT6_jjT7_P12ihipStream_tbENKUlT_T0_SK_SP_E_clIPiSE_SF_SF_EEDaS13_S14_SK_SP_EUlS13_E_NS1_11comp_targetILNS1_3genE10ELNS1_11target_archE1201ELNS1_3gpuE5ELNS1_3repE0EEENS1_47radix_sort_onesweep_sort_config_static_selectorELNS0_4arch9wavefront6targetE0EEEvSK_.uses_flat_scratch, 0
	.set _ZN7rocprim17ROCPRIM_400000_NS6detail17trampoline_kernelINS0_14default_configENS1_35radix_sort_onesweep_config_selectorIiNS0_10empty_typeEEEZZNS1_29radix_sort_onesweep_iterationIS3_Lb0EN6thrust23THRUST_200600_302600_NS6detail15normal_iteratorINS9_10device_ptrIiEEEESE_PS5_SF_jNS0_19identity_decomposerENS1_16block_id_wrapperIjLb1EEEEE10hipError_tT1_PNSt15iterator_traitsISK_E10value_typeET2_T3_PNSL_ISQ_E10value_typeET4_T5_PSV_SW_PNS1_23onesweep_lookback_stateEbbT6_jjT7_P12ihipStream_tbENKUlT_T0_SK_SP_E_clIPiSE_SF_SF_EEDaS13_S14_SK_SP_EUlS13_E_NS1_11comp_targetILNS1_3genE10ELNS1_11target_archE1201ELNS1_3gpuE5ELNS1_3repE0EEENS1_47radix_sort_onesweep_sort_config_static_selectorELNS0_4arch9wavefront6targetE0EEEvSK_.has_dyn_sized_stack, 0
	.set _ZN7rocprim17ROCPRIM_400000_NS6detail17trampoline_kernelINS0_14default_configENS1_35radix_sort_onesweep_config_selectorIiNS0_10empty_typeEEEZZNS1_29radix_sort_onesweep_iterationIS3_Lb0EN6thrust23THRUST_200600_302600_NS6detail15normal_iteratorINS9_10device_ptrIiEEEESE_PS5_SF_jNS0_19identity_decomposerENS1_16block_id_wrapperIjLb1EEEEE10hipError_tT1_PNSt15iterator_traitsISK_E10value_typeET2_T3_PNSL_ISQ_E10value_typeET4_T5_PSV_SW_PNS1_23onesweep_lookback_stateEbbT6_jjT7_P12ihipStream_tbENKUlT_T0_SK_SP_E_clIPiSE_SF_SF_EEDaS13_S14_SK_SP_EUlS13_E_NS1_11comp_targetILNS1_3genE10ELNS1_11target_archE1201ELNS1_3gpuE5ELNS1_3repE0EEENS1_47radix_sort_onesweep_sort_config_static_selectorELNS0_4arch9wavefront6targetE0EEEvSK_.has_recursion, 0
	.set _ZN7rocprim17ROCPRIM_400000_NS6detail17trampoline_kernelINS0_14default_configENS1_35radix_sort_onesweep_config_selectorIiNS0_10empty_typeEEEZZNS1_29radix_sort_onesweep_iterationIS3_Lb0EN6thrust23THRUST_200600_302600_NS6detail15normal_iteratorINS9_10device_ptrIiEEEESE_PS5_SF_jNS0_19identity_decomposerENS1_16block_id_wrapperIjLb1EEEEE10hipError_tT1_PNSt15iterator_traitsISK_E10value_typeET2_T3_PNSL_ISQ_E10value_typeET4_T5_PSV_SW_PNS1_23onesweep_lookback_stateEbbT6_jjT7_P12ihipStream_tbENKUlT_T0_SK_SP_E_clIPiSE_SF_SF_EEDaS13_S14_SK_SP_EUlS13_E_NS1_11comp_targetILNS1_3genE10ELNS1_11target_archE1201ELNS1_3gpuE5ELNS1_3repE0EEENS1_47radix_sort_onesweep_sort_config_static_selectorELNS0_4arch9wavefront6targetE0EEEvSK_.has_indirect_call, 0
	.section	.AMDGPU.csdata,"",@progbits
; Kernel info:
; codeLenInByte = 0
; TotalNumSgprs: 0
; NumVgprs: 0
; ScratchSize: 0
; MemoryBound: 0
; FloatMode: 240
; IeeeMode: 1
; LDSByteSize: 0 bytes/workgroup (compile time only)
; SGPRBlocks: 0
; VGPRBlocks: 0
; NumSGPRsForWavesPerEU: 1
; NumVGPRsForWavesPerEU: 1
; Occupancy: 16
; WaveLimiterHint : 0
; COMPUTE_PGM_RSRC2:SCRATCH_EN: 0
; COMPUTE_PGM_RSRC2:USER_SGPR: 6
; COMPUTE_PGM_RSRC2:TRAP_HANDLER: 0
; COMPUTE_PGM_RSRC2:TGID_X_EN: 1
; COMPUTE_PGM_RSRC2:TGID_Y_EN: 0
; COMPUTE_PGM_RSRC2:TGID_Z_EN: 0
; COMPUTE_PGM_RSRC2:TIDIG_COMP_CNT: 0
	.section	.text._ZN7rocprim17ROCPRIM_400000_NS6detail17trampoline_kernelINS0_14default_configENS1_35radix_sort_onesweep_config_selectorIiNS0_10empty_typeEEEZZNS1_29radix_sort_onesweep_iterationIS3_Lb0EN6thrust23THRUST_200600_302600_NS6detail15normal_iteratorINS9_10device_ptrIiEEEESE_PS5_SF_jNS0_19identity_decomposerENS1_16block_id_wrapperIjLb1EEEEE10hipError_tT1_PNSt15iterator_traitsISK_E10value_typeET2_T3_PNSL_ISQ_E10value_typeET4_T5_PSV_SW_PNS1_23onesweep_lookback_stateEbbT6_jjT7_P12ihipStream_tbENKUlT_T0_SK_SP_E_clIPiSE_SF_SF_EEDaS13_S14_SK_SP_EUlS13_E_NS1_11comp_targetILNS1_3genE9ELNS1_11target_archE1100ELNS1_3gpuE3ELNS1_3repE0EEENS1_47radix_sort_onesweep_sort_config_static_selectorELNS0_4arch9wavefront6targetE0EEEvSK_,"axG",@progbits,_ZN7rocprim17ROCPRIM_400000_NS6detail17trampoline_kernelINS0_14default_configENS1_35radix_sort_onesweep_config_selectorIiNS0_10empty_typeEEEZZNS1_29radix_sort_onesweep_iterationIS3_Lb0EN6thrust23THRUST_200600_302600_NS6detail15normal_iteratorINS9_10device_ptrIiEEEESE_PS5_SF_jNS0_19identity_decomposerENS1_16block_id_wrapperIjLb1EEEEE10hipError_tT1_PNSt15iterator_traitsISK_E10value_typeET2_T3_PNSL_ISQ_E10value_typeET4_T5_PSV_SW_PNS1_23onesweep_lookback_stateEbbT6_jjT7_P12ihipStream_tbENKUlT_T0_SK_SP_E_clIPiSE_SF_SF_EEDaS13_S14_SK_SP_EUlS13_E_NS1_11comp_targetILNS1_3genE9ELNS1_11target_archE1100ELNS1_3gpuE3ELNS1_3repE0EEENS1_47radix_sort_onesweep_sort_config_static_selectorELNS0_4arch9wavefront6targetE0EEEvSK_,comdat
	.protected	_ZN7rocprim17ROCPRIM_400000_NS6detail17trampoline_kernelINS0_14default_configENS1_35radix_sort_onesweep_config_selectorIiNS0_10empty_typeEEEZZNS1_29radix_sort_onesweep_iterationIS3_Lb0EN6thrust23THRUST_200600_302600_NS6detail15normal_iteratorINS9_10device_ptrIiEEEESE_PS5_SF_jNS0_19identity_decomposerENS1_16block_id_wrapperIjLb1EEEEE10hipError_tT1_PNSt15iterator_traitsISK_E10value_typeET2_T3_PNSL_ISQ_E10value_typeET4_T5_PSV_SW_PNS1_23onesweep_lookback_stateEbbT6_jjT7_P12ihipStream_tbENKUlT_T0_SK_SP_E_clIPiSE_SF_SF_EEDaS13_S14_SK_SP_EUlS13_E_NS1_11comp_targetILNS1_3genE9ELNS1_11target_archE1100ELNS1_3gpuE3ELNS1_3repE0EEENS1_47radix_sort_onesweep_sort_config_static_selectorELNS0_4arch9wavefront6targetE0EEEvSK_ ; -- Begin function _ZN7rocprim17ROCPRIM_400000_NS6detail17trampoline_kernelINS0_14default_configENS1_35radix_sort_onesweep_config_selectorIiNS0_10empty_typeEEEZZNS1_29radix_sort_onesweep_iterationIS3_Lb0EN6thrust23THRUST_200600_302600_NS6detail15normal_iteratorINS9_10device_ptrIiEEEESE_PS5_SF_jNS0_19identity_decomposerENS1_16block_id_wrapperIjLb1EEEEE10hipError_tT1_PNSt15iterator_traitsISK_E10value_typeET2_T3_PNSL_ISQ_E10value_typeET4_T5_PSV_SW_PNS1_23onesweep_lookback_stateEbbT6_jjT7_P12ihipStream_tbENKUlT_T0_SK_SP_E_clIPiSE_SF_SF_EEDaS13_S14_SK_SP_EUlS13_E_NS1_11comp_targetILNS1_3genE9ELNS1_11target_archE1100ELNS1_3gpuE3ELNS1_3repE0EEENS1_47radix_sort_onesweep_sort_config_static_selectorELNS0_4arch9wavefront6targetE0EEEvSK_
	.globl	_ZN7rocprim17ROCPRIM_400000_NS6detail17trampoline_kernelINS0_14default_configENS1_35radix_sort_onesweep_config_selectorIiNS0_10empty_typeEEEZZNS1_29radix_sort_onesweep_iterationIS3_Lb0EN6thrust23THRUST_200600_302600_NS6detail15normal_iteratorINS9_10device_ptrIiEEEESE_PS5_SF_jNS0_19identity_decomposerENS1_16block_id_wrapperIjLb1EEEEE10hipError_tT1_PNSt15iterator_traitsISK_E10value_typeET2_T3_PNSL_ISQ_E10value_typeET4_T5_PSV_SW_PNS1_23onesweep_lookback_stateEbbT6_jjT7_P12ihipStream_tbENKUlT_T0_SK_SP_E_clIPiSE_SF_SF_EEDaS13_S14_SK_SP_EUlS13_E_NS1_11comp_targetILNS1_3genE9ELNS1_11target_archE1100ELNS1_3gpuE3ELNS1_3repE0EEENS1_47radix_sort_onesweep_sort_config_static_selectorELNS0_4arch9wavefront6targetE0EEEvSK_
	.p2align	8
	.type	_ZN7rocprim17ROCPRIM_400000_NS6detail17trampoline_kernelINS0_14default_configENS1_35radix_sort_onesweep_config_selectorIiNS0_10empty_typeEEEZZNS1_29radix_sort_onesweep_iterationIS3_Lb0EN6thrust23THRUST_200600_302600_NS6detail15normal_iteratorINS9_10device_ptrIiEEEESE_PS5_SF_jNS0_19identity_decomposerENS1_16block_id_wrapperIjLb1EEEEE10hipError_tT1_PNSt15iterator_traitsISK_E10value_typeET2_T3_PNSL_ISQ_E10value_typeET4_T5_PSV_SW_PNS1_23onesweep_lookback_stateEbbT6_jjT7_P12ihipStream_tbENKUlT_T0_SK_SP_E_clIPiSE_SF_SF_EEDaS13_S14_SK_SP_EUlS13_E_NS1_11comp_targetILNS1_3genE9ELNS1_11target_archE1100ELNS1_3gpuE3ELNS1_3repE0EEENS1_47radix_sort_onesweep_sort_config_static_selectorELNS0_4arch9wavefront6targetE0EEEvSK_,@function
_ZN7rocprim17ROCPRIM_400000_NS6detail17trampoline_kernelINS0_14default_configENS1_35radix_sort_onesweep_config_selectorIiNS0_10empty_typeEEEZZNS1_29radix_sort_onesweep_iterationIS3_Lb0EN6thrust23THRUST_200600_302600_NS6detail15normal_iteratorINS9_10device_ptrIiEEEESE_PS5_SF_jNS0_19identity_decomposerENS1_16block_id_wrapperIjLb1EEEEE10hipError_tT1_PNSt15iterator_traitsISK_E10value_typeET2_T3_PNSL_ISQ_E10value_typeET4_T5_PSV_SW_PNS1_23onesweep_lookback_stateEbbT6_jjT7_P12ihipStream_tbENKUlT_T0_SK_SP_E_clIPiSE_SF_SF_EEDaS13_S14_SK_SP_EUlS13_E_NS1_11comp_targetILNS1_3genE9ELNS1_11target_archE1100ELNS1_3gpuE3ELNS1_3repE0EEENS1_47radix_sort_onesweep_sort_config_static_selectorELNS0_4arch9wavefront6targetE0EEEvSK_: ; @_ZN7rocprim17ROCPRIM_400000_NS6detail17trampoline_kernelINS0_14default_configENS1_35radix_sort_onesweep_config_selectorIiNS0_10empty_typeEEEZZNS1_29radix_sort_onesweep_iterationIS3_Lb0EN6thrust23THRUST_200600_302600_NS6detail15normal_iteratorINS9_10device_ptrIiEEEESE_PS5_SF_jNS0_19identity_decomposerENS1_16block_id_wrapperIjLb1EEEEE10hipError_tT1_PNSt15iterator_traitsISK_E10value_typeET2_T3_PNSL_ISQ_E10value_typeET4_T5_PSV_SW_PNS1_23onesweep_lookback_stateEbbT6_jjT7_P12ihipStream_tbENKUlT_T0_SK_SP_E_clIPiSE_SF_SF_EEDaS13_S14_SK_SP_EUlS13_E_NS1_11comp_targetILNS1_3genE9ELNS1_11target_archE1100ELNS1_3gpuE3ELNS1_3repE0EEENS1_47radix_sort_onesweep_sort_config_static_selectorELNS0_4arch9wavefront6targetE0EEEvSK_
; %bb.0:
	.section	.rodata,"a",@progbits
	.p2align	6, 0x0
	.amdhsa_kernel _ZN7rocprim17ROCPRIM_400000_NS6detail17trampoline_kernelINS0_14default_configENS1_35radix_sort_onesweep_config_selectorIiNS0_10empty_typeEEEZZNS1_29radix_sort_onesweep_iterationIS3_Lb0EN6thrust23THRUST_200600_302600_NS6detail15normal_iteratorINS9_10device_ptrIiEEEESE_PS5_SF_jNS0_19identity_decomposerENS1_16block_id_wrapperIjLb1EEEEE10hipError_tT1_PNSt15iterator_traitsISK_E10value_typeET2_T3_PNSL_ISQ_E10value_typeET4_T5_PSV_SW_PNS1_23onesweep_lookback_stateEbbT6_jjT7_P12ihipStream_tbENKUlT_T0_SK_SP_E_clIPiSE_SF_SF_EEDaS13_S14_SK_SP_EUlS13_E_NS1_11comp_targetILNS1_3genE9ELNS1_11target_archE1100ELNS1_3gpuE3ELNS1_3repE0EEENS1_47radix_sort_onesweep_sort_config_static_selectorELNS0_4arch9wavefront6targetE0EEEvSK_
		.amdhsa_group_segment_fixed_size 0
		.amdhsa_private_segment_fixed_size 0
		.amdhsa_kernarg_size 88
		.amdhsa_user_sgpr_count 6
		.amdhsa_user_sgpr_private_segment_buffer 1
		.amdhsa_user_sgpr_dispatch_ptr 0
		.amdhsa_user_sgpr_queue_ptr 0
		.amdhsa_user_sgpr_kernarg_segment_ptr 1
		.amdhsa_user_sgpr_dispatch_id 0
		.amdhsa_user_sgpr_flat_scratch_init 0
		.amdhsa_user_sgpr_private_segment_size 0
		.amdhsa_wavefront_size32 1
		.amdhsa_uses_dynamic_stack 0
		.amdhsa_system_sgpr_private_segment_wavefront_offset 0
		.amdhsa_system_sgpr_workgroup_id_x 1
		.amdhsa_system_sgpr_workgroup_id_y 0
		.amdhsa_system_sgpr_workgroup_id_z 0
		.amdhsa_system_sgpr_workgroup_info 0
		.amdhsa_system_vgpr_workitem_id 0
		.amdhsa_next_free_vgpr 1
		.amdhsa_next_free_sgpr 1
		.amdhsa_reserve_vcc 0
		.amdhsa_reserve_flat_scratch 0
		.amdhsa_float_round_mode_32 0
		.amdhsa_float_round_mode_16_64 0
		.amdhsa_float_denorm_mode_32 3
		.amdhsa_float_denorm_mode_16_64 3
		.amdhsa_dx10_clamp 1
		.amdhsa_ieee_mode 1
		.amdhsa_fp16_overflow 0
		.amdhsa_workgroup_processor_mode 1
		.amdhsa_memory_ordered 1
		.amdhsa_forward_progress 1
		.amdhsa_shared_vgpr_count 0
		.amdhsa_exception_fp_ieee_invalid_op 0
		.amdhsa_exception_fp_denorm_src 0
		.amdhsa_exception_fp_ieee_div_zero 0
		.amdhsa_exception_fp_ieee_overflow 0
		.amdhsa_exception_fp_ieee_underflow 0
		.amdhsa_exception_fp_ieee_inexact 0
		.amdhsa_exception_int_div_zero 0
	.end_amdhsa_kernel
	.section	.text._ZN7rocprim17ROCPRIM_400000_NS6detail17trampoline_kernelINS0_14default_configENS1_35radix_sort_onesweep_config_selectorIiNS0_10empty_typeEEEZZNS1_29radix_sort_onesweep_iterationIS3_Lb0EN6thrust23THRUST_200600_302600_NS6detail15normal_iteratorINS9_10device_ptrIiEEEESE_PS5_SF_jNS0_19identity_decomposerENS1_16block_id_wrapperIjLb1EEEEE10hipError_tT1_PNSt15iterator_traitsISK_E10value_typeET2_T3_PNSL_ISQ_E10value_typeET4_T5_PSV_SW_PNS1_23onesweep_lookback_stateEbbT6_jjT7_P12ihipStream_tbENKUlT_T0_SK_SP_E_clIPiSE_SF_SF_EEDaS13_S14_SK_SP_EUlS13_E_NS1_11comp_targetILNS1_3genE9ELNS1_11target_archE1100ELNS1_3gpuE3ELNS1_3repE0EEENS1_47radix_sort_onesweep_sort_config_static_selectorELNS0_4arch9wavefront6targetE0EEEvSK_,"axG",@progbits,_ZN7rocprim17ROCPRIM_400000_NS6detail17trampoline_kernelINS0_14default_configENS1_35radix_sort_onesweep_config_selectorIiNS0_10empty_typeEEEZZNS1_29radix_sort_onesweep_iterationIS3_Lb0EN6thrust23THRUST_200600_302600_NS6detail15normal_iteratorINS9_10device_ptrIiEEEESE_PS5_SF_jNS0_19identity_decomposerENS1_16block_id_wrapperIjLb1EEEEE10hipError_tT1_PNSt15iterator_traitsISK_E10value_typeET2_T3_PNSL_ISQ_E10value_typeET4_T5_PSV_SW_PNS1_23onesweep_lookback_stateEbbT6_jjT7_P12ihipStream_tbENKUlT_T0_SK_SP_E_clIPiSE_SF_SF_EEDaS13_S14_SK_SP_EUlS13_E_NS1_11comp_targetILNS1_3genE9ELNS1_11target_archE1100ELNS1_3gpuE3ELNS1_3repE0EEENS1_47radix_sort_onesweep_sort_config_static_selectorELNS0_4arch9wavefront6targetE0EEEvSK_,comdat
.Lfunc_end184:
	.size	_ZN7rocprim17ROCPRIM_400000_NS6detail17trampoline_kernelINS0_14default_configENS1_35radix_sort_onesweep_config_selectorIiNS0_10empty_typeEEEZZNS1_29radix_sort_onesweep_iterationIS3_Lb0EN6thrust23THRUST_200600_302600_NS6detail15normal_iteratorINS9_10device_ptrIiEEEESE_PS5_SF_jNS0_19identity_decomposerENS1_16block_id_wrapperIjLb1EEEEE10hipError_tT1_PNSt15iterator_traitsISK_E10value_typeET2_T3_PNSL_ISQ_E10value_typeET4_T5_PSV_SW_PNS1_23onesweep_lookback_stateEbbT6_jjT7_P12ihipStream_tbENKUlT_T0_SK_SP_E_clIPiSE_SF_SF_EEDaS13_S14_SK_SP_EUlS13_E_NS1_11comp_targetILNS1_3genE9ELNS1_11target_archE1100ELNS1_3gpuE3ELNS1_3repE0EEENS1_47radix_sort_onesweep_sort_config_static_selectorELNS0_4arch9wavefront6targetE0EEEvSK_, .Lfunc_end184-_ZN7rocprim17ROCPRIM_400000_NS6detail17trampoline_kernelINS0_14default_configENS1_35radix_sort_onesweep_config_selectorIiNS0_10empty_typeEEEZZNS1_29radix_sort_onesweep_iterationIS3_Lb0EN6thrust23THRUST_200600_302600_NS6detail15normal_iteratorINS9_10device_ptrIiEEEESE_PS5_SF_jNS0_19identity_decomposerENS1_16block_id_wrapperIjLb1EEEEE10hipError_tT1_PNSt15iterator_traitsISK_E10value_typeET2_T3_PNSL_ISQ_E10value_typeET4_T5_PSV_SW_PNS1_23onesweep_lookback_stateEbbT6_jjT7_P12ihipStream_tbENKUlT_T0_SK_SP_E_clIPiSE_SF_SF_EEDaS13_S14_SK_SP_EUlS13_E_NS1_11comp_targetILNS1_3genE9ELNS1_11target_archE1100ELNS1_3gpuE3ELNS1_3repE0EEENS1_47radix_sort_onesweep_sort_config_static_selectorELNS0_4arch9wavefront6targetE0EEEvSK_
                                        ; -- End function
	.set _ZN7rocprim17ROCPRIM_400000_NS6detail17trampoline_kernelINS0_14default_configENS1_35radix_sort_onesweep_config_selectorIiNS0_10empty_typeEEEZZNS1_29radix_sort_onesweep_iterationIS3_Lb0EN6thrust23THRUST_200600_302600_NS6detail15normal_iteratorINS9_10device_ptrIiEEEESE_PS5_SF_jNS0_19identity_decomposerENS1_16block_id_wrapperIjLb1EEEEE10hipError_tT1_PNSt15iterator_traitsISK_E10value_typeET2_T3_PNSL_ISQ_E10value_typeET4_T5_PSV_SW_PNS1_23onesweep_lookback_stateEbbT6_jjT7_P12ihipStream_tbENKUlT_T0_SK_SP_E_clIPiSE_SF_SF_EEDaS13_S14_SK_SP_EUlS13_E_NS1_11comp_targetILNS1_3genE9ELNS1_11target_archE1100ELNS1_3gpuE3ELNS1_3repE0EEENS1_47radix_sort_onesweep_sort_config_static_selectorELNS0_4arch9wavefront6targetE0EEEvSK_.num_vgpr, 0
	.set _ZN7rocprim17ROCPRIM_400000_NS6detail17trampoline_kernelINS0_14default_configENS1_35radix_sort_onesweep_config_selectorIiNS0_10empty_typeEEEZZNS1_29radix_sort_onesweep_iterationIS3_Lb0EN6thrust23THRUST_200600_302600_NS6detail15normal_iteratorINS9_10device_ptrIiEEEESE_PS5_SF_jNS0_19identity_decomposerENS1_16block_id_wrapperIjLb1EEEEE10hipError_tT1_PNSt15iterator_traitsISK_E10value_typeET2_T3_PNSL_ISQ_E10value_typeET4_T5_PSV_SW_PNS1_23onesweep_lookback_stateEbbT6_jjT7_P12ihipStream_tbENKUlT_T0_SK_SP_E_clIPiSE_SF_SF_EEDaS13_S14_SK_SP_EUlS13_E_NS1_11comp_targetILNS1_3genE9ELNS1_11target_archE1100ELNS1_3gpuE3ELNS1_3repE0EEENS1_47radix_sort_onesweep_sort_config_static_selectorELNS0_4arch9wavefront6targetE0EEEvSK_.num_agpr, 0
	.set _ZN7rocprim17ROCPRIM_400000_NS6detail17trampoline_kernelINS0_14default_configENS1_35radix_sort_onesweep_config_selectorIiNS0_10empty_typeEEEZZNS1_29radix_sort_onesweep_iterationIS3_Lb0EN6thrust23THRUST_200600_302600_NS6detail15normal_iteratorINS9_10device_ptrIiEEEESE_PS5_SF_jNS0_19identity_decomposerENS1_16block_id_wrapperIjLb1EEEEE10hipError_tT1_PNSt15iterator_traitsISK_E10value_typeET2_T3_PNSL_ISQ_E10value_typeET4_T5_PSV_SW_PNS1_23onesweep_lookback_stateEbbT6_jjT7_P12ihipStream_tbENKUlT_T0_SK_SP_E_clIPiSE_SF_SF_EEDaS13_S14_SK_SP_EUlS13_E_NS1_11comp_targetILNS1_3genE9ELNS1_11target_archE1100ELNS1_3gpuE3ELNS1_3repE0EEENS1_47radix_sort_onesweep_sort_config_static_selectorELNS0_4arch9wavefront6targetE0EEEvSK_.numbered_sgpr, 0
	.set _ZN7rocprim17ROCPRIM_400000_NS6detail17trampoline_kernelINS0_14default_configENS1_35radix_sort_onesweep_config_selectorIiNS0_10empty_typeEEEZZNS1_29radix_sort_onesweep_iterationIS3_Lb0EN6thrust23THRUST_200600_302600_NS6detail15normal_iteratorINS9_10device_ptrIiEEEESE_PS5_SF_jNS0_19identity_decomposerENS1_16block_id_wrapperIjLb1EEEEE10hipError_tT1_PNSt15iterator_traitsISK_E10value_typeET2_T3_PNSL_ISQ_E10value_typeET4_T5_PSV_SW_PNS1_23onesweep_lookback_stateEbbT6_jjT7_P12ihipStream_tbENKUlT_T0_SK_SP_E_clIPiSE_SF_SF_EEDaS13_S14_SK_SP_EUlS13_E_NS1_11comp_targetILNS1_3genE9ELNS1_11target_archE1100ELNS1_3gpuE3ELNS1_3repE0EEENS1_47radix_sort_onesweep_sort_config_static_selectorELNS0_4arch9wavefront6targetE0EEEvSK_.num_named_barrier, 0
	.set _ZN7rocprim17ROCPRIM_400000_NS6detail17trampoline_kernelINS0_14default_configENS1_35radix_sort_onesweep_config_selectorIiNS0_10empty_typeEEEZZNS1_29radix_sort_onesweep_iterationIS3_Lb0EN6thrust23THRUST_200600_302600_NS6detail15normal_iteratorINS9_10device_ptrIiEEEESE_PS5_SF_jNS0_19identity_decomposerENS1_16block_id_wrapperIjLb1EEEEE10hipError_tT1_PNSt15iterator_traitsISK_E10value_typeET2_T3_PNSL_ISQ_E10value_typeET4_T5_PSV_SW_PNS1_23onesweep_lookback_stateEbbT6_jjT7_P12ihipStream_tbENKUlT_T0_SK_SP_E_clIPiSE_SF_SF_EEDaS13_S14_SK_SP_EUlS13_E_NS1_11comp_targetILNS1_3genE9ELNS1_11target_archE1100ELNS1_3gpuE3ELNS1_3repE0EEENS1_47radix_sort_onesweep_sort_config_static_selectorELNS0_4arch9wavefront6targetE0EEEvSK_.private_seg_size, 0
	.set _ZN7rocprim17ROCPRIM_400000_NS6detail17trampoline_kernelINS0_14default_configENS1_35radix_sort_onesweep_config_selectorIiNS0_10empty_typeEEEZZNS1_29radix_sort_onesweep_iterationIS3_Lb0EN6thrust23THRUST_200600_302600_NS6detail15normal_iteratorINS9_10device_ptrIiEEEESE_PS5_SF_jNS0_19identity_decomposerENS1_16block_id_wrapperIjLb1EEEEE10hipError_tT1_PNSt15iterator_traitsISK_E10value_typeET2_T3_PNSL_ISQ_E10value_typeET4_T5_PSV_SW_PNS1_23onesweep_lookback_stateEbbT6_jjT7_P12ihipStream_tbENKUlT_T0_SK_SP_E_clIPiSE_SF_SF_EEDaS13_S14_SK_SP_EUlS13_E_NS1_11comp_targetILNS1_3genE9ELNS1_11target_archE1100ELNS1_3gpuE3ELNS1_3repE0EEENS1_47radix_sort_onesweep_sort_config_static_selectorELNS0_4arch9wavefront6targetE0EEEvSK_.uses_vcc, 0
	.set _ZN7rocprim17ROCPRIM_400000_NS6detail17trampoline_kernelINS0_14default_configENS1_35radix_sort_onesweep_config_selectorIiNS0_10empty_typeEEEZZNS1_29radix_sort_onesweep_iterationIS3_Lb0EN6thrust23THRUST_200600_302600_NS6detail15normal_iteratorINS9_10device_ptrIiEEEESE_PS5_SF_jNS0_19identity_decomposerENS1_16block_id_wrapperIjLb1EEEEE10hipError_tT1_PNSt15iterator_traitsISK_E10value_typeET2_T3_PNSL_ISQ_E10value_typeET4_T5_PSV_SW_PNS1_23onesweep_lookback_stateEbbT6_jjT7_P12ihipStream_tbENKUlT_T0_SK_SP_E_clIPiSE_SF_SF_EEDaS13_S14_SK_SP_EUlS13_E_NS1_11comp_targetILNS1_3genE9ELNS1_11target_archE1100ELNS1_3gpuE3ELNS1_3repE0EEENS1_47radix_sort_onesweep_sort_config_static_selectorELNS0_4arch9wavefront6targetE0EEEvSK_.uses_flat_scratch, 0
	.set _ZN7rocprim17ROCPRIM_400000_NS6detail17trampoline_kernelINS0_14default_configENS1_35radix_sort_onesweep_config_selectorIiNS0_10empty_typeEEEZZNS1_29radix_sort_onesweep_iterationIS3_Lb0EN6thrust23THRUST_200600_302600_NS6detail15normal_iteratorINS9_10device_ptrIiEEEESE_PS5_SF_jNS0_19identity_decomposerENS1_16block_id_wrapperIjLb1EEEEE10hipError_tT1_PNSt15iterator_traitsISK_E10value_typeET2_T3_PNSL_ISQ_E10value_typeET4_T5_PSV_SW_PNS1_23onesweep_lookback_stateEbbT6_jjT7_P12ihipStream_tbENKUlT_T0_SK_SP_E_clIPiSE_SF_SF_EEDaS13_S14_SK_SP_EUlS13_E_NS1_11comp_targetILNS1_3genE9ELNS1_11target_archE1100ELNS1_3gpuE3ELNS1_3repE0EEENS1_47radix_sort_onesweep_sort_config_static_selectorELNS0_4arch9wavefront6targetE0EEEvSK_.has_dyn_sized_stack, 0
	.set _ZN7rocprim17ROCPRIM_400000_NS6detail17trampoline_kernelINS0_14default_configENS1_35radix_sort_onesweep_config_selectorIiNS0_10empty_typeEEEZZNS1_29radix_sort_onesweep_iterationIS3_Lb0EN6thrust23THRUST_200600_302600_NS6detail15normal_iteratorINS9_10device_ptrIiEEEESE_PS5_SF_jNS0_19identity_decomposerENS1_16block_id_wrapperIjLb1EEEEE10hipError_tT1_PNSt15iterator_traitsISK_E10value_typeET2_T3_PNSL_ISQ_E10value_typeET4_T5_PSV_SW_PNS1_23onesweep_lookback_stateEbbT6_jjT7_P12ihipStream_tbENKUlT_T0_SK_SP_E_clIPiSE_SF_SF_EEDaS13_S14_SK_SP_EUlS13_E_NS1_11comp_targetILNS1_3genE9ELNS1_11target_archE1100ELNS1_3gpuE3ELNS1_3repE0EEENS1_47radix_sort_onesweep_sort_config_static_selectorELNS0_4arch9wavefront6targetE0EEEvSK_.has_recursion, 0
	.set _ZN7rocprim17ROCPRIM_400000_NS6detail17trampoline_kernelINS0_14default_configENS1_35radix_sort_onesweep_config_selectorIiNS0_10empty_typeEEEZZNS1_29radix_sort_onesweep_iterationIS3_Lb0EN6thrust23THRUST_200600_302600_NS6detail15normal_iteratorINS9_10device_ptrIiEEEESE_PS5_SF_jNS0_19identity_decomposerENS1_16block_id_wrapperIjLb1EEEEE10hipError_tT1_PNSt15iterator_traitsISK_E10value_typeET2_T3_PNSL_ISQ_E10value_typeET4_T5_PSV_SW_PNS1_23onesweep_lookback_stateEbbT6_jjT7_P12ihipStream_tbENKUlT_T0_SK_SP_E_clIPiSE_SF_SF_EEDaS13_S14_SK_SP_EUlS13_E_NS1_11comp_targetILNS1_3genE9ELNS1_11target_archE1100ELNS1_3gpuE3ELNS1_3repE0EEENS1_47radix_sort_onesweep_sort_config_static_selectorELNS0_4arch9wavefront6targetE0EEEvSK_.has_indirect_call, 0
	.section	.AMDGPU.csdata,"",@progbits
; Kernel info:
; codeLenInByte = 0
; TotalNumSgprs: 0
; NumVgprs: 0
; ScratchSize: 0
; MemoryBound: 0
; FloatMode: 240
; IeeeMode: 1
; LDSByteSize: 0 bytes/workgroup (compile time only)
; SGPRBlocks: 0
; VGPRBlocks: 0
; NumSGPRsForWavesPerEU: 1
; NumVGPRsForWavesPerEU: 1
; Occupancy: 16
; WaveLimiterHint : 0
; COMPUTE_PGM_RSRC2:SCRATCH_EN: 0
; COMPUTE_PGM_RSRC2:USER_SGPR: 6
; COMPUTE_PGM_RSRC2:TRAP_HANDLER: 0
; COMPUTE_PGM_RSRC2:TGID_X_EN: 1
; COMPUTE_PGM_RSRC2:TGID_Y_EN: 0
; COMPUTE_PGM_RSRC2:TGID_Z_EN: 0
; COMPUTE_PGM_RSRC2:TIDIG_COMP_CNT: 0
	.section	.text._ZN7rocprim17ROCPRIM_400000_NS6detail17trampoline_kernelINS0_14default_configENS1_35radix_sort_onesweep_config_selectorIiNS0_10empty_typeEEEZZNS1_29radix_sort_onesweep_iterationIS3_Lb0EN6thrust23THRUST_200600_302600_NS6detail15normal_iteratorINS9_10device_ptrIiEEEESE_PS5_SF_jNS0_19identity_decomposerENS1_16block_id_wrapperIjLb1EEEEE10hipError_tT1_PNSt15iterator_traitsISK_E10value_typeET2_T3_PNSL_ISQ_E10value_typeET4_T5_PSV_SW_PNS1_23onesweep_lookback_stateEbbT6_jjT7_P12ihipStream_tbENKUlT_T0_SK_SP_E_clIPiSE_SF_SF_EEDaS13_S14_SK_SP_EUlS13_E_NS1_11comp_targetILNS1_3genE8ELNS1_11target_archE1030ELNS1_3gpuE2ELNS1_3repE0EEENS1_47radix_sort_onesweep_sort_config_static_selectorELNS0_4arch9wavefront6targetE0EEEvSK_,"axG",@progbits,_ZN7rocprim17ROCPRIM_400000_NS6detail17trampoline_kernelINS0_14default_configENS1_35radix_sort_onesweep_config_selectorIiNS0_10empty_typeEEEZZNS1_29radix_sort_onesweep_iterationIS3_Lb0EN6thrust23THRUST_200600_302600_NS6detail15normal_iteratorINS9_10device_ptrIiEEEESE_PS5_SF_jNS0_19identity_decomposerENS1_16block_id_wrapperIjLb1EEEEE10hipError_tT1_PNSt15iterator_traitsISK_E10value_typeET2_T3_PNSL_ISQ_E10value_typeET4_T5_PSV_SW_PNS1_23onesweep_lookback_stateEbbT6_jjT7_P12ihipStream_tbENKUlT_T0_SK_SP_E_clIPiSE_SF_SF_EEDaS13_S14_SK_SP_EUlS13_E_NS1_11comp_targetILNS1_3genE8ELNS1_11target_archE1030ELNS1_3gpuE2ELNS1_3repE0EEENS1_47radix_sort_onesweep_sort_config_static_selectorELNS0_4arch9wavefront6targetE0EEEvSK_,comdat
	.protected	_ZN7rocprim17ROCPRIM_400000_NS6detail17trampoline_kernelINS0_14default_configENS1_35radix_sort_onesweep_config_selectorIiNS0_10empty_typeEEEZZNS1_29radix_sort_onesweep_iterationIS3_Lb0EN6thrust23THRUST_200600_302600_NS6detail15normal_iteratorINS9_10device_ptrIiEEEESE_PS5_SF_jNS0_19identity_decomposerENS1_16block_id_wrapperIjLb1EEEEE10hipError_tT1_PNSt15iterator_traitsISK_E10value_typeET2_T3_PNSL_ISQ_E10value_typeET4_T5_PSV_SW_PNS1_23onesweep_lookback_stateEbbT6_jjT7_P12ihipStream_tbENKUlT_T0_SK_SP_E_clIPiSE_SF_SF_EEDaS13_S14_SK_SP_EUlS13_E_NS1_11comp_targetILNS1_3genE8ELNS1_11target_archE1030ELNS1_3gpuE2ELNS1_3repE0EEENS1_47radix_sort_onesweep_sort_config_static_selectorELNS0_4arch9wavefront6targetE0EEEvSK_ ; -- Begin function _ZN7rocprim17ROCPRIM_400000_NS6detail17trampoline_kernelINS0_14default_configENS1_35radix_sort_onesweep_config_selectorIiNS0_10empty_typeEEEZZNS1_29radix_sort_onesweep_iterationIS3_Lb0EN6thrust23THRUST_200600_302600_NS6detail15normal_iteratorINS9_10device_ptrIiEEEESE_PS5_SF_jNS0_19identity_decomposerENS1_16block_id_wrapperIjLb1EEEEE10hipError_tT1_PNSt15iterator_traitsISK_E10value_typeET2_T3_PNSL_ISQ_E10value_typeET4_T5_PSV_SW_PNS1_23onesweep_lookback_stateEbbT6_jjT7_P12ihipStream_tbENKUlT_T0_SK_SP_E_clIPiSE_SF_SF_EEDaS13_S14_SK_SP_EUlS13_E_NS1_11comp_targetILNS1_3genE8ELNS1_11target_archE1030ELNS1_3gpuE2ELNS1_3repE0EEENS1_47radix_sort_onesweep_sort_config_static_selectorELNS0_4arch9wavefront6targetE0EEEvSK_
	.globl	_ZN7rocprim17ROCPRIM_400000_NS6detail17trampoline_kernelINS0_14default_configENS1_35radix_sort_onesweep_config_selectorIiNS0_10empty_typeEEEZZNS1_29radix_sort_onesweep_iterationIS3_Lb0EN6thrust23THRUST_200600_302600_NS6detail15normal_iteratorINS9_10device_ptrIiEEEESE_PS5_SF_jNS0_19identity_decomposerENS1_16block_id_wrapperIjLb1EEEEE10hipError_tT1_PNSt15iterator_traitsISK_E10value_typeET2_T3_PNSL_ISQ_E10value_typeET4_T5_PSV_SW_PNS1_23onesweep_lookback_stateEbbT6_jjT7_P12ihipStream_tbENKUlT_T0_SK_SP_E_clIPiSE_SF_SF_EEDaS13_S14_SK_SP_EUlS13_E_NS1_11comp_targetILNS1_3genE8ELNS1_11target_archE1030ELNS1_3gpuE2ELNS1_3repE0EEENS1_47radix_sort_onesweep_sort_config_static_selectorELNS0_4arch9wavefront6targetE0EEEvSK_
	.p2align	8
	.type	_ZN7rocprim17ROCPRIM_400000_NS6detail17trampoline_kernelINS0_14default_configENS1_35radix_sort_onesweep_config_selectorIiNS0_10empty_typeEEEZZNS1_29radix_sort_onesweep_iterationIS3_Lb0EN6thrust23THRUST_200600_302600_NS6detail15normal_iteratorINS9_10device_ptrIiEEEESE_PS5_SF_jNS0_19identity_decomposerENS1_16block_id_wrapperIjLb1EEEEE10hipError_tT1_PNSt15iterator_traitsISK_E10value_typeET2_T3_PNSL_ISQ_E10value_typeET4_T5_PSV_SW_PNS1_23onesweep_lookback_stateEbbT6_jjT7_P12ihipStream_tbENKUlT_T0_SK_SP_E_clIPiSE_SF_SF_EEDaS13_S14_SK_SP_EUlS13_E_NS1_11comp_targetILNS1_3genE8ELNS1_11target_archE1030ELNS1_3gpuE2ELNS1_3repE0EEENS1_47radix_sort_onesweep_sort_config_static_selectorELNS0_4arch9wavefront6targetE0EEEvSK_,@function
_ZN7rocprim17ROCPRIM_400000_NS6detail17trampoline_kernelINS0_14default_configENS1_35radix_sort_onesweep_config_selectorIiNS0_10empty_typeEEEZZNS1_29radix_sort_onesweep_iterationIS3_Lb0EN6thrust23THRUST_200600_302600_NS6detail15normal_iteratorINS9_10device_ptrIiEEEESE_PS5_SF_jNS0_19identity_decomposerENS1_16block_id_wrapperIjLb1EEEEE10hipError_tT1_PNSt15iterator_traitsISK_E10value_typeET2_T3_PNSL_ISQ_E10value_typeET4_T5_PSV_SW_PNS1_23onesweep_lookback_stateEbbT6_jjT7_P12ihipStream_tbENKUlT_T0_SK_SP_E_clIPiSE_SF_SF_EEDaS13_S14_SK_SP_EUlS13_E_NS1_11comp_targetILNS1_3genE8ELNS1_11target_archE1030ELNS1_3gpuE2ELNS1_3repE0EEENS1_47radix_sort_onesweep_sort_config_static_selectorELNS0_4arch9wavefront6targetE0EEEvSK_: ; @_ZN7rocprim17ROCPRIM_400000_NS6detail17trampoline_kernelINS0_14default_configENS1_35radix_sort_onesweep_config_selectorIiNS0_10empty_typeEEEZZNS1_29radix_sort_onesweep_iterationIS3_Lb0EN6thrust23THRUST_200600_302600_NS6detail15normal_iteratorINS9_10device_ptrIiEEEESE_PS5_SF_jNS0_19identity_decomposerENS1_16block_id_wrapperIjLb1EEEEE10hipError_tT1_PNSt15iterator_traitsISK_E10value_typeET2_T3_PNSL_ISQ_E10value_typeET4_T5_PSV_SW_PNS1_23onesweep_lookback_stateEbbT6_jjT7_P12ihipStream_tbENKUlT_T0_SK_SP_E_clIPiSE_SF_SF_EEDaS13_S14_SK_SP_EUlS13_E_NS1_11comp_targetILNS1_3genE8ELNS1_11target_archE1030ELNS1_3gpuE2ELNS1_3repE0EEENS1_47radix_sort_onesweep_sort_config_static_selectorELNS0_4arch9wavefront6targetE0EEEvSK_
; %bb.0:
	s_clause 0x2
	s_load_dwordx4 s[12:15], s[4:5], 0x28
	s_load_dwordx2 s[10:11], s[4:5], 0x38
	s_load_dwordx4 s[20:23], s[4:5], 0x44
	v_cmp_eq_u32_e64 s0, 0, v0
	s_and_saveexec_b32 s1, s0
	s_cbranch_execz .LBB185_4
; %bb.1:
	s_mov_b32 s3, exec_lo
	s_mov_b32 s2, exec_lo
	v_mbcnt_lo_u32_b32 v3, s3, 0
                                        ; implicit-def: $vgpr4
	v_cmpx_eq_u32_e32 0, v3
	s_cbranch_execz .LBB185_3
; %bb.2:
	s_load_dwordx2 s[8:9], s[4:5], 0x50
	s_bcnt1_i32_b32 s3, s3
	v_mov_b32_e32 v4, 0
	v_mov_b32_e32 v5, s3
	s_waitcnt lgkmcnt(0)
	global_atomic_add v4, v4, v5, s[8:9] glc
.LBB185_3:
	s_or_b32 exec_lo, exec_lo, s2
	s_waitcnt vmcnt(0)
	v_readfirstlane_b32 s2, v4
	v_mov_b32_e32 v4, 0
	v_add_nc_u32_e32 v3, s2, v3
	ds_write_b32 v4, v3 offset:36992
.LBB185_4:
	s_or_b32 exec_lo, exec_lo, s1
	v_mov_b32_e32 v3, 0
	s_clause 0x1
	s_load_dwordx4 s[16:19], s[4:5], 0x0
	s_load_dword s1, s[4:5], 0x20
	s_waitcnt lgkmcnt(0)
	s_barrier
	buffer_gl0_inv
	ds_read_b32 v3, v3 offset:36992
	v_mbcnt_lo_u32_b32 v12, -1, 0
	v_lshlrev_b32_e32 v11, 2, v0
	s_mov_b32 s2, -1
	s_waitcnt lgkmcnt(0)
	s_barrier
	buffer_gl0_inv
	v_cmp_le_u32_e32 vcc_lo, s22, v3
	v_readfirstlane_b32 s23, v3
	s_cbranch_vccz .LBB185_52
; %bb.5:
	s_lshl_b32 s3, s22, 12
	s_lshl_b32 s2, s23, 12
	s_sub_i32 s22, s1, s3
	s_mov_b32 s3, 0
	v_and_b32_e32 v3, 0xf80, v11
	v_lshlrev_b32_e32 v4, 2, v12
	s_lshl_b64 s[2:3], s[2:3], 2
	s_add_u32 s1, s16, s2
	s_addc_u32 s2, s17, s3
	v_lshlrev_b32_e32 v5, 2, v3
	v_add_co_u32 v4, s1, s1, v4
	v_add_co_ci_u32_e64 v6, null, s2, 0, s1
	v_or_b32_e32 v9, v12, v3
	v_bfrev_b32_e32 v3, -2
	v_add_co_u32 v7, vcc_lo, v4, v5
	v_add_co_ci_u32_e64 v8, null, 0, v6, vcc_lo
	v_mov_b32_e32 v4, v3
	v_mov_b32_e32 v5, v3
	;; [unrolled: 1-line block ×3, first 2 shown]
	s_mov_b32 s1, exec_lo
	v_cmpx_gt_u32_e64 s22, v9
	s_cbranch_execz .LBB185_7
; %bb.6:
	global_load_dword v13, v[7:8], off
	v_mov_b32_e32 v14, v3
	v_mov_b32_e32 v15, v3
	;; [unrolled: 1-line block ×3, first 2 shown]
	s_waitcnt vmcnt(0)
	v_mov_b32_e32 v3, v13
	v_mov_b32_e32 v4, v14
	;; [unrolled: 1-line block ×4, first 2 shown]
.LBB185_7:
	s_or_b32 exec_lo, exec_lo, s1
	v_or_b32_e32 v10, 32, v9
	s_mov_b32 s1, exec_lo
	v_cmpx_gt_u32_e64 s22, v10
	s_cbranch_execz .LBB185_9
; %bb.8:
	global_load_dword v4, v[7:8], off offset:128
.LBB185_9:
	s_or_b32 exec_lo, exec_lo, s1
	v_or_b32_e32 v10, 64, v9
	s_mov_b32 s1, exec_lo
	v_cmpx_gt_u32_e64 s22, v10
	s_cbranch_execz .LBB185_11
; %bb.10:
	global_load_dword v5, v[7:8], off offset:256
.LBB185_11:
	s_or_b32 exec_lo, exec_lo, s1
	v_or_b32_e32 v9, 0x60, v9
	s_mov_b32 s1, exec_lo
	v_cmpx_gt_u32_e64 s22, v9
	s_cbranch_execz .LBB185_13
; %bb.12:
	global_load_dword v6, v[7:8], off offset:384
.LBB185_13:
	s_or_b32 exec_lo, exec_lo, s1
	s_clause 0x1
	s_load_dword s1, s[4:5], 0x64
	s_load_dword s24, s[4:5], 0x58
	s_add_u32 s2, s4, 0x58
	s_addc_u32 s3, s5, 0
	v_mov_b32_e32 v10, 0
	v_xor_b32_e32 v13, 0x80000000, v3
	v_lshrrev_b32_e32 v3, s20, v13
	s_waitcnt lgkmcnt(0)
	s_lshr_b32 s7, s1, 16
	s_cmp_lt_u32 s6, s24
	s_cselect_b32 s1, 12, 18
	s_add_u32 s2, s2, s1
	s_addc_u32 s3, s3, 0
	s_lshl_b32 s1, -1, s21
	global_load_ushort v7, v10, s[2:3]
	s_not_b32 s25, s1
	v_and_b32_e32 v3, s25, v3
	v_and_b32_e32 v8, 1, v3
	v_lshlrev_b32_e32 v9, 30, v3
	v_lshlrev_b32_e32 v14, 29, v3
	;; [unrolled: 1-line block ×4, first 2 shown]
	v_add_co_u32 v8, s1, v8, -1
	v_cndmask_b32_e64 v15, 0, 1, s1
	v_not_b32_e32 v19, v9
	v_cmp_gt_i32_e64 s1, 0, v9
	v_not_b32_e32 v9, v14
	v_lshlrev_b32_e32 v18, 26, v3
	v_cmp_ne_u32_e32 vcc_lo, 0, v15
	v_ashrrev_i32_e32 v19, 31, v19
	v_lshlrev_b32_e32 v15, 25, v3
	v_ashrrev_i32_e32 v9, 31, v9
	v_xor_b32_e32 v8, vcc_lo, v8
	v_cmp_gt_i32_e32 vcc_lo, 0, v14
	v_not_b32_e32 v14, v16
	v_xor_b32_e32 v19, s1, v19
	v_cmp_gt_i32_e64 s1, 0, v16
	v_and_b32_e32 v8, exec_lo, v8
	v_not_b32_e32 v16, v17
	v_ashrrev_i32_e32 v14, 31, v14
	v_xor_b32_e32 v9, vcc_lo, v9
	v_cmp_gt_i32_e32 vcc_lo, 0, v17
	v_and_b32_e32 v8, v8, v19
	v_not_b32_e32 v17, v18
	v_ashrrev_i32_e32 v16, 31, v16
	v_xor_b32_e32 v14, s1, v14
	v_cmp_gt_i32_e64 s1, 0, v18
	v_and_b32_e32 v8, v8, v9
	v_not_b32_e32 v9, v15
	v_ashrrev_i32_e32 v17, 31, v17
	v_xor_b32_e32 v16, vcc_lo, v16
	v_cmp_gt_i32_e32 vcc_lo, 0, v15
	v_and_b32_e32 v8, v8, v14
	v_lshlrev_b32_e32 v14, 24, v3
	v_ashrrev_i32_e32 v9, 31, v9
	v_xor_b32_e32 v15, s1, v17
	v_and_b32_e32 v8, v8, v16
	v_not_b32_e32 v16, v14
	v_xor_b32_e32 v9, vcc_lo, v9
	v_cmp_gt_i32_e32 vcc_lo, 0, v14
	v_and_b32_e32 v8, v8, v15
	v_mad_u32_u24 v15, v2, s7, v1
	v_ashrrev_i32_e32 v14, 31, v16
	v_mul_u32_u24_e32 v16, 36, v0
	v_and_b32_e32 v17, v8, v9
	ds_write2_b32 v16, v10, v10 offset0:32 offset1:33
	ds_write2_b32 v16, v10, v10 offset0:34 offset1:35
	;; [unrolled: 1-line block ×4, first 2 shown]
	ds_write_b32 v16, v10 offset:160
	s_waitcnt vmcnt(0) lgkmcnt(0)
	s_barrier
	buffer_gl0_inv
	; wave barrier
	v_mad_u64_u32 v[8:9], null, v15, v7, v[0:1]
	v_xor_b32_e32 v7, vcc_lo, v14
	v_mul_lo_u32 v9, 0x84, v3
	v_and_b32_e32 v7, v17, v7
	v_lshrrev_b32_e32 v8, 3, v8
	v_mbcnt_lo_u32_b32 v14, v7, 0
	v_and_b32_e32 v3, 0x1ffffffc, v8
	v_cmp_ne_u32_e64 s1, 0, v7
	v_cmp_eq_u32_e32 vcc_lo, 0, v14
	v_add_nc_u32_e32 v17, v3, v9
	s_and_b32 s2, s1, vcc_lo
	s_and_saveexec_b32 s1, s2
; %bb.14:
	v_bcnt_u32_b32 v7, v7, 0
	ds_write_b32 v17, v7 offset:128
; %bb.15:
	s_or_b32 exec_lo, exec_lo, s1
	v_xor_b32_e32 v15, 0x80000000, v4
	; wave barrier
	v_lshrrev_b32_e32 v4, s20, v15
	v_and_b32_e32 v4, s25, v4
	v_and_b32_e32 v8, 1, v4
	v_lshlrev_b32_e32 v9, 30, v4
	v_lshlrev_b32_e32 v10, 29, v4
	;; [unrolled: 1-line block ×4, first 2 shown]
	v_add_co_u32 v8, s1, v8, -1
	v_cndmask_b32_e64 v19, 0, 1, s1
	v_not_b32_e32 v23, v9
	v_cmp_gt_i32_e64 s1, 0, v9
	v_not_b32_e32 v9, v10
	v_lshlrev_b32_e32 v21, 26, v4
	v_cmp_ne_u32_e32 vcc_lo, 0, v19
	v_ashrrev_i32_e32 v19, 31, v23
	v_lshlrev_b32_e32 v22, 25, v4
	v_ashrrev_i32_e32 v9, 31, v9
	v_mul_lo_u32 v7, 0x84, v4
	v_xor_b32_e32 v8, vcc_lo, v8
	v_cmp_gt_i32_e32 vcc_lo, 0, v10
	v_not_b32_e32 v10, v18
	v_xor_b32_e32 v19, s1, v19
	v_cmp_gt_i32_e64 s1, 0, v18
	v_and_b32_e32 v8, exec_lo, v8
	v_not_b32_e32 v18, v20
	v_ashrrev_i32_e32 v10, 31, v10
	v_xor_b32_e32 v9, vcc_lo, v9
	v_cmp_gt_i32_e32 vcc_lo, 0, v20
	v_and_b32_e32 v8, v8, v19
	v_not_b32_e32 v19, v21
	v_ashrrev_i32_e32 v18, 31, v18
	v_xor_b32_e32 v10, s1, v10
	v_lshlrev_b32_e32 v4, 24, v4
	v_and_b32_e32 v8, v8, v9
	v_cmp_gt_i32_e64 s1, 0, v21
	v_not_b32_e32 v9, v22
	v_ashrrev_i32_e32 v19, 31, v19
	v_xor_b32_e32 v18, vcc_lo, v18
	v_and_b32_e32 v8, v8, v10
	v_cmp_gt_i32_e32 vcc_lo, 0, v22
	v_not_b32_e32 v10, v4
	v_ashrrev_i32_e32 v9, 31, v9
	v_xor_b32_e32 v19, s1, v19
	v_and_b32_e32 v8, v8, v18
	v_cmp_gt_i32_e64 s1, 0, v4
	v_ashrrev_i32_e32 v4, 31, v10
	v_xor_b32_e32 v9, vcc_lo, v9
	v_add_nc_u32_e32 v21, v3, v7
	v_and_b32_e32 v8, v8, v19
	v_xor_b32_e32 v4, s1, v4
	ds_read_b32 v18, v21 offset:128
	v_and_b32_e32 v7, v8, v9
	; wave barrier
	v_and_b32_e32 v4, v7, v4
	v_mbcnt_lo_u32_b32 v20, v4, 0
	v_cmp_ne_u32_e64 s1, 0, v4
	v_cmp_eq_u32_e32 vcc_lo, 0, v20
	s_and_b32 s2, s1, vcc_lo
	s_and_saveexec_b32 s1, s2
	s_cbranch_execz .LBB185_17
; %bb.16:
	s_waitcnt lgkmcnt(0)
	v_bcnt_u32_b32 v4, v4, v18
	ds_write_b32 v21, v4 offset:128
.LBB185_17:
	s_or_b32 exec_lo, exec_lo, s1
	v_xor_b32_e32 v19, 0x80000000, v5
	; wave barrier
	v_lshrrev_b32_e32 v4, s20, v19
	v_and_b32_e32 v4, s25, v4
	v_and_b32_e32 v7, 1, v4
	v_lshlrev_b32_e32 v8, 30, v4
	v_lshlrev_b32_e32 v9, 29, v4
	;; [unrolled: 1-line block ×4, first 2 shown]
	v_add_co_u32 v7, s1, v7, -1
	v_cndmask_b32_e64 v22, 0, 1, s1
	v_not_b32_e32 v26, v8
	v_cmp_gt_i32_e64 s1, 0, v8
	v_not_b32_e32 v8, v9
	v_lshlrev_b32_e32 v24, 26, v4
	v_cmp_ne_u32_e32 vcc_lo, 0, v22
	v_ashrrev_i32_e32 v22, 31, v26
	v_lshlrev_b32_e32 v25, 25, v4
	v_ashrrev_i32_e32 v8, 31, v8
	v_mul_lo_u32 v5, 0x84, v4
	v_xor_b32_e32 v7, vcc_lo, v7
	v_cmp_gt_i32_e32 vcc_lo, 0, v9
	v_not_b32_e32 v9, v10
	v_xor_b32_e32 v22, s1, v22
	v_cmp_gt_i32_e64 s1, 0, v10
	v_and_b32_e32 v7, exec_lo, v7
	v_not_b32_e32 v10, v23
	v_ashrrev_i32_e32 v9, 31, v9
	v_xor_b32_e32 v8, vcc_lo, v8
	v_cmp_gt_i32_e32 vcc_lo, 0, v23
	v_and_b32_e32 v7, v7, v22
	v_not_b32_e32 v22, v24
	v_ashrrev_i32_e32 v10, 31, v10
	v_xor_b32_e32 v9, s1, v9
	v_lshlrev_b32_e32 v4, 24, v4
	v_and_b32_e32 v7, v7, v8
	v_cmp_gt_i32_e64 s1, 0, v24
	v_not_b32_e32 v8, v25
	v_ashrrev_i32_e32 v22, 31, v22
	v_xor_b32_e32 v10, vcc_lo, v10
	v_and_b32_e32 v7, v7, v9
	v_cmp_gt_i32_e32 vcc_lo, 0, v25
	v_not_b32_e32 v9, v4
	v_ashrrev_i32_e32 v8, 31, v8
	v_xor_b32_e32 v22, s1, v22
	v_and_b32_e32 v7, v7, v10
	v_cmp_gt_i32_e64 s1, 0, v4
	v_ashrrev_i32_e32 v4, 31, v9
	v_xor_b32_e32 v8, vcc_lo, v8
	v_add_nc_u32_e32 v25, v3, v5
	v_and_b32_e32 v7, v7, v22
	v_xor_b32_e32 v4, s1, v4
	ds_read_b32 v22, v25 offset:128
	v_and_b32_e32 v5, v7, v8
	; wave barrier
	v_and_b32_e32 v4, v5, v4
	v_mbcnt_lo_u32_b32 v24, v4, 0
	v_cmp_ne_u32_e64 s1, 0, v4
	v_cmp_eq_u32_e32 vcc_lo, 0, v24
	s_and_b32 s2, s1, vcc_lo
	s_and_saveexec_b32 s1, s2
	s_cbranch_execz .LBB185_19
; %bb.18:
	s_waitcnt lgkmcnt(0)
	v_bcnt_u32_b32 v4, v4, v22
	ds_write_b32 v25, v4 offset:128
.LBB185_19:
	s_or_b32 exec_lo, exec_lo, s1
	v_xor_b32_e32 v23, 0x80000000, v6
	; wave barrier
	v_lshrrev_b32_e32 v4, s20, v23
	v_and_b32_e32 v4, s25, v4
	v_and_b32_e32 v6, 1, v4
	v_lshlrev_b32_e32 v7, 30, v4
	v_lshlrev_b32_e32 v8, 29, v4
	;; [unrolled: 1-line block ×4, first 2 shown]
	v_add_co_u32 v6, s1, v6, -1
	v_cndmask_b32_e64 v10, 0, 1, s1
	v_not_b32_e32 v29, v7
	v_cmp_gt_i32_e64 s1, 0, v7
	v_not_b32_e32 v7, v8
	v_lshlrev_b32_e32 v27, 26, v4
	v_cmp_ne_u32_e32 vcc_lo, 0, v10
	v_ashrrev_i32_e32 v10, 31, v29
	v_lshlrev_b32_e32 v28, 25, v4
	v_ashrrev_i32_e32 v7, 31, v7
	v_mul_lo_u32 v5, 0x84, v4
	v_xor_b32_e32 v6, vcc_lo, v6
	v_cmp_gt_i32_e32 vcc_lo, 0, v8
	v_not_b32_e32 v8, v9
	v_xor_b32_e32 v10, s1, v10
	v_cmp_gt_i32_e64 s1, 0, v9
	v_and_b32_e32 v6, exec_lo, v6
	v_not_b32_e32 v9, v26
	v_ashrrev_i32_e32 v8, 31, v8
	v_xor_b32_e32 v7, vcc_lo, v7
	v_cmp_gt_i32_e32 vcc_lo, 0, v26
	v_and_b32_e32 v6, v6, v10
	v_not_b32_e32 v10, v27
	v_ashrrev_i32_e32 v9, 31, v9
	v_xor_b32_e32 v8, s1, v8
	v_lshlrev_b32_e32 v4, 24, v4
	v_and_b32_e32 v6, v6, v7
	v_cmp_gt_i32_e64 s1, 0, v27
	v_not_b32_e32 v7, v28
	v_ashrrev_i32_e32 v10, 31, v10
	v_xor_b32_e32 v9, vcc_lo, v9
	v_and_b32_e32 v6, v6, v8
	v_cmp_gt_i32_e32 vcc_lo, 0, v28
	v_not_b32_e32 v8, v4
	v_ashrrev_i32_e32 v7, 31, v7
	v_xor_b32_e32 v10, s1, v10
	v_and_b32_e32 v6, v6, v9
	v_cmp_gt_i32_e64 s1, 0, v4
	v_ashrrev_i32_e32 v4, 31, v8
	v_xor_b32_e32 v7, vcc_lo, v7
	v_add_nc_u32_e32 v28, v3, v5
	v_and_b32_e32 v6, v6, v10
	v_xor_b32_e32 v3, s1, v4
	ds_read_b32 v26, v28 offset:128
	v_and_b32_e32 v4, v6, v7
	; wave barrier
	v_and_b32_e32 v3, v4, v3
	v_mbcnt_lo_u32_b32 v27, v3, 0
	v_cmp_ne_u32_e64 s1, 0, v3
	v_cmp_eq_u32_e32 vcc_lo, 0, v27
	s_and_b32 s2, s1, vcc_lo
	s_and_saveexec_b32 s1, s2
	s_cbranch_execz .LBB185_21
; %bb.20:
	s_waitcnt lgkmcnt(0)
	v_bcnt_u32_b32 v3, v3, v26
	ds_write_b32 v28, v3 offset:128
.LBB185_21:
	s_or_b32 exec_lo, exec_lo, s1
	; wave barrier
	s_waitcnt lgkmcnt(0)
	s_barrier
	buffer_gl0_inv
	ds_read2_b32 v[9:10], v16 offset0:32 offset1:33
	ds_read2_b32 v[7:8], v16 offset0:34 offset1:35
	;; [unrolled: 1-line block ×4, first 2 shown]
	ds_read_b32 v29, v16 offset:160
	v_and_b32_e32 v32, 16, v12
	v_and_b32_e32 v33, 31, v0
	s_mov_b32 s9, exec_lo
	v_cmp_eq_u32_e64 s7, 0, v32
	s_waitcnt lgkmcnt(3)
	v_add3_u32 v30, v10, v9, v7
	s_waitcnt lgkmcnt(2)
	v_add3_u32 v30, v30, v8, v5
	;; [unrolled: 2-line block ×4, first 2 shown]
	v_and_b32_e32 v30, 15, v12
	v_mov_b32_dpp v31, v29 row_shr:1 row_mask:0xf bank_mask:0xf
	v_cmp_eq_u32_e32 vcc_lo, 0, v30
	v_cmp_lt_u32_e64 s1, 1, v30
	v_cmp_lt_u32_e64 s2, 3, v30
	v_cmp_lt_u32_e64 s3, 7, v30
	v_cndmask_b32_e64 v31, v31, 0, vcc_lo
	v_add_nc_u32_e32 v29, v31, v29
	v_mov_b32_dpp v31, v29 row_shr:2 row_mask:0xf bank_mask:0xf
	v_cndmask_b32_e64 v31, 0, v31, s1
	v_add_nc_u32_e32 v29, v29, v31
	v_mov_b32_dpp v31, v29 row_shr:4 row_mask:0xf bank_mask:0xf
	v_cndmask_b32_e64 v31, 0, v31, s2
	;; [unrolled: 3-line block ×3, first 2 shown]
	v_bfe_i32 v31, v12, 4, 1
	v_add_nc_u32_e32 v29, v29, v30
	ds_swizzle_b32 v30, v29 offset:swizzle(BROADCAST,32,15)
	s_waitcnt lgkmcnt(0)
	v_and_b32_e32 v31, v31, v30
	v_lshrrev_b32_e32 v30, 5, v0
	v_add_nc_u32_e32 v29, v29, v31
	v_cmpx_eq_u32_e32 31, v33
; %bb.22:
	v_lshlrev_b32_e32 v31, 2, v30
	ds_write_b32 v31, v29
; %bb.23:
	s_or_b32 exec_lo, exec_lo, s9
	v_cmp_lt_u32_e64 s8, 31, v0
	s_mov_b32 s26, exec_lo
	s_waitcnt lgkmcnt(0)
	s_barrier
	buffer_gl0_inv
	v_cmpx_gt_u32_e32 32, v0
	s_cbranch_execz .LBB185_25
; %bb.24:
	ds_read_b32 v31, v11
	s_waitcnt lgkmcnt(0)
	v_mov_b32_dpp v32, v31 row_shr:1 row_mask:0xf bank_mask:0xf
	v_cndmask_b32_e64 v32, v32, 0, vcc_lo
	v_add_nc_u32_e32 v31, v32, v31
	v_mov_b32_dpp v32, v31 row_shr:2 row_mask:0xf bank_mask:0xf
	v_cndmask_b32_e64 v32, 0, v32, s1
	v_add_nc_u32_e32 v31, v31, v32
	v_mov_b32_dpp v32, v31 row_shr:4 row_mask:0xf bank_mask:0xf
	v_cndmask_b32_e64 v32, 0, v32, s2
	;; [unrolled: 3-line block ×3, first 2 shown]
	v_add_nc_u32_e32 v31, v31, v32
	ds_swizzle_b32 v32, v31 offset:swizzle(BROADCAST,32,15)
	s_waitcnt lgkmcnt(0)
	v_cndmask_b32_e64 v32, v32, 0, s7
	v_add_nc_u32_e32 v31, v31, v32
	ds_write_b32 v11, v31
.LBB185_25:
	s_or_b32 exec_lo, exec_lo, s26
	v_mov_b32_e32 v31, 0
	s_waitcnt lgkmcnt(0)
	s_barrier
	buffer_gl0_inv
	s_and_saveexec_b32 s1, s8
; %bb.26:
	v_lshl_add_u32 v30, v30, 2, -4
	ds_read_b32 v31, v30
; %bb.27:
	s_or_b32 exec_lo, exec_lo, s1
	v_sub_co_u32 v30, vcc_lo, v12, 1
	s_waitcnt lgkmcnt(0)
	v_add_nc_u32_e32 v29, v31, v29
	v_cmp_gt_i32_e64 s1, 0, v30
	v_cndmask_b32_e64 v30, v30, v12, s1
	v_cmp_gt_u32_e64 s1, 0x100, v0
	v_lshlrev_b32_e32 v30, 2, v30
	ds_bpermute_b32 v29, v30, v29
	s_waitcnt lgkmcnt(0)
	v_cndmask_b32_e32 v29, v29, v31, vcc_lo
	v_cmp_lt_u32_e32 vcc_lo, 0xff, v0
	v_cndmask_b32_e64 v29, v29, 0, s0
	v_add_nc_u32_e32 v9, v29, v9
	v_add_nc_u32_e32 v10, v9, v10
	;; [unrolled: 1-line block ×8, first 2 shown]
	ds_write2_b32 v16, v29, v9 offset0:32 offset1:33
	ds_write2_b32 v16, v10, v7 offset0:34 offset1:35
	;; [unrolled: 1-line block ×4, first 2 shown]
	ds_write_b32 v16, v4 offset:160
	s_waitcnt lgkmcnt(0)
	s_barrier
	buffer_gl0_inv
	ds_read_b32 v3, v17 offset:128
	ds_read_b32 v6, v21 offset:128
	;; [unrolled: 1-line block ×4, first 2 shown]
                                        ; implicit-def: $vgpr9
                                        ; implicit-def: $vgpr10
	s_and_saveexec_b32 s3, s1
	s_cbranch_execz .LBB185_31
; %bb.28:
	v_mul_u32_u24_e32 v7, 0x84, v0
	v_add_nc_u32_e32 v8, 1, v0
	s_mov_b32 s7, exec_lo
	ds_read_b32 v9, v7 offset:128
	v_mov_b32_e32 v7, 0x1000
	v_cmpx_ne_u32_e32 0x100, v8
; %bb.29:
	v_mul_u32_u24_e32 v7, 0x84, v8
	ds_read_b32 v7, v7 offset:128
; %bb.30:
	s_or_b32 exec_lo, exec_lo, s7
	s_waitcnt lgkmcnt(0)
	v_sub_nc_u32_e32 v10, v7, v9
.LBB185_31:
	s_or_b32 exec_lo, exec_lo, s3
	v_lshlrev_b32_e32 v7, 2, v14
	v_lshlrev_b32_e32 v8, 2, v20
	;; [unrolled: 1-line block ×5, first 2 shown]
	s_waitcnt lgkmcnt(0)
	v_lshlrev_b32_e32 v4, 2, v4
	v_lshlrev_b32_e32 v6, 2, v6
	;; [unrolled: 1-line block ×5, first 2 shown]
	v_lshl_add_u32 v3, v3, 2, v7
	v_add3_u32 v7, v18, v20, v4
	v_mov_b32_e32 v4, 0
	v_add3_u32 v6, v8, v14, v6
	v_add3_u32 v5, v16, v17, v5
	s_barrier
	buffer_gl0_inv
	ds_write_b32 v3, v13 offset:1024
	ds_write_b32 v6, v15 offset:1024
	;; [unrolled: 1-line block ×4, first 2 shown]
	s_and_saveexec_b32 s2, s1
	s_cbranch_execz .LBB185_41
; %bb.32:
	v_lshl_add_u32 v3, s23, 8, v0
	v_mov_b32_e32 v13, 0
	s_mov_b32 s3, 0
	s_mov_b32 s7, s23
	v_lshlrev_b64 v[5:6], 2, v[3:4]
	v_or_b32_e32 v3, 2.0, v10
	v_add_co_u32 v5, s1, s10, v5
	v_add_co_ci_u32_e64 v6, null, s11, v6, s1
                                        ; implicit-def: $sgpr1
	global_store_dword v[5:6], v3, off
	s_branch .LBB185_35
	.p2align	6
.LBB185_33:                             ;   in Loop: Header=BB185_35 Depth=1
	s_or_b32 exec_lo, exec_lo, s9
.LBB185_34:                             ;   in Loop: Header=BB185_35 Depth=1
	s_or_b32 exec_lo, exec_lo, s8
	v_and_b32_e32 v7, 0x3fffffff, v3
	v_cmp_gt_i32_e64 s1, -2.0, v3
	v_add_nc_u32_e32 v13, v7, v13
	s_and_b32 s8, exec_lo, s1
	s_or_b32 s3, s8, s3
	s_andn2_b32 exec_lo, exec_lo, s3
	s_cbranch_execz .LBB185_40
.LBB185_35:                             ; =>This Loop Header: Depth=1
                                        ;     Child Loop BB185_38 Depth 2
	s_or_b32 s1, s1, exec_lo
	s_cmp_eq_u32 s7, 0
	s_cbranch_scc1 .LBB185_39
; %bb.36:                               ;   in Loop: Header=BB185_35 Depth=1
	s_add_i32 s7, s7, -1
	s_mov_b32 s8, exec_lo
	v_lshl_or_b32 v3, s7, 8, v0
	v_lshlrev_b64 v[7:8], 2, v[3:4]
	v_add_co_u32 v7, s1, s10, v7
	v_add_co_ci_u32_e64 v8, null, s11, v8, s1
	global_load_dword v3, v[7:8], off glc dlc
	s_waitcnt vmcnt(0)
	v_cmpx_gt_u32_e32 2.0, v3
	s_cbranch_execz .LBB185_34
; %bb.37:                               ;   in Loop: Header=BB185_35 Depth=1
	s_mov_b32 s9, 0
.LBB185_38:                             ;   Parent Loop BB185_35 Depth=1
                                        ; =>  This Inner Loop Header: Depth=2
	global_load_dword v3, v[7:8], off glc dlc
	s_waitcnt vmcnt(0)
	v_cmp_lt_u32_e64 s1, 0x3fffffff, v3
	s_or_b32 s9, s1, s9
	s_andn2_b32 exec_lo, exec_lo, s9
	s_cbranch_execnz .LBB185_38
	s_branch .LBB185_33
.LBB185_39:                             ;   in Loop: Header=BB185_35 Depth=1
                                        ; implicit-def: $sgpr7
	s_and_b32 s8, exec_lo, s1
	s_or_b32 s3, s8, s3
	s_andn2_b32 exec_lo, exec_lo, s3
	s_cbranch_execnz .LBB185_35
.LBB185_40:
	s_or_b32 exec_lo, exec_lo, s3
	v_add_nc_u32_e32 v3, v13, v10
	v_sub_nc_u32_e32 v4, v13, v9
	v_or_b32_e32 v3, 0x80000000, v3
	global_store_dword v[5:6], v3, off
	global_load_dword v3, v11, s[12:13]
	s_waitcnt vmcnt(0)
	v_add_nc_u32_e32 v3, v4, v3
	ds_write_b32 v11, v3
.LBB185_41:
	s_or_b32 exec_lo, exec_lo, s2
	s_mov_b32 s2, exec_lo
	s_waitcnt lgkmcnt(0)
	s_waitcnt_vscnt null, 0x0
	s_barrier
	buffer_gl0_inv
	v_cmpx_gt_u32_e64 s22, v0
	s_cbranch_execz .LBB185_43
; %bb.42:
	ds_read_b32 v5, v11 offset:1024
	v_mov_b32_e32 v4, 0
	s_waitcnt lgkmcnt(0)
	v_lshrrev_b32_e32 v3, s20, v5
	v_xor_b32_e32 v5, 0x80000000, v5
	v_and_b32_e32 v3, s25, v3
	v_lshlrev_b32_e32 v3, 2, v3
	ds_read_b32 v3, v3
	s_waitcnt lgkmcnt(0)
	v_add_nc_u32_e32 v3, v3, v0
	v_lshlrev_b64 v[3:4], 2, v[3:4]
	v_add_co_u32 v3, s1, s18, v3
	v_add_co_ci_u32_e64 v4, null, s19, v4, s1
	global_store_dword v[3:4], v5, off
.LBB185_43:
	s_or_b32 exec_lo, exec_lo, s2
	v_or_b32_e32 v3, 0x400, v0
	s_mov_b32 s2, exec_lo
	v_cmpx_gt_u32_e64 s22, v3
	s_cbranch_execz .LBB185_45
; %bb.44:
	ds_read_b32 v5, v11 offset:5120
	s_waitcnt lgkmcnt(0)
	v_lshrrev_b32_e32 v4, s20, v5
	v_xor_b32_e32 v5, 0x80000000, v5
	v_and_b32_e32 v4, s25, v4
	v_lshlrev_b32_e32 v4, 2, v4
	ds_read_b32 v6, v4
	v_mov_b32_e32 v4, 0
	s_waitcnt lgkmcnt(0)
	v_add_nc_u32_e32 v3, v6, v3
	v_lshlrev_b64 v[3:4], 2, v[3:4]
	v_add_co_u32 v3, s1, s18, v3
	v_add_co_ci_u32_e64 v4, null, s19, v4, s1
	global_store_dword v[3:4], v5, off
.LBB185_45:
	s_or_b32 exec_lo, exec_lo, s2
	v_or_b32_e32 v3, 0x800, v0
	s_mov_b32 s2, exec_lo
	v_cmpx_gt_u32_e64 s22, v3
	s_cbranch_execz .LBB185_47
; %bb.46:
	ds_read_b32 v5, v11 offset:9216
	s_waitcnt lgkmcnt(0)
	v_lshrrev_b32_e32 v4, s20, v5
	v_xor_b32_e32 v5, 0x80000000, v5
	v_and_b32_e32 v4, s25, v4
	v_lshlrev_b32_e32 v4, 2, v4
	ds_read_b32 v6, v4
	v_mov_b32_e32 v4, 0
	s_waitcnt lgkmcnt(0)
	v_add_nc_u32_e32 v3, v6, v3
	v_lshlrev_b64 v[3:4], 2, v[3:4]
	v_add_co_u32 v3, s1, s18, v3
	v_add_co_ci_u32_e64 v4, null, s19, v4, s1
	global_store_dword v[3:4], v5, off
.LBB185_47:
	;; [unrolled: 21-line block ×3, first 2 shown]
	s_or_b32 exec_lo, exec_lo, s2
	s_add_i32 s24, s24, -1
	s_cmp_eq_u32 s23, s24
	s_cselect_b32 s1, -1, 0
	s_xor_b32 s2, vcc_lo, -1
	s_and_b32 s2, s2, s1
	s_and_saveexec_b32 s1, s2
	s_cbranch_execz .LBB185_51
; %bb.50:
	ds_read_b32 v3, v11
	s_waitcnt lgkmcnt(0)
	v_add3_u32 v3, v9, v10, v3
	global_store_dword v11, v3, s[14:15]
.LBB185_51:
	s_or_b32 exec_lo, exec_lo, s1
	s_mov_b32 s2, 0
.LBB185_52:
	s_and_b32 vcc_lo, exec_lo, s2
	s_cbranch_vccz .LBB185_83
; %bb.53:
	s_lshl_b32 s2, s23, 12
	s_mov_b32 s3, 0
	v_lshlrev_b32_e32 v3, 4, v0
	v_lshlrev_b32_e32 v4, 2, v12
	s_lshl_b64 s[2:3], s[2:3], 2
	v_mov_b32_e32 v13, 0
	s_add_u32 s1, s16, s2
	s_addc_u32 s2, s17, s3
	v_and_b32_e32 v3, 0x3e00, v3
	v_add_co_u32 v4, s1, s1, v4
	v_add_co_ci_u32_e64 v5, null, s2, 0, s1
	s_add_u32 s2, s4, 0x58
	v_add_co_u32 v6, vcc_lo, v4, v3
	v_add_co_ci_u32_e64 v7, null, 0, v5, vcc_lo
	s_addc_u32 s3, s5, 0
	global_load_dword v8, v[6:7], off
	s_clause 0x1
	s_load_dword s1, s[4:5], 0x64
	s_load_dword s7, s[4:5], 0x58
	s_waitcnt lgkmcnt(0)
	s_lshr_b32 s4, s1, 16
	s_cmp_lt_u32 s6, s7
	v_mad_u32_u24 v1, v2, s4, v1
	s_cselect_b32 s1, 12, 18
	s_add_u32 s2, s2, s1
	s_addc_u32 s3, s3, 0
	global_load_ushort v10, v13, s[2:3]
	s_clause 0x2
	global_load_dword v5, v[6:7], off offset:128
	global_load_dword v4, v[6:7], off offset:256
	;; [unrolled: 1-line block ×3, first 2 shown]
	s_lshl_b32 s1, -1, s21
	s_not_b32 s8, s1
	s_waitcnt vmcnt(4)
	v_xor_b32_e32 v9, 0x80000000, v8
	v_lshrrev_b32_e32 v6, s20, v9
	v_and_b32_e32 v6, s8, v6
	v_and_b32_e32 v7, 1, v6
	v_lshlrev_b32_e32 v8, 30, v6
	v_lshlrev_b32_e32 v14, 29, v6
	;; [unrolled: 1-line block ×4, first 2 shown]
	v_add_co_u32 v7, s1, v7, -1
	v_cndmask_b32_e64 v16, 0, 1, s1
	v_not_b32_e32 v20, v8
	v_cmp_gt_i32_e64 s1, 0, v8
	v_not_b32_e32 v8, v14
	v_lshlrev_b32_e32 v18, 26, v6
	v_cmp_ne_u32_e32 vcc_lo, 0, v16
	v_ashrrev_i32_e32 v20, 31, v20
	v_lshlrev_b32_e32 v19, 25, v6
	v_ashrrev_i32_e32 v8, 31, v8
	v_lshlrev_b32_e32 v16, 24, v6
	v_xor_b32_e32 v7, vcc_lo, v7
	v_cmp_gt_i32_e32 vcc_lo, 0, v14
	v_not_b32_e32 v14, v15
	v_xor_b32_e32 v20, s1, v20
	v_cmp_gt_i32_e64 s1, 0, v15
	v_and_b32_e32 v7, exec_lo, v7
	v_not_b32_e32 v15, v17
	v_ashrrev_i32_e32 v14, 31, v14
	v_xor_b32_e32 v8, vcc_lo, v8
	v_cmp_gt_i32_e32 vcc_lo, 0, v17
	v_and_b32_e32 v7, v7, v20
	v_not_b32_e32 v17, v18
	v_ashrrev_i32_e32 v15, 31, v15
	v_xor_b32_e32 v14, s1, v14
	v_cmp_gt_i32_e64 s1, 0, v18
	v_and_b32_e32 v7, v7, v8
	v_not_b32_e32 v8, v19
	v_ashrrev_i32_e32 v17, 31, v17
	v_xor_b32_e32 v15, vcc_lo, v15
	v_cmp_gt_i32_e32 vcc_lo, 0, v19
	v_and_b32_e32 v7, v7, v14
	v_not_b32_e32 v14, v16
	v_ashrrev_i32_e32 v8, 31, v8
	v_xor_b32_e32 v17, s1, v17
	v_cmp_gt_i32_e64 s1, 0, v16
	v_and_b32_e32 v7, v7, v15
	v_ashrrev_i32_e32 v15, 31, v14
	v_xor_b32_e32 v8, vcc_lo, v8
	s_waitcnt vmcnt(3)
	v_mad_u64_u32 v[1:2], null, v1, v10, v[0:1]
	v_and_b32_e32 v7, v7, v17
	v_xor_b32_e32 v2, s1, v15
	v_mul_lo_u32 v6, 0x84, v6
	v_mul_u32_u24_e32 v14, 36, v0
	v_and_b32_e32 v7, v7, v8
	v_lshrrev_b32_e32 v1, 3, v1
	ds_write2_b32 v14, v13, v13 offset0:32 offset1:33
	ds_write2_b32 v14, v13, v13 offset0:34 offset1:35
	ds_write2_b32 v14, v13, v13 offset0:36 offset1:37
	v_and_b32_e32 v2, v7, v2
	v_and_b32_e32 v1, 0x1ffffffc, v1
	ds_write2_b32 v14, v13, v13 offset0:38 offset1:39
	ds_write_b32 v14, v13 offset:160
	s_waitcnt vmcnt(0) lgkmcnt(0)
	s_waitcnt_vscnt null, 0x0
	s_barrier
	v_mbcnt_lo_u32_b32 v10, v2, 0
	v_cmp_ne_u32_e64 s1, 0, v2
	v_add_nc_u32_e32 v15, v1, v6
	buffer_gl0_inv
	v_cmp_eq_u32_e32 vcc_lo, 0, v10
	; wave barrier
	s_and_b32 s2, s1, vcc_lo
	s_and_saveexec_b32 s1, s2
; %bb.54:
	v_bcnt_u32_b32 v2, v2, 0
	ds_write_b32 v15, v2 offset:128
; %bb.55:
	s_or_b32 exec_lo, exec_lo, s1
	v_xor_b32_e32 v13, 0x80000000, v5
	; wave barrier
	v_lshrrev_b32_e32 v2, s20, v13
	v_and_b32_e32 v2, s8, v2
	v_and_b32_e32 v6, 1, v2
	v_lshlrev_b32_e32 v7, 30, v2
	v_lshlrev_b32_e32 v8, 29, v2
	;; [unrolled: 1-line block ×4, first 2 shown]
	v_add_co_u32 v6, s1, v6, -1
	v_cndmask_b32_e64 v17, 0, 1, s1
	v_not_b32_e32 v21, v7
	v_cmp_gt_i32_e64 s1, 0, v7
	v_not_b32_e32 v7, v8
	v_lshlrev_b32_e32 v19, 26, v2
	v_cmp_ne_u32_e32 vcc_lo, 0, v17
	v_ashrrev_i32_e32 v17, 31, v21
	v_lshlrev_b32_e32 v20, 25, v2
	v_ashrrev_i32_e32 v7, 31, v7
	v_mul_lo_u32 v5, 0x84, v2
	v_xor_b32_e32 v6, vcc_lo, v6
	v_cmp_gt_i32_e32 vcc_lo, 0, v8
	v_not_b32_e32 v8, v16
	v_xor_b32_e32 v17, s1, v17
	v_cmp_gt_i32_e64 s1, 0, v16
	v_and_b32_e32 v6, exec_lo, v6
	v_not_b32_e32 v16, v18
	v_ashrrev_i32_e32 v8, 31, v8
	v_xor_b32_e32 v7, vcc_lo, v7
	v_cmp_gt_i32_e32 vcc_lo, 0, v18
	v_and_b32_e32 v6, v6, v17
	v_not_b32_e32 v17, v19
	v_ashrrev_i32_e32 v16, 31, v16
	v_xor_b32_e32 v8, s1, v8
	v_lshlrev_b32_e32 v2, 24, v2
	v_and_b32_e32 v6, v6, v7
	v_cmp_gt_i32_e64 s1, 0, v19
	v_not_b32_e32 v7, v20
	v_ashrrev_i32_e32 v17, 31, v17
	v_xor_b32_e32 v16, vcc_lo, v16
	v_and_b32_e32 v6, v6, v8
	v_cmp_gt_i32_e32 vcc_lo, 0, v20
	v_not_b32_e32 v8, v2
	v_ashrrev_i32_e32 v7, 31, v7
	v_xor_b32_e32 v17, s1, v17
	v_and_b32_e32 v6, v6, v16
	v_cmp_gt_i32_e64 s1, 0, v2
	v_ashrrev_i32_e32 v2, 31, v8
	v_xor_b32_e32 v7, vcc_lo, v7
	v_add_nc_u32_e32 v19, v1, v5
	v_and_b32_e32 v6, v6, v17
	v_xor_b32_e32 v2, s1, v2
	ds_read_b32 v16, v19 offset:128
	v_and_b32_e32 v5, v6, v7
	; wave barrier
	v_and_b32_e32 v2, v5, v2
	v_mbcnt_lo_u32_b32 v18, v2, 0
	v_cmp_ne_u32_e64 s1, 0, v2
	v_cmp_eq_u32_e32 vcc_lo, 0, v18
	s_and_b32 s2, s1, vcc_lo
	s_and_saveexec_b32 s1, s2
	s_cbranch_execz .LBB185_57
; %bb.56:
	s_waitcnt lgkmcnt(0)
	v_bcnt_u32_b32 v2, v2, v16
	ds_write_b32 v19, v2 offset:128
.LBB185_57:
	s_or_b32 exec_lo, exec_lo, s1
	v_xor_b32_e32 v17, 0x80000000, v4
	; wave barrier
	v_lshrrev_b32_e32 v2, s20, v17
	v_and_b32_e32 v2, s8, v2
	v_and_b32_e32 v5, 1, v2
	v_lshlrev_b32_e32 v6, 30, v2
	v_lshlrev_b32_e32 v7, 29, v2
	v_lshlrev_b32_e32 v8, 28, v2
	v_lshlrev_b32_e32 v21, 27, v2
	v_add_co_u32 v5, s1, v5, -1
	v_cndmask_b32_e64 v20, 0, 1, s1
	v_not_b32_e32 v24, v6
	v_cmp_gt_i32_e64 s1, 0, v6
	v_not_b32_e32 v6, v7
	v_lshlrev_b32_e32 v22, 26, v2
	v_cmp_ne_u32_e32 vcc_lo, 0, v20
	v_ashrrev_i32_e32 v20, 31, v24
	v_lshlrev_b32_e32 v23, 25, v2
	v_ashrrev_i32_e32 v6, 31, v6
	v_mul_lo_u32 v4, 0x84, v2
	v_xor_b32_e32 v5, vcc_lo, v5
	v_cmp_gt_i32_e32 vcc_lo, 0, v7
	v_not_b32_e32 v7, v8
	v_xor_b32_e32 v20, s1, v20
	v_cmp_gt_i32_e64 s1, 0, v8
	v_and_b32_e32 v5, exec_lo, v5
	v_not_b32_e32 v8, v21
	v_ashrrev_i32_e32 v7, 31, v7
	v_xor_b32_e32 v6, vcc_lo, v6
	v_cmp_gt_i32_e32 vcc_lo, 0, v21
	v_and_b32_e32 v5, v5, v20
	v_not_b32_e32 v20, v22
	v_ashrrev_i32_e32 v8, 31, v8
	v_xor_b32_e32 v7, s1, v7
	v_lshlrev_b32_e32 v2, 24, v2
	v_and_b32_e32 v5, v5, v6
	v_cmp_gt_i32_e64 s1, 0, v22
	v_not_b32_e32 v6, v23
	v_ashrrev_i32_e32 v20, 31, v20
	v_xor_b32_e32 v8, vcc_lo, v8
	v_and_b32_e32 v5, v5, v7
	v_cmp_gt_i32_e32 vcc_lo, 0, v23
	v_not_b32_e32 v7, v2
	v_ashrrev_i32_e32 v6, 31, v6
	v_xor_b32_e32 v20, s1, v20
	v_and_b32_e32 v5, v5, v8
	v_cmp_gt_i32_e64 s1, 0, v2
	v_ashrrev_i32_e32 v2, 31, v7
	v_xor_b32_e32 v6, vcc_lo, v6
	v_add_nc_u32_e32 v23, v1, v4
	v_and_b32_e32 v5, v5, v20
	v_xor_b32_e32 v2, s1, v2
	ds_read_b32 v20, v23 offset:128
	v_and_b32_e32 v4, v5, v6
	; wave barrier
	v_and_b32_e32 v2, v4, v2
	v_mbcnt_lo_u32_b32 v22, v2, 0
	v_cmp_ne_u32_e64 s1, 0, v2
	v_cmp_eq_u32_e32 vcc_lo, 0, v22
	s_and_b32 s2, s1, vcc_lo
	s_and_saveexec_b32 s1, s2
	s_cbranch_execz .LBB185_59
; %bb.58:
	s_waitcnt lgkmcnt(0)
	v_bcnt_u32_b32 v2, v2, v20
	ds_write_b32 v23, v2 offset:128
.LBB185_59:
	s_or_b32 exec_lo, exec_lo, s1
	v_xor_b32_e32 v21, 0x80000000, v3
	; wave barrier
	v_lshrrev_b32_e32 v2, s20, v21
	v_and_b32_e32 v2, s8, v2
	v_and_b32_e32 v4, 1, v2
	v_lshlrev_b32_e32 v5, 30, v2
	v_lshlrev_b32_e32 v6, 29, v2
	;; [unrolled: 1-line block ×4, first 2 shown]
	v_add_co_u32 v4, s1, v4, -1
	v_cndmask_b32_e64 v8, 0, 1, s1
	v_not_b32_e32 v27, v5
	v_cmp_gt_i32_e64 s1, 0, v5
	v_not_b32_e32 v5, v6
	v_lshlrev_b32_e32 v25, 26, v2
	v_cmp_ne_u32_e32 vcc_lo, 0, v8
	v_ashrrev_i32_e32 v8, 31, v27
	v_lshlrev_b32_e32 v26, 25, v2
	v_ashrrev_i32_e32 v5, 31, v5
	v_mul_lo_u32 v3, 0x84, v2
	v_xor_b32_e32 v4, vcc_lo, v4
	v_cmp_gt_i32_e32 vcc_lo, 0, v6
	v_not_b32_e32 v6, v7
	v_xor_b32_e32 v8, s1, v8
	v_cmp_gt_i32_e64 s1, 0, v7
	v_and_b32_e32 v4, exec_lo, v4
	v_not_b32_e32 v7, v24
	v_ashrrev_i32_e32 v6, 31, v6
	v_xor_b32_e32 v5, vcc_lo, v5
	v_cmp_gt_i32_e32 vcc_lo, 0, v24
	v_and_b32_e32 v4, v4, v8
	v_not_b32_e32 v8, v25
	v_ashrrev_i32_e32 v7, 31, v7
	v_xor_b32_e32 v6, s1, v6
	v_lshlrev_b32_e32 v2, 24, v2
	v_and_b32_e32 v4, v4, v5
	v_cmp_gt_i32_e64 s1, 0, v25
	v_not_b32_e32 v5, v26
	v_ashrrev_i32_e32 v8, 31, v8
	v_xor_b32_e32 v7, vcc_lo, v7
	v_and_b32_e32 v4, v4, v6
	v_cmp_gt_i32_e32 vcc_lo, 0, v26
	v_not_b32_e32 v6, v2
	v_ashrrev_i32_e32 v5, 31, v5
	v_xor_b32_e32 v8, s1, v8
	v_and_b32_e32 v4, v4, v7
	v_cmp_gt_i32_e64 s1, 0, v2
	v_ashrrev_i32_e32 v2, 31, v6
	v_xor_b32_e32 v5, vcc_lo, v5
	v_add_nc_u32_e32 v26, v1, v3
	v_and_b32_e32 v4, v4, v8
	v_xor_b32_e32 v1, s1, v2
	ds_read_b32 v24, v26 offset:128
	v_and_b32_e32 v2, v4, v5
	; wave barrier
	v_and_b32_e32 v1, v2, v1
	v_mbcnt_lo_u32_b32 v25, v1, 0
	v_cmp_ne_u32_e64 s1, 0, v1
	v_cmp_eq_u32_e32 vcc_lo, 0, v25
	s_and_b32 s2, s1, vcc_lo
	s_and_saveexec_b32 s1, s2
	s_cbranch_execz .LBB185_61
; %bb.60:
	s_waitcnt lgkmcnt(0)
	v_bcnt_u32_b32 v1, v1, v24
	ds_write_b32 v26, v1 offset:128
.LBB185_61:
	s_or_b32 exec_lo, exec_lo, s1
	; wave barrier
	s_waitcnt lgkmcnt(0)
	s_barrier
	buffer_gl0_inv
	ds_read2_b32 v[7:8], v14 offset0:32 offset1:33
	ds_read2_b32 v[5:6], v14 offset0:34 offset1:35
	;; [unrolled: 1-line block ×4, first 2 shown]
	ds_read_b32 v27, v14 offset:160
	v_and_b32_e32 v30, 16, v12
	v_and_b32_e32 v31, 31, v0
	s_mov_b32 s6, exec_lo
	v_cmp_eq_u32_e64 s4, 0, v30
	s_waitcnt lgkmcnt(3)
	v_add3_u32 v28, v8, v7, v5
	s_waitcnt lgkmcnt(2)
	v_add3_u32 v28, v28, v6, v3
	;; [unrolled: 2-line block ×4, first 2 shown]
	v_and_b32_e32 v28, 15, v12
	v_mov_b32_dpp v29, v27 row_shr:1 row_mask:0xf bank_mask:0xf
	v_cmp_eq_u32_e32 vcc_lo, 0, v28
	v_cmp_lt_u32_e64 s1, 1, v28
	v_cmp_lt_u32_e64 s2, 3, v28
	;; [unrolled: 1-line block ×3, first 2 shown]
	v_cndmask_b32_e64 v29, v29, 0, vcc_lo
	v_add_nc_u32_e32 v27, v29, v27
	v_mov_b32_dpp v29, v27 row_shr:2 row_mask:0xf bank_mask:0xf
	v_cndmask_b32_e64 v29, 0, v29, s1
	v_add_nc_u32_e32 v27, v27, v29
	v_mov_b32_dpp v29, v27 row_shr:4 row_mask:0xf bank_mask:0xf
	v_cndmask_b32_e64 v29, 0, v29, s2
	;; [unrolled: 3-line block ×3, first 2 shown]
	v_bfe_i32 v29, v12, 4, 1
	v_add_nc_u32_e32 v27, v27, v28
	ds_swizzle_b32 v28, v27 offset:swizzle(BROADCAST,32,15)
	s_waitcnt lgkmcnt(0)
	v_and_b32_e32 v29, v29, v28
	v_lshrrev_b32_e32 v28, 5, v0
	v_add_nc_u32_e32 v27, v27, v29
	v_cmpx_eq_u32_e32 31, v31
; %bb.62:
	v_lshlrev_b32_e32 v29, 2, v28
	ds_write_b32 v29, v27
; %bb.63:
	s_or_b32 exec_lo, exec_lo, s6
	v_cmp_lt_u32_e64 s5, 31, v0
	s_mov_b32 s9, exec_lo
	s_waitcnt lgkmcnt(0)
	s_barrier
	buffer_gl0_inv
	v_cmpx_gt_u32_e32 32, v0
	s_cbranch_execz .LBB185_65
; %bb.64:
	ds_read_b32 v29, v11
	s_waitcnt lgkmcnt(0)
	v_mov_b32_dpp v30, v29 row_shr:1 row_mask:0xf bank_mask:0xf
	v_cndmask_b32_e64 v30, v30, 0, vcc_lo
	v_add_nc_u32_e32 v29, v30, v29
	v_mov_b32_dpp v30, v29 row_shr:2 row_mask:0xf bank_mask:0xf
	v_cndmask_b32_e64 v30, 0, v30, s1
	v_add_nc_u32_e32 v29, v29, v30
	v_mov_b32_dpp v30, v29 row_shr:4 row_mask:0xf bank_mask:0xf
	v_cndmask_b32_e64 v30, 0, v30, s2
	v_add_nc_u32_e32 v29, v29, v30
	v_mov_b32_dpp v30, v29 row_shr:8 row_mask:0xf bank_mask:0xf
	v_cndmask_b32_e64 v30, 0, v30, s3
	v_add_nc_u32_e32 v29, v29, v30
	ds_swizzle_b32 v30, v29 offset:swizzle(BROADCAST,32,15)
	s_waitcnt lgkmcnt(0)
	v_cndmask_b32_e64 v30, v30, 0, s4
	v_add_nc_u32_e32 v29, v29, v30
	ds_write_b32 v11, v29
.LBB185_65:
	s_or_b32 exec_lo, exec_lo, s9
	v_mov_b32_e32 v29, 0
	s_waitcnt lgkmcnt(0)
	s_barrier
	buffer_gl0_inv
	s_and_saveexec_b32 s1, s5
; %bb.66:
	v_lshl_add_u32 v28, v28, 2, -4
	ds_read_b32 v29, v28
; %bb.67:
	s_or_b32 exec_lo, exec_lo, s1
	v_sub_co_u32 v28, vcc_lo, v12, 1
	s_waitcnt lgkmcnt(0)
	v_add_nc_u32_e32 v27, v29, v27
	v_cmp_gt_i32_e64 s1, 0, v28
	v_cndmask_b32_e64 v12, v28, v12, s1
	v_lshlrev_b32_e32 v12, 2, v12
	ds_bpermute_b32 v12, v12, v27
	s_waitcnt lgkmcnt(0)
	v_cndmask_b32_e32 v12, v12, v29, vcc_lo
	v_cmp_lt_u32_e32 vcc_lo, 0xff, v0
	v_cndmask_b32_e64 v12, v12, 0, s0
	v_cmp_gt_u32_e64 s0, 0x100, v0
	v_add_nc_u32_e32 v7, v12, v7
	v_add_nc_u32_e32 v8, v7, v8
	;; [unrolled: 1-line block ×8, first 2 shown]
	ds_write2_b32 v14, v12, v7 offset0:32 offset1:33
	ds_write2_b32 v14, v8, v5 offset0:34 offset1:35
	;; [unrolled: 1-line block ×4, first 2 shown]
	ds_write_b32 v14, v2 offset:160
	s_waitcnt lgkmcnt(0)
	s_barrier
	buffer_gl0_inv
	ds_read_b32 v1, v15 offset:128
	ds_read_b32 v4, v19 offset:128
	;; [unrolled: 1-line block ×4, first 2 shown]
                                        ; implicit-def: $vgpr7
                                        ; implicit-def: $vgpr8
	s_and_saveexec_b32 s2, s0
	s_cbranch_execz .LBB185_71
; %bb.68:
	v_mul_u32_u24_e32 v5, 0x84, v0
	v_add_nc_u32_e32 v6, 1, v0
	s_mov_b32 s3, exec_lo
	ds_read_b32 v7, v5 offset:128
	v_mov_b32_e32 v5, 0x1000
	v_cmpx_ne_u32_e32 0x100, v6
; %bb.69:
	v_mul_u32_u24_e32 v5, 0x84, v6
	ds_read_b32 v5, v5 offset:128
; %bb.70:
	s_or_b32 exec_lo, exec_lo, s3
	s_waitcnt lgkmcnt(0)
	v_sub_nc_u32_e32 v8, v5, v7
.LBB185_71:
	s_or_b32 exec_lo, exec_lo, s2
	v_lshlrev_b32_e32 v5, 2, v10
	v_lshlrev_b32_e32 v10, 2, v16
	;; [unrolled: 1-line block ×4, first 2 shown]
	s_waitcnt lgkmcnt(0)
	v_lshlrev_b32_e32 v2, 2, v2
	v_lshlrev_b32_e32 v6, 2, v18
	;; [unrolled: 1-line block ×6, first 2 shown]
	v_lshl_add_u32 v1, v1, 2, v5
	v_add3_u32 v5, v15, v16, v2
	v_mov_b32_e32 v2, 0
	v_add3_u32 v4, v6, v10, v4
	v_add3_u32 v3, v12, v14, v3
	s_barrier
	buffer_gl0_inv
	ds_write_b32 v1, v9 offset:1024
	ds_write_b32 v4, v13 offset:1024
	;; [unrolled: 1-line block ×4, first 2 shown]
	s_and_saveexec_b32 s1, s0
	s_cbranch_execz .LBB185_81
; %bb.72:
	v_lshl_add_u32 v1, s23, 8, v0
	v_mov_b32_e32 v9, 0
	s_mov_b32 s2, 0
	s_mov_b32 s3, s23
	v_lshlrev_b64 v[3:4], 2, v[1:2]
	v_or_b32_e32 v1, 2.0, v8
	v_add_co_u32 v3, s0, s10, v3
	v_add_co_ci_u32_e64 v4, null, s11, v4, s0
                                        ; implicit-def: $sgpr0
	global_store_dword v[3:4], v1, off
	s_branch .LBB185_75
	.p2align	6
.LBB185_73:                             ;   in Loop: Header=BB185_75 Depth=1
	s_or_b32 exec_lo, exec_lo, s5
.LBB185_74:                             ;   in Loop: Header=BB185_75 Depth=1
	s_or_b32 exec_lo, exec_lo, s4
	v_and_b32_e32 v5, 0x3fffffff, v1
	v_cmp_gt_i32_e64 s0, -2.0, v1
	v_add_nc_u32_e32 v9, v5, v9
	s_and_b32 s4, exec_lo, s0
	s_or_b32 s2, s4, s2
	s_andn2_b32 exec_lo, exec_lo, s2
	s_cbranch_execz .LBB185_80
.LBB185_75:                             ; =>This Loop Header: Depth=1
                                        ;     Child Loop BB185_78 Depth 2
	s_or_b32 s0, s0, exec_lo
	s_cmp_eq_u32 s3, 0
	s_cbranch_scc1 .LBB185_79
; %bb.76:                               ;   in Loop: Header=BB185_75 Depth=1
	s_add_i32 s3, s3, -1
	s_mov_b32 s4, exec_lo
	v_lshl_or_b32 v1, s3, 8, v0
	v_lshlrev_b64 v[5:6], 2, v[1:2]
	v_add_co_u32 v5, s0, s10, v5
	v_add_co_ci_u32_e64 v6, null, s11, v6, s0
	global_load_dword v1, v[5:6], off glc dlc
	s_waitcnt vmcnt(0)
	v_cmpx_gt_u32_e32 2.0, v1
	s_cbranch_execz .LBB185_74
; %bb.77:                               ;   in Loop: Header=BB185_75 Depth=1
	s_mov_b32 s5, 0
.LBB185_78:                             ;   Parent Loop BB185_75 Depth=1
                                        ; =>  This Inner Loop Header: Depth=2
	global_load_dword v1, v[5:6], off glc dlc
	s_waitcnt vmcnt(0)
	v_cmp_lt_u32_e64 s0, 0x3fffffff, v1
	s_or_b32 s5, s0, s5
	s_andn2_b32 exec_lo, exec_lo, s5
	s_cbranch_execnz .LBB185_78
	s_branch .LBB185_73
.LBB185_79:                             ;   in Loop: Header=BB185_75 Depth=1
                                        ; implicit-def: $sgpr3
	s_and_b32 s4, exec_lo, s0
	s_or_b32 s2, s4, s2
	s_andn2_b32 exec_lo, exec_lo, s2
	s_cbranch_execnz .LBB185_75
.LBB185_80:
	s_or_b32 exec_lo, exec_lo, s2
	v_add_nc_u32_e32 v1, v9, v8
	v_sub_nc_u32_e32 v2, v9, v7
	v_or_b32_e32 v1, 0x80000000, v1
	global_store_dword v[3:4], v1, off
	global_load_dword v1, v11, s[12:13]
	s_waitcnt vmcnt(0)
	v_add_nc_u32_e32 v1, v2, v1
	ds_write_b32 v11, v1
.LBB185_81:
	s_or_b32 exec_lo, exec_lo, s1
	s_waitcnt lgkmcnt(0)
	s_waitcnt_vscnt null, 0x0
	s_barrier
	buffer_gl0_inv
	ds_read2st64_b32 v[1:2], v11 offset0:4 offset1:20
	ds_read2st64_b32 v[3:4], v11 offset0:36 offset1:52
	s_add_i32 s7, s7, -1
	s_cmp_eq_u32 s23, s7
	s_waitcnt lgkmcnt(1)
	v_lshrrev_b32_e32 v5, s20, v1
	v_lshrrev_b32_e32 v6, s20, v2
	s_waitcnt lgkmcnt(0)
	v_lshrrev_b32_e32 v9, s20, v3
	v_lshrrev_b32_e32 v10, s20, v4
	v_xor_b32_e32 v15, 0x80000000, v1
	v_and_b32_e32 v5, s8, v5
	v_and_b32_e32 v6, s8, v6
	v_and_b32_e32 v9, s8, v9
	v_xor_b32_e32 v16, 0x80000000, v2
	v_xor_b32_e32 v4, 0x80000000, v4
	v_lshlrev_b32_e32 v5, 2, v5
	v_lshlrev_b32_e32 v6, 2, v6
	ds_read_b32 v5, v5
	ds_read_b32 v12, v6
	v_lshlrev_b32_e32 v6, 2, v9
	v_and_b32_e32 v9, s8, v10
	ds_read_b32 v13, v6
	v_lshlrev_b32_e32 v6, 2, v9
	ds_read_b32 v14, v6
	v_mov_b32_e32 v6, 0
	s_waitcnt lgkmcnt(3)
	v_add_nc_u32_e32 v5, v5, v0
	v_lshlrev_b64 v[9:10], 2, v[5:6]
	s_waitcnt lgkmcnt(2)
	v_add3_u32 v5, v12, v0, 0x400
	v_lshlrev_b64 v[1:2], 2, v[5:6]
	s_waitcnt lgkmcnt(1)
	v_add3_u32 v5, v13, v0, 0x800
	v_add_co_u32 v9, s0, s18, v9
	v_add_co_ci_u32_e64 v10, null, s19, v10, s0
	v_lshlrev_b64 v[12:13], 2, v[5:6]
	s_waitcnt lgkmcnt(0)
	v_add3_u32 v5, v14, v0, 0xc00
	v_add_co_u32 v0, s0, s18, v1
	v_add_co_ci_u32_e64 v1, null, s19, v2, s0
	v_xor_b32_e32 v14, 0x80000000, v3
	v_lshlrev_b64 v[2:3], 2, v[5:6]
	global_store_dword v[9:10], v15, off
	global_store_dword v[0:1], v16, off
	v_add_co_u32 v0, s0, s18, v12
	v_add_co_ci_u32_e64 v1, null, s19, v13, s0
	v_add_co_u32 v2, s0, s18, v2
	v_add_co_ci_u32_e64 v3, null, s19, v3, s0
	s_cselect_b32 s0, -1, 0
	s_xor_b32 s1, vcc_lo, -1
	global_store_dword v[0:1], v14, off
	s_and_b32 s0, s1, s0
	global_store_dword v[2:3], v4, off
	s_and_saveexec_b32 s1, s0
	s_cbranch_execz .LBB185_83
; %bb.82:
	ds_read_b32 v0, v11
	s_waitcnt lgkmcnt(0)
	v_add3_u32 v0, v7, v8, v0
	global_store_dword v11, v0, s[14:15]
.LBB185_83:
	s_endpgm
	.section	.rodata,"a",@progbits
	.p2align	6, 0x0
	.amdhsa_kernel _ZN7rocprim17ROCPRIM_400000_NS6detail17trampoline_kernelINS0_14default_configENS1_35radix_sort_onesweep_config_selectorIiNS0_10empty_typeEEEZZNS1_29radix_sort_onesweep_iterationIS3_Lb0EN6thrust23THRUST_200600_302600_NS6detail15normal_iteratorINS9_10device_ptrIiEEEESE_PS5_SF_jNS0_19identity_decomposerENS1_16block_id_wrapperIjLb1EEEEE10hipError_tT1_PNSt15iterator_traitsISK_E10value_typeET2_T3_PNSL_ISQ_E10value_typeET4_T5_PSV_SW_PNS1_23onesweep_lookback_stateEbbT6_jjT7_P12ihipStream_tbENKUlT_T0_SK_SP_E_clIPiSE_SF_SF_EEDaS13_S14_SK_SP_EUlS13_E_NS1_11comp_targetILNS1_3genE8ELNS1_11target_archE1030ELNS1_3gpuE2ELNS1_3repE0EEENS1_47radix_sort_onesweep_sort_config_static_selectorELNS0_4arch9wavefront6targetE0EEEvSK_
		.amdhsa_group_segment_fixed_size 37000
		.amdhsa_private_segment_fixed_size 0
		.amdhsa_kernarg_size 344
		.amdhsa_user_sgpr_count 6
		.amdhsa_user_sgpr_private_segment_buffer 1
		.amdhsa_user_sgpr_dispatch_ptr 0
		.amdhsa_user_sgpr_queue_ptr 0
		.amdhsa_user_sgpr_kernarg_segment_ptr 1
		.amdhsa_user_sgpr_dispatch_id 0
		.amdhsa_user_sgpr_flat_scratch_init 0
		.amdhsa_user_sgpr_private_segment_size 0
		.amdhsa_wavefront_size32 1
		.amdhsa_uses_dynamic_stack 0
		.amdhsa_system_sgpr_private_segment_wavefront_offset 0
		.amdhsa_system_sgpr_workgroup_id_x 1
		.amdhsa_system_sgpr_workgroup_id_y 0
		.amdhsa_system_sgpr_workgroup_id_z 0
		.amdhsa_system_sgpr_workgroup_info 0
		.amdhsa_system_vgpr_workitem_id 2
		.amdhsa_next_free_vgpr 34
		.amdhsa_next_free_sgpr 27
		.amdhsa_reserve_vcc 1
		.amdhsa_reserve_flat_scratch 0
		.amdhsa_float_round_mode_32 0
		.amdhsa_float_round_mode_16_64 0
		.amdhsa_float_denorm_mode_32 3
		.amdhsa_float_denorm_mode_16_64 3
		.amdhsa_dx10_clamp 1
		.amdhsa_ieee_mode 1
		.amdhsa_fp16_overflow 0
		.amdhsa_workgroup_processor_mode 1
		.amdhsa_memory_ordered 1
		.amdhsa_forward_progress 1
		.amdhsa_shared_vgpr_count 0
		.amdhsa_exception_fp_ieee_invalid_op 0
		.amdhsa_exception_fp_denorm_src 0
		.amdhsa_exception_fp_ieee_div_zero 0
		.amdhsa_exception_fp_ieee_overflow 0
		.amdhsa_exception_fp_ieee_underflow 0
		.amdhsa_exception_fp_ieee_inexact 0
		.amdhsa_exception_int_div_zero 0
	.end_amdhsa_kernel
	.section	.text._ZN7rocprim17ROCPRIM_400000_NS6detail17trampoline_kernelINS0_14default_configENS1_35radix_sort_onesweep_config_selectorIiNS0_10empty_typeEEEZZNS1_29radix_sort_onesweep_iterationIS3_Lb0EN6thrust23THRUST_200600_302600_NS6detail15normal_iteratorINS9_10device_ptrIiEEEESE_PS5_SF_jNS0_19identity_decomposerENS1_16block_id_wrapperIjLb1EEEEE10hipError_tT1_PNSt15iterator_traitsISK_E10value_typeET2_T3_PNSL_ISQ_E10value_typeET4_T5_PSV_SW_PNS1_23onesweep_lookback_stateEbbT6_jjT7_P12ihipStream_tbENKUlT_T0_SK_SP_E_clIPiSE_SF_SF_EEDaS13_S14_SK_SP_EUlS13_E_NS1_11comp_targetILNS1_3genE8ELNS1_11target_archE1030ELNS1_3gpuE2ELNS1_3repE0EEENS1_47radix_sort_onesweep_sort_config_static_selectorELNS0_4arch9wavefront6targetE0EEEvSK_,"axG",@progbits,_ZN7rocprim17ROCPRIM_400000_NS6detail17trampoline_kernelINS0_14default_configENS1_35radix_sort_onesweep_config_selectorIiNS0_10empty_typeEEEZZNS1_29radix_sort_onesweep_iterationIS3_Lb0EN6thrust23THRUST_200600_302600_NS6detail15normal_iteratorINS9_10device_ptrIiEEEESE_PS5_SF_jNS0_19identity_decomposerENS1_16block_id_wrapperIjLb1EEEEE10hipError_tT1_PNSt15iterator_traitsISK_E10value_typeET2_T3_PNSL_ISQ_E10value_typeET4_T5_PSV_SW_PNS1_23onesweep_lookback_stateEbbT6_jjT7_P12ihipStream_tbENKUlT_T0_SK_SP_E_clIPiSE_SF_SF_EEDaS13_S14_SK_SP_EUlS13_E_NS1_11comp_targetILNS1_3genE8ELNS1_11target_archE1030ELNS1_3gpuE2ELNS1_3repE0EEENS1_47radix_sort_onesweep_sort_config_static_selectorELNS0_4arch9wavefront6targetE0EEEvSK_,comdat
.Lfunc_end185:
	.size	_ZN7rocprim17ROCPRIM_400000_NS6detail17trampoline_kernelINS0_14default_configENS1_35radix_sort_onesweep_config_selectorIiNS0_10empty_typeEEEZZNS1_29radix_sort_onesweep_iterationIS3_Lb0EN6thrust23THRUST_200600_302600_NS6detail15normal_iteratorINS9_10device_ptrIiEEEESE_PS5_SF_jNS0_19identity_decomposerENS1_16block_id_wrapperIjLb1EEEEE10hipError_tT1_PNSt15iterator_traitsISK_E10value_typeET2_T3_PNSL_ISQ_E10value_typeET4_T5_PSV_SW_PNS1_23onesweep_lookback_stateEbbT6_jjT7_P12ihipStream_tbENKUlT_T0_SK_SP_E_clIPiSE_SF_SF_EEDaS13_S14_SK_SP_EUlS13_E_NS1_11comp_targetILNS1_3genE8ELNS1_11target_archE1030ELNS1_3gpuE2ELNS1_3repE0EEENS1_47radix_sort_onesweep_sort_config_static_selectorELNS0_4arch9wavefront6targetE0EEEvSK_, .Lfunc_end185-_ZN7rocprim17ROCPRIM_400000_NS6detail17trampoline_kernelINS0_14default_configENS1_35radix_sort_onesweep_config_selectorIiNS0_10empty_typeEEEZZNS1_29radix_sort_onesweep_iterationIS3_Lb0EN6thrust23THRUST_200600_302600_NS6detail15normal_iteratorINS9_10device_ptrIiEEEESE_PS5_SF_jNS0_19identity_decomposerENS1_16block_id_wrapperIjLb1EEEEE10hipError_tT1_PNSt15iterator_traitsISK_E10value_typeET2_T3_PNSL_ISQ_E10value_typeET4_T5_PSV_SW_PNS1_23onesweep_lookback_stateEbbT6_jjT7_P12ihipStream_tbENKUlT_T0_SK_SP_E_clIPiSE_SF_SF_EEDaS13_S14_SK_SP_EUlS13_E_NS1_11comp_targetILNS1_3genE8ELNS1_11target_archE1030ELNS1_3gpuE2ELNS1_3repE0EEENS1_47radix_sort_onesweep_sort_config_static_selectorELNS0_4arch9wavefront6targetE0EEEvSK_
                                        ; -- End function
	.set _ZN7rocprim17ROCPRIM_400000_NS6detail17trampoline_kernelINS0_14default_configENS1_35radix_sort_onesweep_config_selectorIiNS0_10empty_typeEEEZZNS1_29radix_sort_onesweep_iterationIS3_Lb0EN6thrust23THRUST_200600_302600_NS6detail15normal_iteratorINS9_10device_ptrIiEEEESE_PS5_SF_jNS0_19identity_decomposerENS1_16block_id_wrapperIjLb1EEEEE10hipError_tT1_PNSt15iterator_traitsISK_E10value_typeET2_T3_PNSL_ISQ_E10value_typeET4_T5_PSV_SW_PNS1_23onesweep_lookback_stateEbbT6_jjT7_P12ihipStream_tbENKUlT_T0_SK_SP_E_clIPiSE_SF_SF_EEDaS13_S14_SK_SP_EUlS13_E_NS1_11comp_targetILNS1_3genE8ELNS1_11target_archE1030ELNS1_3gpuE2ELNS1_3repE0EEENS1_47radix_sort_onesweep_sort_config_static_selectorELNS0_4arch9wavefront6targetE0EEEvSK_.num_vgpr, 34
	.set _ZN7rocprim17ROCPRIM_400000_NS6detail17trampoline_kernelINS0_14default_configENS1_35radix_sort_onesweep_config_selectorIiNS0_10empty_typeEEEZZNS1_29radix_sort_onesweep_iterationIS3_Lb0EN6thrust23THRUST_200600_302600_NS6detail15normal_iteratorINS9_10device_ptrIiEEEESE_PS5_SF_jNS0_19identity_decomposerENS1_16block_id_wrapperIjLb1EEEEE10hipError_tT1_PNSt15iterator_traitsISK_E10value_typeET2_T3_PNSL_ISQ_E10value_typeET4_T5_PSV_SW_PNS1_23onesweep_lookback_stateEbbT6_jjT7_P12ihipStream_tbENKUlT_T0_SK_SP_E_clIPiSE_SF_SF_EEDaS13_S14_SK_SP_EUlS13_E_NS1_11comp_targetILNS1_3genE8ELNS1_11target_archE1030ELNS1_3gpuE2ELNS1_3repE0EEENS1_47radix_sort_onesweep_sort_config_static_selectorELNS0_4arch9wavefront6targetE0EEEvSK_.num_agpr, 0
	.set _ZN7rocprim17ROCPRIM_400000_NS6detail17trampoline_kernelINS0_14default_configENS1_35radix_sort_onesweep_config_selectorIiNS0_10empty_typeEEEZZNS1_29radix_sort_onesweep_iterationIS3_Lb0EN6thrust23THRUST_200600_302600_NS6detail15normal_iteratorINS9_10device_ptrIiEEEESE_PS5_SF_jNS0_19identity_decomposerENS1_16block_id_wrapperIjLb1EEEEE10hipError_tT1_PNSt15iterator_traitsISK_E10value_typeET2_T3_PNSL_ISQ_E10value_typeET4_T5_PSV_SW_PNS1_23onesweep_lookback_stateEbbT6_jjT7_P12ihipStream_tbENKUlT_T0_SK_SP_E_clIPiSE_SF_SF_EEDaS13_S14_SK_SP_EUlS13_E_NS1_11comp_targetILNS1_3genE8ELNS1_11target_archE1030ELNS1_3gpuE2ELNS1_3repE0EEENS1_47radix_sort_onesweep_sort_config_static_selectorELNS0_4arch9wavefront6targetE0EEEvSK_.numbered_sgpr, 27
	.set _ZN7rocprim17ROCPRIM_400000_NS6detail17trampoline_kernelINS0_14default_configENS1_35radix_sort_onesweep_config_selectorIiNS0_10empty_typeEEEZZNS1_29radix_sort_onesweep_iterationIS3_Lb0EN6thrust23THRUST_200600_302600_NS6detail15normal_iteratorINS9_10device_ptrIiEEEESE_PS5_SF_jNS0_19identity_decomposerENS1_16block_id_wrapperIjLb1EEEEE10hipError_tT1_PNSt15iterator_traitsISK_E10value_typeET2_T3_PNSL_ISQ_E10value_typeET4_T5_PSV_SW_PNS1_23onesweep_lookback_stateEbbT6_jjT7_P12ihipStream_tbENKUlT_T0_SK_SP_E_clIPiSE_SF_SF_EEDaS13_S14_SK_SP_EUlS13_E_NS1_11comp_targetILNS1_3genE8ELNS1_11target_archE1030ELNS1_3gpuE2ELNS1_3repE0EEENS1_47radix_sort_onesweep_sort_config_static_selectorELNS0_4arch9wavefront6targetE0EEEvSK_.num_named_barrier, 0
	.set _ZN7rocprim17ROCPRIM_400000_NS6detail17trampoline_kernelINS0_14default_configENS1_35radix_sort_onesweep_config_selectorIiNS0_10empty_typeEEEZZNS1_29radix_sort_onesweep_iterationIS3_Lb0EN6thrust23THRUST_200600_302600_NS6detail15normal_iteratorINS9_10device_ptrIiEEEESE_PS5_SF_jNS0_19identity_decomposerENS1_16block_id_wrapperIjLb1EEEEE10hipError_tT1_PNSt15iterator_traitsISK_E10value_typeET2_T3_PNSL_ISQ_E10value_typeET4_T5_PSV_SW_PNS1_23onesweep_lookback_stateEbbT6_jjT7_P12ihipStream_tbENKUlT_T0_SK_SP_E_clIPiSE_SF_SF_EEDaS13_S14_SK_SP_EUlS13_E_NS1_11comp_targetILNS1_3genE8ELNS1_11target_archE1030ELNS1_3gpuE2ELNS1_3repE0EEENS1_47radix_sort_onesweep_sort_config_static_selectorELNS0_4arch9wavefront6targetE0EEEvSK_.private_seg_size, 0
	.set _ZN7rocprim17ROCPRIM_400000_NS6detail17trampoline_kernelINS0_14default_configENS1_35radix_sort_onesweep_config_selectorIiNS0_10empty_typeEEEZZNS1_29radix_sort_onesweep_iterationIS3_Lb0EN6thrust23THRUST_200600_302600_NS6detail15normal_iteratorINS9_10device_ptrIiEEEESE_PS5_SF_jNS0_19identity_decomposerENS1_16block_id_wrapperIjLb1EEEEE10hipError_tT1_PNSt15iterator_traitsISK_E10value_typeET2_T3_PNSL_ISQ_E10value_typeET4_T5_PSV_SW_PNS1_23onesweep_lookback_stateEbbT6_jjT7_P12ihipStream_tbENKUlT_T0_SK_SP_E_clIPiSE_SF_SF_EEDaS13_S14_SK_SP_EUlS13_E_NS1_11comp_targetILNS1_3genE8ELNS1_11target_archE1030ELNS1_3gpuE2ELNS1_3repE0EEENS1_47radix_sort_onesweep_sort_config_static_selectorELNS0_4arch9wavefront6targetE0EEEvSK_.uses_vcc, 1
	.set _ZN7rocprim17ROCPRIM_400000_NS6detail17trampoline_kernelINS0_14default_configENS1_35radix_sort_onesweep_config_selectorIiNS0_10empty_typeEEEZZNS1_29radix_sort_onesweep_iterationIS3_Lb0EN6thrust23THRUST_200600_302600_NS6detail15normal_iteratorINS9_10device_ptrIiEEEESE_PS5_SF_jNS0_19identity_decomposerENS1_16block_id_wrapperIjLb1EEEEE10hipError_tT1_PNSt15iterator_traitsISK_E10value_typeET2_T3_PNSL_ISQ_E10value_typeET4_T5_PSV_SW_PNS1_23onesweep_lookback_stateEbbT6_jjT7_P12ihipStream_tbENKUlT_T0_SK_SP_E_clIPiSE_SF_SF_EEDaS13_S14_SK_SP_EUlS13_E_NS1_11comp_targetILNS1_3genE8ELNS1_11target_archE1030ELNS1_3gpuE2ELNS1_3repE0EEENS1_47radix_sort_onesweep_sort_config_static_selectorELNS0_4arch9wavefront6targetE0EEEvSK_.uses_flat_scratch, 0
	.set _ZN7rocprim17ROCPRIM_400000_NS6detail17trampoline_kernelINS0_14default_configENS1_35radix_sort_onesweep_config_selectorIiNS0_10empty_typeEEEZZNS1_29radix_sort_onesweep_iterationIS3_Lb0EN6thrust23THRUST_200600_302600_NS6detail15normal_iteratorINS9_10device_ptrIiEEEESE_PS5_SF_jNS0_19identity_decomposerENS1_16block_id_wrapperIjLb1EEEEE10hipError_tT1_PNSt15iterator_traitsISK_E10value_typeET2_T3_PNSL_ISQ_E10value_typeET4_T5_PSV_SW_PNS1_23onesweep_lookback_stateEbbT6_jjT7_P12ihipStream_tbENKUlT_T0_SK_SP_E_clIPiSE_SF_SF_EEDaS13_S14_SK_SP_EUlS13_E_NS1_11comp_targetILNS1_3genE8ELNS1_11target_archE1030ELNS1_3gpuE2ELNS1_3repE0EEENS1_47radix_sort_onesweep_sort_config_static_selectorELNS0_4arch9wavefront6targetE0EEEvSK_.has_dyn_sized_stack, 0
	.set _ZN7rocprim17ROCPRIM_400000_NS6detail17trampoline_kernelINS0_14default_configENS1_35radix_sort_onesweep_config_selectorIiNS0_10empty_typeEEEZZNS1_29radix_sort_onesweep_iterationIS3_Lb0EN6thrust23THRUST_200600_302600_NS6detail15normal_iteratorINS9_10device_ptrIiEEEESE_PS5_SF_jNS0_19identity_decomposerENS1_16block_id_wrapperIjLb1EEEEE10hipError_tT1_PNSt15iterator_traitsISK_E10value_typeET2_T3_PNSL_ISQ_E10value_typeET4_T5_PSV_SW_PNS1_23onesweep_lookback_stateEbbT6_jjT7_P12ihipStream_tbENKUlT_T0_SK_SP_E_clIPiSE_SF_SF_EEDaS13_S14_SK_SP_EUlS13_E_NS1_11comp_targetILNS1_3genE8ELNS1_11target_archE1030ELNS1_3gpuE2ELNS1_3repE0EEENS1_47radix_sort_onesweep_sort_config_static_selectorELNS0_4arch9wavefront6targetE0EEEvSK_.has_recursion, 0
	.set _ZN7rocprim17ROCPRIM_400000_NS6detail17trampoline_kernelINS0_14default_configENS1_35radix_sort_onesweep_config_selectorIiNS0_10empty_typeEEEZZNS1_29radix_sort_onesweep_iterationIS3_Lb0EN6thrust23THRUST_200600_302600_NS6detail15normal_iteratorINS9_10device_ptrIiEEEESE_PS5_SF_jNS0_19identity_decomposerENS1_16block_id_wrapperIjLb1EEEEE10hipError_tT1_PNSt15iterator_traitsISK_E10value_typeET2_T3_PNSL_ISQ_E10value_typeET4_T5_PSV_SW_PNS1_23onesweep_lookback_stateEbbT6_jjT7_P12ihipStream_tbENKUlT_T0_SK_SP_E_clIPiSE_SF_SF_EEDaS13_S14_SK_SP_EUlS13_E_NS1_11comp_targetILNS1_3genE8ELNS1_11target_archE1030ELNS1_3gpuE2ELNS1_3repE0EEENS1_47radix_sort_onesweep_sort_config_static_selectorELNS0_4arch9wavefront6targetE0EEEvSK_.has_indirect_call, 0
	.section	.AMDGPU.csdata,"",@progbits
; Kernel info:
; codeLenInByte = 6780
; TotalNumSgprs: 29
; NumVgprs: 34
; ScratchSize: 0
; MemoryBound: 0
; FloatMode: 240
; IeeeMode: 1
; LDSByteSize: 37000 bytes/workgroup (compile time only)
; SGPRBlocks: 0
; VGPRBlocks: 4
; NumSGPRsForWavesPerEU: 29
; NumVGPRsForWavesPerEU: 34
; Occupancy: 16
; WaveLimiterHint : 1
; COMPUTE_PGM_RSRC2:SCRATCH_EN: 0
; COMPUTE_PGM_RSRC2:USER_SGPR: 6
; COMPUTE_PGM_RSRC2:TRAP_HANDLER: 0
; COMPUTE_PGM_RSRC2:TGID_X_EN: 1
; COMPUTE_PGM_RSRC2:TGID_Y_EN: 0
; COMPUTE_PGM_RSRC2:TGID_Z_EN: 0
; COMPUTE_PGM_RSRC2:TIDIG_COMP_CNT: 2
	.section	.text._ZN7rocprim17ROCPRIM_400000_NS6detail17trampoline_kernelINS0_14default_configENS1_35radix_sort_onesweep_config_selectorIiNS0_10empty_typeEEEZZNS1_29radix_sort_onesweep_iterationIS3_Lb0EN6thrust23THRUST_200600_302600_NS6detail15normal_iteratorINS9_10device_ptrIiEEEESE_PS5_SF_jNS0_19identity_decomposerENS1_16block_id_wrapperIjLb0EEEEE10hipError_tT1_PNSt15iterator_traitsISK_E10value_typeET2_T3_PNSL_ISQ_E10value_typeET4_T5_PSV_SW_PNS1_23onesweep_lookback_stateEbbT6_jjT7_P12ihipStream_tbENKUlT_T0_SK_SP_E_clISE_SE_SF_SF_EEDaS13_S14_SK_SP_EUlS13_E_NS1_11comp_targetILNS1_3genE0ELNS1_11target_archE4294967295ELNS1_3gpuE0ELNS1_3repE0EEENS1_47radix_sort_onesweep_sort_config_static_selectorELNS0_4arch9wavefront6targetE0EEEvSK_,"axG",@progbits,_ZN7rocprim17ROCPRIM_400000_NS6detail17trampoline_kernelINS0_14default_configENS1_35radix_sort_onesweep_config_selectorIiNS0_10empty_typeEEEZZNS1_29radix_sort_onesweep_iterationIS3_Lb0EN6thrust23THRUST_200600_302600_NS6detail15normal_iteratorINS9_10device_ptrIiEEEESE_PS5_SF_jNS0_19identity_decomposerENS1_16block_id_wrapperIjLb0EEEEE10hipError_tT1_PNSt15iterator_traitsISK_E10value_typeET2_T3_PNSL_ISQ_E10value_typeET4_T5_PSV_SW_PNS1_23onesweep_lookback_stateEbbT6_jjT7_P12ihipStream_tbENKUlT_T0_SK_SP_E_clISE_SE_SF_SF_EEDaS13_S14_SK_SP_EUlS13_E_NS1_11comp_targetILNS1_3genE0ELNS1_11target_archE4294967295ELNS1_3gpuE0ELNS1_3repE0EEENS1_47radix_sort_onesweep_sort_config_static_selectorELNS0_4arch9wavefront6targetE0EEEvSK_,comdat
	.protected	_ZN7rocprim17ROCPRIM_400000_NS6detail17trampoline_kernelINS0_14default_configENS1_35radix_sort_onesweep_config_selectorIiNS0_10empty_typeEEEZZNS1_29radix_sort_onesweep_iterationIS3_Lb0EN6thrust23THRUST_200600_302600_NS6detail15normal_iteratorINS9_10device_ptrIiEEEESE_PS5_SF_jNS0_19identity_decomposerENS1_16block_id_wrapperIjLb0EEEEE10hipError_tT1_PNSt15iterator_traitsISK_E10value_typeET2_T3_PNSL_ISQ_E10value_typeET4_T5_PSV_SW_PNS1_23onesweep_lookback_stateEbbT6_jjT7_P12ihipStream_tbENKUlT_T0_SK_SP_E_clISE_SE_SF_SF_EEDaS13_S14_SK_SP_EUlS13_E_NS1_11comp_targetILNS1_3genE0ELNS1_11target_archE4294967295ELNS1_3gpuE0ELNS1_3repE0EEENS1_47radix_sort_onesweep_sort_config_static_selectorELNS0_4arch9wavefront6targetE0EEEvSK_ ; -- Begin function _ZN7rocprim17ROCPRIM_400000_NS6detail17trampoline_kernelINS0_14default_configENS1_35radix_sort_onesweep_config_selectorIiNS0_10empty_typeEEEZZNS1_29radix_sort_onesweep_iterationIS3_Lb0EN6thrust23THRUST_200600_302600_NS6detail15normal_iteratorINS9_10device_ptrIiEEEESE_PS5_SF_jNS0_19identity_decomposerENS1_16block_id_wrapperIjLb0EEEEE10hipError_tT1_PNSt15iterator_traitsISK_E10value_typeET2_T3_PNSL_ISQ_E10value_typeET4_T5_PSV_SW_PNS1_23onesweep_lookback_stateEbbT6_jjT7_P12ihipStream_tbENKUlT_T0_SK_SP_E_clISE_SE_SF_SF_EEDaS13_S14_SK_SP_EUlS13_E_NS1_11comp_targetILNS1_3genE0ELNS1_11target_archE4294967295ELNS1_3gpuE0ELNS1_3repE0EEENS1_47radix_sort_onesweep_sort_config_static_selectorELNS0_4arch9wavefront6targetE0EEEvSK_
	.globl	_ZN7rocprim17ROCPRIM_400000_NS6detail17trampoline_kernelINS0_14default_configENS1_35radix_sort_onesweep_config_selectorIiNS0_10empty_typeEEEZZNS1_29radix_sort_onesweep_iterationIS3_Lb0EN6thrust23THRUST_200600_302600_NS6detail15normal_iteratorINS9_10device_ptrIiEEEESE_PS5_SF_jNS0_19identity_decomposerENS1_16block_id_wrapperIjLb0EEEEE10hipError_tT1_PNSt15iterator_traitsISK_E10value_typeET2_T3_PNSL_ISQ_E10value_typeET4_T5_PSV_SW_PNS1_23onesweep_lookback_stateEbbT6_jjT7_P12ihipStream_tbENKUlT_T0_SK_SP_E_clISE_SE_SF_SF_EEDaS13_S14_SK_SP_EUlS13_E_NS1_11comp_targetILNS1_3genE0ELNS1_11target_archE4294967295ELNS1_3gpuE0ELNS1_3repE0EEENS1_47radix_sort_onesweep_sort_config_static_selectorELNS0_4arch9wavefront6targetE0EEEvSK_
	.p2align	8
	.type	_ZN7rocprim17ROCPRIM_400000_NS6detail17trampoline_kernelINS0_14default_configENS1_35radix_sort_onesweep_config_selectorIiNS0_10empty_typeEEEZZNS1_29radix_sort_onesweep_iterationIS3_Lb0EN6thrust23THRUST_200600_302600_NS6detail15normal_iteratorINS9_10device_ptrIiEEEESE_PS5_SF_jNS0_19identity_decomposerENS1_16block_id_wrapperIjLb0EEEEE10hipError_tT1_PNSt15iterator_traitsISK_E10value_typeET2_T3_PNSL_ISQ_E10value_typeET4_T5_PSV_SW_PNS1_23onesweep_lookback_stateEbbT6_jjT7_P12ihipStream_tbENKUlT_T0_SK_SP_E_clISE_SE_SF_SF_EEDaS13_S14_SK_SP_EUlS13_E_NS1_11comp_targetILNS1_3genE0ELNS1_11target_archE4294967295ELNS1_3gpuE0ELNS1_3repE0EEENS1_47radix_sort_onesweep_sort_config_static_selectorELNS0_4arch9wavefront6targetE0EEEvSK_,@function
_ZN7rocprim17ROCPRIM_400000_NS6detail17trampoline_kernelINS0_14default_configENS1_35radix_sort_onesweep_config_selectorIiNS0_10empty_typeEEEZZNS1_29radix_sort_onesweep_iterationIS3_Lb0EN6thrust23THRUST_200600_302600_NS6detail15normal_iteratorINS9_10device_ptrIiEEEESE_PS5_SF_jNS0_19identity_decomposerENS1_16block_id_wrapperIjLb0EEEEE10hipError_tT1_PNSt15iterator_traitsISK_E10value_typeET2_T3_PNSL_ISQ_E10value_typeET4_T5_PSV_SW_PNS1_23onesweep_lookback_stateEbbT6_jjT7_P12ihipStream_tbENKUlT_T0_SK_SP_E_clISE_SE_SF_SF_EEDaS13_S14_SK_SP_EUlS13_E_NS1_11comp_targetILNS1_3genE0ELNS1_11target_archE4294967295ELNS1_3gpuE0ELNS1_3repE0EEENS1_47radix_sort_onesweep_sort_config_static_selectorELNS0_4arch9wavefront6targetE0EEEvSK_: ; @_ZN7rocprim17ROCPRIM_400000_NS6detail17trampoline_kernelINS0_14default_configENS1_35radix_sort_onesweep_config_selectorIiNS0_10empty_typeEEEZZNS1_29radix_sort_onesweep_iterationIS3_Lb0EN6thrust23THRUST_200600_302600_NS6detail15normal_iteratorINS9_10device_ptrIiEEEESE_PS5_SF_jNS0_19identity_decomposerENS1_16block_id_wrapperIjLb0EEEEE10hipError_tT1_PNSt15iterator_traitsISK_E10value_typeET2_T3_PNSL_ISQ_E10value_typeET4_T5_PSV_SW_PNS1_23onesweep_lookback_stateEbbT6_jjT7_P12ihipStream_tbENKUlT_T0_SK_SP_E_clISE_SE_SF_SF_EEDaS13_S14_SK_SP_EUlS13_E_NS1_11comp_targetILNS1_3genE0ELNS1_11target_archE4294967295ELNS1_3gpuE0ELNS1_3repE0EEENS1_47radix_sort_onesweep_sort_config_static_selectorELNS0_4arch9wavefront6targetE0EEEvSK_
; %bb.0:
	.section	.rodata,"a",@progbits
	.p2align	6, 0x0
	.amdhsa_kernel _ZN7rocprim17ROCPRIM_400000_NS6detail17trampoline_kernelINS0_14default_configENS1_35radix_sort_onesweep_config_selectorIiNS0_10empty_typeEEEZZNS1_29radix_sort_onesweep_iterationIS3_Lb0EN6thrust23THRUST_200600_302600_NS6detail15normal_iteratorINS9_10device_ptrIiEEEESE_PS5_SF_jNS0_19identity_decomposerENS1_16block_id_wrapperIjLb0EEEEE10hipError_tT1_PNSt15iterator_traitsISK_E10value_typeET2_T3_PNSL_ISQ_E10value_typeET4_T5_PSV_SW_PNS1_23onesweep_lookback_stateEbbT6_jjT7_P12ihipStream_tbENKUlT_T0_SK_SP_E_clISE_SE_SF_SF_EEDaS13_S14_SK_SP_EUlS13_E_NS1_11comp_targetILNS1_3genE0ELNS1_11target_archE4294967295ELNS1_3gpuE0ELNS1_3repE0EEENS1_47radix_sort_onesweep_sort_config_static_selectorELNS0_4arch9wavefront6targetE0EEEvSK_
		.amdhsa_group_segment_fixed_size 0
		.amdhsa_private_segment_fixed_size 0
		.amdhsa_kernarg_size 88
		.amdhsa_user_sgpr_count 6
		.amdhsa_user_sgpr_private_segment_buffer 1
		.amdhsa_user_sgpr_dispatch_ptr 0
		.amdhsa_user_sgpr_queue_ptr 0
		.amdhsa_user_sgpr_kernarg_segment_ptr 1
		.amdhsa_user_sgpr_dispatch_id 0
		.amdhsa_user_sgpr_flat_scratch_init 0
		.amdhsa_user_sgpr_private_segment_size 0
		.amdhsa_wavefront_size32 1
		.amdhsa_uses_dynamic_stack 0
		.amdhsa_system_sgpr_private_segment_wavefront_offset 0
		.amdhsa_system_sgpr_workgroup_id_x 1
		.amdhsa_system_sgpr_workgroup_id_y 0
		.amdhsa_system_sgpr_workgroup_id_z 0
		.amdhsa_system_sgpr_workgroup_info 0
		.amdhsa_system_vgpr_workitem_id 0
		.amdhsa_next_free_vgpr 1
		.amdhsa_next_free_sgpr 1
		.amdhsa_reserve_vcc 0
		.amdhsa_reserve_flat_scratch 0
		.amdhsa_float_round_mode_32 0
		.amdhsa_float_round_mode_16_64 0
		.amdhsa_float_denorm_mode_32 3
		.amdhsa_float_denorm_mode_16_64 3
		.amdhsa_dx10_clamp 1
		.amdhsa_ieee_mode 1
		.amdhsa_fp16_overflow 0
		.amdhsa_workgroup_processor_mode 1
		.amdhsa_memory_ordered 1
		.amdhsa_forward_progress 1
		.amdhsa_shared_vgpr_count 0
		.amdhsa_exception_fp_ieee_invalid_op 0
		.amdhsa_exception_fp_denorm_src 0
		.amdhsa_exception_fp_ieee_div_zero 0
		.amdhsa_exception_fp_ieee_overflow 0
		.amdhsa_exception_fp_ieee_underflow 0
		.amdhsa_exception_fp_ieee_inexact 0
		.amdhsa_exception_int_div_zero 0
	.end_amdhsa_kernel
	.section	.text._ZN7rocprim17ROCPRIM_400000_NS6detail17trampoline_kernelINS0_14default_configENS1_35radix_sort_onesweep_config_selectorIiNS0_10empty_typeEEEZZNS1_29radix_sort_onesweep_iterationIS3_Lb0EN6thrust23THRUST_200600_302600_NS6detail15normal_iteratorINS9_10device_ptrIiEEEESE_PS5_SF_jNS0_19identity_decomposerENS1_16block_id_wrapperIjLb0EEEEE10hipError_tT1_PNSt15iterator_traitsISK_E10value_typeET2_T3_PNSL_ISQ_E10value_typeET4_T5_PSV_SW_PNS1_23onesweep_lookback_stateEbbT6_jjT7_P12ihipStream_tbENKUlT_T0_SK_SP_E_clISE_SE_SF_SF_EEDaS13_S14_SK_SP_EUlS13_E_NS1_11comp_targetILNS1_3genE0ELNS1_11target_archE4294967295ELNS1_3gpuE0ELNS1_3repE0EEENS1_47radix_sort_onesweep_sort_config_static_selectorELNS0_4arch9wavefront6targetE0EEEvSK_,"axG",@progbits,_ZN7rocprim17ROCPRIM_400000_NS6detail17trampoline_kernelINS0_14default_configENS1_35radix_sort_onesweep_config_selectorIiNS0_10empty_typeEEEZZNS1_29radix_sort_onesweep_iterationIS3_Lb0EN6thrust23THRUST_200600_302600_NS6detail15normal_iteratorINS9_10device_ptrIiEEEESE_PS5_SF_jNS0_19identity_decomposerENS1_16block_id_wrapperIjLb0EEEEE10hipError_tT1_PNSt15iterator_traitsISK_E10value_typeET2_T3_PNSL_ISQ_E10value_typeET4_T5_PSV_SW_PNS1_23onesweep_lookback_stateEbbT6_jjT7_P12ihipStream_tbENKUlT_T0_SK_SP_E_clISE_SE_SF_SF_EEDaS13_S14_SK_SP_EUlS13_E_NS1_11comp_targetILNS1_3genE0ELNS1_11target_archE4294967295ELNS1_3gpuE0ELNS1_3repE0EEENS1_47radix_sort_onesweep_sort_config_static_selectorELNS0_4arch9wavefront6targetE0EEEvSK_,comdat
.Lfunc_end186:
	.size	_ZN7rocprim17ROCPRIM_400000_NS6detail17trampoline_kernelINS0_14default_configENS1_35radix_sort_onesweep_config_selectorIiNS0_10empty_typeEEEZZNS1_29radix_sort_onesweep_iterationIS3_Lb0EN6thrust23THRUST_200600_302600_NS6detail15normal_iteratorINS9_10device_ptrIiEEEESE_PS5_SF_jNS0_19identity_decomposerENS1_16block_id_wrapperIjLb0EEEEE10hipError_tT1_PNSt15iterator_traitsISK_E10value_typeET2_T3_PNSL_ISQ_E10value_typeET4_T5_PSV_SW_PNS1_23onesweep_lookback_stateEbbT6_jjT7_P12ihipStream_tbENKUlT_T0_SK_SP_E_clISE_SE_SF_SF_EEDaS13_S14_SK_SP_EUlS13_E_NS1_11comp_targetILNS1_3genE0ELNS1_11target_archE4294967295ELNS1_3gpuE0ELNS1_3repE0EEENS1_47radix_sort_onesweep_sort_config_static_selectorELNS0_4arch9wavefront6targetE0EEEvSK_, .Lfunc_end186-_ZN7rocprim17ROCPRIM_400000_NS6detail17trampoline_kernelINS0_14default_configENS1_35radix_sort_onesweep_config_selectorIiNS0_10empty_typeEEEZZNS1_29radix_sort_onesweep_iterationIS3_Lb0EN6thrust23THRUST_200600_302600_NS6detail15normal_iteratorINS9_10device_ptrIiEEEESE_PS5_SF_jNS0_19identity_decomposerENS1_16block_id_wrapperIjLb0EEEEE10hipError_tT1_PNSt15iterator_traitsISK_E10value_typeET2_T3_PNSL_ISQ_E10value_typeET4_T5_PSV_SW_PNS1_23onesweep_lookback_stateEbbT6_jjT7_P12ihipStream_tbENKUlT_T0_SK_SP_E_clISE_SE_SF_SF_EEDaS13_S14_SK_SP_EUlS13_E_NS1_11comp_targetILNS1_3genE0ELNS1_11target_archE4294967295ELNS1_3gpuE0ELNS1_3repE0EEENS1_47radix_sort_onesweep_sort_config_static_selectorELNS0_4arch9wavefront6targetE0EEEvSK_
                                        ; -- End function
	.set _ZN7rocprim17ROCPRIM_400000_NS6detail17trampoline_kernelINS0_14default_configENS1_35radix_sort_onesweep_config_selectorIiNS0_10empty_typeEEEZZNS1_29radix_sort_onesweep_iterationIS3_Lb0EN6thrust23THRUST_200600_302600_NS6detail15normal_iteratorINS9_10device_ptrIiEEEESE_PS5_SF_jNS0_19identity_decomposerENS1_16block_id_wrapperIjLb0EEEEE10hipError_tT1_PNSt15iterator_traitsISK_E10value_typeET2_T3_PNSL_ISQ_E10value_typeET4_T5_PSV_SW_PNS1_23onesweep_lookback_stateEbbT6_jjT7_P12ihipStream_tbENKUlT_T0_SK_SP_E_clISE_SE_SF_SF_EEDaS13_S14_SK_SP_EUlS13_E_NS1_11comp_targetILNS1_3genE0ELNS1_11target_archE4294967295ELNS1_3gpuE0ELNS1_3repE0EEENS1_47radix_sort_onesweep_sort_config_static_selectorELNS0_4arch9wavefront6targetE0EEEvSK_.num_vgpr, 0
	.set _ZN7rocprim17ROCPRIM_400000_NS6detail17trampoline_kernelINS0_14default_configENS1_35radix_sort_onesweep_config_selectorIiNS0_10empty_typeEEEZZNS1_29radix_sort_onesweep_iterationIS3_Lb0EN6thrust23THRUST_200600_302600_NS6detail15normal_iteratorINS9_10device_ptrIiEEEESE_PS5_SF_jNS0_19identity_decomposerENS1_16block_id_wrapperIjLb0EEEEE10hipError_tT1_PNSt15iterator_traitsISK_E10value_typeET2_T3_PNSL_ISQ_E10value_typeET4_T5_PSV_SW_PNS1_23onesweep_lookback_stateEbbT6_jjT7_P12ihipStream_tbENKUlT_T0_SK_SP_E_clISE_SE_SF_SF_EEDaS13_S14_SK_SP_EUlS13_E_NS1_11comp_targetILNS1_3genE0ELNS1_11target_archE4294967295ELNS1_3gpuE0ELNS1_3repE0EEENS1_47radix_sort_onesweep_sort_config_static_selectorELNS0_4arch9wavefront6targetE0EEEvSK_.num_agpr, 0
	.set _ZN7rocprim17ROCPRIM_400000_NS6detail17trampoline_kernelINS0_14default_configENS1_35radix_sort_onesweep_config_selectorIiNS0_10empty_typeEEEZZNS1_29radix_sort_onesweep_iterationIS3_Lb0EN6thrust23THRUST_200600_302600_NS6detail15normal_iteratorINS9_10device_ptrIiEEEESE_PS5_SF_jNS0_19identity_decomposerENS1_16block_id_wrapperIjLb0EEEEE10hipError_tT1_PNSt15iterator_traitsISK_E10value_typeET2_T3_PNSL_ISQ_E10value_typeET4_T5_PSV_SW_PNS1_23onesweep_lookback_stateEbbT6_jjT7_P12ihipStream_tbENKUlT_T0_SK_SP_E_clISE_SE_SF_SF_EEDaS13_S14_SK_SP_EUlS13_E_NS1_11comp_targetILNS1_3genE0ELNS1_11target_archE4294967295ELNS1_3gpuE0ELNS1_3repE0EEENS1_47radix_sort_onesweep_sort_config_static_selectorELNS0_4arch9wavefront6targetE0EEEvSK_.numbered_sgpr, 0
	.set _ZN7rocprim17ROCPRIM_400000_NS6detail17trampoline_kernelINS0_14default_configENS1_35radix_sort_onesweep_config_selectorIiNS0_10empty_typeEEEZZNS1_29radix_sort_onesweep_iterationIS3_Lb0EN6thrust23THRUST_200600_302600_NS6detail15normal_iteratorINS9_10device_ptrIiEEEESE_PS5_SF_jNS0_19identity_decomposerENS1_16block_id_wrapperIjLb0EEEEE10hipError_tT1_PNSt15iterator_traitsISK_E10value_typeET2_T3_PNSL_ISQ_E10value_typeET4_T5_PSV_SW_PNS1_23onesweep_lookback_stateEbbT6_jjT7_P12ihipStream_tbENKUlT_T0_SK_SP_E_clISE_SE_SF_SF_EEDaS13_S14_SK_SP_EUlS13_E_NS1_11comp_targetILNS1_3genE0ELNS1_11target_archE4294967295ELNS1_3gpuE0ELNS1_3repE0EEENS1_47radix_sort_onesweep_sort_config_static_selectorELNS0_4arch9wavefront6targetE0EEEvSK_.num_named_barrier, 0
	.set _ZN7rocprim17ROCPRIM_400000_NS6detail17trampoline_kernelINS0_14default_configENS1_35radix_sort_onesweep_config_selectorIiNS0_10empty_typeEEEZZNS1_29radix_sort_onesweep_iterationIS3_Lb0EN6thrust23THRUST_200600_302600_NS6detail15normal_iteratorINS9_10device_ptrIiEEEESE_PS5_SF_jNS0_19identity_decomposerENS1_16block_id_wrapperIjLb0EEEEE10hipError_tT1_PNSt15iterator_traitsISK_E10value_typeET2_T3_PNSL_ISQ_E10value_typeET4_T5_PSV_SW_PNS1_23onesweep_lookback_stateEbbT6_jjT7_P12ihipStream_tbENKUlT_T0_SK_SP_E_clISE_SE_SF_SF_EEDaS13_S14_SK_SP_EUlS13_E_NS1_11comp_targetILNS1_3genE0ELNS1_11target_archE4294967295ELNS1_3gpuE0ELNS1_3repE0EEENS1_47radix_sort_onesweep_sort_config_static_selectorELNS0_4arch9wavefront6targetE0EEEvSK_.private_seg_size, 0
	.set _ZN7rocprim17ROCPRIM_400000_NS6detail17trampoline_kernelINS0_14default_configENS1_35radix_sort_onesweep_config_selectorIiNS0_10empty_typeEEEZZNS1_29radix_sort_onesweep_iterationIS3_Lb0EN6thrust23THRUST_200600_302600_NS6detail15normal_iteratorINS9_10device_ptrIiEEEESE_PS5_SF_jNS0_19identity_decomposerENS1_16block_id_wrapperIjLb0EEEEE10hipError_tT1_PNSt15iterator_traitsISK_E10value_typeET2_T3_PNSL_ISQ_E10value_typeET4_T5_PSV_SW_PNS1_23onesweep_lookback_stateEbbT6_jjT7_P12ihipStream_tbENKUlT_T0_SK_SP_E_clISE_SE_SF_SF_EEDaS13_S14_SK_SP_EUlS13_E_NS1_11comp_targetILNS1_3genE0ELNS1_11target_archE4294967295ELNS1_3gpuE0ELNS1_3repE0EEENS1_47radix_sort_onesweep_sort_config_static_selectorELNS0_4arch9wavefront6targetE0EEEvSK_.uses_vcc, 0
	.set _ZN7rocprim17ROCPRIM_400000_NS6detail17trampoline_kernelINS0_14default_configENS1_35radix_sort_onesweep_config_selectorIiNS0_10empty_typeEEEZZNS1_29radix_sort_onesweep_iterationIS3_Lb0EN6thrust23THRUST_200600_302600_NS6detail15normal_iteratorINS9_10device_ptrIiEEEESE_PS5_SF_jNS0_19identity_decomposerENS1_16block_id_wrapperIjLb0EEEEE10hipError_tT1_PNSt15iterator_traitsISK_E10value_typeET2_T3_PNSL_ISQ_E10value_typeET4_T5_PSV_SW_PNS1_23onesweep_lookback_stateEbbT6_jjT7_P12ihipStream_tbENKUlT_T0_SK_SP_E_clISE_SE_SF_SF_EEDaS13_S14_SK_SP_EUlS13_E_NS1_11comp_targetILNS1_3genE0ELNS1_11target_archE4294967295ELNS1_3gpuE0ELNS1_3repE0EEENS1_47radix_sort_onesweep_sort_config_static_selectorELNS0_4arch9wavefront6targetE0EEEvSK_.uses_flat_scratch, 0
	.set _ZN7rocprim17ROCPRIM_400000_NS6detail17trampoline_kernelINS0_14default_configENS1_35radix_sort_onesweep_config_selectorIiNS0_10empty_typeEEEZZNS1_29radix_sort_onesweep_iterationIS3_Lb0EN6thrust23THRUST_200600_302600_NS6detail15normal_iteratorINS9_10device_ptrIiEEEESE_PS5_SF_jNS0_19identity_decomposerENS1_16block_id_wrapperIjLb0EEEEE10hipError_tT1_PNSt15iterator_traitsISK_E10value_typeET2_T3_PNSL_ISQ_E10value_typeET4_T5_PSV_SW_PNS1_23onesweep_lookback_stateEbbT6_jjT7_P12ihipStream_tbENKUlT_T0_SK_SP_E_clISE_SE_SF_SF_EEDaS13_S14_SK_SP_EUlS13_E_NS1_11comp_targetILNS1_3genE0ELNS1_11target_archE4294967295ELNS1_3gpuE0ELNS1_3repE0EEENS1_47radix_sort_onesweep_sort_config_static_selectorELNS0_4arch9wavefront6targetE0EEEvSK_.has_dyn_sized_stack, 0
	.set _ZN7rocprim17ROCPRIM_400000_NS6detail17trampoline_kernelINS0_14default_configENS1_35radix_sort_onesweep_config_selectorIiNS0_10empty_typeEEEZZNS1_29radix_sort_onesweep_iterationIS3_Lb0EN6thrust23THRUST_200600_302600_NS6detail15normal_iteratorINS9_10device_ptrIiEEEESE_PS5_SF_jNS0_19identity_decomposerENS1_16block_id_wrapperIjLb0EEEEE10hipError_tT1_PNSt15iterator_traitsISK_E10value_typeET2_T3_PNSL_ISQ_E10value_typeET4_T5_PSV_SW_PNS1_23onesweep_lookback_stateEbbT6_jjT7_P12ihipStream_tbENKUlT_T0_SK_SP_E_clISE_SE_SF_SF_EEDaS13_S14_SK_SP_EUlS13_E_NS1_11comp_targetILNS1_3genE0ELNS1_11target_archE4294967295ELNS1_3gpuE0ELNS1_3repE0EEENS1_47radix_sort_onesweep_sort_config_static_selectorELNS0_4arch9wavefront6targetE0EEEvSK_.has_recursion, 0
	.set _ZN7rocprim17ROCPRIM_400000_NS6detail17trampoline_kernelINS0_14default_configENS1_35radix_sort_onesweep_config_selectorIiNS0_10empty_typeEEEZZNS1_29radix_sort_onesweep_iterationIS3_Lb0EN6thrust23THRUST_200600_302600_NS6detail15normal_iteratorINS9_10device_ptrIiEEEESE_PS5_SF_jNS0_19identity_decomposerENS1_16block_id_wrapperIjLb0EEEEE10hipError_tT1_PNSt15iterator_traitsISK_E10value_typeET2_T3_PNSL_ISQ_E10value_typeET4_T5_PSV_SW_PNS1_23onesweep_lookback_stateEbbT6_jjT7_P12ihipStream_tbENKUlT_T0_SK_SP_E_clISE_SE_SF_SF_EEDaS13_S14_SK_SP_EUlS13_E_NS1_11comp_targetILNS1_3genE0ELNS1_11target_archE4294967295ELNS1_3gpuE0ELNS1_3repE0EEENS1_47radix_sort_onesweep_sort_config_static_selectorELNS0_4arch9wavefront6targetE0EEEvSK_.has_indirect_call, 0
	.section	.AMDGPU.csdata,"",@progbits
; Kernel info:
; codeLenInByte = 0
; TotalNumSgprs: 0
; NumVgprs: 0
; ScratchSize: 0
; MemoryBound: 0
; FloatMode: 240
; IeeeMode: 1
; LDSByteSize: 0 bytes/workgroup (compile time only)
; SGPRBlocks: 0
; VGPRBlocks: 0
; NumSGPRsForWavesPerEU: 1
; NumVGPRsForWavesPerEU: 1
; Occupancy: 16
; WaveLimiterHint : 0
; COMPUTE_PGM_RSRC2:SCRATCH_EN: 0
; COMPUTE_PGM_RSRC2:USER_SGPR: 6
; COMPUTE_PGM_RSRC2:TRAP_HANDLER: 0
; COMPUTE_PGM_RSRC2:TGID_X_EN: 1
; COMPUTE_PGM_RSRC2:TGID_Y_EN: 0
; COMPUTE_PGM_RSRC2:TGID_Z_EN: 0
; COMPUTE_PGM_RSRC2:TIDIG_COMP_CNT: 0
	.section	.text._ZN7rocprim17ROCPRIM_400000_NS6detail17trampoline_kernelINS0_14default_configENS1_35radix_sort_onesweep_config_selectorIiNS0_10empty_typeEEEZZNS1_29radix_sort_onesweep_iterationIS3_Lb0EN6thrust23THRUST_200600_302600_NS6detail15normal_iteratorINS9_10device_ptrIiEEEESE_PS5_SF_jNS0_19identity_decomposerENS1_16block_id_wrapperIjLb0EEEEE10hipError_tT1_PNSt15iterator_traitsISK_E10value_typeET2_T3_PNSL_ISQ_E10value_typeET4_T5_PSV_SW_PNS1_23onesweep_lookback_stateEbbT6_jjT7_P12ihipStream_tbENKUlT_T0_SK_SP_E_clISE_SE_SF_SF_EEDaS13_S14_SK_SP_EUlS13_E_NS1_11comp_targetILNS1_3genE6ELNS1_11target_archE950ELNS1_3gpuE13ELNS1_3repE0EEENS1_47radix_sort_onesweep_sort_config_static_selectorELNS0_4arch9wavefront6targetE0EEEvSK_,"axG",@progbits,_ZN7rocprim17ROCPRIM_400000_NS6detail17trampoline_kernelINS0_14default_configENS1_35radix_sort_onesweep_config_selectorIiNS0_10empty_typeEEEZZNS1_29radix_sort_onesweep_iterationIS3_Lb0EN6thrust23THRUST_200600_302600_NS6detail15normal_iteratorINS9_10device_ptrIiEEEESE_PS5_SF_jNS0_19identity_decomposerENS1_16block_id_wrapperIjLb0EEEEE10hipError_tT1_PNSt15iterator_traitsISK_E10value_typeET2_T3_PNSL_ISQ_E10value_typeET4_T5_PSV_SW_PNS1_23onesweep_lookback_stateEbbT6_jjT7_P12ihipStream_tbENKUlT_T0_SK_SP_E_clISE_SE_SF_SF_EEDaS13_S14_SK_SP_EUlS13_E_NS1_11comp_targetILNS1_3genE6ELNS1_11target_archE950ELNS1_3gpuE13ELNS1_3repE0EEENS1_47radix_sort_onesweep_sort_config_static_selectorELNS0_4arch9wavefront6targetE0EEEvSK_,comdat
	.protected	_ZN7rocprim17ROCPRIM_400000_NS6detail17trampoline_kernelINS0_14default_configENS1_35radix_sort_onesweep_config_selectorIiNS0_10empty_typeEEEZZNS1_29radix_sort_onesweep_iterationIS3_Lb0EN6thrust23THRUST_200600_302600_NS6detail15normal_iteratorINS9_10device_ptrIiEEEESE_PS5_SF_jNS0_19identity_decomposerENS1_16block_id_wrapperIjLb0EEEEE10hipError_tT1_PNSt15iterator_traitsISK_E10value_typeET2_T3_PNSL_ISQ_E10value_typeET4_T5_PSV_SW_PNS1_23onesweep_lookback_stateEbbT6_jjT7_P12ihipStream_tbENKUlT_T0_SK_SP_E_clISE_SE_SF_SF_EEDaS13_S14_SK_SP_EUlS13_E_NS1_11comp_targetILNS1_3genE6ELNS1_11target_archE950ELNS1_3gpuE13ELNS1_3repE0EEENS1_47radix_sort_onesweep_sort_config_static_selectorELNS0_4arch9wavefront6targetE0EEEvSK_ ; -- Begin function _ZN7rocprim17ROCPRIM_400000_NS6detail17trampoline_kernelINS0_14default_configENS1_35radix_sort_onesweep_config_selectorIiNS0_10empty_typeEEEZZNS1_29radix_sort_onesweep_iterationIS3_Lb0EN6thrust23THRUST_200600_302600_NS6detail15normal_iteratorINS9_10device_ptrIiEEEESE_PS5_SF_jNS0_19identity_decomposerENS1_16block_id_wrapperIjLb0EEEEE10hipError_tT1_PNSt15iterator_traitsISK_E10value_typeET2_T3_PNSL_ISQ_E10value_typeET4_T5_PSV_SW_PNS1_23onesweep_lookback_stateEbbT6_jjT7_P12ihipStream_tbENKUlT_T0_SK_SP_E_clISE_SE_SF_SF_EEDaS13_S14_SK_SP_EUlS13_E_NS1_11comp_targetILNS1_3genE6ELNS1_11target_archE950ELNS1_3gpuE13ELNS1_3repE0EEENS1_47radix_sort_onesweep_sort_config_static_selectorELNS0_4arch9wavefront6targetE0EEEvSK_
	.globl	_ZN7rocprim17ROCPRIM_400000_NS6detail17trampoline_kernelINS0_14default_configENS1_35radix_sort_onesweep_config_selectorIiNS0_10empty_typeEEEZZNS1_29radix_sort_onesweep_iterationIS3_Lb0EN6thrust23THRUST_200600_302600_NS6detail15normal_iteratorINS9_10device_ptrIiEEEESE_PS5_SF_jNS0_19identity_decomposerENS1_16block_id_wrapperIjLb0EEEEE10hipError_tT1_PNSt15iterator_traitsISK_E10value_typeET2_T3_PNSL_ISQ_E10value_typeET4_T5_PSV_SW_PNS1_23onesweep_lookback_stateEbbT6_jjT7_P12ihipStream_tbENKUlT_T0_SK_SP_E_clISE_SE_SF_SF_EEDaS13_S14_SK_SP_EUlS13_E_NS1_11comp_targetILNS1_3genE6ELNS1_11target_archE950ELNS1_3gpuE13ELNS1_3repE0EEENS1_47radix_sort_onesweep_sort_config_static_selectorELNS0_4arch9wavefront6targetE0EEEvSK_
	.p2align	8
	.type	_ZN7rocprim17ROCPRIM_400000_NS6detail17trampoline_kernelINS0_14default_configENS1_35radix_sort_onesweep_config_selectorIiNS0_10empty_typeEEEZZNS1_29radix_sort_onesweep_iterationIS3_Lb0EN6thrust23THRUST_200600_302600_NS6detail15normal_iteratorINS9_10device_ptrIiEEEESE_PS5_SF_jNS0_19identity_decomposerENS1_16block_id_wrapperIjLb0EEEEE10hipError_tT1_PNSt15iterator_traitsISK_E10value_typeET2_T3_PNSL_ISQ_E10value_typeET4_T5_PSV_SW_PNS1_23onesweep_lookback_stateEbbT6_jjT7_P12ihipStream_tbENKUlT_T0_SK_SP_E_clISE_SE_SF_SF_EEDaS13_S14_SK_SP_EUlS13_E_NS1_11comp_targetILNS1_3genE6ELNS1_11target_archE950ELNS1_3gpuE13ELNS1_3repE0EEENS1_47radix_sort_onesweep_sort_config_static_selectorELNS0_4arch9wavefront6targetE0EEEvSK_,@function
_ZN7rocprim17ROCPRIM_400000_NS6detail17trampoline_kernelINS0_14default_configENS1_35radix_sort_onesweep_config_selectorIiNS0_10empty_typeEEEZZNS1_29radix_sort_onesweep_iterationIS3_Lb0EN6thrust23THRUST_200600_302600_NS6detail15normal_iteratorINS9_10device_ptrIiEEEESE_PS5_SF_jNS0_19identity_decomposerENS1_16block_id_wrapperIjLb0EEEEE10hipError_tT1_PNSt15iterator_traitsISK_E10value_typeET2_T3_PNSL_ISQ_E10value_typeET4_T5_PSV_SW_PNS1_23onesweep_lookback_stateEbbT6_jjT7_P12ihipStream_tbENKUlT_T0_SK_SP_E_clISE_SE_SF_SF_EEDaS13_S14_SK_SP_EUlS13_E_NS1_11comp_targetILNS1_3genE6ELNS1_11target_archE950ELNS1_3gpuE13ELNS1_3repE0EEENS1_47radix_sort_onesweep_sort_config_static_selectorELNS0_4arch9wavefront6targetE0EEEvSK_: ; @_ZN7rocprim17ROCPRIM_400000_NS6detail17trampoline_kernelINS0_14default_configENS1_35radix_sort_onesweep_config_selectorIiNS0_10empty_typeEEEZZNS1_29radix_sort_onesweep_iterationIS3_Lb0EN6thrust23THRUST_200600_302600_NS6detail15normal_iteratorINS9_10device_ptrIiEEEESE_PS5_SF_jNS0_19identity_decomposerENS1_16block_id_wrapperIjLb0EEEEE10hipError_tT1_PNSt15iterator_traitsISK_E10value_typeET2_T3_PNSL_ISQ_E10value_typeET4_T5_PSV_SW_PNS1_23onesweep_lookback_stateEbbT6_jjT7_P12ihipStream_tbENKUlT_T0_SK_SP_E_clISE_SE_SF_SF_EEDaS13_S14_SK_SP_EUlS13_E_NS1_11comp_targetILNS1_3genE6ELNS1_11target_archE950ELNS1_3gpuE13ELNS1_3repE0EEENS1_47radix_sort_onesweep_sort_config_static_selectorELNS0_4arch9wavefront6targetE0EEEvSK_
; %bb.0:
	.section	.rodata,"a",@progbits
	.p2align	6, 0x0
	.amdhsa_kernel _ZN7rocprim17ROCPRIM_400000_NS6detail17trampoline_kernelINS0_14default_configENS1_35radix_sort_onesweep_config_selectorIiNS0_10empty_typeEEEZZNS1_29radix_sort_onesweep_iterationIS3_Lb0EN6thrust23THRUST_200600_302600_NS6detail15normal_iteratorINS9_10device_ptrIiEEEESE_PS5_SF_jNS0_19identity_decomposerENS1_16block_id_wrapperIjLb0EEEEE10hipError_tT1_PNSt15iterator_traitsISK_E10value_typeET2_T3_PNSL_ISQ_E10value_typeET4_T5_PSV_SW_PNS1_23onesweep_lookback_stateEbbT6_jjT7_P12ihipStream_tbENKUlT_T0_SK_SP_E_clISE_SE_SF_SF_EEDaS13_S14_SK_SP_EUlS13_E_NS1_11comp_targetILNS1_3genE6ELNS1_11target_archE950ELNS1_3gpuE13ELNS1_3repE0EEENS1_47radix_sort_onesweep_sort_config_static_selectorELNS0_4arch9wavefront6targetE0EEEvSK_
		.amdhsa_group_segment_fixed_size 0
		.amdhsa_private_segment_fixed_size 0
		.amdhsa_kernarg_size 88
		.amdhsa_user_sgpr_count 6
		.amdhsa_user_sgpr_private_segment_buffer 1
		.amdhsa_user_sgpr_dispatch_ptr 0
		.amdhsa_user_sgpr_queue_ptr 0
		.amdhsa_user_sgpr_kernarg_segment_ptr 1
		.amdhsa_user_sgpr_dispatch_id 0
		.amdhsa_user_sgpr_flat_scratch_init 0
		.amdhsa_user_sgpr_private_segment_size 0
		.amdhsa_wavefront_size32 1
		.amdhsa_uses_dynamic_stack 0
		.amdhsa_system_sgpr_private_segment_wavefront_offset 0
		.amdhsa_system_sgpr_workgroup_id_x 1
		.amdhsa_system_sgpr_workgroup_id_y 0
		.amdhsa_system_sgpr_workgroup_id_z 0
		.amdhsa_system_sgpr_workgroup_info 0
		.amdhsa_system_vgpr_workitem_id 0
		.amdhsa_next_free_vgpr 1
		.amdhsa_next_free_sgpr 1
		.amdhsa_reserve_vcc 0
		.amdhsa_reserve_flat_scratch 0
		.amdhsa_float_round_mode_32 0
		.amdhsa_float_round_mode_16_64 0
		.amdhsa_float_denorm_mode_32 3
		.amdhsa_float_denorm_mode_16_64 3
		.amdhsa_dx10_clamp 1
		.amdhsa_ieee_mode 1
		.amdhsa_fp16_overflow 0
		.amdhsa_workgroup_processor_mode 1
		.amdhsa_memory_ordered 1
		.amdhsa_forward_progress 1
		.amdhsa_shared_vgpr_count 0
		.amdhsa_exception_fp_ieee_invalid_op 0
		.amdhsa_exception_fp_denorm_src 0
		.amdhsa_exception_fp_ieee_div_zero 0
		.amdhsa_exception_fp_ieee_overflow 0
		.amdhsa_exception_fp_ieee_underflow 0
		.amdhsa_exception_fp_ieee_inexact 0
		.amdhsa_exception_int_div_zero 0
	.end_amdhsa_kernel
	.section	.text._ZN7rocprim17ROCPRIM_400000_NS6detail17trampoline_kernelINS0_14default_configENS1_35radix_sort_onesweep_config_selectorIiNS0_10empty_typeEEEZZNS1_29radix_sort_onesweep_iterationIS3_Lb0EN6thrust23THRUST_200600_302600_NS6detail15normal_iteratorINS9_10device_ptrIiEEEESE_PS5_SF_jNS0_19identity_decomposerENS1_16block_id_wrapperIjLb0EEEEE10hipError_tT1_PNSt15iterator_traitsISK_E10value_typeET2_T3_PNSL_ISQ_E10value_typeET4_T5_PSV_SW_PNS1_23onesweep_lookback_stateEbbT6_jjT7_P12ihipStream_tbENKUlT_T0_SK_SP_E_clISE_SE_SF_SF_EEDaS13_S14_SK_SP_EUlS13_E_NS1_11comp_targetILNS1_3genE6ELNS1_11target_archE950ELNS1_3gpuE13ELNS1_3repE0EEENS1_47radix_sort_onesweep_sort_config_static_selectorELNS0_4arch9wavefront6targetE0EEEvSK_,"axG",@progbits,_ZN7rocprim17ROCPRIM_400000_NS6detail17trampoline_kernelINS0_14default_configENS1_35radix_sort_onesweep_config_selectorIiNS0_10empty_typeEEEZZNS1_29radix_sort_onesweep_iterationIS3_Lb0EN6thrust23THRUST_200600_302600_NS6detail15normal_iteratorINS9_10device_ptrIiEEEESE_PS5_SF_jNS0_19identity_decomposerENS1_16block_id_wrapperIjLb0EEEEE10hipError_tT1_PNSt15iterator_traitsISK_E10value_typeET2_T3_PNSL_ISQ_E10value_typeET4_T5_PSV_SW_PNS1_23onesweep_lookback_stateEbbT6_jjT7_P12ihipStream_tbENKUlT_T0_SK_SP_E_clISE_SE_SF_SF_EEDaS13_S14_SK_SP_EUlS13_E_NS1_11comp_targetILNS1_3genE6ELNS1_11target_archE950ELNS1_3gpuE13ELNS1_3repE0EEENS1_47radix_sort_onesweep_sort_config_static_selectorELNS0_4arch9wavefront6targetE0EEEvSK_,comdat
.Lfunc_end187:
	.size	_ZN7rocprim17ROCPRIM_400000_NS6detail17trampoline_kernelINS0_14default_configENS1_35radix_sort_onesweep_config_selectorIiNS0_10empty_typeEEEZZNS1_29radix_sort_onesweep_iterationIS3_Lb0EN6thrust23THRUST_200600_302600_NS6detail15normal_iteratorINS9_10device_ptrIiEEEESE_PS5_SF_jNS0_19identity_decomposerENS1_16block_id_wrapperIjLb0EEEEE10hipError_tT1_PNSt15iterator_traitsISK_E10value_typeET2_T3_PNSL_ISQ_E10value_typeET4_T5_PSV_SW_PNS1_23onesweep_lookback_stateEbbT6_jjT7_P12ihipStream_tbENKUlT_T0_SK_SP_E_clISE_SE_SF_SF_EEDaS13_S14_SK_SP_EUlS13_E_NS1_11comp_targetILNS1_3genE6ELNS1_11target_archE950ELNS1_3gpuE13ELNS1_3repE0EEENS1_47radix_sort_onesweep_sort_config_static_selectorELNS0_4arch9wavefront6targetE0EEEvSK_, .Lfunc_end187-_ZN7rocprim17ROCPRIM_400000_NS6detail17trampoline_kernelINS0_14default_configENS1_35radix_sort_onesweep_config_selectorIiNS0_10empty_typeEEEZZNS1_29radix_sort_onesweep_iterationIS3_Lb0EN6thrust23THRUST_200600_302600_NS6detail15normal_iteratorINS9_10device_ptrIiEEEESE_PS5_SF_jNS0_19identity_decomposerENS1_16block_id_wrapperIjLb0EEEEE10hipError_tT1_PNSt15iterator_traitsISK_E10value_typeET2_T3_PNSL_ISQ_E10value_typeET4_T5_PSV_SW_PNS1_23onesweep_lookback_stateEbbT6_jjT7_P12ihipStream_tbENKUlT_T0_SK_SP_E_clISE_SE_SF_SF_EEDaS13_S14_SK_SP_EUlS13_E_NS1_11comp_targetILNS1_3genE6ELNS1_11target_archE950ELNS1_3gpuE13ELNS1_3repE0EEENS1_47radix_sort_onesweep_sort_config_static_selectorELNS0_4arch9wavefront6targetE0EEEvSK_
                                        ; -- End function
	.set _ZN7rocprim17ROCPRIM_400000_NS6detail17trampoline_kernelINS0_14default_configENS1_35radix_sort_onesweep_config_selectorIiNS0_10empty_typeEEEZZNS1_29radix_sort_onesweep_iterationIS3_Lb0EN6thrust23THRUST_200600_302600_NS6detail15normal_iteratorINS9_10device_ptrIiEEEESE_PS5_SF_jNS0_19identity_decomposerENS1_16block_id_wrapperIjLb0EEEEE10hipError_tT1_PNSt15iterator_traitsISK_E10value_typeET2_T3_PNSL_ISQ_E10value_typeET4_T5_PSV_SW_PNS1_23onesweep_lookback_stateEbbT6_jjT7_P12ihipStream_tbENKUlT_T0_SK_SP_E_clISE_SE_SF_SF_EEDaS13_S14_SK_SP_EUlS13_E_NS1_11comp_targetILNS1_3genE6ELNS1_11target_archE950ELNS1_3gpuE13ELNS1_3repE0EEENS1_47radix_sort_onesweep_sort_config_static_selectorELNS0_4arch9wavefront6targetE0EEEvSK_.num_vgpr, 0
	.set _ZN7rocprim17ROCPRIM_400000_NS6detail17trampoline_kernelINS0_14default_configENS1_35radix_sort_onesweep_config_selectorIiNS0_10empty_typeEEEZZNS1_29radix_sort_onesweep_iterationIS3_Lb0EN6thrust23THRUST_200600_302600_NS6detail15normal_iteratorINS9_10device_ptrIiEEEESE_PS5_SF_jNS0_19identity_decomposerENS1_16block_id_wrapperIjLb0EEEEE10hipError_tT1_PNSt15iterator_traitsISK_E10value_typeET2_T3_PNSL_ISQ_E10value_typeET4_T5_PSV_SW_PNS1_23onesweep_lookback_stateEbbT6_jjT7_P12ihipStream_tbENKUlT_T0_SK_SP_E_clISE_SE_SF_SF_EEDaS13_S14_SK_SP_EUlS13_E_NS1_11comp_targetILNS1_3genE6ELNS1_11target_archE950ELNS1_3gpuE13ELNS1_3repE0EEENS1_47radix_sort_onesweep_sort_config_static_selectorELNS0_4arch9wavefront6targetE0EEEvSK_.num_agpr, 0
	.set _ZN7rocprim17ROCPRIM_400000_NS6detail17trampoline_kernelINS0_14default_configENS1_35radix_sort_onesweep_config_selectorIiNS0_10empty_typeEEEZZNS1_29radix_sort_onesweep_iterationIS3_Lb0EN6thrust23THRUST_200600_302600_NS6detail15normal_iteratorINS9_10device_ptrIiEEEESE_PS5_SF_jNS0_19identity_decomposerENS1_16block_id_wrapperIjLb0EEEEE10hipError_tT1_PNSt15iterator_traitsISK_E10value_typeET2_T3_PNSL_ISQ_E10value_typeET4_T5_PSV_SW_PNS1_23onesweep_lookback_stateEbbT6_jjT7_P12ihipStream_tbENKUlT_T0_SK_SP_E_clISE_SE_SF_SF_EEDaS13_S14_SK_SP_EUlS13_E_NS1_11comp_targetILNS1_3genE6ELNS1_11target_archE950ELNS1_3gpuE13ELNS1_3repE0EEENS1_47radix_sort_onesweep_sort_config_static_selectorELNS0_4arch9wavefront6targetE0EEEvSK_.numbered_sgpr, 0
	.set _ZN7rocprim17ROCPRIM_400000_NS6detail17trampoline_kernelINS0_14default_configENS1_35radix_sort_onesweep_config_selectorIiNS0_10empty_typeEEEZZNS1_29radix_sort_onesweep_iterationIS3_Lb0EN6thrust23THRUST_200600_302600_NS6detail15normal_iteratorINS9_10device_ptrIiEEEESE_PS5_SF_jNS0_19identity_decomposerENS1_16block_id_wrapperIjLb0EEEEE10hipError_tT1_PNSt15iterator_traitsISK_E10value_typeET2_T3_PNSL_ISQ_E10value_typeET4_T5_PSV_SW_PNS1_23onesweep_lookback_stateEbbT6_jjT7_P12ihipStream_tbENKUlT_T0_SK_SP_E_clISE_SE_SF_SF_EEDaS13_S14_SK_SP_EUlS13_E_NS1_11comp_targetILNS1_3genE6ELNS1_11target_archE950ELNS1_3gpuE13ELNS1_3repE0EEENS1_47radix_sort_onesweep_sort_config_static_selectorELNS0_4arch9wavefront6targetE0EEEvSK_.num_named_barrier, 0
	.set _ZN7rocprim17ROCPRIM_400000_NS6detail17trampoline_kernelINS0_14default_configENS1_35radix_sort_onesweep_config_selectorIiNS0_10empty_typeEEEZZNS1_29radix_sort_onesweep_iterationIS3_Lb0EN6thrust23THRUST_200600_302600_NS6detail15normal_iteratorINS9_10device_ptrIiEEEESE_PS5_SF_jNS0_19identity_decomposerENS1_16block_id_wrapperIjLb0EEEEE10hipError_tT1_PNSt15iterator_traitsISK_E10value_typeET2_T3_PNSL_ISQ_E10value_typeET4_T5_PSV_SW_PNS1_23onesweep_lookback_stateEbbT6_jjT7_P12ihipStream_tbENKUlT_T0_SK_SP_E_clISE_SE_SF_SF_EEDaS13_S14_SK_SP_EUlS13_E_NS1_11comp_targetILNS1_3genE6ELNS1_11target_archE950ELNS1_3gpuE13ELNS1_3repE0EEENS1_47radix_sort_onesweep_sort_config_static_selectorELNS0_4arch9wavefront6targetE0EEEvSK_.private_seg_size, 0
	.set _ZN7rocprim17ROCPRIM_400000_NS6detail17trampoline_kernelINS0_14default_configENS1_35radix_sort_onesweep_config_selectorIiNS0_10empty_typeEEEZZNS1_29radix_sort_onesweep_iterationIS3_Lb0EN6thrust23THRUST_200600_302600_NS6detail15normal_iteratorINS9_10device_ptrIiEEEESE_PS5_SF_jNS0_19identity_decomposerENS1_16block_id_wrapperIjLb0EEEEE10hipError_tT1_PNSt15iterator_traitsISK_E10value_typeET2_T3_PNSL_ISQ_E10value_typeET4_T5_PSV_SW_PNS1_23onesweep_lookback_stateEbbT6_jjT7_P12ihipStream_tbENKUlT_T0_SK_SP_E_clISE_SE_SF_SF_EEDaS13_S14_SK_SP_EUlS13_E_NS1_11comp_targetILNS1_3genE6ELNS1_11target_archE950ELNS1_3gpuE13ELNS1_3repE0EEENS1_47radix_sort_onesweep_sort_config_static_selectorELNS0_4arch9wavefront6targetE0EEEvSK_.uses_vcc, 0
	.set _ZN7rocprim17ROCPRIM_400000_NS6detail17trampoline_kernelINS0_14default_configENS1_35radix_sort_onesweep_config_selectorIiNS0_10empty_typeEEEZZNS1_29radix_sort_onesweep_iterationIS3_Lb0EN6thrust23THRUST_200600_302600_NS6detail15normal_iteratorINS9_10device_ptrIiEEEESE_PS5_SF_jNS0_19identity_decomposerENS1_16block_id_wrapperIjLb0EEEEE10hipError_tT1_PNSt15iterator_traitsISK_E10value_typeET2_T3_PNSL_ISQ_E10value_typeET4_T5_PSV_SW_PNS1_23onesweep_lookback_stateEbbT6_jjT7_P12ihipStream_tbENKUlT_T0_SK_SP_E_clISE_SE_SF_SF_EEDaS13_S14_SK_SP_EUlS13_E_NS1_11comp_targetILNS1_3genE6ELNS1_11target_archE950ELNS1_3gpuE13ELNS1_3repE0EEENS1_47radix_sort_onesweep_sort_config_static_selectorELNS0_4arch9wavefront6targetE0EEEvSK_.uses_flat_scratch, 0
	.set _ZN7rocprim17ROCPRIM_400000_NS6detail17trampoline_kernelINS0_14default_configENS1_35radix_sort_onesweep_config_selectorIiNS0_10empty_typeEEEZZNS1_29radix_sort_onesweep_iterationIS3_Lb0EN6thrust23THRUST_200600_302600_NS6detail15normal_iteratorINS9_10device_ptrIiEEEESE_PS5_SF_jNS0_19identity_decomposerENS1_16block_id_wrapperIjLb0EEEEE10hipError_tT1_PNSt15iterator_traitsISK_E10value_typeET2_T3_PNSL_ISQ_E10value_typeET4_T5_PSV_SW_PNS1_23onesweep_lookback_stateEbbT6_jjT7_P12ihipStream_tbENKUlT_T0_SK_SP_E_clISE_SE_SF_SF_EEDaS13_S14_SK_SP_EUlS13_E_NS1_11comp_targetILNS1_3genE6ELNS1_11target_archE950ELNS1_3gpuE13ELNS1_3repE0EEENS1_47radix_sort_onesweep_sort_config_static_selectorELNS0_4arch9wavefront6targetE0EEEvSK_.has_dyn_sized_stack, 0
	.set _ZN7rocprim17ROCPRIM_400000_NS6detail17trampoline_kernelINS0_14default_configENS1_35radix_sort_onesweep_config_selectorIiNS0_10empty_typeEEEZZNS1_29radix_sort_onesweep_iterationIS3_Lb0EN6thrust23THRUST_200600_302600_NS6detail15normal_iteratorINS9_10device_ptrIiEEEESE_PS5_SF_jNS0_19identity_decomposerENS1_16block_id_wrapperIjLb0EEEEE10hipError_tT1_PNSt15iterator_traitsISK_E10value_typeET2_T3_PNSL_ISQ_E10value_typeET4_T5_PSV_SW_PNS1_23onesweep_lookback_stateEbbT6_jjT7_P12ihipStream_tbENKUlT_T0_SK_SP_E_clISE_SE_SF_SF_EEDaS13_S14_SK_SP_EUlS13_E_NS1_11comp_targetILNS1_3genE6ELNS1_11target_archE950ELNS1_3gpuE13ELNS1_3repE0EEENS1_47radix_sort_onesweep_sort_config_static_selectorELNS0_4arch9wavefront6targetE0EEEvSK_.has_recursion, 0
	.set _ZN7rocprim17ROCPRIM_400000_NS6detail17trampoline_kernelINS0_14default_configENS1_35radix_sort_onesweep_config_selectorIiNS0_10empty_typeEEEZZNS1_29radix_sort_onesweep_iterationIS3_Lb0EN6thrust23THRUST_200600_302600_NS6detail15normal_iteratorINS9_10device_ptrIiEEEESE_PS5_SF_jNS0_19identity_decomposerENS1_16block_id_wrapperIjLb0EEEEE10hipError_tT1_PNSt15iterator_traitsISK_E10value_typeET2_T3_PNSL_ISQ_E10value_typeET4_T5_PSV_SW_PNS1_23onesweep_lookback_stateEbbT6_jjT7_P12ihipStream_tbENKUlT_T0_SK_SP_E_clISE_SE_SF_SF_EEDaS13_S14_SK_SP_EUlS13_E_NS1_11comp_targetILNS1_3genE6ELNS1_11target_archE950ELNS1_3gpuE13ELNS1_3repE0EEENS1_47radix_sort_onesweep_sort_config_static_selectorELNS0_4arch9wavefront6targetE0EEEvSK_.has_indirect_call, 0
	.section	.AMDGPU.csdata,"",@progbits
; Kernel info:
; codeLenInByte = 0
; TotalNumSgprs: 0
; NumVgprs: 0
; ScratchSize: 0
; MemoryBound: 0
; FloatMode: 240
; IeeeMode: 1
; LDSByteSize: 0 bytes/workgroup (compile time only)
; SGPRBlocks: 0
; VGPRBlocks: 0
; NumSGPRsForWavesPerEU: 1
; NumVGPRsForWavesPerEU: 1
; Occupancy: 16
; WaveLimiterHint : 0
; COMPUTE_PGM_RSRC2:SCRATCH_EN: 0
; COMPUTE_PGM_RSRC2:USER_SGPR: 6
; COMPUTE_PGM_RSRC2:TRAP_HANDLER: 0
; COMPUTE_PGM_RSRC2:TGID_X_EN: 1
; COMPUTE_PGM_RSRC2:TGID_Y_EN: 0
; COMPUTE_PGM_RSRC2:TGID_Z_EN: 0
; COMPUTE_PGM_RSRC2:TIDIG_COMP_CNT: 0
	.section	.text._ZN7rocprim17ROCPRIM_400000_NS6detail17trampoline_kernelINS0_14default_configENS1_35radix_sort_onesweep_config_selectorIiNS0_10empty_typeEEEZZNS1_29radix_sort_onesweep_iterationIS3_Lb0EN6thrust23THRUST_200600_302600_NS6detail15normal_iteratorINS9_10device_ptrIiEEEESE_PS5_SF_jNS0_19identity_decomposerENS1_16block_id_wrapperIjLb0EEEEE10hipError_tT1_PNSt15iterator_traitsISK_E10value_typeET2_T3_PNSL_ISQ_E10value_typeET4_T5_PSV_SW_PNS1_23onesweep_lookback_stateEbbT6_jjT7_P12ihipStream_tbENKUlT_T0_SK_SP_E_clISE_SE_SF_SF_EEDaS13_S14_SK_SP_EUlS13_E_NS1_11comp_targetILNS1_3genE5ELNS1_11target_archE942ELNS1_3gpuE9ELNS1_3repE0EEENS1_47radix_sort_onesweep_sort_config_static_selectorELNS0_4arch9wavefront6targetE0EEEvSK_,"axG",@progbits,_ZN7rocprim17ROCPRIM_400000_NS6detail17trampoline_kernelINS0_14default_configENS1_35radix_sort_onesweep_config_selectorIiNS0_10empty_typeEEEZZNS1_29radix_sort_onesweep_iterationIS3_Lb0EN6thrust23THRUST_200600_302600_NS6detail15normal_iteratorINS9_10device_ptrIiEEEESE_PS5_SF_jNS0_19identity_decomposerENS1_16block_id_wrapperIjLb0EEEEE10hipError_tT1_PNSt15iterator_traitsISK_E10value_typeET2_T3_PNSL_ISQ_E10value_typeET4_T5_PSV_SW_PNS1_23onesweep_lookback_stateEbbT6_jjT7_P12ihipStream_tbENKUlT_T0_SK_SP_E_clISE_SE_SF_SF_EEDaS13_S14_SK_SP_EUlS13_E_NS1_11comp_targetILNS1_3genE5ELNS1_11target_archE942ELNS1_3gpuE9ELNS1_3repE0EEENS1_47radix_sort_onesweep_sort_config_static_selectorELNS0_4arch9wavefront6targetE0EEEvSK_,comdat
	.protected	_ZN7rocprim17ROCPRIM_400000_NS6detail17trampoline_kernelINS0_14default_configENS1_35radix_sort_onesweep_config_selectorIiNS0_10empty_typeEEEZZNS1_29radix_sort_onesweep_iterationIS3_Lb0EN6thrust23THRUST_200600_302600_NS6detail15normal_iteratorINS9_10device_ptrIiEEEESE_PS5_SF_jNS0_19identity_decomposerENS1_16block_id_wrapperIjLb0EEEEE10hipError_tT1_PNSt15iterator_traitsISK_E10value_typeET2_T3_PNSL_ISQ_E10value_typeET4_T5_PSV_SW_PNS1_23onesweep_lookback_stateEbbT6_jjT7_P12ihipStream_tbENKUlT_T0_SK_SP_E_clISE_SE_SF_SF_EEDaS13_S14_SK_SP_EUlS13_E_NS1_11comp_targetILNS1_3genE5ELNS1_11target_archE942ELNS1_3gpuE9ELNS1_3repE0EEENS1_47radix_sort_onesweep_sort_config_static_selectorELNS0_4arch9wavefront6targetE0EEEvSK_ ; -- Begin function _ZN7rocprim17ROCPRIM_400000_NS6detail17trampoline_kernelINS0_14default_configENS1_35radix_sort_onesweep_config_selectorIiNS0_10empty_typeEEEZZNS1_29radix_sort_onesweep_iterationIS3_Lb0EN6thrust23THRUST_200600_302600_NS6detail15normal_iteratorINS9_10device_ptrIiEEEESE_PS5_SF_jNS0_19identity_decomposerENS1_16block_id_wrapperIjLb0EEEEE10hipError_tT1_PNSt15iterator_traitsISK_E10value_typeET2_T3_PNSL_ISQ_E10value_typeET4_T5_PSV_SW_PNS1_23onesweep_lookback_stateEbbT6_jjT7_P12ihipStream_tbENKUlT_T0_SK_SP_E_clISE_SE_SF_SF_EEDaS13_S14_SK_SP_EUlS13_E_NS1_11comp_targetILNS1_3genE5ELNS1_11target_archE942ELNS1_3gpuE9ELNS1_3repE0EEENS1_47radix_sort_onesweep_sort_config_static_selectorELNS0_4arch9wavefront6targetE0EEEvSK_
	.globl	_ZN7rocprim17ROCPRIM_400000_NS6detail17trampoline_kernelINS0_14default_configENS1_35radix_sort_onesweep_config_selectorIiNS0_10empty_typeEEEZZNS1_29radix_sort_onesweep_iterationIS3_Lb0EN6thrust23THRUST_200600_302600_NS6detail15normal_iteratorINS9_10device_ptrIiEEEESE_PS5_SF_jNS0_19identity_decomposerENS1_16block_id_wrapperIjLb0EEEEE10hipError_tT1_PNSt15iterator_traitsISK_E10value_typeET2_T3_PNSL_ISQ_E10value_typeET4_T5_PSV_SW_PNS1_23onesweep_lookback_stateEbbT6_jjT7_P12ihipStream_tbENKUlT_T0_SK_SP_E_clISE_SE_SF_SF_EEDaS13_S14_SK_SP_EUlS13_E_NS1_11comp_targetILNS1_3genE5ELNS1_11target_archE942ELNS1_3gpuE9ELNS1_3repE0EEENS1_47radix_sort_onesweep_sort_config_static_selectorELNS0_4arch9wavefront6targetE0EEEvSK_
	.p2align	8
	.type	_ZN7rocprim17ROCPRIM_400000_NS6detail17trampoline_kernelINS0_14default_configENS1_35radix_sort_onesweep_config_selectorIiNS0_10empty_typeEEEZZNS1_29radix_sort_onesweep_iterationIS3_Lb0EN6thrust23THRUST_200600_302600_NS6detail15normal_iteratorINS9_10device_ptrIiEEEESE_PS5_SF_jNS0_19identity_decomposerENS1_16block_id_wrapperIjLb0EEEEE10hipError_tT1_PNSt15iterator_traitsISK_E10value_typeET2_T3_PNSL_ISQ_E10value_typeET4_T5_PSV_SW_PNS1_23onesweep_lookback_stateEbbT6_jjT7_P12ihipStream_tbENKUlT_T0_SK_SP_E_clISE_SE_SF_SF_EEDaS13_S14_SK_SP_EUlS13_E_NS1_11comp_targetILNS1_3genE5ELNS1_11target_archE942ELNS1_3gpuE9ELNS1_3repE0EEENS1_47radix_sort_onesweep_sort_config_static_selectorELNS0_4arch9wavefront6targetE0EEEvSK_,@function
_ZN7rocprim17ROCPRIM_400000_NS6detail17trampoline_kernelINS0_14default_configENS1_35radix_sort_onesweep_config_selectorIiNS0_10empty_typeEEEZZNS1_29radix_sort_onesweep_iterationIS3_Lb0EN6thrust23THRUST_200600_302600_NS6detail15normal_iteratorINS9_10device_ptrIiEEEESE_PS5_SF_jNS0_19identity_decomposerENS1_16block_id_wrapperIjLb0EEEEE10hipError_tT1_PNSt15iterator_traitsISK_E10value_typeET2_T3_PNSL_ISQ_E10value_typeET4_T5_PSV_SW_PNS1_23onesweep_lookback_stateEbbT6_jjT7_P12ihipStream_tbENKUlT_T0_SK_SP_E_clISE_SE_SF_SF_EEDaS13_S14_SK_SP_EUlS13_E_NS1_11comp_targetILNS1_3genE5ELNS1_11target_archE942ELNS1_3gpuE9ELNS1_3repE0EEENS1_47radix_sort_onesweep_sort_config_static_selectorELNS0_4arch9wavefront6targetE0EEEvSK_: ; @_ZN7rocprim17ROCPRIM_400000_NS6detail17trampoline_kernelINS0_14default_configENS1_35radix_sort_onesweep_config_selectorIiNS0_10empty_typeEEEZZNS1_29radix_sort_onesweep_iterationIS3_Lb0EN6thrust23THRUST_200600_302600_NS6detail15normal_iteratorINS9_10device_ptrIiEEEESE_PS5_SF_jNS0_19identity_decomposerENS1_16block_id_wrapperIjLb0EEEEE10hipError_tT1_PNSt15iterator_traitsISK_E10value_typeET2_T3_PNSL_ISQ_E10value_typeET4_T5_PSV_SW_PNS1_23onesweep_lookback_stateEbbT6_jjT7_P12ihipStream_tbENKUlT_T0_SK_SP_E_clISE_SE_SF_SF_EEDaS13_S14_SK_SP_EUlS13_E_NS1_11comp_targetILNS1_3genE5ELNS1_11target_archE942ELNS1_3gpuE9ELNS1_3repE0EEENS1_47radix_sort_onesweep_sort_config_static_selectorELNS0_4arch9wavefront6targetE0EEEvSK_
; %bb.0:
	.section	.rodata,"a",@progbits
	.p2align	6, 0x0
	.amdhsa_kernel _ZN7rocprim17ROCPRIM_400000_NS6detail17trampoline_kernelINS0_14default_configENS1_35radix_sort_onesweep_config_selectorIiNS0_10empty_typeEEEZZNS1_29radix_sort_onesweep_iterationIS3_Lb0EN6thrust23THRUST_200600_302600_NS6detail15normal_iteratorINS9_10device_ptrIiEEEESE_PS5_SF_jNS0_19identity_decomposerENS1_16block_id_wrapperIjLb0EEEEE10hipError_tT1_PNSt15iterator_traitsISK_E10value_typeET2_T3_PNSL_ISQ_E10value_typeET4_T5_PSV_SW_PNS1_23onesweep_lookback_stateEbbT6_jjT7_P12ihipStream_tbENKUlT_T0_SK_SP_E_clISE_SE_SF_SF_EEDaS13_S14_SK_SP_EUlS13_E_NS1_11comp_targetILNS1_3genE5ELNS1_11target_archE942ELNS1_3gpuE9ELNS1_3repE0EEENS1_47radix_sort_onesweep_sort_config_static_selectorELNS0_4arch9wavefront6targetE0EEEvSK_
		.amdhsa_group_segment_fixed_size 0
		.amdhsa_private_segment_fixed_size 0
		.amdhsa_kernarg_size 88
		.amdhsa_user_sgpr_count 6
		.amdhsa_user_sgpr_private_segment_buffer 1
		.amdhsa_user_sgpr_dispatch_ptr 0
		.amdhsa_user_sgpr_queue_ptr 0
		.amdhsa_user_sgpr_kernarg_segment_ptr 1
		.amdhsa_user_sgpr_dispatch_id 0
		.amdhsa_user_sgpr_flat_scratch_init 0
		.amdhsa_user_sgpr_private_segment_size 0
		.amdhsa_wavefront_size32 1
		.amdhsa_uses_dynamic_stack 0
		.amdhsa_system_sgpr_private_segment_wavefront_offset 0
		.amdhsa_system_sgpr_workgroup_id_x 1
		.amdhsa_system_sgpr_workgroup_id_y 0
		.amdhsa_system_sgpr_workgroup_id_z 0
		.amdhsa_system_sgpr_workgroup_info 0
		.amdhsa_system_vgpr_workitem_id 0
		.amdhsa_next_free_vgpr 1
		.amdhsa_next_free_sgpr 1
		.amdhsa_reserve_vcc 0
		.amdhsa_reserve_flat_scratch 0
		.amdhsa_float_round_mode_32 0
		.amdhsa_float_round_mode_16_64 0
		.amdhsa_float_denorm_mode_32 3
		.amdhsa_float_denorm_mode_16_64 3
		.amdhsa_dx10_clamp 1
		.amdhsa_ieee_mode 1
		.amdhsa_fp16_overflow 0
		.amdhsa_workgroup_processor_mode 1
		.amdhsa_memory_ordered 1
		.amdhsa_forward_progress 1
		.amdhsa_shared_vgpr_count 0
		.amdhsa_exception_fp_ieee_invalid_op 0
		.amdhsa_exception_fp_denorm_src 0
		.amdhsa_exception_fp_ieee_div_zero 0
		.amdhsa_exception_fp_ieee_overflow 0
		.amdhsa_exception_fp_ieee_underflow 0
		.amdhsa_exception_fp_ieee_inexact 0
		.amdhsa_exception_int_div_zero 0
	.end_amdhsa_kernel
	.section	.text._ZN7rocprim17ROCPRIM_400000_NS6detail17trampoline_kernelINS0_14default_configENS1_35radix_sort_onesweep_config_selectorIiNS0_10empty_typeEEEZZNS1_29radix_sort_onesweep_iterationIS3_Lb0EN6thrust23THRUST_200600_302600_NS6detail15normal_iteratorINS9_10device_ptrIiEEEESE_PS5_SF_jNS0_19identity_decomposerENS1_16block_id_wrapperIjLb0EEEEE10hipError_tT1_PNSt15iterator_traitsISK_E10value_typeET2_T3_PNSL_ISQ_E10value_typeET4_T5_PSV_SW_PNS1_23onesweep_lookback_stateEbbT6_jjT7_P12ihipStream_tbENKUlT_T0_SK_SP_E_clISE_SE_SF_SF_EEDaS13_S14_SK_SP_EUlS13_E_NS1_11comp_targetILNS1_3genE5ELNS1_11target_archE942ELNS1_3gpuE9ELNS1_3repE0EEENS1_47radix_sort_onesweep_sort_config_static_selectorELNS0_4arch9wavefront6targetE0EEEvSK_,"axG",@progbits,_ZN7rocprim17ROCPRIM_400000_NS6detail17trampoline_kernelINS0_14default_configENS1_35radix_sort_onesweep_config_selectorIiNS0_10empty_typeEEEZZNS1_29radix_sort_onesweep_iterationIS3_Lb0EN6thrust23THRUST_200600_302600_NS6detail15normal_iteratorINS9_10device_ptrIiEEEESE_PS5_SF_jNS0_19identity_decomposerENS1_16block_id_wrapperIjLb0EEEEE10hipError_tT1_PNSt15iterator_traitsISK_E10value_typeET2_T3_PNSL_ISQ_E10value_typeET4_T5_PSV_SW_PNS1_23onesweep_lookback_stateEbbT6_jjT7_P12ihipStream_tbENKUlT_T0_SK_SP_E_clISE_SE_SF_SF_EEDaS13_S14_SK_SP_EUlS13_E_NS1_11comp_targetILNS1_3genE5ELNS1_11target_archE942ELNS1_3gpuE9ELNS1_3repE0EEENS1_47radix_sort_onesweep_sort_config_static_selectorELNS0_4arch9wavefront6targetE0EEEvSK_,comdat
.Lfunc_end188:
	.size	_ZN7rocprim17ROCPRIM_400000_NS6detail17trampoline_kernelINS0_14default_configENS1_35radix_sort_onesweep_config_selectorIiNS0_10empty_typeEEEZZNS1_29radix_sort_onesweep_iterationIS3_Lb0EN6thrust23THRUST_200600_302600_NS6detail15normal_iteratorINS9_10device_ptrIiEEEESE_PS5_SF_jNS0_19identity_decomposerENS1_16block_id_wrapperIjLb0EEEEE10hipError_tT1_PNSt15iterator_traitsISK_E10value_typeET2_T3_PNSL_ISQ_E10value_typeET4_T5_PSV_SW_PNS1_23onesweep_lookback_stateEbbT6_jjT7_P12ihipStream_tbENKUlT_T0_SK_SP_E_clISE_SE_SF_SF_EEDaS13_S14_SK_SP_EUlS13_E_NS1_11comp_targetILNS1_3genE5ELNS1_11target_archE942ELNS1_3gpuE9ELNS1_3repE0EEENS1_47radix_sort_onesweep_sort_config_static_selectorELNS0_4arch9wavefront6targetE0EEEvSK_, .Lfunc_end188-_ZN7rocprim17ROCPRIM_400000_NS6detail17trampoline_kernelINS0_14default_configENS1_35radix_sort_onesweep_config_selectorIiNS0_10empty_typeEEEZZNS1_29radix_sort_onesweep_iterationIS3_Lb0EN6thrust23THRUST_200600_302600_NS6detail15normal_iteratorINS9_10device_ptrIiEEEESE_PS5_SF_jNS0_19identity_decomposerENS1_16block_id_wrapperIjLb0EEEEE10hipError_tT1_PNSt15iterator_traitsISK_E10value_typeET2_T3_PNSL_ISQ_E10value_typeET4_T5_PSV_SW_PNS1_23onesweep_lookback_stateEbbT6_jjT7_P12ihipStream_tbENKUlT_T0_SK_SP_E_clISE_SE_SF_SF_EEDaS13_S14_SK_SP_EUlS13_E_NS1_11comp_targetILNS1_3genE5ELNS1_11target_archE942ELNS1_3gpuE9ELNS1_3repE0EEENS1_47radix_sort_onesweep_sort_config_static_selectorELNS0_4arch9wavefront6targetE0EEEvSK_
                                        ; -- End function
	.set _ZN7rocprim17ROCPRIM_400000_NS6detail17trampoline_kernelINS0_14default_configENS1_35radix_sort_onesweep_config_selectorIiNS0_10empty_typeEEEZZNS1_29radix_sort_onesweep_iterationIS3_Lb0EN6thrust23THRUST_200600_302600_NS6detail15normal_iteratorINS9_10device_ptrIiEEEESE_PS5_SF_jNS0_19identity_decomposerENS1_16block_id_wrapperIjLb0EEEEE10hipError_tT1_PNSt15iterator_traitsISK_E10value_typeET2_T3_PNSL_ISQ_E10value_typeET4_T5_PSV_SW_PNS1_23onesweep_lookback_stateEbbT6_jjT7_P12ihipStream_tbENKUlT_T0_SK_SP_E_clISE_SE_SF_SF_EEDaS13_S14_SK_SP_EUlS13_E_NS1_11comp_targetILNS1_3genE5ELNS1_11target_archE942ELNS1_3gpuE9ELNS1_3repE0EEENS1_47radix_sort_onesweep_sort_config_static_selectorELNS0_4arch9wavefront6targetE0EEEvSK_.num_vgpr, 0
	.set _ZN7rocprim17ROCPRIM_400000_NS6detail17trampoline_kernelINS0_14default_configENS1_35radix_sort_onesweep_config_selectorIiNS0_10empty_typeEEEZZNS1_29radix_sort_onesweep_iterationIS3_Lb0EN6thrust23THRUST_200600_302600_NS6detail15normal_iteratorINS9_10device_ptrIiEEEESE_PS5_SF_jNS0_19identity_decomposerENS1_16block_id_wrapperIjLb0EEEEE10hipError_tT1_PNSt15iterator_traitsISK_E10value_typeET2_T3_PNSL_ISQ_E10value_typeET4_T5_PSV_SW_PNS1_23onesweep_lookback_stateEbbT6_jjT7_P12ihipStream_tbENKUlT_T0_SK_SP_E_clISE_SE_SF_SF_EEDaS13_S14_SK_SP_EUlS13_E_NS1_11comp_targetILNS1_3genE5ELNS1_11target_archE942ELNS1_3gpuE9ELNS1_3repE0EEENS1_47radix_sort_onesweep_sort_config_static_selectorELNS0_4arch9wavefront6targetE0EEEvSK_.num_agpr, 0
	.set _ZN7rocprim17ROCPRIM_400000_NS6detail17trampoline_kernelINS0_14default_configENS1_35radix_sort_onesweep_config_selectorIiNS0_10empty_typeEEEZZNS1_29radix_sort_onesweep_iterationIS3_Lb0EN6thrust23THRUST_200600_302600_NS6detail15normal_iteratorINS9_10device_ptrIiEEEESE_PS5_SF_jNS0_19identity_decomposerENS1_16block_id_wrapperIjLb0EEEEE10hipError_tT1_PNSt15iterator_traitsISK_E10value_typeET2_T3_PNSL_ISQ_E10value_typeET4_T5_PSV_SW_PNS1_23onesweep_lookback_stateEbbT6_jjT7_P12ihipStream_tbENKUlT_T0_SK_SP_E_clISE_SE_SF_SF_EEDaS13_S14_SK_SP_EUlS13_E_NS1_11comp_targetILNS1_3genE5ELNS1_11target_archE942ELNS1_3gpuE9ELNS1_3repE0EEENS1_47radix_sort_onesweep_sort_config_static_selectorELNS0_4arch9wavefront6targetE0EEEvSK_.numbered_sgpr, 0
	.set _ZN7rocprim17ROCPRIM_400000_NS6detail17trampoline_kernelINS0_14default_configENS1_35radix_sort_onesweep_config_selectorIiNS0_10empty_typeEEEZZNS1_29radix_sort_onesweep_iterationIS3_Lb0EN6thrust23THRUST_200600_302600_NS6detail15normal_iteratorINS9_10device_ptrIiEEEESE_PS5_SF_jNS0_19identity_decomposerENS1_16block_id_wrapperIjLb0EEEEE10hipError_tT1_PNSt15iterator_traitsISK_E10value_typeET2_T3_PNSL_ISQ_E10value_typeET4_T5_PSV_SW_PNS1_23onesweep_lookback_stateEbbT6_jjT7_P12ihipStream_tbENKUlT_T0_SK_SP_E_clISE_SE_SF_SF_EEDaS13_S14_SK_SP_EUlS13_E_NS1_11comp_targetILNS1_3genE5ELNS1_11target_archE942ELNS1_3gpuE9ELNS1_3repE0EEENS1_47radix_sort_onesweep_sort_config_static_selectorELNS0_4arch9wavefront6targetE0EEEvSK_.num_named_barrier, 0
	.set _ZN7rocprim17ROCPRIM_400000_NS6detail17trampoline_kernelINS0_14default_configENS1_35radix_sort_onesweep_config_selectorIiNS0_10empty_typeEEEZZNS1_29radix_sort_onesweep_iterationIS3_Lb0EN6thrust23THRUST_200600_302600_NS6detail15normal_iteratorINS9_10device_ptrIiEEEESE_PS5_SF_jNS0_19identity_decomposerENS1_16block_id_wrapperIjLb0EEEEE10hipError_tT1_PNSt15iterator_traitsISK_E10value_typeET2_T3_PNSL_ISQ_E10value_typeET4_T5_PSV_SW_PNS1_23onesweep_lookback_stateEbbT6_jjT7_P12ihipStream_tbENKUlT_T0_SK_SP_E_clISE_SE_SF_SF_EEDaS13_S14_SK_SP_EUlS13_E_NS1_11comp_targetILNS1_3genE5ELNS1_11target_archE942ELNS1_3gpuE9ELNS1_3repE0EEENS1_47radix_sort_onesweep_sort_config_static_selectorELNS0_4arch9wavefront6targetE0EEEvSK_.private_seg_size, 0
	.set _ZN7rocprim17ROCPRIM_400000_NS6detail17trampoline_kernelINS0_14default_configENS1_35radix_sort_onesweep_config_selectorIiNS0_10empty_typeEEEZZNS1_29radix_sort_onesweep_iterationIS3_Lb0EN6thrust23THRUST_200600_302600_NS6detail15normal_iteratorINS9_10device_ptrIiEEEESE_PS5_SF_jNS0_19identity_decomposerENS1_16block_id_wrapperIjLb0EEEEE10hipError_tT1_PNSt15iterator_traitsISK_E10value_typeET2_T3_PNSL_ISQ_E10value_typeET4_T5_PSV_SW_PNS1_23onesweep_lookback_stateEbbT6_jjT7_P12ihipStream_tbENKUlT_T0_SK_SP_E_clISE_SE_SF_SF_EEDaS13_S14_SK_SP_EUlS13_E_NS1_11comp_targetILNS1_3genE5ELNS1_11target_archE942ELNS1_3gpuE9ELNS1_3repE0EEENS1_47radix_sort_onesweep_sort_config_static_selectorELNS0_4arch9wavefront6targetE0EEEvSK_.uses_vcc, 0
	.set _ZN7rocprim17ROCPRIM_400000_NS6detail17trampoline_kernelINS0_14default_configENS1_35radix_sort_onesweep_config_selectorIiNS0_10empty_typeEEEZZNS1_29radix_sort_onesweep_iterationIS3_Lb0EN6thrust23THRUST_200600_302600_NS6detail15normal_iteratorINS9_10device_ptrIiEEEESE_PS5_SF_jNS0_19identity_decomposerENS1_16block_id_wrapperIjLb0EEEEE10hipError_tT1_PNSt15iterator_traitsISK_E10value_typeET2_T3_PNSL_ISQ_E10value_typeET4_T5_PSV_SW_PNS1_23onesweep_lookback_stateEbbT6_jjT7_P12ihipStream_tbENKUlT_T0_SK_SP_E_clISE_SE_SF_SF_EEDaS13_S14_SK_SP_EUlS13_E_NS1_11comp_targetILNS1_3genE5ELNS1_11target_archE942ELNS1_3gpuE9ELNS1_3repE0EEENS1_47radix_sort_onesweep_sort_config_static_selectorELNS0_4arch9wavefront6targetE0EEEvSK_.uses_flat_scratch, 0
	.set _ZN7rocprim17ROCPRIM_400000_NS6detail17trampoline_kernelINS0_14default_configENS1_35radix_sort_onesweep_config_selectorIiNS0_10empty_typeEEEZZNS1_29radix_sort_onesweep_iterationIS3_Lb0EN6thrust23THRUST_200600_302600_NS6detail15normal_iteratorINS9_10device_ptrIiEEEESE_PS5_SF_jNS0_19identity_decomposerENS1_16block_id_wrapperIjLb0EEEEE10hipError_tT1_PNSt15iterator_traitsISK_E10value_typeET2_T3_PNSL_ISQ_E10value_typeET4_T5_PSV_SW_PNS1_23onesweep_lookback_stateEbbT6_jjT7_P12ihipStream_tbENKUlT_T0_SK_SP_E_clISE_SE_SF_SF_EEDaS13_S14_SK_SP_EUlS13_E_NS1_11comp_targetILNS1_3genE5ELNS1_11target_archE942ELNS1_3gpuE9ELNS1_3repE0EEENS1_47radix_sort_onesweep_sort_config_static_selectorELNS0_4arch9wavefront6targetE0EEEvSK_.has_dyn_sized_stack, 0
	.set _ZN7rocprim17ROCPRIM_400000_NS6detail17trampoline_kernelINS0_14default_configENS1_35radix_sort_onesweep_config_selectorIiNS0_10empty_typeEEEZZNS1_29radix_sort_onesweep_iterationIS3_Lb0EN6thrust23THRUST_200600_302600_NS6detail15normal_iteratorINS9_10device_ptrIiEEEESE_PS5_SF_jNS0_19identity_decomposerENS1_16block_id_wrapperIjLb0EEEEE10hipError_tT1_PNSt15iterator_traitsISK_E10value_typeET2_T3_PNSL_ISQ_E10value_typeET4_T5_PSV_SW_PNS1_23onesweep_lookback_stateEbbT6_jjT7_P12ihipStream_tbENKUlT_T0_SK_SP_E_clISE_SE_SF_SF_EEDaS13_S14_SK_SP_EUlS13_E_NS1_11comp_targetILNS1_3genE5ELNS1_11target_archE942ELNS1_3gpuE9ELNS1_3repE0EEENS1_47radix_sort_onesweep_sort_config_static_selectorELNS0_4arch9wavefront6targetE0EEEvSK_.has_recursion, 0
	.set _ZN7rocprim17ROCPRIM_400000_NS6detail17trampoline_kernelINS0_14default_configENS1_35radix_sort_onesweep_config_selectorIiNS0_10empty_typeEEEZZNS1_29radix_sort_onesweep_iterationIS3_Lb0EN6thrust23THRUST_200600_302600_NS6detail15normal_iteratorINS9_10device_ptrIiEEEESE_PS5_SF_jNS0_19identity_decomposerENS1_16block_id_wrapperIjLb0EEEEE10hipError_tT1_PNSt15iterator_traitsISK_E10value_typeET2_T3_PNSL_ISQ_E10value_typeET4_T5_PSV_SW_PNS1_23onesweep_lookback_stateEbbT6_jjT7_P12ihipStream_tbENKUlT_T0_SK_SP_E_clISE_SE_SF_SF_EEDaS13_S14_SK_SP_EUlS13_E_NS1_11comp_targetILNS1_3genE5ELNS1_11target_archE942ELNS1_3gpuE9ELNS1_3repE0EEENS1_47radix_sort_onesweep_sort_config_static_selectorELNS0_4arch9wavefront6targetE0EEEvSK_.has_indirect_call, 0
	.section	.AMDGPU.csdata,"",@progbits
; Kernel info:
; codeLenInByte = 0
; TotalNumSgprs: 0
; NumVgprs: 0
; ScratchSize: 0
; MemoryBound: 0
; FloatMode: 240
; IeeeMode: 1
; LDSByteSize: 0 bytes/workgroup (compile time only)
; SGPRBlocks: 0
; VGPRBlocks: 0
; NumSGPRsForWavesPerEU: 1
; NumVGPRsForWavesPerEU: 1
; Occupancy: 16
; WaveLimiterHint : 0
; COMPUTE_PGM_RSRC2:SCRATCH_EN: 0
; COMPUTE_PGM_RSRC2:USER_SGPR: 6
; COMPUTE_PGM_RSRC2:TRAP_HANDLER: 0
; COMPUTE_PGM_RSRC2:TGID_X_EN: 1
; COMPUTE_PGM_RSRC2:TGID_Y_EN: 0
; COMPUTE_PGM_RSRC2:TGID_Z_EN: 0
; COMPUTE_PGM_RSRC2:TIDIG_COMP_CNT: 0
	.section	.text._ZN7rocprim17ROCPRIM_400000_NS6detail17trampoline_kernelINS0_14default_configENS1_35radix_sort_onesweep_config_selectorIiNS0_10empty_typeEEEZZNS1_29radix_sort_onesweep_iterationIS3_Lb0EN6thrust23THRUST_200600_302600_NS6detail15normal_iteratorINS9_10device_ptrIiEEEESE_PS5_SF_jNS0_19identity_decomposerENS1_16block_id_wrapperIjLb0EEEEE10hipError_tT1_PNSt15iterator_traitsISK_E10value_typeET2_T3_PNSL_ISQ_E10value_typeET4_T5_PSV_SW_PNS1_23onesweep_lookback_stateEbbT6_jjT7_P12ihipStream_tbENKUlT_T0_SK_SP_E_clISE_SE_SF_SF_EEDaS13_S14_SK_SP_EUlS13_E_NS1_11comp_targetILNS1_3genE2ELNS1_11target_archE906ELNS1_3gpuE6ELNS1_3repE0EEENS1_47radix_sort_onesweep_sort_config_static_selectorELNS0_4arch9wavefront6targetE0EEEvSK_,"axG",@progbits,_ZN7rocprim17ROCPRIM_400000_NS6detail17trampoline_kernelINS0_14default_configENS1_35radix_sort_onesweep_config_selectorIiNS0_10empty_typeEEEZZNS1_29radix_sort_onesweep_iterationIS3_Lb0EN6thrust23THRUST_200600_302600_NS6detail15normal_iteratorINS9_10device_ptrIiEEEESE_PS5_SF_jNS0_19identity_decomposerENS1_16block_id_wrapperIjLb0EEEEE10hipError_tT1_PNSt15iterator_traitsISK_E10value_typeET2_T3_PNSL_ISQ_E10value_typeET4_T5_PSV_SW_PNS1_23onesweep_lookback_stateEbbT6_jjT7_P12ihipStream_tbENKUlT_T0_SK_SP_E_clISE_SE_SF_SF_EEDaS13_S14_SK_SP_EUlS13_E_NS1_11comp_targetILNS1_3genE2ELNS1_11target_archE906ELNS1_3gpuE6ELNS1_3repE0EEENS1_47radix_sort_onesweep_sort_config_static_selectorELNS0_4arch9wavefront6targetE0EEEvSK_,comdat
	.protected	_ZN7rocprim17ROCPRIM_400000_NS6detail17trampoline_kernelINS0_14default_configENS1_35radix_sort_onesweep_config_selectorIiNS0_10empty_typeEEEZZNS1_29radix_sort_onesweep_iterationIS3_Lb0EN6thrust23THRUST_200600_302600_NS6detail15normal_iteratorINS9_10device_ptrIiEEEESE_PS5_SF_jNS0_19identity_decomposerENS1_16block_id_wrapperIjLb0EEEEE10hipError_tT1_PNSt15iterator_traitsISK_E10value_typeET2_T3_PNSL_ISQ_E10value_typeET4_T5_PSV_SW_PNS1_23onesweep_lookback_stateEbbT6_jjT7_P12ihipStream_tbENKUlT_T0_SK_SP_E_clISE_SE_SF_SF_EEDaS13_S14_SK_SP_EUlS13_E_NS1_11comp_targetILNS1_3genE2ELNS1_11target_archE906ELNS1_3gpuE6ELNS1_3repE0EEENS1_47radix_sort_onesweep_sort_config_static_selectorELNS0_4arch9wavefront6targetE0EEEvSK_ ; -- Begin function _ZN7rocprim17ROCPRIM_400000_NS6detail17trampoline_kernelINS0_14default_configENS1_35radix_sort_onesweep_config_selectorIiNS0_10empty_typeEEEZZNS1_29radix_sort_onesweep_iterationIS3_Lb0EN6thrust23THRUST_200600_302600_NS6detail15normal_iteratorINS9_10device_ptrIiEEEESE_PS5_SF_jNS0_19identity_decomposerENS1_16block_id_wrapperIjLb0EEEEE10hipError_tT1_PNSt15iterator_traitsISK_E10value_typeET2_T3_PNSL_ISQ_E10value_typeET4_T5_PSV_SW_PNS1_23onesweep_lookback_stateEbbT6_jjT7_P12ihipStream_tbENKUlT_T0_SK_SP_E_clISE_SE_SF_SF_EEDaS13_S14_SK_SP_EUlS13_E_NS1_11comp_targetILNS1_3genE2ELNS1_11target_archE906ELNS1_3gpuE6ELNS1_3repE0EEENS1_47radix_sort_onesweep_sort_config_static_selectorELNS0_4arch9wavefront6targetE0EEEvSK_
	.globl	_ZN7rocprim17ROCPRIM_400000_NS6detail17trampoline_kernelINS0_14default_configENS1_35radix_sort_onesweep_config_selectorIiNS0_10empty_typeEEEZZNS1_29radix_sort_onesweep_iterationIS3_Lb0EN6thrust23THRUST_200600_302600_NS6detail15normal_iteratorINS9_10device_ptrIiEEEESE_PS5_SF_jNS0_19identity_decomposerENS1_16block_id_wrapperIjLb0EEEEE10hipError_tT1_PNSt15iterator_traitsISK_E10value_typeET2_T3_PNSL_ISQ_E10value_typeET4_T5_PSV_SW_PNS1_23onesweep_lookback_stateEbbT6_jjT7_P12ihipStream_tbENKUlT_T0_SK_SP_E_clISE_SE_SF_SF_EEDaS13_S14_SK_SP_EUlS13_E_NS1_11comp_targetILNS1_3genE2ELNS1_11target_archE906ELNS1_3gpuE6ELNS1_3repE0EEENS1_47radix_sort_onesweep_sort_config_static_selectorELNS0_4arch9wavefront6targetE0EEEvSK_
	.p2align	8
	.type	_ZN7rocprim17ROCPRIM_400000_NS6detail17trampoline_kernelINS0_14default_configENS1_35radix_sort_onesweep_config_selectorIiNS0_10empty_typeEEEZZNS1_29radix_sort_onesweep_iterationIS3_Lb0EN6thrust23THRUST_200600_302600_NS6detail15normal_iteratorINS9_10device_ptrIiEEEESE_PS5_SF_jNS0_19identity_decomposerENS1_16block_id_wrapperIjLb0EEEEE10hipError_tT1_PNSt15iterator_traitsISK_E10value_typeET2_T3_PNSL_ISQ_E10value_typeET4_T5_PSV_SW_PNS1_23onesweep_lookback_stateEbbT6_jjT7_P12ihipStream_tbENKUlT_T0_SK_SP_E_clISE_SE_SF_SF_EEDaS13_S14_SK_SP_EUlS13_E_NS1_11comp_targetILNS1_3genE2ELNS1_11target_archE906ELNS1_3gpuE6ELNS1_3repE0EEENS1_47radix_sort_onesweep_sort_config_static_selectorELNS0_4arch9wavefront6targetE0EEEvSK_,@function
_ZN7rocprim17ROCPRIM_400000_NS6detail17trampoline_kernelINS0_14default_configENS1_35radix_sort_onesweep_config_selectorIiNS0_10empty_typeEEEZZNS1_29radix_sort_onesweep_iterationIS3_Lb0EN6thrust23THRUST_200600_302600_NS6detail15normal_iteratorINS9_10device_ptrIiEEEESE_PS5_SF_jNS0_19identity_decomposerENS1_16block_id_wrapperIjLb0EEEEE10hipError_tT1_PNSt15iterator_traitsISK_E10value_typeET2_T3_PNSL_ISQ_E10value_typeET4_T5_PSV_SW_PNS1_23onesweep_lookback_stateEbbT6_jjT7_P12ihipStream_tbENKUlT_T0_SK_SP_E_clISE_SE_SF_SF_EEDaS13_S14_SK_SP_EUlS13_E_NS1_11comp_targetILNS1_3genE2ELNS1_11target_archE906ELNS1_3gpuE6ELNS1_3repE0EEENS1_47radix_sort_onesweep_sort_config_static_selectorELNS0_4arch9wavefront6targetE0EEEvSK_: ; @_ZN7rocprim17ROCPRIM_400000_NS6detail17trampoline_kernelINS0_14default_configENS1_35radix_sort_onesweep_config_selectorIiNS0_10empty_typeEEEZZNS1_29radix_sort_onesweep_iterationIS3_Lb0EN6thrust23THRUST_200600_302600_NS6detail15normal_iteratorINS9_10device_ptrIiEEEESE_PS5_SF_jNS0_19identity_decomposerENS1_16block_id_wrapperIjLb0EEEEE10hipError_tT1_PNSt15iterator_traitsISK_E10value_typeET2_T3_PNSL_ISQ_E10value_typeET4_T5_PSV_SW_PNS1_23onesweep_lookback_stateEbbT6_jjT7_P12ihipStream_tbENKUlT_T0_SK_SP_E_clISE_SE_SF_SF_EEDaS13_S14_SK_SP_EUlS13_E_NS1_11comp_targetILNS1_3genE2ELNS1_11target_archE906ELNS1_3gpuE6ELNS1_3repE0EEENS1_47radix_sort_onesweep_sort_config_static_selectorELNS0_4arch9wavefront6targetE0EEEvSK_
; %bb.0:
	.section	.rodata,"a",@progbits
	.p2align	6, 0x0
	.amdhsa_kernel _ZN7rocprim17ROCPRIM_400000_NS6detail17trampoline_kernelINS0_14default_configENS1_35radix_sort_onesweep_config_selectorIiNS0_10empty_typeEEEZZNS1_29radix_sort_onesweep_iterationIS3_Lb0EN6thrust23THRUST_200600_302600_NS6detail15normal_iteratorINS9_10device_ptrIiEEEESE_PS5_SF_jNS0_19identity_decomposerENS1_16block_id_wrapperIjLb0EEEEE10hipError_tT1_PNSt15iterator_traitsISK_E10value_typeET2_T3_PNSL_ISQ_E10value_typeET4_T5_PSV_SW_PNS1_23onesweep_lookback_stateEbbT6_jjT7_P12ihipStream_tbENKUlT_T0_SK_SP_E_clISE_SE_SF_SF_EEDaS13_S14_SK_SP_EUlS13_E_NS1_11comp_targetILNS1_3genE2ELNS1_11target_archE906ELNS1_3gpuE6ELNS1_3repE0EEENS1_47radix_sort_onesweep_sort_config_static_selectorELNS0_4arch9wavefront6targetE0EEEvSK_
		.amdhsa_group_segment_fixed_size 0
		.amdhsa_private_segment_fixed_size 0
		.amdhsa_kernarg_size 88
		.amdhsa_user_sgpr_count 6
		.amdhsa_user_sgpr_private_segment_buffer 1
		.amdhsa_user_sgpr_dispatch_ptr 0
		.amdhsa_user_sgpr_queue_ptr 0
		.amdhsa_user_sgpr_kernarg_segment_ptr 1
		.amdhsa_user_sgpr_dispatch_id 0
		.amdhsa_user_sgpr_flat_scratch_init 0
		.amdhsa_user_sgpr_private_segment_size 0
		.amdhsa_wavefront_size32 1
		.amdhsa_uses_dynamic_stack 0
		.amdhsa_system_sgpr_private_segment_wavefront_offset 0
		.amdhsa_system_sgpr_workgroup_id_x 1
		.amdhsa_system_sgpr_workgroup_id_y 0
		.amdhsa_system_sgpr_workgroup_id_z 0
		.amdhsa_system_sgpr_workgroup_info 0
		.amdhsa_system_vgpr_workitem_id 0
		.amdhsa_next_free_vgpr 1
		.amdhsa_next_free_sgpr 1
		.amdhsa_reserve_vcc 0
		.amdhsa_reserve_flat_scratch 0
		.amdhsa_float_round_mode_32 0
		.amdhsa_float_round_mode_16_64 0
		.amdhsa_float_denorm_mode_32 3
		.amdhsa_float_denorm_mode_16_64 3
		.amdhsa_dx10_clamp 1
		.amdhsa_ieee_mode 1
		.amdhsa_fp16_overflow 0
		.amdhsa_workgroup_processor_mode 1
		.amdhsa_memory_ordered 1
		.amdhsa_forward_progress 1
		.amdhsa_shared_vgpr_count 0
		.amdhsa_exception_fp_ieee_invalid_op 0
		.amdhsa_exception_fp_denorm_src 0
		.amdhsa_exception_fp_ieee_div_zero 0
		.amdhsa_exception_fp_ieee_overflow 0
		.amdhsa_exception_fp_ieee_underflow 0
		.amdhsa_exception_fp_ieee_inexact 0
		.amdhsa_exception_int_div_zero 0
	.end_amdhsa_kernel
	.section	.text._ZN7rocprim17ROCPRIM_400000_NS6detail17trampoline_kernelINS0_14default_configENS1_35radix_sort_onesweep_config_selectorIiNS0_10empty_typeEEEZZNS1_29radix_sort_onesweep_iterationIS3_Lb0EN6thrust23THRUST_200600_302600_NS6detail15normal_iteratorINS9_10device_ptrIiEEEESE_PS5_SF_jNS0_19identity_decomposerENS1_16block_id_wrapperIjLb0EEEEE10hipError_tT1_PNSt15iterator_traitsISK_E10value_typeET2_T3_PNSL_ISQ_E10value_typeET4_T5_PSV_SW_PNS1_23onesweep_lookback_stateEbbT6_jjT7_P12ihipStream_tbENKUlT_T0_SK_SP_E_clISE_SE_SF_SF_EEDaS13_S14_SK_SP_EUlS13_E_NS1_11comp_targetILNS1_3genE2ELNS1_11target_archE906ELNS1_3gpuE6ELNS1_3repE0EEENS1_47radix_sort_onesweep_sort_config_static_selectorELNS0_4arch9wavefront6targetE0EEEvSK_,"axG",@progbits,_ZN7rocprim17ROCPRIM_400000_NS6detail17trampoline_kernelINS0_14default_configENS1_35radix_sort_onesweep_config_selectorIiNS0_10empty_typeEEEZZNS1_29radix_sort_onesweep_iterationIS3_Lb0EN6thrust23THRUST_200600_302600_NS6detail15normal_iteratorINS9_10device_ptrIiEEEESE_PS5_SF_jNS0_19identity_decomposerENS1_16block_id_wrapperIjLb0EEEEE10hipError_tT1_PNSt15iterator_traitsISK_E10value_typeET2_T3_PNSL_ISQ_E10value_typeET4_T5_PSV_SW_PNS1_23onesweep_lookback_stateEbbT6_jjT7_P12ihipStream_tbENKUlT_T0_SK_SP_E_clISE_SE_SF_SF_EEDaS13_S14_SK_SP_EUlS13_E_NS1_11comp_targetILNS1_3genE2ELNS1_11target_archE906ELNS1_3gpuE6ELNS1_3repE0EEENS1_47radix_sort_onesweep_sort_config_static_selectorELNS0_4arch9wavefront6targetE0EEEvSK_,comdat
.Lfunc_end189:
	.size	_ZN7rocprim17ROCPRIM_400000_NS6detail17trampoline_kernelINS0_14default_configENS1_35radix_sort_onesweep_config_selectorIiNS0_10empty_typeEEEZZNS1_29radix_sort_onesweep_iterationIS3_Lb0EN6thrust23THRUST_200600_302600_NS6detail15normal_iteratorINS9_10device_ptrIiEEEESE_PS5_SF_jNS0_19identity_decomposerENS1_16block_id_wrapperIjLb0EEEEE10hipError_tT1_PNSt15iterator_traitsISK_E10value_typeET2_T3_PNSL_ISQ_E10value_typeET4_T5_PSV_SW_PNS1_23onesweep_lookback_stateEbbT6_jjT7_P12ihipStream_tbENKUlT_T0_SK_SP_E_clISE_SE_SF_SF_EEDaS13_S14_SK_SP_EUlS13_E_NS1_11comp_targetILNS1_3genE2ELNS1_11target_archE906ELNS1_3gpuE6ELNS1_3repE0EEENS1_47radix_sort_onesweep_sort_config_static_selectorELNS0_4arch9wavefront6targetE0EEEvSK_, .Lfunc_end189-_ZN7rocprim17ROCPRIM_400000_NS6detail17trampoline_kernelINS0_14default_configENS1_35radix_sort_onesweep_config_selectorIiNS0_10empty_typeEEEZZNS1_29radix_sort_onesweep_iterationIS3_Lb0EN6thrust23THRUST_200600_302600_NS6detail15normal_iteratorINS9_10device_ptrIiEEEESE_PS5_SF_jNS0_19identity_decomposerENS1_16block_id_wrapperIjLb0EEEEE10hipError_tT1_PNSt15iterator_traitsISK_E10value_typeET2_T3_PNSL_ISQ_E10value_typeET4_T5_PSV_SW_PNS1_23onesweep_lookback_stateEbbT6_jjT7_P12ihipStream_tbENKUlT_T0_SK_SP_E_clISE_SE_SF_SF_EEDaS13_S14_SK_SP_EUlS13_E_NS1_11comp_targetILNS1_3genE2ELNS1_11target_archE906ELNS1_3gpuE6ELNS1_3repE0EEENS1_47radix_sort_onesweep_sort_config_static_selectorELNS0_4arch9wavefront6targetE0EEEvSK_
                                        ; -- End function
	.set _ZN7rocprim17ROCPRIM_400000_NS6detail17trampoline_kernelINS0_14default_configENS1_35radix_sort_onesweep_config_selectorIiNS0_10empty_typeEEEZZNS1_29radix_sort_onesweep_iterationIS3_Lb0EN6thrust23THRUST_200600_302600_NS6detail15normal_iteratorINS9_10device_ptrIiEEEESE_PS5_SF_jNS0_19identity_decomposerENS1_16block_id_wrapperIjLb0EEEEE10hipError_tT1_PNSt15iterator_traitsISK_E10value_typeET2_T3_PNSL_ISQ_E10value_typeET4_T5_PSV_SW_PNS1_23onesweep_lookback_stateEbbT6_jjT7_P12ihipStream_tbENKUlT_T0_SK_SP_E_clISE_SE_SF_SF_EEDaS13_S14_SK_SP_EUlS13_E_NS1_11comp_targetILNS1_3genE2ELNS1_11target_archE906ELNS1_3gpuE6ELNS1_3repE0EEENS1_47radix_sort_onesweep_sort_config_static_selectorELNS0_4arch9wavefront6targetE0EEEvSK_.num_vgpr, 0
	.set _ZN7rocprim17ROCPRIM_400000_NS6detail17trampoline_kernelINS0_14default_configENS1_35radix_sort_onesweep_config_selectorIiNS0_10empty_typeEEEZZNS1_29radix_sort_onesweep_iterationIS3_Lb0EN6thrust23THRUST_200600_302600_NS6detail15normal_iteratorINS9_10device_ptrIiEEEESE_PS5_SF_jNS0_19identity_decomposerENS1_16block_id_wrapperIjLb0EEEEE10hipError_tT1_PNSt15iterator_traitsISK_E10value_typeET2_T3_PNSL_ISQ_E10value_typeET4_T5_PSV_SW_PNS1_23onesweep_lookback_stateEbbT6_jjT7_P12ihipStream_tbENKUlT_T0_SK_SP_E_clISE_SE_SF_SF_EEDaS13_S14_SK_SP_EUlS13_E_NS1_11comp_targetILNS1_3genE2ELNS1_11target_archE906ELNS1_3gpuE6ELNS1_3repE0EEENS1_47radix_sort_onesweep_sort_config_static_selectorELNS0_4arch9wavefront6targetE0EEEvSK_.num_agpr, 0
	.set _ZN7rocprim17ROCPRIM_400000_NS6detail17trampoline_kernelINS0_14default_configENS1_35radix_sort_onesweep_config_selectorIiNS0_10empty_typeEEEZZNS1_29radix_sort_onesweep_iterationIS3_Lb0EN6thrust23THRUST_200600_302600_NS6detail15normal_iteratorINS9_10device_ptrIiEEEESE_PS5_SF_jNS0_19identity_decomposerENS1_16block_id_wrapperIjLb0EEEEE10hipError_tT1_PNSt15iterator_traitsISK_E10value_typeET2_T3_PNSL_ISQ_E10value_typeET4_T5_PSV_SW_PNS1_23onesweep_lookback_stateEbbT6_jjT7_P12ihipStream_tbENKUlT_T0_SK_SP_E_clISE_SE_SF_SF_EEDaS13_S14_SK_SP_EUlS13_E_NS1_11comp_targetILNS1_3genE2ELNS1_11target_archE906ELNS1_3gpuE6ELNS1_3repE0EEENS1_47radix_sort_onesweep_sort_config_static_selectorELNS0_4arch9wavefront6targetE0EEEvSK_.numbered_sgpr, 0
	.set _ZN7rocprim17ROCPRIM_400000_NS6detail17trampoline_kernelINS0_14default_configENS1_35radix_sort_onesweep_config_selectorIiNS0_10empty_typeEEEZZNS1_29radix_sort_onesweep_iterationIS3_Lb0EN6thrust23THRUST_200600_302600_NS6detail15normal_iteratorINS9_10device_ptrIiEEEESE_PS5_SF_jNS0_19identity_decomposerENS1_16block_id_wrapperIjLb0EEEEE10hipError_tT1_PNSt15iterator_traitsISK_E10value_typeET2_T3_PNSL_ISQ_E10value_typeET4_T5_PSV_SW_PNS1_23onesweep_lookback_stateEbbT6_jjT7_P12ihipStream_tbENKUlT_T0_SK_SP_E_clISE_SE_SF_SF_EEDaS13_S14_SK_SP_EUlS13_E_NS1_11comp_targetILNS1_3genE2ELNS1_11target_archE906ELNS1_3gpuE6ELNS1_3repE0EEENS1_47radix_sort_onesweep_sort_config_static_selectorELNS0_4arch9wavefront6targetE0EEEvSK_.num_named_barrier, 0
	.set _ZN7rocprim17ROCPRIM_400000_NS6detail17trampoline_kernelINS0_14default_configENS1_35radix_sort_onesweep_config_selectorIiNS0_10empty_typeEEEZZNS1_29radix_sort_onesweep_iterationIS3_Lb0EN6thrust23THRUST_200600_302600_NS6detail15normal_iteratorINS9_10device_ptrIiEEEESE_PS5_SF_jNS0_19identity_decomposerENS1_16block_id_wrapperIjLb0EEEEE10hipError_tT1_PNSt15iterator_traitsISK_E10value_typeET2_T3_PNSL_ISQ_E10value_typeET4_T5_PSV_SW_PNS1_23onesweep_lookback_stateEbbT6_jjT7_P12ihipStream_tbENKUlT_T0_SK_SP_E_clISE_SE_SF_SF_EEDaS13_S14_SK_SP_EUlS13_E_NS1_11comp_targetILNS1_3genE2ELNS1_11target_archE906ELNS1_3gpuE6ELNS1_3repE0EEENS1_47radix_sort_onesweep_sort_config_static_selectorELNS0_4arch9wavefront6targetE0EEEvSK_.private_seg_size, 0
	.set _ZN7rocprim17ROCPRIM_400000_NS6detail17trampoline_kernelINS0_14default_configENS1_35radix_sort_onesweep_config_selectorIiNS0_10empty_typeEEEZZNS1_29radix_sort_onesweep_iterationIS3_Lb0EN6thrust23THRUST_200600_302600_NS6detail15normal_iteratorINS9_10device_ptrIiEEEESE_PS5_SF_jNS0_19identity_decomposerENS1_16block_id_wrapperIjLb0EEEEE10hipError_tT1_PNSt15iterator_traitsISK_E10value_typeET2_T3_PNSL_ISQ_E10value_typeET4_T5_PSV_SW_PNS1_23onesweep_lookback_stateEbbT6_jjT7_P12ihipStream_tbENKUlT_T0_SK_SP_E_clISE_SE_SF_SF_EEDaS13_S14_SK_SP_EUlS13_E_NS1_11comp_targetILNS1_3genE2ELNS1_11target_archE906ELNS1_3gpuE6ELNS1_3repE0EEENS1_47radix_sort_onesweep_sort_config_static_selectorELNS0_4arch9wavefront6targetE0EEEvSK_.uses_vcc, 0
	.set _ZN7rocprim17ROCPRIM_400000_NS6detail17trampoline_kernelINS0_14default_configENS1_35radix_sort_onesweep_config_selectorIiNS0_10empty_typeEEEZZNS1_29radix_sort_onesweep_iterationIS3_Lb0EN6thrust23THRUST_200600_302600_NS6detail15normal_iteratorINS9_10device_ptrIiEEEESE_PS5_SF_jNS0_19identity_decomposerENS1_16block_id_wrapperIjLb0EEEEE10hipError_tT1_PNSt15iterator_traitsISK_E10value_typeET2_T3_PNSL_ISQ_E10value_typeET4_T5_PSV_SW_PNS1_23onesweep_lookback_stateEbbT6_jjT7_P12ihipStream_tbENKUlT_T0_SK_SP_E_clISE_SE_SF_SF_EEDaS13_S14_SK_SP_EUlS13_E_NS1_11comp_targetILNS1_3genE2ELNS1_11target_archE906ELNS1_3gpuE6ELNS1_3repE0EEENS1_47radix_sort_onesweep_sort_config_static_selectorELNS0_4arch9wavefront6targetE0EEEvSK_.uses_flat_scratch, 0
	.set _ZN7rocprim17ROCPRIM_400000_NS6detail17trampoline_kernelINS0_14default_configENS1_35radix_sort_onesweep_config_selectorIiNS0_10empty_typeEEEZZNS1_29radix_sort_onesweep_iterationIS3_Lb0EN6thrust23THRUST_200600_302600_NS6detail15normal_iteratorINS9_10device_ptrIiEEEESE_PS5_SF_jNS0_19identity_decomposerENS1_16block_id_wrapperIjLb0EEEEE10hipError_tT1_PNSt15iterator_traitsISK_E10value_typeET2_T3_PNSL_ISQ_E10value_typeET4_T5_PSV_SW_PNS1_23onesweep_lookback_stateEbbT6_jjT7_P12ihipStream_tbENKUlT_T0_SK_SP_E_clISE_SE_SF_SF_EEDaS13_S14_SK_SP_EUlS13_E_NS1_11comp_targetILNS1_3genE2ELNS1_11target_archE906ELNS1_3gpuE6ELNS1_3repE0EEENS1_47radix_sort_onesweep_sort_config_static_selectorELNS0_4arch9wavefront6targetE0EEEvSK_.has_dyn_sized_stack, 0
	.set _ZN7rocprim17ROCPRIM_400000_NS6detail17trampoline_kernelINS0_14default_configENS1_35radix_sort_onesweep_config_selectorIiNS0_10empty_typeEEEZZNS1_29radix_sort_onesweep_iterationIS3_Lb0EN6thrust23THRUST_200600_302600_NS6detail15normal_iteratorINS9_10device_ptrIiEEEESE_PS5_SF_jNS0_19identity_decomposerENS1_16block_id_wrapperIjLb0EEEEE10hipError_tT1_PNSt15iterator_traitsISK_E10value_typeET2_T3_PNSL_ISQ_E10value_typeET4_T5_PSV_SW_PNS1_23onesweep_lookback_stateEbbT6_jjT7_P12ihipStream_tbENKUlT_T0_SK_SP_E_clISE_SE_SF_SF_EEDaS13_S14_SK_SP_EUlS13_E_NS1_11comp_targetILNS1_3genE2ELNS1_11target_archE906ELNS1_3gpuE6ELNS1_3repE0EEENS1_47radix_sort_onesweep_sort_config_static_selectorELNS0_4arch9wavefront6targetE0EEEvSK_.has_recursion, 0
	.set _ZN7rocprim17ROCPRIM_400000_NS6detail17trampoline_kernelINS0_14default_configENS1_35radix_sort_onesweep_config_selectorIiNS0_10empty_typeEEEZZNS1_29radix_sort_onesweep_iterationIS3_Lb0EN6thrust23THRUST_200600_302600_NS6detail15normal_iteratorINS9_10device_ptrIiEEEESE_PS5_SF_jNS0_19identity_decomposerENS1_16block_id_wrapperIjLb0EEEEE10hipError_tT1_PNSt15iterator_traitsISK_E10value_typeET2_T3_PNSL_ISQ_E10value_typeET4_T5_PSV_SW_PNS1_23onesweep_lookback_stateEbbT6_jjT7_P12ihipStream_tbENKUlT_T0_SK_SP_E_clISE_SE_SF_SF_EEDaS13_S14_SK_SP_EUlS13_E_NS1_11comp_targetILNS1_3genE2ELNS1_11target_archE906ELNS1_3gpuE6ELNS1_3repE0EEENS1_47radix_sort_onesweep_sort_config_static_selectorELNS0_4arch9wavefront6targetE0EEEvSK_.has_indirect_call, 0
	.section	.AMDGPU.csdata,"",@progbits
; Kernel info:
; codeLenInByte = 0
; TotalNumSgprs: 0
; NumVgprs: 0
; ScratchSize: 0
; MemoryBound: 0
; FloatMode: 240
; IeeeMode: 1
; LDSByteSize: 0 bytes/workgroup (compile time only)
; SGPRBlocks: 0
; VGPRBlocks: 0
; NumSGPRsForWavesPerEU: 1
; NumVGPRsForWavesPerEU: 1
; Occupancy: 16
; WaveLimiterHint : 0
; COMPUTE_PGM_RSRC2:SCRATCH_EN: 0
; COMPUTE_PGM_RSRC2:USER_SGPR: 6
; COMPUTE_PGM_RSRC2:TRAP_HANDLER: 0
; COMPUTE_PGM_RSRC2:TGID_X_EN: 1
; COMPUTE_PGM_RSRC2:TGID_Y_EN: 0
; COMPUTE_PGM_RSRC2:TGID_Z_EN: 0
; COMPUTE_PGM_RSRC2:TIDIG_COMP_CNT: 0
	.section	.text._ZN7rocprim17ROCPRIM_400000_NS6detail17trampoline_kernelINS0_14default_configENS1_35radix_sort_onesweep_config_selectorIiNS0_10empty_typeEEEZZNS1_29radix_sort_onesweep_iterationIS3_Lb0EN6thrust23THRUST_200600_302600_NS6detail15normal_iteratorINS9_10device_ptrIiEEEESE_PS5_SF_jNS0_19identity_decomposerENS1_16block_id_wrapperIjLb0EEEEE10hipError_tT1_PNSt15iterator_traitsISK_E10value_typeET2_T3_PNSL_ISQ_E10value_typeET4_T5_PSV_SW_PNS1_23onesweep_lookback_stateEbbT6_jjT7_P12ihipStream_tbENKUlT_T0_SK_SP_E_clISE_SE_SF_SF_EEDaS13_S14_SK_SP_EUlS13_E_NS1_11comp_targetILNS1_3genE4ELNS1_11target_archE910ELNS1_3gpuE8ELNS1_3repE0EEENS1_47radix_sort_onesweep_sort_config_static_selectorELNS0_4arch9wavefront6targetE0EEEvSK_,"axG",@progbits,_ZN7rocprim17ROCPRIM_400000_NS6detail17trampoline_kernelINS0_14default_configENS1_35radix_sort_onesweep_config_selectorIiNS0_10empty_typeEEEZZNS1_29radix_sort_onesweep_iterationIS3_Lb0EN6thrust23THRUST_200600_302600_NS6detail15normal_iteratorINS9_10device_ptrIiEEEESE_PS5_SF_jNS0_19identity_decomposerENS1_16block_id_wrapperIjLb0EEEEE10hipError_tT1_PNSt15iterator_traitsISK_E10value_typeET2_T3_PNSL_ISQ_E10value_typeET4_T5_PSV_SW_PNS1_23onesweep_lookback_stateEbbT6_jjT7_P12ihipStream_tbENKUlT_T0_SK_SP_E_clISE_SE_SF_SF_EEDaS13_S14_SK_SP_EUlS13_E_NS1_11comp_targetILNS1_3genE4ELNS1_11target_archE910ELNS1_3gpuE8ELNS1_3repE0EEENS1_47radix_sort_onesweep_sort_config_static_selectorELNS0_4arch9wavefront6targetE0EEEvSK_,comdat
	.protected	_ZN7rocprim17ROCPRIM_400000_NS6detail17trampoline_kernelINS0_14default_configENS1_35radix_sort_onesweep_config_selectorIiNS0_10empty_typeEEEZZNS1_29radix_sort_onesweep_iterationIS3_Lb0EN6thrust23THRUST_200600_302600_NS6detail15normal_iteratorINS9_10device_ptrIiEEEESE_PS5_SF_jNS0_19identity_decomposerENS1_16block_id_wrapperIjLb0EEEEE10hipError_tT1_PNSt15iterator_traitsISK_E10value_typeET2_T3_PNSL_ISQ_E10value_typeET4_T5_PSV_SW_PNS1_23onesweep_lookback_stateEbbT6_jjT7_P12ihipStream_tbENKUlT_T0_SK_SP_E_clISE_SE_SF_SF_EEDaS13_S14_SK_SP_EUlS13_E_NS1_11comp_targetILNS1_3genE4ELNS1_11target_archE910ELNS1_3gpuE8ELNS1_3repE0EEENS1_47radix_sort_onesweep_sort_config_static_selectorELNS0_4arch9wavefront6targetE0EEEvSK_ ; -- Begin function _ZN7rocprim17ROCPRIM_400000_NS6detail17trampoline_kernelINS0_14default_configENS1_35radix_sort_onesweep_config_selectorIiNS0_10empty_typeEEEZZNS1_29radix_sort_onesweep_iterationIS3_Lb0EN6thrust23THRUST_200600_302600_NS6detail15normal_iteratorINS9_10device_ptrIiEEEESE_PS5_SF_jNS0_19identity_decomposerENS1_16block_id_wrapperIjLb0EEEEE10hipError_tT1_PNSt15iterator_traitsISK_E10value_typeET2_T3_PNSL_ISQ_E10value_typeET4_T5_PSV_SW_PNS1_23onesweep_lookback_stateEbbT6_jjT7_P12ihipStream_tbENKUlT_T0_SK_SP_E_clISE_SE_SF_SF_EEDaS13_S14_SK_SP_EUlS13_E_NS1_11comp_targetILNS1_3genE4ELNS1_11target_archE910ELNS1_3gpuE8ELNS1_3repE0EEENS1_47radix_sort_onesweep_sort_config_static_selectorELNS0_4arch9wavefront6targetE0EEEvSK_
	.globl	_ZN7rocprim17ROCPRIM_400000_NS6detail17trampoline_kernelINS0_14default_configENS1_35radix_sort_onesweep_config_selectorIiNS0_10empty_typeEEEZZNS1_29radix_sort_onesweep_iterationIS3_Lb0EN6thrust23THRUST_200600_302600_NS6detail15normal_iteratorINS9_10device_ptrIiEEEESE_PS5_SF_jNS0_19identity_decomposerENS1_16block_id_wrapperIjLb0EEEEE10hipError_tT1_PNSt15iterator_traitsISK_E10value_typeET2_T3_PNSL_ISQ_E10value_typeET4_T5_PSV_SW_PNS1_23onesweep_lookback_stateEbbT6_jjT7_P12ihipStream_tbENKUlT_T0_SK_SP_E_clISE_SE_SF_SF_EEDaS13_S14_SK_SP_EUlS13_E_NS1_11comp_targetILNS1_3genE4ELNS1_11target_archE910ELNS1_3gpuE8ELNS1_3repE0EEENS1_47radix_sort_onesweep_sort_config_static_selectorELNS0_4arch9wavefront6targetE0EEEvSK_
	.p2align	8
	.type	_ZN7rocprim17ROCPRIM_400000_NS6detail17trampoline_kernelINS0_14default_configENS1_35radix_sort_onesweep_config_selectorIiNS0_10empty_typeEEEZZNS1_29radix_sort_onesweep_iterationIS3_Lb0EN6thrust23THRUST_200600_302600_NS6detail15normal_iteratorINS9_10device_ptrIiEEEESE_PS5_SF_jNS0_19identity_decomposerENS1_16block_id_wrapperIjLb0EEEEE10hipError_tT1_PNSt15iterator_traitsISK_E10value_typeET2_T3_PNSL_ISQ_E10value_typeET4_T5_PSV_SW_PNS1_23onesweep_lookback_stateEbbT6_jjT7_P12ihipStream_tbENKUlT_T0_SK_SP_E_clISE_SE_SF_SF_EEDaS13_S14_SK_SP_EUlS13_E_NS1_11comp_targetILNS1_3genE4ELNS1_11target_archE910ELNS1_3gpuE8ELNS1_3repE0EEENS1_47radix_sort_onesweep_sort_config_static_selectorELNS0_4arch9wavefront6targetE0EEEvSK_,@function
_ZN7rocprim17ROCPRIM_400000_NS6detail17trampoline_kernelINS0_14default_configENS1_35radix_sort_onesweep_config_selectorIiNS0_10empty_typeEEEZZNS1_29radix_sort_onesweep_iterationIS3_Lb0EN6thrust23THRUST_200600_302600_NS6detail15normal_iteratorINS9_10device_ptrIiEEEESE_PS5_SF_jNS0_19identity_decomposerENS1_16block_id_wrapperIjLb0EEEEE10hipError_tT1_PNSt15iterator_traitsISK_E10value_typeET2_T3_PNSL_ISQ_E10value_typeET4_T5_PSV_SW_PNS1_23onesweep_lookback_stateEbbT6_jjT7_P12ihipStream_tbENKUlT_T0_SK_SP_E_clISE_SE_SF_SF_EEDaS13_S14_SK_SP_EUlS13_E_NS1_11comp_targetILNS1_3genE4ELNS1_11target_archE910ELNS1_3gpuE8ELNS1_3repE0EEENS1_47radix_sort_onesweep_sort_config_static_selectorELNS0_4arch9wavefront6targetE0EEEvSK_: ; @_ZN7rocprim17ROCPRIM_400000_NS6detail17trampoline_kernelINS0_14default_configENS1_35radix_sort_onesweep_config_selectorIiNS0_10empty_typeEEEZZNS1_29radix_sort_onesweep_iterationIS3_Lb0EN6thrust23THRUST_200600_302600_NS6detail15normal_iteratorINS9_10device_ptrIiEEEESE_PS5_SF_jNS0_19identity_decomposerENS1_16block_id_wrapperIjLb0EEEEE10hipError_tT1_PNSt15iterator_traitsISK_E10value_typeET2_T3_PNSL_ISQ_E10value_typeET4_T5_PSV_SW_PNS1_23onesweep_lookback_stateEbbT6_jjT7_P12ihipStream_tbENKUlT_T0_SK_SP_E_clISE_SE_SF_SF_EEDaS13_S14_SK_SP_EUlS13_E_NS1_11comp_targetILNS1_3genE4ELNS1_11target_archE910ELNS1_3gpuE8ELNS1_3repE0EEENS1_47radix_sort_onesweep_sort_config_static_selectorELNS0_4arch9wavefront6targetE0EEEvSK_
; %bb.0:
	.section	.rodata,"a",@progbits
	.p2align	6, 0x0
	.amdhsa_kernel _ZN7rocprim17ROCPRIM_400000_NS6detail17trampoline_kernelINS0_14default_configENS1_35radix_sort_onesweep_config_selectorIiNS0_10empty_typeEEEZZNS1_29radix_sort_onesweep_iterationIS3_Lb0EN6thrust23THRUST_200600_302600_NS6detail15normal_iteratorINS9_10device_ptrIiEEEESE_PS5_SF_jNS0_19identity_decomposerENS1_16block_id_wrapperIjLb0EEEEE10hipError_tT1_PNSt15iterator_traitsISK_E10value_typeET2_T3_PNSL_ISQ_E10value_typeET4_T5_PSV_SW_PNS1_23onesweep_lookback_stateEbbT6_jjT7_P12ihipStream_tbENKUlT_T0_SK_SP_E_clISE_SE_SF_SF_EEDaS13_S14_SK_SP_EUlS13_E_NS1_11comp_targetILNS1_3genE4ELNS1_11target_archE910ELNS1_3gpuE8ELNS1_3repE0EEENS1_47radix_sort_onesweep_sort_config_static_selectorELNS0_4arch9wavefront6targetE0EEEvSK_
		.amdhsa_group_segment_fixed_size 0
		.amdhsa_private_segment_fixed_size 0
		.amdhsa_kernarg_size 88
		.amdhsa_user_sgpr_count 6
		.amdhsa_user_sgpr_private_segment_buffer 1
		.amdhsa_user_sgpr_dispatch_ptr 0
		.amdhsa_user_sgpr_queue_ptr 0
		.amdhsa_user_sgpr_kernarg_segment_ptr 1
		.amdhsa_user_sgpr_dispatch_id 0
		.amdhsa_user_sgpr_flat_scratch_init 0
		.amdhsa_user_sgpr_private_segment_size 0
		.amdhsa_wavefront_size32 1
		.amdhsa_uses_dynamic_stack 0
		.amdhsa_system_sgpr_private_segment_wavefront_offset 0
		.amdhsa_system_sgpr_workgroup_id_x 1
		.amdhsa_system_sgpr_workgroup_id_y 0
		.amdhsa_system_sgpr_workgroup_id_z 0
		.amdhsa_system_sgpr_workgroup_info 0
		.amdhsa_system_vgpr_workitem_id 0
		.amdhsa_next_free_vgpr 1
		.amdhsa_next_free_sgpr 1
		.amdhsa_reserve_vcc 0
		.amdhsa_reserve_flat_scratch 0
		.amdhsa_float_round_mode_32 0
		.amdhsa_float_round_mode_16_64 0
		.amdhsa_float_denorm_mode_32 3
		.amdhsa_float_denorm_mode_16_64 3
		.amdhsa_dx10_clamp 1
		.amdhsa_ieee_mode 1
		.amdhsa_fp16_overflow 0
		.amdhsa_workgroup_processor_mode 1
		.amdhsa_memory_ordered 1
		.amdhsa_forward_progress 1
		.amdhsa_shared_vgpr_count 0
		.amdhsa_exception_fp_ieee_invalid_op 0
		.amdhsa_exception_fp_denorm_src 0
		.amdhsa_exception_fp_ieee_div_zero 0
		.amdhsa_exception_fp_ieee_overflow 0
		.amdhsa_exception_fp_ieee_underflow 0
		.amdhsa_exception_fp_ieee_inexact 0
		.amdhsa_exception_int_div_zero 0
	.end_amdhsa_kernel
	.section	.text._ZN7rocprim17ROCPRIM_400000_NS6detail17trampoline_kernelINS0_14default_configENS1_35radix_sort_onesweep_config_selectorIiNS0_10empty_typeEEEZZNS1_29radix_sort_onesweep_iterationIS3_Lb0EN6thrust23THRUST_200600_302600_NS6detail15normal_iteratorINS9_10device_ptrIiEEEESE_PS5_SF_jNS0_19identity_decomposerENS1_16block_id_wrapperIjLb0EEEEE10hipError_tT1_PNSt15iterator_traitsISK_E10value_typeET2_T3_PNSL_ISQ_E10value_typeET4_T5_PSV_SW_PNS1_23onesweep_lookback_stateEbbT6_jjT7_P12ihipStream_tbENKUlT_T0_SK_SP_E_clISE_SE_SF_SF_EEDaS13_S14_SK_SP_EUlS13_E_NS1_11comp_targetILNS1_3genE4ELNS1_11target_archE910ELNS1_3gpuE8ELNS1_3repE0EEENS1_47radix_sort_onesweep_sort_config_static_selectorELNS0_4arch9wavefront6targetE0EEEvSK_,"axG",@progbits,_ZN7rocprim17ROCPRIM_400000_NS6detail17trampoline_kernelINS0_14default_configENS1_35radix_sort_onesweep_config_selectorIiNS0_10empty_typeEEEZZNS1_29radix_sort_onesweep_iterationIS3_Lb0EN6thrust23THRUST_200600_302600_NS6detail15normal_iteratorINS9_10device_ptrIiEEEESE_PS5_SF_jNS0_19identity_decomposerENS1_16block_id_wrapperIjLb0EEEEE10hipError_tT1_PNSt15iterator_traitsISK_E10value_typeET2_T3_PNSL_ISQ_E10value_typeET4_T5_PSV_SW_PNS1_23onesweep_lookback_stateEbbT6_jjT7_P12ihipStream_tbENKUlT_T0_SK_SP_E_clISE_SE_SF_SF_EEDaS13_S14_SK_SP_EUlS13_E_NS1_11comp_targetILNS1_3genE4ELNS1_11target_archE910ELNS1_3gpuE8ELNS1_3repE0EEENS1_47radix_sort_onesweep_sort_config_static_selectorELNS0_4arch9wavefront6targetE0EEEvSK_,comdat
.Lfunc_end190:
	.size	_ZN7rocprim17ROCPRIM_400000_NS6detail17trampoline_kernelINS0_14default_configENS1_35radix_sort_onesweep_config_selectorIiNS0_10empty_typeEEEZZNS1_29radix_sort_onesweep_iterationIS3_Lb0EN6thrust23THRUST_200600_302600_NS6detail15normal_iteratorINS9_10device_ptrIiEEEESE_PS5_SF_jNS0_19identity_decomposerENS1_16block_id_wrapperIjLb0EEEEE10hipError_tT1_PNSt15iterator_traitsISK_E10value_typeET2_T3_PNSL_ISQ_E10value_typeET4_T5_PSV_SW_PNS1_23onesweep_lookback_stateEbbT6_jjT7_P12ihipStream_tbENKUlT_T0_SK_SP_E_clISE_SE_SF_SF_EEDaS13_S14_SK_SP_EUlS13_E_NS1_11comp_targetILNS1_3genE4ELNS1_11target_archE910ELNS1_3gpuE8ELNS1_3repE0EEENS1_47radix_sort_onesweep_sort_config_static_selectorELNS0_4arch9wavefront6targetE0EEEvSK_, .Lfunc_end190-_ZN7rocprim17ROCPRIM_400000_NS6detail17trampoline_kernelINS0_14default_configENS1_35radix_sort_onesweep_config_selectorIiNS0_10empty_typeEEEZZNS1_29radix_sort_onesweep_iterationIS3_Lb0EN6thrust23THRUST_200600_302600_NS6detail15normal_iteratorINS9_10device_ptrIiEEEESE_PS5_SF_jNS0_19identity_decomposerENS1_16block_id_wrapperIjLb0EEEEE10hipError_tT1_PNSt15iterator_traitsISK_E10value_typeET2_T3_PNSL_ISQ_E10value_typeET4_T5_PSV_SW_PNS1_23onesweep_lookback_stateEbbT6_jjT7_P12ihipStream_tbENKUlT_T0_SK_SP_E_clISE_SE_SF_SF_EEDaS13_S14_SK_SP_EUlS13_E_NS1_11comp_targetILNS1_3genE4ELNS1_11target_archE910ELNS1_3gpuE8ELNS1_3repE0EEENS1_47radix_sort_onesweep_sort_config_static_selectorELNS0_4arch9wavefront6targetE0EEEvSK_
                                        ; -- End function
	.set _ZN7rocprim17ROCPRIM_400000_NS6detail17trampoline_kernelINS0_14default_configENS1_35radix_sort_onesweep_config_selectorIiNS0_10empty_typeEEEZZNS1_29radix_sort_onesweep_iterationIS3_Lb0EN6thrust23THRUST_200600_302600_NS6detail15normal_iteratorINS9_10device_ptrIiEEEESE_PS5_SF_jNS0_19identity_decomposerENS1_16block_id_wrapperIjLb0EEEEE10hipError_tT1_PNSt15iterator_traitsISK_E10value_typeET2_T3_PNSL_ISQ_E10value_typeET4_T5_PSV_SW_PNS1_23onesweep_lookback_stateEbbT6_jjT7_P12ihipStream_tbENKUlT_T0_SK_SP_E_clISE_SE_SF_SF_EEDaS13_S14_SK_SP_EUlS13_E_NS1_11comp_targetILNS1_3genE4ELNS1_11target_archE910ELNS1_3gpuE8ELNS1_3repE0EEENS1_47radix_sort_onesweep_sort_config_static_selectorELNS0_4arch9wavefront6targetE0EEEvSK_.num_vgpr, 0
	.set _ZN7rocprim17ROCPRIM_400000_NS6detail17trampoline_kernelINS0_14default_configENS1_35radix_sort_onesweep_config_selectorIiNS0_10empty_typeEEEZZNS1_29radix_sort_onesweep_iterationIS3_Lb0EN6thrust23THRUST_200600_302600_NS6detail15normal_iteratorINS9_10device_ptrIiEEEESE_PS5_SF_jNS0_19identity_decomposerENS1_16block_id_wrapperIjLb0EEEEE10hipError_tT1_PNSt15iterator_traitsISK_E10value_typeET2_T3_PNSL_ISQ_E10value_typeET4_T5_PSV_SW_PNS1_23onesweep_lookback_stateEbbT6_jjT7_P12ihipStream_tbENKUlT_T0_SK_SP_E_clISE_SE_SF_SF_EEDaS13_S14_SK_SP_EUlS13_E_NS1_11comp_targetILNS1_3genE4ELNS1_11target_archE910ELNS1_3gpuE8ELNS1_3repE0EEENS1_47radix_sort_onesweep_sort_config_static_selectorELNS0_4arch9wavefront6targetE0EEEvSK_.num_agpr, 0
	.set _ZN7rocprim17ROCPRIM_400000_NS6detail17trampoline_kernelINS0_14default_configENS1_35radix_sort_onesweep_config_selectorIiNS0_10empty_typeEEEZZNS1_29radix_sort_onesweep_iterationIS3_Lb0EN6thrust23THRUST_200600_302600_NS6detail15normal_iteratorINS9_10device_ptrIiEEEESE_PS5_SF_jNS0_19identity_decomposerENS1_16block_id_wrapperIjLb0EEEEE10hipError_tT1_PNSt15iterator_traitsISK_E10value_typeET2_T3_PNSL_ISQ_E10value_typeET4_T5_PSV_SW_PNS1_23onesweep_lookback_stateEbbT6_jjT7_P12ihipStream_tbENKUlT_T0_SK_SP_E_clISE_SE_SF_SF_EEDaS13_S14_SK_SP_EUlS13_E_NS1_11comp_targetILNS1_3genE4ELNS1_11target_archE910ELNS1_3gpuE8ELNS1_3repE0EEENS1_47radix_sort_onesweep_sort_config_static_selectorELNS0_4arch9wavefront6targetE0EEEvSK_.numbered_sgpr, 0
	.set _ZN7rocprim17ROCPRIM_400000_NS6detail17trampoline_kernelINS0_14default_configENS1_35radix_sort_onesweep_config_selectorIiNS0_10empty_typeEEEZZNS1_29radix_sort_onesweep_iterationIS3_Lb0EN6thrust23THRUST_200600_302600_NS6detail15normal_iteratorINS9_10device_ptrIiEEEESE_PS5_SF_jNS0_19identity_decomposerENS1_16block_id_wrapperIjLb0EEEEE10hipError_tT1_PNSt15iterator_traitsISK_E10value_typeET2_T3_PNSL_ISQ_E10value_typeET4_T5_PSV_SW_PNS1_23onesweep_lookback_stateEbbT6_jjT7_P12ihipStream_tbENKUlT_T0_SK_SP_E_clISE_SE_SF_SF_EEDaS13_S14_SK_SP_EUlS13_E_NS1_11comp_targetILNS1_3genE4ELNS1_11target_archE910ELNS1_3gpuE8ELNS1_3repE0EEENS1_47radix_sort_onesweep_sort_config_static_selectorELNS0_4arch9wavefront6targetE0EEEvSK_.num_named_barrier, 0
	.set _ZN7rocprim17ROCPRIM_400000_NS6detail17trampoline_kernelINS0_14default_configENS1_35radix_sort_onesweep_config_selectorIiNS0_10empty_typeEEEZZNS1_29radix_sort_onesweep_iterationIS3_Lb0EN6thrust23THRUST_200600_302600_NS6detail15normal_iteratorINS9_10device_ptrIiEEEESE_PS5_SF_jNS0_19identity_decomposerENS1_16block_id_wrapperIjLb0EEEEE10hipError_tT1_PNSt15iterator_traitsISK_E10value_typeET2_T3_PNSL_ISQ_E10value_typeET4_T5_PSV_SW_PNS1_23onesweep_lookback_stateEbbT6_jjT7_P12ihipStream_tbENKUlT_T0_SK_SP_E_clISE_SE_SF_SF_EEDaS13_S14_SK_SP_EUlS13_E_NS1_11comp_targetILNS1_3genE4ELNS1_11target_archE910ELNS1_3gpuE8ELNS1_3repE0EEENS1_47radix_sort_onesweep_sort_config_static_selectorELNS0_4arch9wavefront6targetE0EEEvSK_.private_seg_size, 0
	.set _ZN7rocprim17ROCPRIM_400000_NS6detail17trampoline_kernelINS0_14default_configENS1_35radix_sort_onesweep_config_selectorIiNS0_10empty_typeEEEZZNS1_29radix_sort_onesweep_iterationIS3_Lb0EN6thrust23THRUST_200600_302600_NS6detail15normal_iteratorINS9_10device_ptrIiEEEESE_PS5_SF_jNS0_19identity_decomposerENS1_16block_id_wrapperIjLb0EEEEE10hipError_tT1_PNSt15iterator_traitsISK_E10value_typeET2_T3_PNSL_ISQ_E10value_typeET4_T5_PSV_SW_PNS1_23onesweep_lookback_stateEbbT6_jjT7_P12ihipStream_tbENKUlT_T0_SK_SP_E_clISE_SE_SF_SF_EEDaS13_S14_SK_SP_EUlS13_E_NS1_11comp_targetILNS1_3genE4ELNS1_11target_archE910ELNS1_3gpuE8ELNS1_3repE0EEENS1_47radix_sort_onesweep_sort_config_static_selectorELNS0_4arch9wavefront6targetE0EEEvSK_.uses_vcc, 0
	.set _ZN7rocprim17ROCPRIM_400000_NS6detail17trampoline_kernelINS0_14default_configENS1_35radix_sort_onesweep_config_selectorIiNS0_10empty_typeEEEZZNS1_29radix_sort_onesweep_iterationIS3_Lb0EN6thrust23THRUST_200600_302600_NS6detail15normal_iteratorINS9_10device_ptrIiEEEESE_PS5_SF_jNS0_19identity_decomposerENS1_16block_id_wrapperIjLb0EEEEE10hipError_tT1_PNSt15iterator_traitsISK_E10value_typeET2_T3_PNSL_ISQ_E10value_typeET4_T5_PSV_SW_PNS1_23onesweep_lookback_stateEbbT6_jjT7_P12ihipStream_tbENKUlT_T0_SK_SP_E_clISE_SE_SF_SF_EEDaS13_S14_SK_SP_EUlS13_E_NS1_11comp_targetILNS1_3genE4ELNS1_11target_archE910ELNS1_3gpuE8ELNS1_3repE0EEENS1_47radix_sort_onesweep_sort_config_static_selectorELNS0_4arch9wavefront6targetE0EEEvSK_.uses_flat_scratch, 0
	.set _ZN7rocprim17ROCPRIM_400000_NS6detail17trampoline_kernelINS0_14default_configENS1_35radix_sort_onesweep_config_selectorIiNS0_10empty_typeEEEZZNS1_29radix_sort_onesweep_iterationIS3_Lb0EN6thrust23THRUST_200600_302600_NS6detail15normal_iteratorINS9_10device_ptrIiEEEESE_PS5_SF_jNS0_19identity_decomposerENS1_16block_id_wrapperIjLb0EEEEE10hipError_tT1_PNSt15iterator_traitsISK_E10value_typeET2_T3_PNSL_ISQ_E10value_typeET4_T5_PSV_SW_PNS1_23onesweep_lookback_stateEbbT6_jjT7_P12ihipStream_tbENKUlT_T0_SK_SP_E_clISE_SE_SF_SF_EEDaS13_S14_SK_SP_EUlS13_E_NS1_11comp_targetILNS1_3genE4ELNS1_11target_archE910ELNS1_3gpuE8ELNS1_3repE0EEENS1_47radix_sort_onesweep_sort_config_static_selectorELNS0_4arch9wavefront6targetE0EEEvSK_.has_dyn_sized_stack, 0
	.set _ZN7rocprim17ROCPRIM_400000_NS6detail17trampoline_kernelINS0_14default_configENS1_35radix_sort_onesweep_config_selectorIiNS0_10empty_typeEEEZZNS1_29radix_sort_onesweep_iterationIS3_Lb0EN6thrust23THRUST_200600_302600_NS6detail15normal_iteratorINS9_10device_ptrIiEEEESE_PS5_SF_jNS0_19identity_decomposerENS1_16block_id_wrapperIjLb0EEEEE10hipError_tT1_PNSt15iterator_traitsISK_E10value_typeET2_T3_PNSL_ISQ_E10value_typeET4_T5_PSV_SW_PNS1_23onesweep_lookback_stateEbbT6_jjT7_P12ihipStream_tbENKUlT_T0_SK_SP_E_clISE_SE_SF_SF_EEDaS13_S14_SK_SP_EUlS13_E_NS1_11comp_targetILNS1_3genE4ELNS1_11target_archE910ELNS1_3gpuE8ELNS1_3repE0EEENS1_47radix_sort_onesweep_sort_config_static_selectorELNS0_4arch9wavefront6targetE0EEEvSK_.has_recursion, 0
	.set _ZN7rocprim17ROCPRIM_400000_NS6detail17trampoline_kernelINS0_14default_configENS1_35radix_sort_onesweep_config_selectorIiNS0_10empty_typeEEEZZNS1_29radix_sort_onesweep_iterationIS3_Lb0EN6thrust23THRUST_200600_302600_NS6detail15normal_iteratorINS9_10device_ptrIiEEEESE_PS5_SF_jNS0_19identity_decomposerENS1_16block_id_wrapperIjLb0EEEEE10hipError_tT1_PNSt15iterator_traitsISK_E10value_typeET2_T3_PNSL_ISQ_E10value_typeET4_T5_PSV_SW_PNS1_23onesweep_lookback_stateEbbT6_jjT7_P12ihipStream_tbENKUlT_T0_SK_SP_E_clISE_SE_SF_SF_EEDaS13_S14_SK_SP_EUlS13_E_NS1_11comp_targetILNS1_3genE4ELNS1_11target_archE910ELNS1_3gpuE8ELNS1_3repE0EEENS1_47radix_sort_onesweep_sort_config_static_selectorELNS0_4arch9wavefront6targetE0EEEvSK_.has_indirect_call, 0
	.section	.AMDGPU.csdata,"",@progbits
; Kernel info:
; codeLenInByte = 0
; TotalNumSgprs: 0
; NumVgprs: 0
; ScratchSize: 0
; MemoryBound: 0
; FloatMode: 240
; IeeeMode: 1
; LDSByteSize: 0 bytes/workgroup (compile time only)
; SGPRBlocks: 0
; VGPRBlocks: 0
; NumSGPRsForWavesPerEU: 1
; NumVGPRsForWavesPerEU: 1
; Occupancy: 16
; WaveLimiterHint : 0
; COMPUTE_PGM_RSRC2:SCRATCH_EN: 0
; COMPUTE_PGM_RSRC2:USER_SGPR: 6
; COMPUTE_PGM_RSRC2:TRAP_HANDLER: 0
; COMPUTE_PGM_RSRC2:TGID_X_EN: 1
; COMPUTE_PGM_RSRC2:TGID_Y_EN: 0
; COMPUTE_PGM_RSRC2:TGID_Z_EN: 0
; COMPUTE_PGM_RSRC2:TIDIG_COMP_CNT: 0
	.section	.text._ZN7rocprim17ROCPRIM_400000_NS6detail17trampoline_kernelINS0_14default_configENS1_35radix_sort_onesweep_config_selectorIiNS0_10empty_typeEEEZZNS1_29radix_sort_onesweep_iterationIS3_Lb0EN6thrust23THRUST_200600_302600_NS6detail15normal_iteratorINS9_10device_ptrIiEEEESE_PS5_SF_jNS0_19identity_decomposerENS1_16block_id_wrapperIjLb0EEEEE10hipError_tT1_PNSt15iterator_traitsISK_E10value_typeET2_T3_PNSL_ISQ_E10value_typeET4_T5_PSV_SW_PNS1_23onesweep_lookback_stateEbbT6_jjT7_P12ihipStream_tbENKUlT_T0_SK_SP_E_clISE_SE_SF_SF_EEDaS13_S14_SK_SP_EUlS13_E_NS1_11comp_targetILNS1_3genE3ELNS1_11target_archE908ELNS1_3gpuE7ELNS1_3repE0EEENS1_47radix_sort_onesweep_sort_config_static_selectorELNS0_4arch9wavefront6targetE0EEEvSK_,"axG",@progbits,_ZN7rocprim17ROCPRIM_400000_NS6detail17trampoline_kernelINS0_14default_configENS1_35radix_sort_onesweep_config_selectorIiNS0_10empty_typeEEEZZNS1_29radix_sort_onesweep_iterationIS3_Lb0EN6thrust23THRUST_200600_302600_NS6detail15normal_iteratorINS9_10device_ptrIiEEEESE_PS5_SF_jNS0_19identity_decomposerENS1_16block_id_wrapperIjLb0EEEEE10hipError_tT1_PNSt15iterator_traitsISK_E10value_typeET2_T3_PNSL_ISQ_E10value_typeET4_T5_PSV_SW_PNS1_23onesweep_lookback_stateEbbT6_jjT7_P12ihipStream_tbENKUlT_T0_SK_SP_E_clISE_SE_SF_SF_EEDaS13_S14_SK_SP_EUlS13_E_NS1_11comp_targetILNS1_3genE3ELNS1_11target_archE908ELNS1_3gpuE7ELNS1_3repE0EEENS1_47radix_sort_onesweep_sort_config_static_selectorELNS0_4arch9wavefront6targetE0EEEvSK_,comdat
	.protected	_ZN7rocprim17ROCPRIM_400000_NS6detail17trampoline_kernelINS0_14default_configENS1_35radix_sort_onesweep_config_selectorIiNS0_10empty_typeEEEZZNS1_29radix_sort_onesweep_iterationIS3_Lb0EN6thrust23THRUST_200600_302600_NS6detail15normal_iteratorINS9_10device_ptrIiEEEESE_PS5_SF_jNS0_19identity_decomposerENS1_16block_id_wrapperIjLb0EEEEE10hipError_tT1_PNSt15iterator_traitsISK_E10value_typeET2_T3_PNSL_ISQ_E10value_typeET4_T5_PSV_SW_PNS1_23onesweep_lookback_stateEbbT6_jjT7_P12ihipStream_tbENKUlT_T0_SK_SP_E_clISE_SE_SF_SF_EEDaS13_S14_SK_SP_EUlS13_E_NS1_11comp_targetILNS1_3genE3ELNS1_11target_archE908ELNS1_3gpuE7ELNS1_3repE0EEENS1_47radix_sort_onesweep_sort_config_static_selectorELNS0_4arch9wavefront6targetE0EEEvSK_ ; -- Begin function _ZN7rocprim17ROCPRIM_400000_NS6detail17trampoline_kernelINS0_14default_configENS1_35radix_sort_onesweep_config_selectorIiNS0_10empty_typeEEEZZNS1_29radix_sort_onesweep_iterationIS3_Lb0EN6thrust23THRUST_200600_302600_NS6detail15normal_iteratorINS9_10device_ptrIiEEEESE_PS5_SF_jNS0_19identity_decomposerENS1_16block_id_wrapperIjLb0EEEEE10hipError_tT1_PNSt15iterator_traitsISK_E10value_typeET2_T3_PNSL_ISQ_E10value_typeET4_T5_PSV_SW_PNS1_23onesweep_lookback_stateEbbT6_jjT7_P12ihipStream_tbENKUlT_T0_SK_SP_E_clISE_SE_SF_SF_EEDaS13_S14_SK_SP_EUlS13_E_NS1_11comp_targetILNS1_3genE3ELNS1_11target_archE908ELNS1_3gpuE7ELNS1_3repE0EEENS1_47radix_sort_onesweep_sort_config_static_selectorELNS0_4arch9wavefront6targetE0EEEvSK_
	.globl	_ZN7rocprim17ROCPRIM_400000_NS6detail17trampoline_kernelINS0_14default_configENS1_35radix_sort_onesweep_config_selectorIiNS0_10empty_typeEEEZZNS1_29radix_sort_onesweep_iterationIS3_Lb0EN6thrust23THRUST_200600_302600_NS6detail15normal_iteratorINS9_10device_ptrIiEEEESE_PS5_SF_jNS0_19identity_decomposerENS1_16block_id_wrapperIjLb0EEEEE10hipError_tT1_PNSt15iterator_traitsISK_E10value_typeET2_T3_PNSL_ISQ_E10value_typeET4_T5_PSV_SW_PNS1_23onesweep_lookback_stateEbbT6_jjT7_P12ihipStream_tbENKUlT_T0_SK_SP_E_clISE_SE_SF_SF_EEDaS13_S14_SK_SP_EUlS13_E_NS1_11comp_targetILNS1_3genE3ELNS1_11target_archE908ELNS1_3gpuE7ELNS1_3repE0EEENS1_47radix_sort_onesweep_sort_config_static_selectorELNS0_4arch9wavefront6targetE0EEEvSK_
	.p2align	8
	.type	_ZN7rocprim17ROCPRIM_400000_NS6detail17trampoline_kernelINS0_14default_configENS1_35radix_sort_onesweep_config_selectorIiNS0_10empty_typeEEEZZNS1_29radix_sort_onesweep_iterationIS3_Lb0EN6thrust23THRUST_200600_302600_NS6detail15normal_iteratorINS9_10device_ptrIiEEEESE_PS5_SF_jNS0_19identity_decomposerENS1_16block_id_wrapperIjLb0EEEEE10hipError_tT1_PNSt15iterator_traitsISK_E10value_typeET2_T3_PNSL_ISQ_E10value_typeET4_T5_PSV_SW_PNS1_23onesweep_lookback_stateEbbT6_jjT7_P12ihipStream_tbENKUlT_T0_SK_SP_E_clISE_SE_SF_SF_EEDaS13_S14_SK_SP_EUlS13_E_NS1_11comp_targetILNS1_3genE3ELNS1_11target_archE908ELNS1_3gpuE7ELNS1_3repE0EEENS1_47radix_sort_onesweep_sort_config_static_selectorELNS0_4arch9wavefront6targetE0EEEvSK_,@function
_ZN7rocprim17ROCPRIM_400000_NS6detail17trampoline_kernelINS0_14default_configENS1_35radix_sort_onesweep_config_selectorIiNS0_10empty_typeEEEZZNS1_29radix_sort_onesweep_iterationIS3_Lb0EN6thrust23THRUST_200600_302600_NS6detail15normal_iteratorINS9_10device_ptrIiEEEESE_PS5_SF_jNS0_19identity_decomposerENS1_16block_id_wrapperIjLb0EEEEE10hipError_tT1_PNSt15iterator_traitsISK_E10value_typeET2_T3_PNSL_ISQ_E10value_typeET4_T5_PSV_SW_PNS1_23onesweep_lookback_stateEbbT6_jjT7_P12ihipStream_tbENKUlT_T0_SK_SP_E_clISE_SE_SF_SF_EEDaS13_S14_SK_SP_EUlS13_E_NS1_11comp_targetILNS1_3genE3ELNS1_11target_archE908ELNS1_3gpuE7ELNS1_3repE0EEENS1_47radix_sort_onesweep_sort_config_static_selectorELNS0_4arch9wavefront6targetE0EEEvSK_: ; @_ZN7rocprim17ROCPRIM_400000_NS6detail17trampoline_kernelINS0_14default_configENS1_35radix_sort_onesweep_config_selectorIiNS0_10empty_typeEEEZZNS1_29radix_sort_onesweep_iterationIS3_Lb0EN6thrust23THRUST_200600_302600_NS6detail15normal_iteratorINS9_10device_ptrIiEEEESE_PS5_SF_jNS0_19identity_decomposerENS1_16block_id_wrapperIjLb0EEEEE10hipError_tT1_PNSt15iterator_traitsISK_E10value_typeET2_T3_PNSL_ISQ_E10value_typeET4_T5_PSV_SW_PNS1_23onesweep_lookback_stateEbbT6_jjT7_P12ihipStream_tbENKUlT_T0_SK_SP_E_clISE_SE_SF_SF_EEDaS13_S14_SK_SP_EUlS13_E_NS1_11comp_targetILNS1_3genE3ELNS1_11target_archE908ELNS1_3gpuE7ELNS1_3repE0EEENS1_47radix_sort_onesweep_sort_config_static_selectorELNS0_4arch9wavefront6targetE0EEEvSK_
; %bb.0:
	.section	.rodata,"a",@progbits
	.p2align	6, 0x0
	.amdhsa_kernel _ZN7rocprim17ROCPRIM_400000_NS6detail17trampoline_kernelINS0_14default_configENS1_35radix_sort_onesweep_config_selectorIiNS0_10empty_typeEEEZZNS1_29radix_sort_onesweep_iterationIS3_Lb0EN6thrust23THRUST_200600_302600_NS6detail15normal_iteratorINS9_10device_ptrIiEEEESE_PS5_SF_jNS0_19identity_decomposerENS1_16block_id_wrapperIjLb0EEEEE10hipError_tT1_PNSt15iterator_traitsISK_E10value_typeET2_T3_PNSL_ISQ_E10value_typeET4_T5_PSV_SW_PNS1_23onesweep_lookback_stateEbbT6_jjT7_P12ihipStream_tbENKUlT_T0_SK_SP_E_clISE_SE_SF_SF_EEDaS13_S14_SK_SP_EUlS13_E_NS1_11comp_targetILNS1_3genE3ELNS1_11target_archE908ELNS1_3gpuE7ELNS1_3repE0EEENS1_47radix_sort_onesweep_sort_config_static_selectorELNS0_4arch9wavefront6targetE0EEEvSK_
		.amdhsa_group_segment_fixed_size 0
		.amdhsa_private_segment_fixed_size 0
		.amdhsa_kernarg_size 88
		.amdhsa_user_sgpr_count 6
		.amdhsa_user_sgpr_private_segment_buffer 1
		.amdhsa_user_sgpr_dispatch_ptr 0
		.amdhsa_user_sgpr_queue_ptr 0
		.amdhsa_user_sgpr_kernarg_segment_ptr 1
		.amdhsa_user_sgpr_dispatch_id 0
		.amdhsa_user_sgpr_flat_scratch_init 0
		.amdhsa_user_sgpr_private_segment_size 0
		.amdhsa_wavefront_size32 1
		.amdhsa_uses_dynamic_stack 0
		.amdhsa_system_sgpr_private_segment_wavefront_offset 0
		.amdhsa_system_sgpr_workgroup_id_x 1
		.amdhsa_system_sgpr_workgroup_id_y 0
		.amdhsa_system_sgpr_workgroup_id_z 0
		.amdhsa_system_sgpr_workgroup_info 0
		.amdhsa_system_vgpr_workitem_id 0
		.amdhsa_next_free_vgpr 1
		.amdhsa_next_free_sgpr 1
		.amdhsa_reserve_vcc 0
		.amdhsa_reserve_flat_scratch 0
		.amdhsa_float_round_mode_32 0
		.amdhsa_float_round_mode_16_64 0
		.amdhsa_float_denorm_mode_32 3
		.amdhsa_float_denorm_mode_16_64 3
		.amdhsa_dx10_clamp 1
		.amdhsa_ieee_mode 1
		.amdhsa_fp16_overflow 0
		.amdhsa_workgroup_processor_mode 1
		.amdhsa_memory_ordered 1
		.amdhsa_forward_progress 1
		.amdhsa_shared_vgpr_count 0
		.amdhsa_exception_fp_ieee_invalid_op 0
		.amdhsa_exception_fp_denorm_src 0
		.amdhsa_exception_fp_ieee_div_zero 0
		.amdhsa_exception_fp_ieee_overflow 0
		.amdhsa_exception_fp_ieee_underflow 0
		.amdhsa_exception_fp_ieee_inexact 0
		.amdhsa_exception_int_div_zero 0
	.end_amdhsa_kernel
	.section	.text._ZN7rocprim17ROCPRIM_400000_NS6detail17trampoline_kernelINS0_14default_configENS1_35radix_sort_onesweep_config_selectorIiNS0_10empty_typeEEEZZNS1_29radix_sort_onesweep_iterationIS3_Lb0EN6thrust23THRUST_200600_302600_NS6detail15normal_iteratorINS9_10device_ptrIiEEEESE_PS5_SF_jNS0_19identity_decomposerENS1_16block_id_wrapperIjLb0EEEEE10hipError_tT1_PNSt15iterator_traitsISK_E10value_typeET2_T3_PNSL_ISQ_E10value_typeET4_T5_PSV_SW_PNS1_23onesweep_lookback_stateEbbT6_jjT7_P12ihipStream_tbENKUlT_T0_SK_SP_E_clISE_SE_SF_SF_EEDaS13_S14_SK_SP_EUlS13_E_NS1_11comp_targetILNS1_3genE3ELNS1_11target_archE908ELNS1_3gpuE7ELNS1_3repE0EEENS1_47radix_sort_onesweep_sort_config_static_selectorELNS0_4arch9wavefront6targetE0EEEvSK_,"axG",@progbits,_ZN7rocprim17ROCPRIM_400000_NS6detail17trampoline_kernelINS0_14default_configENS1_35radix_sort_onesweep_config_selectorIiNS0_10empty_typeEEEZZNS1_29radix_sort_onesweep_iterationIS3_Lb0EN6thrust23THRUST_200600_302600_NS6detail15normal_iteratorINS9_10device_ptrIiEEEESE_PS5_SF_jNS0_19identity_decomposerENS1_16block_id_wrapperIjLb0EEEEE10hipError_tT1_PNSt15iterator_traitsISK_E10value_typeET2_T3_PNSL_ISQ_E10value_typeET4_T5_PSV_SW_PNS1_23onesweep_lookback_stateEbbT6_jjT7_P12ihipStream_tbENKUlT_T0_SK_SP_E_clISE_SE_SF_SF_EEDaS13_S14_SK_SP_EUlS13_E_NS1_11comp_targetILNS1_3genE3ELNS1_11target_archE908ELNS1_3gpuE7ELNS1_3repE0EEENS1_47radix_sort_onesweep_sort_config_static_selectorELNS0_4arch9wavefront6targetE0EEEvSK_,comdat
.Lfunc_end191:
	.size	_ZN7rocprim17ROCPRIM_400000_NS6detail17trampoline_kernelINS0_14default_configENS1_35radix_sort_onesweep_config_selectorIiNS0_10empty_typeEEEZZNS1_29radix_sort_onesweep_iterationIS3_Lb0EN6thrust23THRUST_200600_302600_NS6detail15normal_iteratorINS9_10device_ptrIiEEEESE_PS5_SF_jNS0_19identity_decomposerENS1_16block_id_wrapperIjLb0EEEEE10hipError_tT1_PNSt15iterator_traitsISK_E10value_typeET2_T3_PNSL_ISQ_E10value_typeET4_T5_PSV_SW_PNS1_23onesweep_lookback_stateEbbT6_jjT7_P12ihipStream_tbENKUlT_T0_SK_SP_E_clISE_SE_SF_SF_EEDaS13_S14_SK_SP_EUlS13_E_NS1_11comp_targetILNS1_3genE3ELNS1_11target_archE908ELNS1_3gpuE7ELNS1_3repE0EEENS1_47radix_sort_onesweep_sort_config_static_selectorELNS0_4arch9wavefront6targetE0EEEvSK_, .Lfunc_end191-_ZN7rocprim17ROCPRIM_400000_NS6detail17trampoline_kernelINS0_14default_configENS1_35radix_sort_onesweep_config_selectorIiNS0_10empty_typeEEEZZNS1_29radix_sort_onesweep_iterationIS3_Lb0EN6thrust23THRUST_200600_302600_NS6detail15normal_iteratorINS9_10device_ptrIiEEEESE_PS5_SF_jNS0_19identity_decomposerENS1_16block_id_wrapperIjLb0EEEEE10hipError_tT1_PNSt15iterator_traitsISK_E10value_typeET2_T3_PNSL_ISQ_E10value_typeET4_T5_PSV_SW_PNS1_23onesweep_lookback_stateEbbT6_jjT7_P12ihipStream_tbENKUlT_T0_SK_SP_E_clISE_SE_SF_SF_EEDaS13_S14_SK_SP_EUlS13_E_NS1_11comp_targetILNS1_3genE3ELNS1_11target_archE908ELNS1_3gpuE7ELNS1_3repE0EEENS1_47radix_sort_onesweep_sort_config_static_selectorELNS0_4arch9wavefront6targetE0EEEvSK_
                                        ; -- End function
	.set _ZN7rocprim17ROCPRIM_400000_NS6detail17trampoline_kernelINS0_14default_configENS1_35radix_sort_onesweep_config_selectorIiNS0_10empty_typeEEEZZNS1_29radix_sort_onesweep_iterationIS3_Lb0EN6thrust23THRUST_200600_302600_NS6detail15normal_iteratorINS9_10device_ptrIiEEEESE_PS5_SF_jNS0_19identity_decomposerENS1_16block_id_wrapperIjLb0EEEEE10hipError_tT1_PNSt15iterator_traitsISK_E10value_typeET2_T3_PNSL_ISQ_E10value_typeET4_T5_PSV_SW_PNS1_23onesweep_lookback_stateEbbT6_jjT7_P12ihipStream_tbENKUlT_T0_SK_SP_E_clISE_SE_SF_SF_EEDaS13_S14_SK_SP_EUlS13_E_NS1_11comp_targetILNS1_3genE3ELNS1_11target_archE908ELNS1_3gpuE7ELNS1_3repE0EEENS1_47radix_sort_onesweep_sort_config_static_selectorELNS0_4arch9wavefront6targetE0EEEvSK_.num_vgpr, 0
	.set _ZN7rocprim17ROCPRIM_400000_NS6detail17trampoline_kernelINS0_14default_configENS1_35radix_sort_onesweep_config_selectorIiNS0_10empty_typeEEEZZNS1_29radix_sort_onesweep_iterationIS3_Lb0EN6thrust23THRUST_200600_302600_NS6detail15normal_iteratorINS9_10device_ptrIiEEEESE_PS5_SF_jNS0_19identity_decomposerENS1_16block_id_wrapperIjLb0EEEEE10hipError_tT1_PNSt15iterator_traitsISK_E10value_typeET2_T3_PNSL_ISQ_E10value_typeET4_T5_PSV_SW_PNS1_23onesweep_lookback_stateEbbT6_jjT7_P12ihipStream_tbENKUlT_T0_SK_SP_E_clISE_SE_SF_SF_EEDaS13_S14_SK_SP_EUlS13_E_NS1_11comp_targetILNS1_3genE3ELNS1_11target_archE908ELNS1_3gpuE7ELNS1_3repE0EEENS1_47radix_sort_onesweep_sort_config_static_selectorELNS0_4arch9wavefront6targetE0EEEvSK_.num_agpr, 0
	.set _ZN7rocprim17ROCPRIM_400000_NS6detail17trampoline_kernelINS0_14default_configENS1_35radix_sort_onesweep_config_selectorIiNS0_10empty_typeEEEZZNS1_29radix_sort_onesweep_iterationIS3_Lb0EN6thrust23THRUST_200600_302600_NS6detail15normal_iteratorINS9_10device_ptrIiEEEESE_PS5_SF_jNS0_19identity_decomposerENS1_16block_id_wrapperIjLb0EEEEE10hipError_tT1_PNSt15iterator_traitsISK_E10value_typeET2_T3_PNSL_ISQ_E10value_typeET4_T5_PSV_SW_PNS1_23onesweep_lookback_stateEbbT6_jjT7_P12ihipStream_tbENKUlT_T0_SK_SP_E_clISE_SE_SF_SF_EEDaS13_S14_SK_SP_EUlS13_E_NS1_11comp_targetILNS1_3genE3ELNS1_11target_archE908ELNS1_3gpuE7ELNS1_3repE0EEENS1_47radix_sort_onesweep_sort_config_static_selectorELNS0_4arch9wavefront6targetE0EEEvSK_.numbered_sgpr, 0
	.set _ZN7rocprim17ROCPRIM_400000_NS6detail17trampoline_kernelINS0_14default_configENS1_35radix_sort_onesweep_config_selectorIiNS0_10empty_typeEEEZZNS1_29radix_sort_onesweep_iterationIS3_Lb0EN6thrust23THRUST_200600_302600_NS6detail15normal_iteratorINS9_10device_ptrIiEEEESE_PS5_SF_jNS0_19identity_decomposerENS1_16block_id_wrapperIjLb0EEEEE10hipError_tT1_PNSt15iterator_traitsISK_E10value_typeET2_T3_PNSL_ISQ_E10value_typeET4_T5_PSV_SW_PNS1_23onesweep_lookback_stateEbbT6_jjT7_P12ihipStream_tbENKUlT_T0_SK_SP_E_clISE_SE_SF_SF_EEDaS13_S14_SK_SP_EUlS13_E_NS1_11comp_targetILNS1_3genE3ELNS1_11target_archE908ELNS1_3gpuE7ELNS1_3repE0EEENS1_47radix_sort_onesweep_sort_config_static_selectorELNS0_4arch9wavefront6targetE0EEEvSK_.num_named_barrier, 0
	.set _ZN7rocprim17ROCPRIM_400000_NS6detail17trampoline_kernelINS0_14default_configENS1_35radix_sort_onesweep_config_selectorIiNS0_10empty_typeEEEZZNS1_29radix_sort_onesweep_iterationIS3_Lb0EN6thrust23THRUST_200600_302600_NS6detail15normal_iteratorINS9_10device_ptrIiEEEESE_PS5_SF_jNS0_19identity_decomposerENS1_16block_id_wrapperIjLb0EEEEE10hipError_tT1_PNSt15iterator_traitsISK_E10value_typeET2_T3_PNSL_ISQ_E10value_typeET4_T5_PSV_SW_PNS1_23onesweep_lookback_stateEbbT6_jjT7_P12ihipStream_tbENKUlT_T0_SK_SP_E_clISE_SE_SF_SF_EEDaS13_S14_SK_SP_EUlS13_E_NS1_11comp_targetILNS1_3genE3ELNS1_11target_archE908ELNS1_3gpuE7ELNS1_3repE0EEENS1_47radix_sort_onesweep_sort_config_static_selectorELNS0_4arch9wavefront6targetE0EEEvSK_.private_seg_size, 0
	.set _ZN7rocprim17ROCPRIM_400000_NS6detail17trampoline_kernelINS0_14default_configENS1_35radix_sort_onesweep_config_selectorIiNS0_10empty_typeEEEZZNS1_29radix_sort_onesweep_iterationIS3_Lb0EN6thrust23THRUST_200600_302600_NS6detail15normal_iteratorINS9_10device_ptrIiEEEESE_PS5_SF_jNS0_19identity_decomposerENS1_16block_id_wrapperIjLb0EEEEE10hipError_tT1_PNSt15iterator_traitsISK_E10value_typeET2_T3_PNSL_ISQ_E10value_typeET4_T5_PSV_SW_PNS1_23onesweep_lookback_stateEbbT6_jjT7_P12ihipStream_tbENKUlT_T0_SK_SP_E_clISE_SE_SF_SF_EEDaS13_S14_SK_SP_EUlS13_E_NS1_11comp_targetILNS1_3genE3ELNS1_11target_archE908ELNS1_3gpuE7ELNS1_3repE0EEENS1_47radix_sort_onesweep_sort_config_static_selectorELNS0_4arch9wavefront6targetE0EEEvSK_.uses_vcc, 0
	.set _ZN7rocprim17ROCPRIM_400000_NS6detail17trampoline_kernelINS0_14default_configENS1_35radix_sort_onesweep_config_selectorIiNS0_10empty_typeEEEZZNS1_29radix_sort_onesweep_iterationIS3_Lb0EN6thrust23THRUST_200600_302600_NS6detail15normal_iteratorINS9_10device_ptrIiEEEESE_PS5_SF_jNS0_19identity_decomposerENS1_16block_id_wrapperIjLb0EEEEE10hipError_tT1_PNSt15iterator_traitsISK_E10value_typeET2_T3_PNSL_ISQ_E10value_typeET4_T5_PSV_SW_PNS1_23onesweep_lookback_stateEbbT6_jjT7_P12ihipStream_tbENKUlT_T0_SK_SP_E_clISE_SE_SF_SF_EEDaS13_S14_SK_SP_EUlS13_E_NS1_11comp_targetILNS1_3genE3ELNS1_11target_archE908ELNS1_3gpuE7ELNS1_3repE0EEENS1_47radix_sort_onesweep_sort_config_static_selectorELNS0_4arch9wavefront6targetE0EEEvSK_.uses_flat_scratch, 0
	.set _ZN7rocprim17ROCPRIM_400000_NS6detail17trampoline_kernelINS0_14default_configENS1_35radix_sort_onesweep_config_selectorIiNS0_10empty_typeEEEZZNS1_29radix_sort_onesweep_iterationIS3_Lb0EN6thrust23THRUST_200600_302600_NS6detail15normal_iteratorINS9_10device_ptrIiEEEESE_PS5_SF_jNS0_19identity_decomposerENS1_16block_id_wrapperIjLb0EEEEE10hipError_tT1_PNSt15iterator_traitsISK_E10value_typeET2_T3_PNSL_ISQ_E10value_typeET4_T5_PSV_SW_PNS1_23onesweep_lookback_stateEbbT6_jjT7_P12ihipStream_tbENKUlT_T0_SK_SP_E_clISE_SE_SF_SF_EEDaS13_S14_SK_SP_EUlS13_E_NS1_11comp_targetILNS1_3genE3ELNS1_11target_archE908ELNS1_3gpuE7ELNS1_3repE0EEENS1_47radix_sort_onesweep_sort_config_static_selectorELNS0_4arch9wavefront6targetE0EEEvSK_.has_dyn_sized_stack, 0
	.set _ZN7rocprim17ROCPRIM_400000_NS6detail17trampoline_kernelINS0_14default_configENS1_35radix_sort_onesweep_config_selectorIiNS0_10empty_typeEEEZZNS1_29radix_sort_onesweep_iterationIS3_Lb0EN6thrust23THRUST_200600_302600_NS6detail15normal_iteratorINS9_10device_ptrIiEEEESE_PS5_SF_jNS0_19identity_decomposerENS1_16block_id_wrapperIjLb0EEEEE10hipError_tT1_PNSt15iterator_traitsISK_E10value_typeET2_T3_PNSL_ISQ_E10value_typeET4_T5_PSV_SW_PNS1_23onesweep_lookback_stateEbbT6_jjT7_P12ihipStream_tbENKUlT_T0_SK_SP_E_clISE_SE_SF_SF_EEDaS13_S14_SK_SP_EUlS13_E_NS1_11comp_targetILNS1_3genE3ELNS1_11target_archE908ELNS1_3gpuE7ELNS1_3repE0EEENS1_47radix_sort_onesweep_sort_config_static_selectorELNS0_4arch9wavefront6targetE0EEEvSK_.has_recursion, 0
	.set _ZN7rocprim17ROCPRIM_400000_NS6detail17trampoline_kernelINS0_14default_configENS1_35radix_sort_onesweep_config_selectorIiNS0_10empty_typeEEEZZNS1_29radix_sort_onesweep_iterationIS3_Lb0EN6thrust23THRUST_200600_302600_NS6detail15normal_iteratorINS9_10device_ptrIiEEEESE_PS5_SF_jNS0_19identity_decomposerENS1_16block_id_wrapperIjLb0EEEEE10hipError_tT1_PNSt15iterator_traitsISK_E10value_typeET2_T3_PNSL_ISQ_E10value_typeET4_T5_PSV_SW_PNS1_23onesweep_lookback_stateEbbT6_jjT7_P12ihipStream_tbENKUlT_T0_SK_SP_E_clISE_SE_SF_SF_EEDaS13_S14_SK_SP_EUlS13_E_NS1_11comp_targetILNS1_3genE3ELNS1_11target_archE908ELNS1_3gpuE7ELNS1_3repE0EEENS1_47radix_sort_onesweep_sort_config_static_selectorELNS0_4arch9wavefront6targetE0EEEvSK_.has_indirect_call, 0
	.section	.AMDGPU.csdata,"",@progbits
; Kernel info:
; codeLenInByte = 0
; TotalNumSgprs: 0
; NumVgprs: 0
; ScratchSize: 0
; MemoryBound: 0
; FloatMode: 240
; IeeeMode: 1
; LDSByteSize: 0 bytes/workgroup (compile time only)
; SGPRBlocks: 0
; VGPRBlocks: 0
; NumSGPRsForWavesPerEU: 1
; NumVGPRsForWavesPerEU: 1
; Occupancy: 16
; WaveLimiterHint : 0
; COMPUTE_PGM_RSRC2:SCRATCH_EN: 0
; COMPUTE_PGM_RSRC2:USER_SGPR: 6
; COMPUTE_PGM_RSRC2:TRAP_HANDLER: 0
; COMPUTE_PGM_RSRC2:TGID_X_EN: 1
; COMPUTE_PGM_RSRC2:TGID_Y_EN: 0
; COMPUTE_PGM_RSRC2:TGID_Z_EN: 0
; COMPUTE_PGM_RSRC2:TIDIG_COMP_CNT: 0
	.section	.text._ZN7rocprim17ROCPRIM_400000_NS6detail17trampoline_kernelINS0_14default_configENS1_35radix_sort_onesweep_config_selectorIiNS0_10empty_typeEEEZZNS1_29radix_sort_onesweep_iterationIS3_Lb0EN6thrust23THRUST_200600_302600_NS6detail15normal_iteratorINS9_10device_ptrIiEEEESE_PS5_SF_jNS0_19identity_decomposerENS1_16block_id_wrapperIjLb0EEEEE10hipError_tT1_PNSt15iterator_traitsISK_E10value_typeET2_T3_PNSL_ISQ_E10value_typeET4_T5_PSV_SW_PNS1_23onesweep_lookback_stateEbbT6_jjT7_P12ihipStream_tbENKUlT_T0_SK_SP_E_clISE_SE_SF_SF_EEDaS13_S14_SK_SP_EUlS13_E_NS1_11comp_targetILNS1_3genE10ELNS1_11target_archE1201ELNS1_3gpuE5ELNS1_3repE0EEENS1_47radix_sort_onesweep_sort_config_static_selectorELNS0_4arch9wavefront6targetE0EEEvSK_,"axG",@progbits,_ZN7rocprim17ROCPRIM_400000_NS6detail17trampoline_kernelINS0_14default_configENS1_35radix_sort_onesweep_config_selectorIiNS0_10empty_typeEEEZZNS1_29radix_sort_onesweep_iterationIS3_Lb0EN6thrust23THRUST_200600_302600_NS6detail15normal_iteratorINS9_10device_ptrIiEEEESE_PS5_SF_jNS0_19identity_decomposerENS1_16block_id_wrapperIjLb0EEEEE10hipError_tT1_PNSt15iterator_traitsISK_E10value_typeET2_T3_PNSL_ISQ_E10value_typeET4_T5_PSV_SW_PNS1_23onesweep_lookback_stateEbbT6_jjT7_P12ihipStream_tbENKUlT_T0_SK_SP_E_clISE_SE_SF_SF_EEDaS13_S14_SK_SP_EUlS13_E_NS1_11comp_targetILNS1_3genE10ELNS1_11target_archE1201ELNS1_3gpuE5ELNS1_3repE0EEENS1_47radix_sort_onesweep_sort_config_static_selectorELNS0_4arch9wavefront6targetE0EEEvSK_,comdat
	.protected	_ZN7rocprim17ROCPRIM_400000_NS6detail17trampoline_kernelINS0_14default_configENS1_35radix_sort_onesweep_config_selectorIiNS0_10empty_typeEEEZZNS1_29radix_sort_onesweep_iterationIS3_Lb0EN6thrust23THRUST_200600_302600_NS6detail15normal_iteratorINS9_10device_ptrIiEEEESE_PS5_SF_jNS0_19identity_decomposerENS1_16block_id_wrapperIjLb0EEEEE10hipError_tT1_PNSt15iterator_traitsISK_E10value_typeET2_T3_PNSL_ISQ_E10value_typeET4_T5_PSV_SW_PNS1_23onesweep_lookback_stateEbbT6_jjT7_P12ihipStream_tbENKUlT_T0_SK_SP_E_clISE_SE_SF_SF_EEDaS13_S14_SK_SP_EUlS13_E_NS1_11comp_targetILNS1_3genE10ELNS1_11target_archE1201ELNS1_3gpuE5ELNS1_3repE0EEENS1_47radix_sort_onesweep_sort_config_static_selectorELNS0_4arch9wavefront6targetE0EEEvSK_ ; -- Begin function _ZN7rocprim17ROCPRIM_400000_NS6detail17trampoline_kernelINS0_14default_configENS1_35radix_sort_onesweep_config_selectorIiNS0_10empty_typeEEEZZNS1_29radix_sort_onesweep_iterationIS3_Lb0EN6thrust23THRUST_200600_302600_NS6detail15normal_iteratorINS9_10device_ptrIiEEEESE_PS5_SF_jNS0_19identity_decomposerENS1_16block_id_wrapperIjLb0EEEEE10hipError_tT1_PNSt15iterator_traitsISK_E10value_typeET2_T3_PNSL_ISQ_E10value_typeET4_T5_PSV_SW_PNS1_23onesweep_lookback_stateEbbT6_jjT7_P12ihipStream_tbENKUlT_T0_SK_SP_E_clISE_SE_SF_SF_EEDaS13_S14_SK_SP_EUlS13_E_NS1_11comp_targetILNS1_3genE10ELNS1_11target_archE1201ELNS1_3gpuE5ELNS1_3repE0EEENS1_47radix_sort_onesweep_sort_config_static_selectorELNS0_4arch9wavefront6targetE0EEEvSK_
	.globl	_ZN7rocprim17ROCPRIM_400000_NS6detail17trampoline_kernelINS0_14default_configENS1_35radix_sort_onesweep_config_selectorIiNS0_10empty_typeEEEZZNS1_29radix_sort_onesweep_iterationIS3_Lb0EN6thrust23THRUST_200600_302600_NS6detail15normal_iteratorINS9_10device_ptrIiEEEESE_PS5_SF_jNS0_19identity_decomposerENS1_16block_id_wrapperIjLb0EEEEE10hipError_tT1_PNSt15iterator_traitsISK_E10value_typeET2_T3_PNSL_ISQ_E10value_typeET4_T5_PSV_SW_PNS1_23onesweep_lookback_stateEbbT6_jjT7_P12ihipStream_tbENKUlT_T0_SK_SP_E_clISE_SE_SF_SF_EEDaS13_S14_SK_SP_EUlS13_E_NS1_11comp_targetILNS1_3genE10ELNS1_11target_archE1201ELNS1_3gpuE5ELNS1_3repE0EEENS1_47radix_sort_onesweep_sort_config_static_selectorELNS0_4arch9wavefront6targetE0EEEvSK_
	.p2align	8
	.type	_ZN7rocprim17ROCPRIM_400000_NS6detail17trampoline_kernelINS0_14default_configENS1_35radix_sort_onesweep_config_selectorIiNS0_10empty_typeEEEZZNS1_29radix_sort_onesweep_iterationIS3_Lb0EN6thrust23THRUST_200600_302600_NS6detail15normal_iteratorINS9_10device_ptrIiEEEESE_PS5_SF_jNS0_19identity_decomposerENS1_16block_id_wrapperIjLb0EEEEE10hipError_tT1_PNSt15iterator_traitsISK_E10value_typeET2_T3_PNSL_ISQ_E10value_typeET4_T5_PSV_SW_PNS1_23onesweep_lookback_stateEbbT6_jjT7_P12ihipStream_tbENKUlT_T0_SK_SP_E_clISE_SE_SF_SF_EEDaS13_S14_SK_SP_EUlS13_E_NS1_11comp_targetILNS1_3genE10ELNS1_11target_archE1201ELNS1_3gpuE5ELNS1_3repE0EEENS1_47radix_sort_onesweep_sort_config_static_selectorELNS0_4arch9wavefront6targetE0EEEvSK_,@function
_ZN7rocprim17ROCPRIM_400000_NS6detail17trampoline_kernelINS0_14default_configENS1_35radix_sort_onesweep_config_selectorIiNS0_10empty_typeEEEZZNS1_29radix_sort_onesweep_iterationIS3_Lb0EN6thrust23THRUST_200600_302600_NS6detail15normal_iteratorINS9_10device_ptrIiEEEESE_PS5_SF_jNS0_19identity_decomposerENS1_16block_id_wrapperIjLb0EEEEE10hipError_tT1_PNSt15iterator_traitsISK_E10value_typeET2_T3_PNSL_ISQ_E10value_typeET4_T5_PSV_SW_PNS1_23onesweep_lookback_stateEbbT6_jjT7_P12ihipStream_tbENKUlT_T0_SK_SP_E_clISE_SE_SF_SF_EEDaS13_S14_SK_SP_EUlS13_E_NS1_11comp_targetILNS1_3genE10ELNS1_11target_archE1201ELNS1_3gpuE5ELNS1_3repE0EEENS1_47radix_sort_onesweep_sort_config_static_selectorELNS0_4arch9wavefront6targetE0EEEvSK_: ; @_ZN7rocprim17ROCPRIM_400000_NS6detail17trampoline_kernelINS0_14default_configENS1_35radix_sort_onesweep_config_selectorIiNS0_10empty_typeEEEZZNS1_29radix_sort_onesweep_iterationIS3_Lb0EN6thrust23THRUST_200600_302600_NS6detail15normal_iteratorINS9_10device_ptrIiEEEESE_PS5_SF_jNS0_19identity_decomposerENS1_16block_id_wrapperIjLb0EEEEE10hipError_tT1_PNSt15iterator_traitsISK_E10value_typeET2_T3_PNSL_ISQ_E10value_typeET4_T5_PSV_SW_PNS1_23onesweep_lookback_stateEbbT6_jjT7_P12ihipStream_tbENKUlT_T0_SK_SP_E_clISE_SE_SF_SF_EEDaS13_S14_SK_SP_EUlS13_E_NS1_11comp_targetILNS1_3genE10ELNS1_11target_archE1201ELNS1_3gpuE5ELNS1_3repE0EEENS1_47radix_sort_onesweep_sort_config_static_selectorELNS0_4arch9wavefront6targetE0EEEvSK_
; %bb.0:
	.section	.rodata,"a",@progbits
	.p2align	6, 0x0
	.amdhsa_kernel _ZN7rocprim17ROCPRIM_400000_NS6detail17trampoline_kernelINS0_14default_configENS1_35radix_sort_onesweep_config_selectorIiNS0_10empty_typeEEEZZNS1_29radix_sort_onesweep_iterationIS3_Lb0EN6thrust23THRUST_200600_302600_NS6detail15normal_iteratorINS9_10device_ptrIiEEEESE_PS5_SF_jNS0_19identity_decomposerENS1_16block_id_wrapperIjLb0EEEEE10hipError_tT1_PNSt15iterator_traitsISK_E10value_typeET2_T3_PNSL_ISQ_E10value_typeET4_T5_PSV_SW_PNS1_23onesweep_lookback_stateEbbT6_jjT7_P12ihipStream_tbENKUlT_T0_SK_SP_E_clISE_SE_SF_SF_EEDaS13_S14_SK_SP_EUlS13_E_NS1_11comp_targetILNS1_3genE10ELNS1_11target_archE1201ELNS1_3gpuE5ELNS1_3repE0EEENS1_47radix_sort_onesweep_sort_config_static_selectorELNS0_4arch9wavefront6targetE0EEEvSK_
		.amdhsa_group_segment_fixed_size 0
		.amdhsa_private_segment_fixed_size 0
		.amdhsa_kernarg_size 88
		.amdhsa_user_sgpr_count 6
		.amdhsa_user_sgpr_private_segment_buffer 1
		.amdhsa_user_sgpr_dispatch_ptr 0
		.amdhsa_user_sgpr_queue_ptr 0
		.amdhsa_user_sgpr_kernarg_segment_ptr 1
		.amdhsa_user_sgpr_dispatch_id 0
		.amdhsa_user_sgpr_flat_scratch_init 0
		.amdhsa_user_sgpr_private_segment_size 0
		.amdhsa_wavefront_size32 1
		.amdhsa_uses_dynamic_stack 0
		.amdhsa_system_sgpr_private_segment_wavefront_offset 0
		.amdhsa_system_sgpr_workgroup_id_x 1
		.amdhsa_system_sgpr_workgroup_id_y 0
		.amdhsa_system_sgpr_workgroup_id_z 0
		.amdhsa_system_sgpr_workgroup_info 0
		.amdhsa_system_vgpr_workitem_id 0
		.amdhsa_next_free_vgpr 1
		.amdhsa_next_free_sgpr 1
		.amdhsa_reserve_vcc 0
		.amdhsa_reserve_flat_scratch 0
		.amdhsa_float_round_mode_32 0
		.amdhsa_float_round_mode_16_64 0
		.amdhsa_float_denorm_mode_32 3
		.amdhsa_float_denorm_mode_16_64 3
		.amdhsa_dx10_clamp 1
		.amdhsa_ieee_mode 1
		.amdhsa_fp16_overflow 0
		.amdhsa_workgroup_processor_mode 1
		.amdhsa_memory_ordered 1
		.amdhsa_forward_progress 1
		.amdhsa_shared_vgpr_count 0
		.amdhsa_exception_fp_ieee_invalid_op 0
		.amdhsa_exception_fp_denorm_src 0
		.amdhsa_exception_fp_ieee_div_zero 0
		.amdhsa_exception_fp_ieee_overflow 0
		.amdhsa_exception_fp_ieee_underflow 0
		.amdhsa_exception_fp_ieee_inexact 0
		.amdhsa_exception_int_div_zero 0
	.end_amdhsa_kernel
	.section	.text._ZN7rocprim17ROCPRIM_400000_NS6detail17trampoline_kernelINS0_14default_configENS1_35radix_sort_onesweep_config_selectorIiNS0_10empty_typeEEEZZNS1_29radix_sort_onesweep_iterationIS3_Lb0EN6thrust23THRUST_200600_302600_NS6detail15normal_iteratorINS9_10device_ptrIiEEEESE_PS5_SF_jNS0_19identity_decomposerENS1_16block_id_wrapperIjLb0EEEEE10hipError_tT1_PNSt15iterator_traitsISK_E10value_typeET2_T3_PNSL_ISQ_E10value_typeET4_T5_PSV_SW_PNS1_23onesweep_lookback_stateEbbT6_jjT7_P12ihipStream_tbENKUlT_T0_SK_SP_E_clISE_SE_SF_SF_EEDaS13_S14_SK_SP_EUlS13_E_NS1_11comp_targetILNS1_3genE10ELNS1_11target_archE1201ELNS1_3gpuE5ELNS1_3repE0EEENS1_47radix_sort_onesweep_sort_config_static_selectorELNS0_4arch9wavefront6targetE0EEEvSK_,"axG",@progbits,_ZN7rocprim17ROCPRIM_400000_NS6detail17trampoline_kernelINS0_14default_configENS1_35radix_sort_onesweep_config_selectorIiNS0_10empty_typeEEEZZNS1_29radix_sort_onesweep_iterationIS3_Lb0EN6thrust23THRUST_200600_302600_NS6detail15normal_iteratorINS9_10device_ptrIiEEEESE_PS5_SF_jNS0_19identity_decomposerENS1_16block_id_wrapperIjLb0EEEEE10hipError_tT1_PNSt15iterator_traitsISK_E10value_typeET2_T3_PNSL_ISQ_E10value_typeET4_T5_PSV_SW_PNS1_23onesweep_lookback_stateEbbT6_jjT7_P12ihipStream_tbENKUlT_T0_SK_SP_E_clISE_SE_SF_SF_EEDaS13_S14_SK_SP_EUlS13_E_NS1_11comp_targetILNS1_3genE10ELNS1_11target_archE1201ELNS1_3gpuE5ELNS1_3repE0EEENS1_47radix_sort_onesweep_sort_config_static_selectorELNS0_4arch9wavefront6targetE0EEEvSK_,comdat
.Lfunc_end192:
	.size	_ZN7rocprim17ROCPRIM_400000_NS6detail17trampoline_kernelINS0_14default_configENS1_35radix_sort_onesweep_config_selectorIiNS0_10empty_typeEEEZZNS1_29radix_sort_onesweep_iterationIS3_Lb0EN6thrust23THRUST_200600_302600_NS6detail15normal_iteratorINS9_10device_ptrIiEEEESE_PS5_SF_jNS0_19identity_decomposerENS1_16block_id_wrapperIjLb0EEEEE10hipError_tT1_PNSt15iterator_traitsISK_E10value_typeET2_T3_PNSL_ISQ_E10value_typeET4_T5_PSV_SW_PNS1_23onesweep_lookback_stateEbbT6_jjT7_P12ihipStream_tbENKUlT_T0_SK_SP_E_clISE_SE_SF_SF_EEDaS13_S14_SK_SP_EUlS13_E_NS1_11comp_targetILNS1_3genE10ELNS1_11target_archE1201ELNS1_3gpuE5ELNS1_3repE0EEENS1_47radix_sort_onesweep_sort_config_static_selectorELNS0_4arch9wavefront6targetE0EEEvSK_, .Lfunc_end192-_ZN7rocprim17ROCPRIM_400000_NS6detail17trampoline_kernelINS0_14default_configENS1_35radix_sort_onesweep_config_selectorIiNS0_10empty_typeEEEZZNS1_29radix_sort_onesweep_iterationIS3_Lb0EN6thrust23THRUST_200600_302600_NS6detail15normal_iteratorINS9_10device_ptrIiEEEESE_PS5_SF_jNS0_19identity_decomposerENS1_16block_id_wrapperIjLb0EEEEE10hipError_tT1_PNSt15iterator_traitsISK_E10value_typeET2_T3_PNSL_ISQ_E10value_typeET4_T5_PSV_SW_PNS1_23onesweep_lookback_stateEbbT6_jjT7_P12ihipStream_tbENKUlT_T0_SK_SP_E_clISE_SE_SF_SF_EEDaS13_S14_SK_SP_EUlS13_E_NS1_11comp_targetILNS1_3genE10ELNS1_11target_archE1201ELNS1_3gpuE5ELNS1_3repE0EEENS1_47radix_sort_onesweep_sort_config_static_selectorELNS0_4arch9wavefront6targetE0EEEvSK_
                                        ; -- End function
	.set _ZN7rocprim17ROCPRIM_400000_NS6detail17trampoline_kernelINS0_14default_configENS1_35radix_sort_onesweep_config_selectorIiNS0_10empty_typeEEEZZNS1_29radix_sort_onesweep_iterationIS3_Lb0EN6thrust23THRUST_200600_302600_NS6detail15normal_iteratorINS9_10device_ptrIiEEEESE_PS5_SF_jNS0_19identity_decomposerENS1_16block_id_wrapperIjLb0EEEEE10hipError_tT1_PNSt15iterator_traitsISK_E10value_typeET2_T3_PNSL_ISQ_E10value_typeET4_T5_PSV_SW_PNS1_23onesweep_lookback_stateEbbT6_jjT7_P12ihipStream_tbENKUlT_T0_SK_SP_E_clISE_SE_SF_SF_EEDaS13_S14_SK_SP_EUlS13_E_NS1_11comp_targetILNS1_3genE10ELNS1_11target_archE1201ELNS1_3gpuE5ELNS1_3repE0EEENS1_47radix_sort_onesweep_sort_config_static_selectorELNS0_4arch9wavefront6targetE0EEEvSK_.num_vgpr, 0
	.set _ZN7rocprim17ROCPRIM_400000_NS6detail17trampoline_kernelINS0_14default_configENS1_35radix_sort_onesweep_config_selectorIiNS0_10empty_typeEEEZZNS1_29radix_sort_onesweep_iterationIS3_Lb0EN6thrust23THRUST_200600_302600_NS6detail15normal_iteratorINS9_10device_ptrIiEEEESE_PS5_SF_jNS0_19identity_decomposerENS1_16block_id_wrapperIjLb0EEEEE10hipError_tT1_PNSt15iterator_traitsISK_E10value_typeET2_T3_PNSL_ISQ_E10value_typeET4_T5_PSV_SW_PNS1_23onesweep_lookback_stateEbbT6_jjT7_P12ihipStream_tbENKUlT_T0_SK_SP_E_clISE_SE_SF_SF_EEDaS13_S14_SK_SP_EUlS13_E_NS1_11comp_targetILNS1_3genE10ELNS1_11target_archE1201ELNS1_3gpuE5ELNS1_3repE0EEENS1_47radix_sort_onesweep_sort_config_static_selectorELNS0_4arch9wavefront6targetE0EEEvSK_.num_agpr, 0
	.set _ZN7rocprim17ROCPRIM_400000_NS6detail17trampoline_kernelINS0_14default_configENS1_35radix_sort_onesweep_config_selectorIiNS0_10empty_typeEEEZZNS1_29radix_sort_onesweep_iterationIS3_Lb0EN6thrust23THRUST_200600_302600_NS6detail15normal_iteratorINS9_10device_ptrIiEEEESE_PS5_SF_jNS0_19identity_decomposerENS1_16block_id_wrapperIjLb0EEEEE10hipError_tT1_PNSt15iterator_traitsISK_E10value_typeET2_T3_PNSL_ISQ_E10value_typeET4_T5_PSV_SW_PNS1_23onesweep_lookback_stateEbbT6_jjT7_P12ihipStream_tbENKUlT_T0_SK_SP_E_clISE_SE_SF_SF_EEDaS13_S14_SK_SP_EUlS13_E_NS1_11comp_targetILNS1_3genE10ELNS1_11target_archE1201ELNS1_3gpuE5ELNS1_3repE0EEENS1_47radix_sort_onesweep_sort_config_static_selectorELNS0_4arch9wavefront6targetE0EEEvSK_.numbered_sgpr, 0
	.set _ZN7rocprim17ROCPRIM_400000_NS6detail17trampoline_kernelINS0_14default_configENS1_35radix_sort_onesweep_config_selectorIiNS0_10empty_typeEEEZZNS1_29radix_sort_onesweep_iterationIS3_Lb0EN6thrust23THRUST_200600_302600_NS6detail15normal_iteratorINS9_10device_ptrIiEEEESE_PS5_SF_jNS0_19identity_decomposerENS1_16block_id_wrapperIjLb0EEEEE10hipError_tT1_PNSt15iterator_traitsISK_E10value_typeET2_T3_PNSL_ISQ_E10value_typeET4_T5_PSV_SW_PNS1_23onesweep_lookback_stateEbbT6_jjT7_P12ihipStream_tbENKUlT_T0_SK_SP_E_clISE_SE_SF_SF_EEDaS13_S14_SK_SP_EUlS13_E_NS1_11comp_targetILNS1_3genE10ELNS1_11target_archE1201ELNS1_3gpuE5ELNS1_3repE0EEENS1_47radix_sort_onesweep_sort_config_static_selectorELNS0_4arch9wavefront6targetE0EEEvSK_.num_named_barrier, 0
	.set _ZN7rocprim17ROCPRIM_400000_NS6detail17trampoline_kernelINS0_14default_configENS1_35radix_sort_onesweep_config_selectorIiNS0_10empty_typeEEEZZNS1_29radix_sort_onesweep_iterationIS3_Lb0EN6thrust23THRUST_200600_302600_NS6detail15normal_iteratorINS9_10device_ptrIiEEEESE_PS5_SF_jNS0_19identity_decomposerENS1_16block_id_wrapperIjLb0EEEEE10hipError_tT1_PNSt15iterator_traitsISK_E10value_typeET2_T3_PNSL_ISQ_E10value_typeET4_T5_PSV_SW_PNS1_23onesweep_lookback_stateEbbT6_jjT7_P12ihipStream_tbENKUlT_T0_SK_SP_E_clISE_SE_SF_SF_EEDaS13_S14_SK_SP_EUlS13_E_NS1_11comp_targetILNS1_3genE10ELNS1_11target_archE1201ELNS1_3gpuE5ELNS1_3repE0EEENS1_47radix_sort_onesweep_sort_config_static_selectorELNS0_4arch9wavefront6targetE0EEEvSK_.private_seg_size, 0
	.set _ZN7rocprim17ROCPRIM_400000_NS6detail17trampoline_kernelINS0_14default_configENS1_35radix_sort_onesweep_config_selectorIiNS0_10empty_typeEEEZZNS1_29radix_sort_onesweep_iterationIS3_Lb0EN6thrust23THRUST_200600_302600_NS6detail15normal_iteratorINS9_10device_ptrIiEEEESE_PS5_SF_jNS0_19identity_decomposerENS1_16block_id_wrapperIjLb0EEEEE10hipError_tT1_PNSt15iterator_traitsISK_E10value_typeET2_T3_PNSL_ISQ_E10value_typeET4_T5_PSV_SW_PNS1_23onesweep_lookback_stateEbbT6_jjT7_P12ihipStream_tbENKUlT_T0_SK_SP_E_clISE_SE_SF_SF_EEDaS13_S14_SK_SP_EUlS13_E_NS1_11comp_targetILNS1_3genE10ELNS1_11target_archE1201ELNS1_3gpuE5ELNS1_3repE0EEENS1_47radix_sort_onesweep_sort_config_static_selectorELNS0_4arch9wavefront6targetE0EEEvSK_.uses_vcc, 0
	.set _ZN7rocprim17ROCPRIM_400000_NS6detail17trampoline_kernelINS0_14default_configENS1_35radix_sort_onesweep_config_selectorIiNS0_10empty_typeEEEZZNS1_29radix_sort_onesweep_iterationIS3_Lb0EN6thrust23THRUST_200600_302600_NS6detail15normal_iteratorINS9_10device_ptrIiEEEESE_PS5_SF_jNS0_19identity_decomposerENS1_16block_id_wrapperIjLb0EEEEE10hipError_tT1_PNSt15iterator_traitsISK_E10value_typeET2_T3_PNSL_ISQ_E10value_typeET4_T5_PSV_SW_PNS1_23onesweep_lookback_stateEbbT6_jjT7_P12ihipStream_tbENKUlT_T0_SK_SP_E_clISE_SE_SF_SF_EEDaS13_S14_SK_SP_EUlS13_E_NS1_11comp_targetILNS1_3genE10ELNS1_11target_archE1201ELNS1_3gpuE5ELNS1_3repE0EEENS1_47radix_sort_onesweep_sort_config_static_selectorELNS0_4arch9wavefront6targetE0EEEvSK_.uses_flat_scratch, 0
	.set _ZN7rocprim17ROCPRIM_400000_NS6detail17trampoline_kernelINS0_14default_configENS1_35radix_sort_onesweep_config_selectorIiNS0_10empty_typeEEEZZNS1_29radix_sort_onesweep_iterationIS3_Lb0EN6thrust23THRUST_200600_302600_NS6detail15normal_iteratorINS9_10device_ptrIiEEEESE_PS5_SF_jNS0_19identity_decomposerENS1_16block_id_wrapperIjLb0EEEEE10hipError_tT1_PNSt15iterator_traitsISK_E10value_typeET2_T3_PNSL_ISQ_E10value_typeET4_T5_PSV_SW_PNS1_23onesweep_lookback_stateEbbT6_jjT7_P12ihipStream_tbENKUlT_T0_SK_SP_E_clISE_SE_SF_SF_EEDaS13_S14_SK_SP_EUlS13_E_NS1_11comp_targetILNS1_3genE10ELNS1_11target_archE1201ELNS1_3gpuE5ELNS1_3repE0EEENS1_47radix_sort_onesweep_sort_config_static_selectorELNS0_4arch9wavefront6targetE0EEEvSK_.has_dyn_sized_stack, 0
	.set _ZN7rocprim17ROCPRIM_400000_NS6detail17trampoline_kernelINS0_14default_configENS1_35radix_sort_onesweep_config_selectorIiNS0_10empty_typeEEEZZNS1_29radix_sort_onesweep_iterationIS3_Lb0EN6thrust23THRUST_200600_302600_NS6detail15normal_iteratorINS9_10device_ptrIiEEEESE_PS5_SF_jNS0_19identity_decomposerENS1_16block_id_wrapperIjLb0EEEEE10hipError_tT1_PNSt15iterator_traitsISK_E10value_typeET2_T3_PNSL_ISQ_E10value_typeET4_T5_PSV_SW_PNS1_23onesweep_lookback_stateEbbT6_jjT7_P12ihipStream_tbENKUlT_T0_SK_SP_E_clISE_SE_SF_SF_EEDaS13_S14_SK_SP_EUlS13_E_NS1_11comp_targetILNS1_3genE10ELNS1_11target_archE1201ELNS1_3gpuE5ELNS1_3repE0EEENS1_47radix_sort_onesweep_sort_config_static_selectorELNS0_4arch9wavefront6targetE0EEEvSK_.has_recursion, 0
	.set _ZN7rocprim17ROCPRIM_400000_NS6detail17trampoline_kernelINS0_14default_configENS1_35radix_sort_onesweep_config_selectorIiNS0_10empty_typeEEEZZNS1_29radix_sort_onesweep_iterationIS3_Lb0EN6thrust23THRUST_200600_302600_NS6detail15normal_iteratorINS9_10device_ptrIiEEEESE_PS5_SF_jNS0_19identity_decomposerENS1_16block_id_wrapperIjLb0EEEEE10hipError_tT1_PNSt15iterator_traitsISK_E10value_typeET2_T3_PNSL_ISQ_E10value_typeET4_T5_PSV_SW_PNS1_23onesweep_lookback_stateEbbT6_jjT7_P12ihipStream_tbENKUlT_T0_SK_SP_E_clISE_SE_SF_SF_EEDaS13_S14_SK_SP_EUlS13_E_NS1_11comp_targetILNS1_3genE10ELNS1_11target_archE1201ELNS1_3gpuE5ELNS1_3repE0EEENS1_47radix_sort_onesweep_sort_config_static_selectorELNS0_4arch9wavefront6targetE0EEEvSK_.has_indirect_call, 0
	.section	.AMDGPU.csdata,"",@progbits
; Kernel info:
; codeLenInByte = 0
; TotalNumSgprs: 0
; NumVgprs: 0
; ScratchSize: 0
; MemoryBound: 0
; FloatMode: 240
; IeeeMode: 1
; LDSByteSize: 0 bytes/workgroup (compile time only)
; SGPRBlocks: 0
; VGPRBlocks: 0
; NumSGPRsForWavesPerEU: 1
; NumVGPRsForWavesPerEU: 1
; Occupancy: 16
; WaveLimiterHint : 0
; COMPUTE_PGM_RSRC2:SCRATCH_EN: 0
; COMPUTE_PGM_RSRC2:USER_SGPR: 6
; COMPUTE_PGM_RSRC2:TRAP_HANDLER: 0
; COMPUTE_PGM_RSRC2:TGID_X_EN: 1
; COMPUTE_PGM_RSRC2:TGID_Y_EN: 0
; COMPUTE_PGM_RSRC2:TGID_Z_EN: 0
; COMPUTE_PGM_RSRC2:TIDIG_COMP_CNT: 0
	.section	.text._ZN7rocprim17ROCPRIM_400000_NS6detail17trampoline_kernelINS0_14default_configENS1_35radix_sort_onesweep_config_selectorIiNS0_10empty_typeEEEZZNS1_29radix_sort_onesweep_iterationIS3_Lb0EN6thrust23THRUST_200600_302600_NS6detail15normal_iteratorINS9_10device_ptrIiEEEESE_PS5_SF_jNS0_19identity_decomposerENS1_16block_id_wrapperIjLb0EEEEE10hipError_tT1_PNSt15iterator_traitsISK_E10value_typeET2_T3_PNSL_ISQ_E10value_typeET4_T5_PSV_SW_PNS1_23onesweep_lookback_stateEbbT6_jjT7_P12ihipStream_tbENKUlT_T0_SK_SP_E_clISE_SE_SF_SF_EEDaS13_S14_SK_SP_EUlS13_E_NS1_11comp_targetILNS1_3genE9ELNS1_11target_archE1100ELNS1_3gpuE3ELNS1_3repE0EEENS1_47radix_sort_onesweep_sort_config_static_selectorELNS0_4arch9wavefront6targetE0EEEvSK_,"axG",@progbits,_ZN7rocprim17ROCPRIM_400000_NS6detail17trampoline_kernelINS0_14default_configENS1_35radix_sort_onesweep_config_selectorIiNS0_10empty_typeEEEZZNS1_29radix_sort_onesweep_iterationIS3_Lb0EN6thrust23THRUST_200600_302600_NS6detail15normal_iteratorINS9_10device_ptrIiEEEESE_PS5_SF_jNS0_19identity_decomposerENS1_16block_id_wrapperIjLb0EEEEE10hipError_tT1_PNSt15iterator_traitsISK_E10value_typeET2_T3_PNSL_ISQ_E10value_typeET4_T5_PSV_SW_PNS1_23onesweep_lookback_stateEbbT6_jjT7_P12ihipStream_tbENKUlT_T0_SK_SP_E_clISE_SE_SF_SF_EEDaS13_S14_SK_SP_EUlS13_E_NS1_11comp_targetILNS1_3genE9ELNS1_11target_archE1100ELNS1_3gpuE3ELNS1_3repE0EEENS1_47radix_sort_onesweep_sort_config_static_selectorELNS0_4arch9wavefront6targetE0EEEvSK_,comdat
	.protected	_ZN7rocprim17ROCPRIM_400000_NS6detail17trampoline_kernelINS0_14default_configENS1_35radix_sort_onesweep_config_selectorIiNS0_10empty_typeEEEZZNS1_29radix_sort_onesweep_iterationIS3_Lb0EN6thrust23THRUST_200600_302600_NS6detail15normal_iteratorINS9_10device_ptrIiEEEESE_PS5_SF_jNS0_19identity_decomposerENS1_16block_id_wrapperIjLb0EEEEE10hipError_tT1_PNSt15iterator_traitsISK_E10value_typeET2_T3_PNSL_ISQ_E10value_typeET4_T5_PSV_SW_PNS1_23onesweep_lookback_stateEbbT6_jjT7_P12ihipStream_tbENKUlT_T0_SK_SP_E_clISE_SE_SF_SF_EEDaS13_S14_SK_SP_EUlS13_E_NS1_11comp_targetILNS1_3genE9ELNS1_11target_archE1100ELNS1_3gpuE3ELNS1_3repE0EEENS1_47radix_sort_onesweep_sort_config_static_selectorELNS0_4arch9wavefront6targetE0EEEvSK_ ; -- Begin function _ZN7rocprim17ROCPRIM_400000_NS6detail17trampoline_kernelINS0_14default_configENS1_35radix_sort_onesweep_config_selectorIiNS0_10empty_typeEEEZZNS1_29radix_sort_onesweep_iterationIS3_Lb0EN6thrust23THRUST_200600_302600_NS6detail15normal_iteratorINS9_10device_ptrIiEEEESE_PS5_SF_jNS0_19identity_decomposerENS1_16block_id_wrapperIjLb0EEEEE10hipError_tT1_PNSt15iterator_traitsISK_E10value_typeET2_T3_PNSL_ISQ_E10value_typeET4_T5_PSV_SW_PNS1_23onesweep_lookback_stateEbbT6_jjT7_P12ihipStream_tbENKUlT_T0_SK_SP_E_clISE_SE_SF_SF_EEDaS13_S14_SK_SP_EUlS13_E_NS1_11comp_targetILNS1_3genE9ELNS1_11target_archE1100ELNS1_3gpuE3ELNS1_3repE0EEENS1_47radix_sort_onesweep_sort_config_static_selectorELNS0_4arch9wavefront6targetE0EEEvSK_
	.globl	_ZN7rocprim17ROCPRIM_400000_NS6detail17trampoline_kernelINS0_14default_configENS1_35radix_sort_onesweep_config_selectorIiNS0_10empty_typeEEEZZNS1_29radix_sort_onesweep_iterationIS3_Lb0EN6thrust23THRUST_200600_302600_NS6detail15normal_iteratorINS9_10device_ptrIiEEEESE_PS5_SF_jNS0_19identity_decomposerENS1_16block_id_wrapperIjLb0EEEEE10hipError_tT1_PNSt15iterator_traitsISK_E10value_typeET2_T3_PNSL_ISQ_E10value_typeET4_T5_PSV_SW_PNS1_23onesweep_lookback_stateEbbT6_jjT7_P12ihipStream_tbENKUlT_T0_SK_SP_E_clISE_SE_SF_SF_EEDaS13_S14_SK_SP_EUlS13_E_NS1_11comp_targetILNS1_3genE9ELNS1_11target_archE1100ELNS1_3gpuE3ELNS1_3repE0EEENS1_47radix_sort_onesweep_sort_config_static_selectorELNS0_4arch9wavefront6targetE0EEEvSK_
	.p2align	8
	.type	_ZN7rocprim17ROCPRIM_400000_NS6detail17trampoline_kernelINS0_14default_configENS1_35radix_sort_onesweep_config_selectorIiNS0_10empty_typeEEEZZNS1_29radix_sort_onesweep_iterationIS3_Lb0EN6thrust23THRUST_200600_302600_NS6detail15normal_iteratorINS9_10device_ptrIiEEEESE_PS5_SF_jNS0_19identity_decomposerENS1_16block_id_wrapperIjLb0EEEEE10hipError_tT1_PNSt15iterator_traitsISK_E10value_typeET2_T3_PNSL_ISQ_E10value_typeET4_T5_PSV_SW_PNS1_23onesweep_lookback_stateEbbT6_jjT7_P12ihipStream_tbENKUlT_T0_SK_SP_E_clISE_SE_SF_SF_EEDaS13_S14_SK_SP_EUlS13_E_NS1_11comp_targetILNS1_3genE9ELNS1_11target_archE1100ELNS1_3gpuE3ELNS1_3repE0EEENS1_47radix_sort_onesweep_sort_config_static_selectorELNS0_4arch9wavefront6targetE0EEEvSK_,@function
_ZN7rocprim17ROCPRIM_400000_NS6detail17trampoline_kernelINS0_14default_configENS1_35radix_sort_onesweep_config_selectorIiNS0_10empty_typeEEEZZNS1_29radix_sort_onesweep_iterationIS3_Lb0EN6thrust23THRUST_200600_302600_NS6detail15normal_iteratorINS9_10device_ptrIiEEEESE_PS5_SF_jNS0_19identity_decomposerENS1_16block_id_wrapperIjLb0EEEEE10hipError_tT1_PNSt15iterator_traitsISK_E10value_typeET2_T3_PNSL_ISQ_E10value_typeET4_T5_PSV_SW_PNS1_23onesweep_lookback_stateEbbT6_jjT7_P12ihipStream_tbENKUlT_T0_SK_SP_E_clISE_SE_SF_SF_EEDaS13_S14_SK_SP_EUlS13_E_NS1_11comp_targetILNS1_3genE9ELNS1_11target_archE1100ELNS1_3gpuE3ELNS1_3repE0EEENS1_47radix_sort_onesweep_sort_config_static_selectorELNS0_4arch9wavefront6targetE0EEEvSK_: ; @_ZN7rocprim17ROCPRIM_400000_NS6detail17trampoline_kernelINS0_14default_configENS1_35radix_sort_onesweep_config_selectorIiNS0_10empty_typeEEEZZNS1_29radix_sort_onesweep_iterationIS3_Lb0EN6thrust23THRUST_200600_302600_NS6detail15normal_iteratorINS9_10device_ptrIiEEEESE_PS5_SF_jNS0_19identity_decomposerENS1_16block_id_wrapperIjLb0EEEEE10hipError_tT1_PNSt15iterator_traitsISK_E10value_typeET2_T3_PNSL_ISQ_E10value_typeET4_T5_PSV_SW_PNS1_23onesweep_lookback_stateEbbT6_jjT7_P12ihipStream_tbENKUlT_T0_SK_SP_E_clISE_SE_SF_SF_EEDaS13_S14_SK_SP_EUlS13_E_NS1_11comp_targetILNS1_3genE9ELNS1_11target_archE1100ELNS1_3gpuE3ELNS1_3repE0EEENS1_47radix_sort_onesweep_sort_config_static_selectorELNS0_4arch9wavefront6targetE0EEEvSK_
; %bb.0:
	.section	.rodata,"a",@progbits
	.p2align	6, 0x0
	.amdhsa_kernel _ZN7rocprim17ROCPRIM_400000_NS6detail17trampoline_kernelINS0_14default_configENS1_35radix_sort_onesweep_config_selectorIiNS0_10empty_typeEEEZZNS1_29radix_sort_onesweep_iterationIS3_Lb0EN6thrust23THRUST_200600_302600_NS6detail15normal_iteratorINS9_10device_ptrIiEEEESE_PS5_SF_jNS0_19identity_decomposerENS1_16block_id_wrapperIjLb0EEEEE10hipError_tT1_PNSt15iterator_traitsISK_E10value_typeET2_T3_PNSL_ISQ_E10value_typeET4_T5_PSV_SW_PNS1_23onesweep_lookback_stateEbbT6_jjT7_P12ihipStream_tbENKUlT_T0_SK_SP_E_clISE_SE_SF_SF_EEDaS13_S14_SK_SP_EUlS13_E_NS1_11comp_targetILNS1_3genE9ELNS1_11target_archE1100ELNS1_3gpuE3ELNS1_3repE0EEENS1_47radix_sort_onesweep_sort_config_static_selectorELNS0_4arch9wavefront6targetE0EEEvSK_
		.amdhsa_group_segment_fixed_size 0
		.amdhsa_private_segment_fixed_size 0
		.amdhsa_kernarg_size 88
		.amdhsa_user_sgpr_count 6
		.amdhsa_user_sgpr_private_segment_buffer 1
		.amdhsa_user_sgpr_dispatch_ptr 0
		.amdhsa_user_sgpr_queue_ptr 0
		.amdhsa_user_sgpr_kernarg_segment_ptr 1
		.amdhsa_user_sgpr_dispatch_id 0
		.amdhsa_user_sgpr_flat_scratch_init 0
		.amdhsa_user_sgpr_private_segment_size 0
		.amdhsa_wavefront_size32 1
		.amdhsa_uses_dynamic_stack 0
		.amdhsa_system_sgpr_private_segment_wavefront_offset 0
		.amdhsa_system_sgpr_workgroup_id_x 1
		.amdhsa_system_sgpr_workgroup_id_y 0
		.amdhsa_system_sgpr_workgroup_id_z 0
		.amdhsa_system_sgpr_workgroup_info 0
		.amdhsa_system_vgpr_workitem_id 0
		.amdhsa_next_free_vgpr 1
		.amdhsa_next_free_sgpr 1
		.amdhsa_reserve_vcc 0
		.amdhsa_reserve_flat_scratch 0
		.amdhsa_float_round_mode_32 0
		.amdhsa_float_round_mode_16_64 0
		.amdhsa_float_denorm_mode_32 3
		.amdhsa_float_denorm_mode_16_64 3
		.amdhsa_dx10_clamp 1
		.amdhsa_ieee_mode 1
		.amdhsa_fp16_overflow 0
		.amdhsa_workgroup_processor_mode 1
		.amdhsa_memory_ordered 1
		.amdhsa_forward_progress 1
		.amdhsa_shared_vgpr_count 0
		.amdhsa_exception_fp_ieee_invalid_op 0
		.amdhsa_exception_fp_denorm_src 0
		.amdhsa_exception_fp_ieee_div_zero 0
		.amdhsa_exception_fp_ieee_overflow 0
		.amdhsa_exception_fp_ieee_underflow 0
		.amdhsa_exception_fp_ieee_inexact 0
		.amdhsa_exception_int_div_zero 0
	.end_amdhsa_kernel
	.section	.text._ZN7rocprim17ROCPRIM_400000_NS6detail17trampoline_kernelINS0_14default_configENS1_35radix_sort_onesweep_config_selectorIiNS0_10empty_typeEEEZZNS1_29radix_sort_onesweep_iterationIS3_Lb0EN6thrust23THRUST_200600_302600_NS6detail15normal_iteratorINS9_10device_ptrIiEEEESE_PS5_SF_jNS0_19identity_decomposerENS1_16block_id_wrapperIjLb0EEEEE10hipError_tT1_PNSt15iterator_traitsISK_E10value_typeET2_T3_PNSL_ISQ_E10value_typeET4_T5_PSV_SW_PNS1_23onesweep_lookback_stateEbbT6_jjT7_P12ihipStream_tbENKUlT_T0_SK_SP_E_clISE_SE_SF_SF_EEDaS13_S14_SK_SP_EUlS13_E_NS1_11comp_targetILNS1_3genE9ELNS1_11target_archE1100ELNS1_3gpuE3ELNS1_3repE0EEENS1_47radix_sort_onesweep_sort_config_static_selectorELNS0_4arch9wavefront6targetE0EEEvSK_,"axG",@progbits,_ZN7rocprim17ROCPRIM_400000_NS6detail17trampoline_kernelINS0_14default_configENS1_35radix_sort_onesweep_config_selectorIiNS0_10empty_typeEEEZZNS1_29radix_sort_onesweep_iterationIS3_Lb0EN6thrust23THRUST_200600_302600_NS6detail15normal_iteratorINS9_10device_ptrIiEEEESE_PS5_SF_jNS0_19identity_decomposerENS1_16block_id_wrapperIjLb0EEEEE10hipError_tT1_PNSt15iterator_traitsISK_E10value_typeET2_T3_PNSL_ISQ_E10value_typeET4_T5_PSV_SW_PNS1_23onesweep_lookback_stateEbbT6_jjT7_P12ihipStream_tbENKUlT_T0_SK_SP_E_clISE_SE_SF_SF_EEDaS13_S14_SK_SP_EUlS13_E_NS1_11comp_targetILNS1_3genE9ELNS1_11target_archE1100ELNS1_3gpuE3ELNS1_3repE0EEENS1_47radix_sort_onesweep_sort_config_static_selectorELNS0_4arch9wavefront6targetE0EEEvSK_,comdat
.Lfunc_end193:
	.size	_ZN7rocprim17ROCPRIM_400000_NS6detail17trampoline_kernelINS0_14default_configENS1_35radix_sort_onesweep_config_selectorIiNS0_10empty_typeEEEZZNS1_29radix_sort_onesweep_iterationIS3_Lb0EN6thrust23THRUST_200600_302600_NS6detail15normal_iteratorINS9_10device_ptrIiEEEESE_PS5_SF_jNS0_19identity_decomposerENS1_16block_id_wrapperIjLb0EEEEE10hipError_tT1_PNSt15iterator_traitsISK_E10value_typeET2_T3_PNSL_ISQ_E10value_typeET4_T5_PSV_SW_PNS1_23onesweep_lookback_stateEbbT6_jjT7_P12ihipStream_tbENKUlT_T0_SK_SP_E_clISE_SE_SF_SF_EEDaS13_S14_SK_SP_EUlS13_E_NS1_11comp_targetILNS1_3genE9ELNS1_11target_archE1100ELNS1_3gpuE3ELNS1_3repE0EEENS1_47radix_sort_onesweep_sort_config_static_selectorELNS0_4arch9wavefront6targetE0EEEvSK_, .Lfunc_end193-_ZN7rocprim17ROCPRIM_400000_NS6detail17trampoline_kernelINS0_14default_configENS1_35radix_sort_onesweep_config_selectorIiNS0_10empty_typeEEEZZNS1_29radix_sort_onesweep_iterationIS3_Lb0EN6thrust23THRUST_200600_302600_NS6detail15normal_iteratorINS9_10device_ptrIiEEEESE_PS5_SF_jNS0_19identity_decomposerENS1_16block_id_wrapperIjLb0EEEEE10hipError_tT1_PNSt15iterator_traitsISK_E10value_typeET2_T3_PNSL_ISQ_E10value_typeET4_T5_PSV_SW_PNS1_23onesweep_lookback_stateEbbT6_jjT7_P12ihipStream_tbENKUlT_T0_SK_SP_E_clISE_SE_SF_SF_EEDaS13_S14_SK_SP_EUlS13_E_NS1_11comp_targetILNS1_3genE9ELNS1_11target_archE1100ELNS1_3gpuE3ELNS1_3repE0EEENS1_47radix_sort_onesweep_sort_config_static_selectorELNS0_4arch9wavefront6targetE0EEEvSK_
                                        ; -- End function
	.set _ZN7rocprim17ROCPRIM_400000_NS6detail17trampoline_kernelINS0_14default_configENS1_35radix_sort_onesweep_config_selectorIiNS0_10empty_typeEEEZZNS1_29radix_sort_onesweep_iterationIS3_Lb0EN6thrust23THRUST_200600_302600_NS6detail15normal_iteratorINS9_10device_ptrIiEEEESE_PS5_SF_jNS0_19identity_decomposerENS1_16block_id_wrapperIjLb0EEEEE10hipError_tT1_PNSt15iterator_traitsISK_E10value_typeET2_T3_PNSL_ISQ_E10value_typeET4_T5_PSV_SW_PNS1_23onesweep_lookback_stateEbbT6_jjT7_P12ihipStream_tbENKUlT_T0_SK_SP_E_clISE_SE_SF_SF_EEDaS13_S14_SK_SP_EUlS13_E_NS1_11comp_targetILNS1_3genE9ELNS1_11target_archE1100ELNS1_3gpuE3ELNS1_3repE0EEENS1_47radix_sort_onesweep_sort_config_static_selectorELNS0_4arch9wavefront6targetE0EEEvSK_.num_vgpr, 0
	.set _ZN7rocprim17ROCPRIM_400000_NS6detail17trampoline_kernelINS0_14default_configENS1_35radix_sort_onesweep_config_selectorIiNS0_10empty_typeEEEZZNS1_29radix_sort_onesweep_iterationIS3_Lb0EN6thrust23THRUST_200600_302600_NS6detail15normal_iteratorINS9_10device_ptrIiEEEESE_PS5_SF_jNS0_19identity_decomposerENS1_16block_id_wrapperIjLb0EEEEE10hipError_tT1_PNSt15iterator_traitsISK_E10value_typeET2_T3_PNSL_ISQ_E10value_typeET4_T5_PSV_SW_PNS1_23onesweep_lookback_stateEbbT6_jjT7_P12ihipStream_tbENKUlT_T0_SK_SP_E_clISE_SE_SF_SF_EEDaS13_S14_SK_SP_EUlS13_E_NS1_11comp_targetILNS1_3genE9ELNS1_11target_archE1100ELNS1_3gpuE3ELNS1_3repE0EEENS1_47radix_sort_onesweep_sort_config_static_selectorELNS0_4arch9wavefront6targetE0EEEvSK_.num_agpr, 0
	.set _ZN7rocprim17ROCPRIM_400000_NS6detail17trampoline_kernelINS0_14default_configENS1_35radix_sort_onesweep_config_selectorIiNS0_10empty_typeEEEZZNS1_29radix_sort_onesweep_iterationIS3_Lb0EN6thrust23THRUST_200600_302600_NS6detail15normal_iteratorINS9_10device_ptrIiEEEESE_PS5_SF_jNS0_19identity_decomposerENS1_16block_id_wrapperIjLb0EEEEE10hipError_tT1_PNSt15iterator_traitsISK_E10value_typeET2_T3_PNSL_ISQ_E10value_typeET4_T5_PSV_SW_PNS1_23onesweep_lookback_stateEbbT6_jjT7_P12ihipStream_tbENKUlT_T0_SK_SP_E_clISE_SE_SF_SF_EEDaS13_S14_SK_SP_EUlS13_E_NS1_11comp_targetILNS1_3genE9ELNS1_11target_archE1100ELNS1_3gpuE3ELNS1_3repE0EEENS1_47radix_sort_onesweep_sort_config_static_selectorELNS0_4arch9wavefront6targetE0EEEvSK_.numbered_sgpr, 0
	.set _ZN7rocprim17ROCPRIM_400000_NS6detail17trampoline_kernelINS0_14default_configENS1_35radix_sort_onesweep_config_selectorIiNS0_10empty_typeEEEZZNS1_29radix_sort_onesweep_iterationIS3_Lb0EN6thrust23THRUST_200600_302600_NS6detail15normal_iteratorINS9_10device_ptrIiEEEESE_PS5_SF_jNS0_19identity_decomposerENS1_16block_id_wrapperIjLb0EEEEE10hipError_tT1_PNSt15iterator_traitsISK_E10value_typeET2_T3_PNSL_ISQ_E10value_typeET4_T5_PSV_SW_PNS1_23onesweep_lookback_stateEbbT6_jjT7_P12ihipStream_tbENKUlT_T0_SK_SP_E_clISE_SE_SF_SF_EEDaS13_S14_SK_SP_EUlS13_E_NS1_11comp_targetILNS1_3genE9ELNS1_11target_archE1100ELNS1_3gpuE3ELNS1_3repE0EEENS1_47radix_sort_onesweep_sort_config_static_selectorELNS0_4arch9wavefront6targetE0EEEvSK_.num_named_barrier, 0
	.set _ZN7rocprim17ROCPRIM_400000_NS6detail17trampoline_kernelINS0_14default_configENS1_35radix_sort_onesweep_config_selectorIiNS0_10empty_typeEEEZZNS1_29radix_sort_onesweep_iterationIS3_Lb0EN6thrust23THRUST_200600_302600_NS6detail15normal_iteratorINS9_10device_ptrIiEEEESE_PS5_SF_jNS0_19identity_decomposerENS1_16block_id_wrapperIjLb0EEEEE10hipError_tT1_PNSt15iterator_traitsISK_E10value_typeET2_T3_PNSL_ISQ_E10value_typeET4_T5_PSV_SW_PNS1_23onesweep_lookback_stateEbbT6_jjT7_P12ihipStream_tbENKUlT_T0_SK_SP_E_clISE_SE_SF_SF_EEDaS13_S14_SK_SP_EUlS13_E_NS1_11comp_targetILNS1_3genE9ELNS1_11target_archE1100ELNS1_3gpuE3ELNS1_3repE0EEENS1_47radix_sort_onesweep_sort_config_static_selectorELNS0_4arch9wavefront6targetE0EEEvSK_.private_seg_size, 0
	.set _ZN7rocprim17ROCPRIM_400000_NS6detail17trampoline_kernelINS0_14default_configENS1_35radix_sort_onesweep_config_selectorIiNS0_10empty_typeEEEZZNS1_29radix_sort_onesweep_iterationIS3_Lb0EN6thrust23THRUST_200600_302600_NS6detail15normal_iteratorINS9_10device_ptrIiEEEESE_PS5_SF_jNS0_19identity_decomposerENS1_16block_id_wrapperIjLb0EEEEE10hipError_tT1_PNSt15iterator_traitsISK_E10value_typeET2_T3_PNSL_ISQ_E10value_typeET4_T5_PSV_SW_PNS1_23onesweep_lookback_stateEbbT6_jjT7_P12ihipStream_tbENKUlT_T0_SK_SP_E_clISE_SE_SF_SF_EEDaS13_S14_SK_SP_EUlS13_E_NS1_11comp_targetILNS1_3genE9ELNS1_11target_archE1100ELNS1_3gpuE3ELNS1_3repE0EEENS1_47radix_sort_onesweep_sort_config_static_selectorELNS0_4arch9wavefront6targetE0EEEvSK_.uses_vcc, 0
	.set _ZN7rocprim17ROCPRIM_400000_NS6detail17trampoline_kernelINS0_14default_configENS1_35radix_sort_onesweep_config_selectorIiNS0_10empty_typeEEEZZNS1_29radix_sort_onesweep_iterationIS3_Lb0EN6thrust23THRUST_200600_302600_NS6detail15normal_iteratorINS9_10device_ptrIiEEEESE_PS5_SF_jNS0_19identity_decomposerENS1_16block_id_wrapperIjLb0EEEEE10hipError_tT1_PNSt15iterator_traitsISK_E10value_typeET2_T3_PNSL_ISQ_E10value_typeET4_T5_PSV_SW_PNS1_23onesweep_lookback_stateEbbT6_jjT7_P12ihipStream_tbENKUlT_T0_SK_SP_E_clISE_SE_SF_SF_EEDaS13_S14_SK_SP_EUlS13_E_NS1_11comp_targetILNS1_3genE9ELNS1_11target_archE1100ELNS1_3gpuE3ELNS1_3repE0EEENS1_47radix_sort_onesweep_sort_config_static_selectorELNS0_4arch9wavefront6targetE0EEEvSK_.uses_flat_scratch, 0
	.set _ZN7rocprim17ROCPRIM_400000_NS6detail17trampoline_kernelINS0_14default_configENS1_35radix_sort_onesweep_config_selectorIiNS0_10empty_typeEEEZZNS1_29radix_sort_onesweep_iterationIS3_Lb0EN6thrust23THRUST_200600_302600_NS6detail15normal_iteratorINS9_10device_ptrIiEEEESE_PS5_SF_jNS0_19identity_decomposerENS1_16block_id_wrapperIjLb0EEEEE10hipError_tT1_PNSt15iterator_traitsISK_E10value_typeET2_T3_PNSL_ISQ_E10value_typeET4_T5_PSV_SW_PNS1_23onesweep_lookback_stateEbbT6_jjT7_P12ihipStream_tbENKUlT_T0_SK_SP_E_clISE_SE_SF_SF_EEDaS13_S14_SK_SP_EUlS13_E_NS1_11comp_targetILNS1_3genE9ELNS1_11target_archE1100ELNS1_3gpuE3ELNS1_3repE0EEENS1_47radix_sort_onesweep_sort_config_static_selectorELNS0_4arch9wavefront6targetE0EEEvSK_.has_dyn_sized_stack, 0
	.set _ZN7rocprim17ROCPRIM_400000_NS6detail17trampoline_kernelINS0_14default_configENS1_35radix_sort_onesweep_config_selectorIiNS0_10empty_typeEEEZZNS1_29radix_sort_onesweep_iterationIS3_Lb0EN6thrust23THRUST_200600_302600_NS6detail15normal_iteratorINS9_10device_ptrIiEEEESE_PS5_SF_jNS0_19identity_decomposerENS1_16block_id_wrapperIjLb0EEEEE10hipError_tT1_PNSt15iterator_traitsISK_E10value_typeET2_T3_PNSL_ISQ_E10value_typeET4_T5_PSV_SW_PNS1_23onesweep_lookback_stateEbbT6_jjT7_P12ihipStream_tbENKUlT_T0_SK_SP_E_clISE_SE_SF_SF_EEDaS13_S14_SK_SP_EUlS13_E_NS1_11comp_targetILNS1_3genE9ELNS1_11target_archE1100ELNS1_3gpuE3ELNS1_3repE0EEENS1_47radix_sort_onesweep_sort_config_static_selectorELNS0_4arch9wavefront6targetE0EEEvSK_.has_recursion, 0
	.set _ZN7rocprim17ROCPRIM_400000_NS6detail17trampoline_kernelINS0_14default_configENS1_35radix_sort_onesweep_config_selectorIiNS0_10empty_typeEEEZZNS1_29radix_sort_onesweep_iterationIS3_Lb0EN6thrust23THRUST_200600_302600_NS6detail15normal_iteratorINS9_10device_ptrIiEEEESE_PS5_SF_jNS0_19identity_decomposerENS1_16block_id_wrapperIjLb0EEEEE10hipError_tT1_PNSt15iterator_traitsISK_E10value_typeET2_T3_PNSL_ISQ_E10value_typeET4_T5_PSV_SW_PNS1_23onesweep_lookback_stateEbbT6_jjT7_P12ihipStream_tbENKUlT_T0_SK_SP_E_clISE_SE_SF_SF_EEDaS13_S14_SK_SP_EUlS13_E_NS1_11comp_targetILNS1_3genE9ELNS1_11target_archE1100ELNS1_3gpuE3ELNS1_3repE0EEENS1_47radix_sort_onesweep_sort_config_static_selectorELNS0_4arch9wavefront6targetE0EEEvSK_.has_indirect_call, 0
	.section	.AMDGPU.csdata,"",@progbits
; Kernel info:
; codeLenInByte = 0
; TotalNumSgprs: 0
; NumVgprs: 0
; ScratchSize: 0
; MemoryBound: 0
; FloatMode: 240
; IeeeMode: 1
; LDSByteSize: 0 bytes/workgroup (compile time only)
; SGPRBlocks: 0
; VGPRBlocks: 0
; NumSGPRsForWavesPerEU: 1
; NumVGPRsForWavesPerEU: 1
; Occupancy: 16
; WaveLimiterHint : 0
; COMPUTE_PGM_RSRC2:SCRATCH_EN: 0
; COMPUTE_PGM_RSRC2:USER_SGPR: 6
; COMPUTE_PGM_RSRC2:TRAP_HANDLER: 0
; COMPUTE_PGM_RSRC2:TGID_X_EN: 1
; COMPUTE_PGM_RSRC2:TGID_Y_EN: 0
; COMPUTE_PGM_RSRC2:TGID_Z_EN: 0
; COMPUTE_PGM_RSRC2:TIDIG_COMP_CNT: 0
	.section	.text._ZN7rocprim17ROCPRIM_400000_NS6detail17trampoline_kernelINS0_14default_configENS1_35radix_sort_onesweep_config_selectorIiNS0_10empty_typeEEEZZNS1_29radix_sort_onesweep_iterationIS3_Lb0EN6thrust23THRUST_200600_302600_NS6detail15normal_iteratorINS9_10device_ptrIiEEEESE_PS5_SF_jNS0_19identity_decomposerENS1_16block_id_wrapperIjLb0EEEEE10hipError_tT1_PNSt15iterator_traitsISK_E10value_typeET2_T3_PNSL_ISQ_E10value_typeET4_T5_PSV_SW_PNS1_23onesweep_lookback_stateEbbT6_jjT7_P12ihipStream_tbENKUlT_T0_SK_SP_E_clISE_SE_SF_SF_EEDaS13_S14_SK_SP_EUlS13_E_NS1_11comp_targetILNS1_3genE8ELNS1_11target_archE1030ELNS1_3gpuE2ELNS1_3repE0EEENS1_47radix_sort_onesweep_sort_config_static_selectorELNS0_4arch9wavefront6targetE0EEEvSK_,"axG",@progbits,_ZN7rocprim17ROCPRIM_400000_NS6detail17trampoline_kernelINS0_14default_configENS1_35radix_sort_onesweep_config_selectorIiNS0_10empty_typeEEEZZNS1_29radix_sort_onesweep_iterationIS3_Lb0EN6thrust23THRUST_200600_302600_NS6detail15normal_iteratorINS9_10device_ptrIiEEEESE_PS5_SF_jNS0_19identity_decomposerENS1_16block_id_wrapperIjLb0EEEEE10hipError_tT1_PNSt15iterator_traitsISK_E10value_typeET2_T3_PNSL_ISQ_E10value_typeET4_T5_PSV_SW_PNS1_23onesweep_lookback_stateEbbT6_jjT7_P12ihipStream_tbENKUlT_T0_SK_SP_E_clISE_SE_SF_SF_EEDaS13_S14_SK_SP_EUlS13_E_NS1_11comp_targetILNS1_3genE8ELNS1_11target_archE1030ELNS1_3gpuE2ELNS1_3repE0EEENS1_47radix_sort_onesweep_sort_config_static_selectorELNS0_4arch9wavefront6targetE0EEEvSK_,comdat
	.protected	_ZN7rocprim17ROCPRIM_400000_NS6detail17trampoline_kernelINS0_14default_configENS1_35radix_sort_onesweep_config_selectorIiNS0_10empty_typeEEEZZNS1_29radix_sort_onesweep_iterationIS3_Lb0EN6thrust23THRUST_200600_302600_NS6detail15normal_iteratorINS9_10device_ptrIiEEEESE_PS5_SF_jNS0_19identity_decomposerENS1_16block_id_wrapperIjLb0EEEEE10hipError_tT1_PNSt15iterator_traitsISK_E10value_typeET2_T3_PNSL_ISQ_E10value_typeET4_T5_PSV_SW_PNS1_23onesweep_lookback_stateEbbT6_jjT7_P12ihipStream_tbENKUlT_T0_SK_SP_E_clISE_SE_SF_SF_EEDaS13_S14_SK_SP_EUlS13_E_NS1_11comp_targetILNS1_3genE8ELNS1_11target_archE1030ELNS1_3gpuE2ELNS1_3repE0EEENS1_47radix_sort_onesweep_sort_config_static_selectorELNS0_4arch9wavefront6targetE0EEEvSK_ ; -- Begin function _ZN7rocprim17ROCPRIM_400000_NS6detail17trampoline_kernelINS0_14default_configENS1_35radix_sort_onesweep_config_selectorIiNS0_10empty_typeEEEZZNS1_29radix_sort_onesweep_iterationIS3_Lb0EN6thrust23THRUST_200600_302600_NS6detail15normal_iteratorINS9_10device_ptrIiEEEESE_PS5_SF_jNS0_19identity_decomposerENS1_16block_id_wrapperIjLb0EEEEE10hipError_tT1_PNSt15iterator_traitsISK_E10value_typeET2_T3_PNSL_ISQ_E10value_typeET4_T5_PSV_SW_PNS1_23onesweep_lookback_stateEbbT6_jjT7_P12ihipStream_tbENKUlT_T0_SK_SP_E_clISE_SE_SF_SF_EEDaS13_S14_SK_SP_EUlS13_E_NS1_11comp_targetILNS1_3genE8ELNS1_11target_archE1030ELNS1_3gpuE2ELNS1_3repE0EEENS1_47radix_sort_onesweep_sort_config_static_selectorELNS0_4arch9wavefront6targetE0EEEvSK_
	.globl	_ZN7rocprim17ROCPRIM_400000_NS6detail17trampoline_kernelINS0_14default_configENS1_35radix_sort_onesweep_config_selectorIiNS0_10empty_typeEEEZZNS1_29radix_sort_onesweep_iterationIS3_Lb0EN6thrust23THRUST_200600_302600_NS6detail15normal_iteratorINS9_10device_ptrIiEEEESE_PS5_SF_jNS0_19identity_decomposerENS1_16block_id_wrapperIjLb0EEEEE10hipError_tT1_PNSt15iterator_traitsISK_E10value_typeET2_T3_PNSL_ISQ_E10value_typeET4_T5_PSV_SW_PNS1_23onesweep_lookback_stateEbbT6_jjT7_P12ihipStream_tbENKUlT_T0_SK_SP_E_clISE_SE_SF_SF_EEDaS13_S14_SK_SP_EUlS13_E_NS1_11comp_targetILNS1_3genE8ELNS1_11target_archE1030ELNS1_3gpuE2ELNS1_3repE0EEENS1_47radix_sort_onesweep_sort_config_static_selectorELNS0_4arch9wavefront6targetE0EEEvSK_
	.p2align	8
	.type	_ZN7rocprim17ROCPRIM_400000_NS6detail17trampoline_kernelINS0_14default_configENS1_35radix_sort_onesweep_config_selectorIiNS0_10empty_typeEEEZZNS1_29radix_sort_onesweep_iterationIS3_Lb0EN6thrust23THRUST_200600_302600_NS6detail15normal_iteratorINS9_10device_ptrIiEEEESE_PS5_SF_jNS0_19identity_decomposerENS1_16block_id_wrapperIjLb0EEEEE10hipError_tT1_PNSt15iterator_traitsISK_E10value_typeET2_T3_PNSL_ISQ_E10value_typeET4_T5_PSV_SW_PNS1_23onesweep_lookback_stateEbbT6_jjT7_P12ihipStream_tbENKUlT_T0_SK_SP_E_clISE_SE_SF_SF_EEDaS13_S14_SK_SP_EUlS13_E_NS1_11comp_targetILNS1_3genE8ELNS1_11target_archE1030ELNS1_3gpuE2ELNS1_3repE0EEENS1_47radix_sort_onesweep_sort_config_static_selectorELNS0_4arch9wavefront6targetE0EEEvSK_,@function
_ZN7rocprim17ROCPRIM_400000_NS6detail17trampoline_kernelINS0_14default_configENS1_35radix_sort_onesweep_config_selectorIiNS0_10empty_typeEEEZZNS1_29radix_sort_onesweep_iterationIS3_Lb0EN6thrust23THRUST_200600_302600_NS6detail15normal_iteratorINS9_10device_ptrIiEEEESE_PS5_SF_jNS0_19identity_decomposerENS1_16block_id_wrapperIjLb0EEEEE10hipError_tT1_PNSt15iterator_traitsISK_E10value_typeET2_T3_PNSL_ISQ_E10value_typeET4_T5_PSV_SW_PNS1_23onesweep_lookback_stateEbbT6_jjT7_P12ihipStream_tbENKUlT_T0_SK_SP_E_clISE_SE_SF_SF_EEDaS13_S14_SK_SP_EUlS13_E_NS1_11comp_targetILNS1_3genE8ELNS1_11target_archE1030ELNS1_3gpuE2ELNS1_3repE0EEENS1_47radix_sort_onesweep_sort_config_static_selectorELNS0_4arch9wavefront6targetE0EEEvSK_: ; @_ZN7rocprim17ROCPRIM_400000_NS6detail17trampoline_kernelINS0_14default_configENS1_35radix_sort_onesweep_config_selectorIiNS0_10empty_typeEEEZZNS1_29radix_sort_onesweep_iterationIS3_Lb0EN6thrust23THRUST_200600_302600_NS6detail15normal_iteratorINS9_10device_ptrIiEEEESE_PS5_SF_jNS0_19identity_decomposerENS1_16block_id_wrapperIjLb0EEEEE10hipError_tT1_PNSt15iterator_traitsISK_E10value_typeET2_T3_PNSL_ISQ_E10value_typeET4_T5_PSV_SW_PNS1_23onesweep_lookback_stateEbbT6_jjT7_P12ihipStream_tbENKUlT_T0_SK_SP_E_clISE_SE_SF_SF_EEDaS13_S14_SK_SP_EUlS13_E_NS1_11comp_targetILNS1_3genE8ELNS1_11target_archE1030ELNS1_3gpuE2ELNS1_3repE0EEENS1_47radix_sort_onesweep_sort_config_static_selectorELNS0_4arch9wavefront6targetE0EEEvSK_
; %bb.0:
	s_clause 0x3
	s_load_dwordx4 s[20:23], s[4:5], 0x44
	s_load_dwordx2 s[10:11], s[4:5], 0x38
	s_load_dwordx4 s[16:19], s[4:5], 0x0
	s_load_dwordx4 s[12:15], s[4:5], 0x28
	v_mbcnt_lo_u32_b32 v12, -1, 0
	v_lshlrev_b32_e32 v11, 2, v0
	s_mov_b32 s0, -1
	s_waitcnt lgkmcnt(0)
	s_cmp_ge_u32 s6, s22
	s_cbranch_scc0 .LBB194_48
; %bb.1:
	s_load_dword s2, s[4:5], 0x20
	s_lshl_b32 s0, s6, 12
	s_mov_b32 s1, 0
	s_lshl_b32 s3, s22, 12
	v_and_b32_e32 v4, 0xf80, v11
	v_lshlrev_b32_e32 v6, 2, v12
	s_lshl_b64 s[0:1], s[0:1], 2
	v_bfrev_b32_e32 v3, -2
	v_lshlrev_b32_e32 v7, 2, v4
	v_or_b32_e32 v9, v12, v4
	v_mov_b32_e32 v4, v3
	v_mov_b32_e32 v5, v3
	s_waitcnt lgkmcnt(0)
	s_sub_i32 s9, s2, s3
	s_add_u32 s0, s16, s0
	s_addc_u32 s1, s17, s1
	v_add_co_u32 v6, s0, s0, v6
	v_add_co_ci_u32_e64 v8, null, s1, 0, s0
	v_add_co_u32 v7, s0, v6, v7
	v_add_co_ci_u32_e64 v8, null, 0, v8, s0
	v_mov_b32_e32 v6, v3
	s_mov_b32 s0, exec_lo
	v_cmpx_gt_u32_e64 s9, v9
	s_cbranch_execz .LBB194_3
; %bb.2:
	global_load_dword v13, v[7:8], off
	v_mov_b32_e32 v14, v3
	v_mov_b32_e32 v15, v3
	;; [unrolled: 1-line block ×3, first 2 shown]
	s_waitcnt vmcnt(0)
	v_mov_b32_e32 v3, v13
	v_mov_b32_e32 v4, v14
	;; [unrolled: 1-line block ×4, first 2 shown]
.LBB194_3:
	s_or_b32 exec_lo, exec_lo, s0
	v_or_b32_e32 v10, 32, v9
	s_mov_b32 s0, exec_lo
	v_cmpx_gt_u32_e64 s9, v10
	s_cbranch_execz .LBB194_5
; %bb.4:
	global_load_dword v4, v[7:8], off offset:128
.LBB194_5:
	s_or_b32 exec_lo, exec_lo, s0
	v_or_b32_e32 v10, 64, v9
	s_mov_b32 s0, exec_lo
	v_cmpx_gt_u32_e64 s9, v10
	s_cbranch_execz .LBB194_7
; %bb.6:
	global_load_dword v5, v[7:8], off offset:256
.LBB194_7:
	s_or_b32 exec_lo, exec_lo, s0
	v_or_b32_e32 v9, 0x60, v9
	s_mov_b32 s0, exec_lo
	v_cmpx_gt_u32_e64 s9, v9
	s_cbranch_execz .LBB194_9
; %bb.8:
	global_load_dword v6, v[7:8], off offset:384
.LBB194_9:
	s_or_b32 exec_lo, exec_lo, s0
	s_clause 0x1
	s_load_dword s0, s[4:5], 0x64
	s_load_dword s22, s[4:5], 0x58
	s_add_u32 s1, s4, 0x58
	s_addc_u32 s2, s5, 0
	v_mov_b32_e32 v10, 0
	v_xor_b32_e32 v13, 0x80000000, v3
	v_lshrrev_b32_e32 v3, s20, v13
	s_waitcnt lgkmcnt(0)
	s_lshr_b32 s3, s0, 16
	s_cmp_lt_u32 s6, s22
	s_cselect_b32 s0, 12, 18
	s_add_u32 s0, s1, s0
	s_addc_u32 s1, s2, 0
	global_load_ushort v7, v10, s[0:1]
	s_lshl_b32 s0, -1, s21
	s_not_b32 s23, s0
	v_and_b32_e32 v3, s23, v3
	v_and_b32_e32 v8, 1, v3
	v_lshlrev_b32_e32 v9, 30, v3
	v_lshlrev_b32_e32 v14, 29, v3
	;; [unrolled: 1-line block ×4, first 2 shown]
	v_add_co_u32 v8, s0, v8, -1
	v_cndmask_b32_e64 v15, 0, 1, s0
	v_not_b32_e32 v19, v9
	v_cmp_gt_i32_e64 s0, 0, v9
	v_not_b32_e32 v9, v14
	v_lshlrev_b32_e32 v18, 26, v3
	v_cmp_ne_u32_e32 vcc_lo, 0, v15
	v_ashrrev_i32_e32 v19, 31, v19
	v_lshlrev_b32_e32 v15, 25, v3
	v_ashrrev_i32_e32 v9, 31, v9
	v_xor_b32_e32 v8, vcc_lo, v8
	v_cmp_gt_i32_e32 vcc_lo, 0, v14
	v_not_b32_e32 v14, v16
	v_xor_b32_e32 v19, s0, v19
	v_cmp_gt_i32_e64 s0, 0, v16
	v_and_b32_e32 v8, exec_lo, v8
	v_not_b32_e32 v16, v17
	v_ashrrev_i32_e32 v14, 31, v14
	v_xor_b32_e32 v9, vcc_lo, v9
	v_cmp_gt_i32_e32 vcc_lo, 0, v17
	v_and_b32_e32 v8, v8, v19
	v_not_b32_e32 v17, v18
	v_ashrrev_i32_e32 v16, 31, v16
	v_xor_b32_e32 v14, s0, v14
	v_cmp_gt_i32_e64 s0, 0, v18
	v_and_b32_e32 v8, v8, v9
	v_not_b32_e32 v9, v15
	v_ashrrev_i32_e32 v17, 31, v17
	v_xor_b32_e32 v16, vcc_lo, v16
	v_cmp_gt_i32_e32 vcc_lo, 0, v15
	v_and_b32_e32 v8, v8, v14
	v_lshlrev_b32_e32 v14, 24, v3
	v_ashrrev_i32_e32 v9, 31, v9
	v_xor_b32_e32 v15, s0, v17
	v_and_b32_e32 v8, v8, v16
	v_not_b32_e32 v16, v14
	v_xor_b32_e32 v9, vcc_lo, v9
	v_cmp_gt_i32_e32 vcc_lo, 0, v14
	v_and_b32_e32 v8, v8, v15
	v_mad_u32_u24 v15, v2, s3, v1
	v_ashrrev_i32_e32 v14, 31, v16
	v_mul_u32_u24_e32 v16, 36, v0
	v_and_b32_e32 v17, v8, v9
	ds_write2_b32 v16, v10, v10 offset0:32 offset1:33
	ds_write2_b32 v16, v10, v10 offset0:34 offset1:35
	ds_write2_b32 v16, v10, v10 offset0:36 offset1:37
	ds_write2_b32 v16, v10, v10 offset0:38 offset1:39
	ds_write_b32 v16, v10 offset:160
	s_waitcnt vmcnt(0) lgkmcnt(0)
	s_barrier
	buffer_gl0_inv
	; wave barrier
	v_mad_u64_u32 v[8:9], null, v15, v7, v[0:1]
	v_xor_b32_e32 v7, vcc_lo, v14
	v_mul_lo_u32 v9, 0x84, v3
	v_and_b32_e32 v7, v17, v7
	v_lshrrev_b32_e32 v8, 3, v8
	v_mbcnt_lo_u32_b32 v14, v7, 0
	v_and_b32_e32 v3, 0x1ffffffc, v8
	v_cmp_ne_u32_e64 s0, 0, v7
	v_cmp_eq_u32_e32 vcc_lo, 0, v14
	v_add_nc_u32_e32 v17, v3, v9
	s_and_b32 s1, s0, vcc_lo
	s_and_saveexec_b32 s0, s1
; %bb.10:
	v_bcnt_u32_b32 v7, v7, 0
	ds_write_b32 v17, v7 offset:128
; %bb.11:
	s_or_b32 exec_lo, exec_lo, s0
	v_xor_b32_e32 v15, 0x80000000, v4
	; wave barrier
	v_lshrrev_b32_e32 v4, s20, v15
	v_and_b32_e32 v4, s23, v4
	v_and_b32_e32 v8, 1, v4
	v_lshlrev_b32_e32 v9, 30, v4
	v_lshlrev_b32_e32 v10, 29, v4
	v_lshlrev_b32_e32 v18, 28, v4
	v_lshlrev_b32_e32 v20, 27, v4
	v_add_co_u32 v8, s0, v8, -1
	v_cndmask_b32_e64 v19, 0, 1, s0
	v_not_b32_e32 v23, v9
	v_cmp_gt_i32_e64 s0, 0, v9
	v_not_b32_e32 v9, v10
	v_lshlrev_b32_e32 v21, 26, v4
	v_cmp_ne_u32_e32 vcc_lo, 0, v19
	v_ashrrev_i32_e32 v19, 31, v23
	v_lshlrev_b32_e32 v22, 25, v4
	v_ashrrev_i32_e32 v9, 31, v9
	v_mul_lo_u32 v7, 0x84, v4
	v_xor_b32_e32 v8, vcc_lo, v8
	v_cmp_gt_i32_e32 vcc_lo, 0, v10
	v_not_b32_e32 v10, v18
	v_xor_b32_e32 v19, s0, v19
	v_cmp_gt_i32_e64 s0, 0, v18
	v_and_b32_e32 v8, exec_lo, v8
	v_not_b32_e32 v18, v20
	v_ashrrev_i32_e32 v10, 31, v10
	v_xor_b32_e32 v9, vcc_lo, v9
	v_cmp_gt_i32_e32 vcc_lo, 0, v20
	v_and_b32_e32 v8, v8, v19
	v_not_b32_e32 v19, v21
	v_ashrrev_i32_e32 v18, 31, v18
	v_xor_b32_e32 v10, s0, v10
	v_lshlrev_b32_e32 v4, 24, v4
	v_and_b32_e32 v8, v8, v9
	v_cmp_gt_i32_e64 s0, 0, v21
	v_not_b32_e32 v9, v22
	v_ashrrev_i32_e32 v19, 31, v19
	v_xor_b32_e32 v18, vcc_lo, v18
	v_and_b32_e32 v8, v8, v10
	v_cmp_gt_i32_e32 vcc_lo, 0, v22
	v_not_b32_e32 v10, v4
	v_ashrrev_i32_e32 v9, 31, v9
	v_xor_b32_e32 v19, s0, v19
	v_and_b32_e32 v8, v8, v18
	v_cmp_gt_i32_e64 s0, 0, v4
	v_ashrrev_i32_e32 v4, 31, v10
	v_xor_b32_e32 v9, vcc_lo, v9
	v_add_nc_u32_e32 v21, v3, v7
	v_and_b32_e32 v8, v8, v19
	v_xor_b32_e32 v4, s0, v4
	ds_read_b32 v18, v21 offset:128
	v_and_b32_e32 v7, v8, v9
	; wave barrier
	v_and_b32_e32 v4, v7, v4
	v_mbcnt_lo_u32_b32 v20, v4, 0
	v_cmp_ne_u32_e64 s0, 0, v4
	v_cmp_eq_u32_e32 vcc_lo, 0, v20
	s_and_b32 s1, s0, vcc_lo
	s_and_saveexec_b32 s0, s1
	s_cbranch_execz .LBB194_13
; %bb.12:
	s_waitcnt lgkmcnt(0)
	v_bcnt_u32_b32 v4, v4, v18
	ds_write_b32 v21, v4 offset:128
.LBB194_13:
	s_or_b32 exec_lo, exec_lo, s0
	v_xor_b32_e32 v19, 0x80000000, v5
	; wave barrier
	v_lshrrev_b32_e32 v4, s20, v19
	v_and_b32_e32 v4, s23, v4
	v_and_b32_e32 v7, 1, v4
	v_lshlrev_b32_e32 v8, 30, v4
	v_lshlrev_b32_e32 v9, 29, v4
	v_lshlrev_b32_e32 v10, 28, v4
	v_lshlrev_b32_e32 v23, 27, v4
	v_add_co_u32 v7, s0, v7, -1
	v_cndmask_b32_e64 v22, 0, 1, s0
	v_not_b32_e32 v26, v8
	v_cmp_gt_i32_e64 s0, 0, v8
	v_not_b32_e32 v8, v9
	v_lshlrev_b32_e32 v24, 26, v4
	v_cmp_ne_u32_e32 vcc_lo, 0, v22
	v_ashrrev_i32_e32 v22, 31, v26
	v_lshlrev_b32_e32 v25, 25, v4
	v_ashrrev_i32_e32 v8, 31, v8
	v_mul_lo_u32 v5, 0x84, v4
	v_xor_b32_e32 v7, vcc_lo, v7
	v_cmp_gt_i32_e32 vcc_lo, 0, v9
	v_not_b32_e32 v9, v10
	v_xor_b32_e32 v22, s0, v22
	v_cmp_gt_i32_e64 s0, 0, v10
	v_and_b32_e32 v7, exec_lo, v7
	v_not_b32_e32 v10, v23
	v_ashrrev_i32_e32 v9, 31, v9
	v_xor_b32_e32 v8, vcc_lo, v8
	v_cmp_gt_i32_e32 vcc_lo, 0, v23
	v_and_b32_e32 v7, v7, v22
	v_not_b32_e32 v22, v24
	v_ashrrev_i32_e32 v10, 31, v10
	v_xor_b32_e32 v9, s0, v9
	v_lshlrev_b32_e32 v4, 24, v4
	v_and_b32_e32 v7, v7, v8
	v_cmp_gt_i32_e64 s0, 0, v24
	v_not_b32_e32 v8, v25
	v_ashrrev_i32_e32 v22, 31, v22
	v_xor_b32_e32 v10, vcc_lo, v10
	v_and_b32_e32 v7, v7, v9
	v_cmp_gt_i32_e32 vcc_lo, 0, v25
	v_not_b32_e32 v9, v4
	v_ashrrev_i32_e32 v8, 31, v8
	v_xor_b32_e32 v22, s0, v22
	v_and_b32_e32 v7, v7, v10
	v_cmp_gt_i32_e64 s0, 0, v4
	v_ashrrev_i32_e32 v4, 31, v9
	v_xor_b32_e32 v8, vcc_lo, v8
	v_add_nc_u32_e32 v25, v3, v5
	v_and_b32_e32 v7, v7, v22
	v_xor_b32_e32 v4, s0, v4
	ds_read_b32 v22, v25 offset:128
	v_and_b32_e32 v5, v7, v8
	; wave barrier
	v_and_b32_e32 v4, v5, v4
	v_mbcnt_lo_u32_b32 v24, v4, 0
	v_cmp_ne_u32_e64 s0, 0, v4
	v_cmp_eq_u32_e32 vcc_lo, 0, v24
	s_and_b32 s1, s0, vcc_lo
	s_and_saveexec_b32 s0, s1
	s_cbranch_execz .LBB194_15
; %bb.14:
	s_waitcnt lgkmcnt(0)
	v_bcnt_u32_b32 v4, v4, v22
	ds_write_b32 v25, v4 offset:128
.LBB194_15:
	s_or_b32 exec_lo, exec_lo, s0
	v_xor_b32_e32 v23, 0x80000000, v6
	; wave barrier
	v_lshrrev_b32_e32 v4, s20, v23
	v_and_b32_e32 v4, s23, v4
	v_and_b32_e32 v6, 1, v4
	v_lshlrev_b32_e32 v7, 30, v4
	v_lshlrev_b32_e32 v8, 29, v4
	v_lshlrev_b32_e32 v9, 28, v4
	v_lshlrev_b32_e32 v26, 27, v4
	v_add_co_u32 v6, s0, v6, -1
	v_cndmask_b32_e64 v10, 0, 1, s0
	v_not_b32_e32 v29, v7
	v_cmp_gt_i32_e64 s0, 0, v7
	v_not_b32_e32 v7, v8
	v_lshlrev_b32_e32 v27, 26, v4
	v_cmp_ne_u32_e32 vcc_lo, 0, v10
	v_ashrrev_i32_e32 v10, 31, v29
	v_lshlrev_b32_e32 v28, 25, v4
	v_ashrrev_i32_e32 v7, 31, v7
	v_mul_lo_u32 v5, 0x84, v4
	v_xor_b32_e32 v6, vcc_lo, v6
	v_cmp_gt_i32_e32 vcc_lo, 0, v8
	v_not_b32_e32 v8, v9
	v_xor_b32_e32 v10, s0, v10
	v_cmp_gt_i32_e64 s0, 0, v9
	v_and_b32_e32 v6, exec_lo, v6
	v_not_b32_e32 v9, v26
	v_ashrrev_i32_e32 v8, 31, v8
	v_xor_b32_e32 v7, vcc_lo, v7
	v_cmp_gt_i32_e32 vcc_lo, 0, v26
	v_and_b32_e32 v6, v6, v10
	v_not_b32_e32 v10, v27
	v_ashrrev_i32_e32 v9, 31, v9
	v_xor_b32_e32 v8, s0, v8
	v_lshlrev_b32_e32 v4, 24, v4
	v_and_b32_e32 v6, v6, v7
	v_cmp_gt_i32_e64 s0, 0, v27
	v_not_b32_e32 v7, v28
	v_ashrrev_i32_e32 v10, 31, v10
	v_xor_b32_e32 v9, vcc_lo, v9
	v_and_b32_e32 v6, v6, v8
	v_cmp_gt_i32_e32 vcc_lo, 0, v28
	v_not_b32_e32 v8, v4
	v_ashrrev_i32_e32 v7, 31, v7
	v_xor_b32_e32 v10, s0, v10
	v_and_b32_e32 v6, v6, v9
	v_cmp_gt_i32_e64 s0, 0, v4
	v_ashrrev_i32_e32 v4, 31, v8
	v_xor_b32_e32 v7, vcc_lo, v7
	v_add_nc_u32_e32 v28, v3, v5
	v_and_b32_e32 v6, v6, v10
	v_xor_b32_e32 v3, s0, v4
	ds_read_b32 v26, v28 offset:128
	v_and_b32_e32 v4, v6, v7
	; wave barrier
	v_and_b32_e32 v3, v4, v3
	v_mbcnt_lo_u32_b32 v27, v3, 0
	v_cmp_ne_u32_e64 s0, 0, v3
	v_cmp_eq_u32_e32 vcc_lo, 0, v27
	s_and_b32 s1, s0, vcc_lo
	s_and_saveexec_b32 s0, s1
	s_cbranch_execz .LBB194_17
; %bb.16:
	s_waitcnt lgkmcnt(0)
	v_bcnt_u32_b32 v3, v3, v26
	ds_write_b32 v28, v3 offset:128
.LBB194_17:
	s_or_b32 exec_lo, exec_lo, s0
	; wave barrier
	s_waitcnt lgkmcnt(0)
	s_barrier
	buffer_gl0_inv
	ds_read2_b32 v[9:10], v16 offset0:32 offset1:33
	ds_read2_b32 v[7:8], v16 offset0:34 offset1:35
	ds_read2_b32 v[5:6], v16 offset0:36 offset1:37
	ds_read2_b32 v[3:4], v16 offset0:38 offset1:39
	ds_read_b32 v29, v16 offset:160
	v_and_b32_e32 v32, 16, v12
	v_and_b32_e32 v33, 31, v0
	s_mov_b32 s8, exec_lo
	v_cmp_eq_u32_e64 s3, 0, v32
	s_waitcnt lgkmcnt(3)
	v_add3_u32 v30, v10, v9, v7
	s_waitcnt lgkmcnt(2)
	v_add3_u32 v30, v30, v8, v5
	s_waitcnt lgkmcnt(1)
	v_add3_u32 v30, v30, v6, v3
	s_waitcnt lgkmcnt(0)
	v_add3_u32 v29, v30, v4, v29
	v_and_b32_e32 v30, 15, v12
	v_mov_b32_dpp v31, v29 row_shr:1 row_mask:0xf bank_mask:0xf
	v_cmp_eq_u32_e32 vcc_lo, 0, v30
	v_cmp_lt_u32_e64 s0, 1, v30
	v_cmp_lt_u32_e64 s1, 3, v30
	;; [unrolled: 1-line block ×3, first 2 shown]
	v_cndmask_b32_e64 v31, v31, 0, vcc_lo
	v_add_nc_u32_e32 v29, v31, v29
	v_mov_b32_dpp v31, v29 row_shr:2 row_mask:0xf bank_mask:0xf
	v_cndmask_b32_e64 v31, 0, v31, s0
	v_add_nc_u32_e32 v29, v29, v31
	v_mov_b32_dpp v31, v29 row_shr:4 row_mask:0xf bank_mask:0xf
	v_cndmask_b32_e64 v31, 0, v31, s1
	;; [unrolled: 3-line block ×3, first 2 shown]
	v_bfe_i32 v31, v12, 4, 1
	v_add_nc_u32_e32 v29, v29, v30
	ds_swizzle_b32 v30, v29 offset:swizzle(BROADCAST,32,15)
	s_waitcnt lgkmcnt(0)
	v_and_b32_e32 v31, v31, v30
	v_lshrrev_b32_e32 v30, 5, v0
	v_add_nc_u32_e32 v29, v29, v31
	v_cmpx_eq_u32_e32 31, v33
; %bb.18:
	v_lshlrev_b32_e32 v31, 2, v30
	ds_write_b32 v31, v29
; %bb.19:
	s_or_b32 exec_lo, exec_lo, s8
	v_cmp_lt_u32_e64 s7, 31, v0
	s_mov_b32 s24, exec_lo
	s_waitcnt lgkmcnt(0)
	s_barrier
	buffer_gl0_inv
	v_cmpx_gt_u32_e32 32, v0
	s_cbranch_execz .LBB194_21
; %bb.20:
	ds_read_b32 v31, v11
	s_waitcnt lgkmcnt(0)
	v_mov_b32_dpp v32, v31 row_shr:1 row_mask:0xf bank_mask:0xf
	v_cndmask_b32_e64 v32, v32, 0, vcc_lo
	v_add_nc_u32_e32 v31, v32, v31
	v_mov_b32_dpp v32, v31 row_shr:2 row_mask:0xf bank_mask:0xf
	v_cndmask_b32_e64 v32, 0, v32, s0
	v_add_nc_u32_e32 v31, v31, v32
	v_mov_b32_dpp v32, v31 row_shr:4 row_mask:0xf bank_mask:0xf
	v_cndmask_b32_e64 v32, 0, v32, s1
	;; [unrolled: 3-line block ×3, first 2 shown]
	v_add_nc_u32_e32 v31, v31, v32
	ds_swizzle_b32 v32, v31 offset:swizzle(BROADCAST,32,15)
	s_waitcnt lgkmcnt(0)
	v_cndmask_b32_e64 v32, v32, 0, s3
	v_add_nc_u32_e32 v31, v31, v32
	ds_write_b32 v11, v31
.LBB194_21:
	s_or_b32 exec_lo, exec_lo, s24
	v_mov_b32_e32 v31, 0
	s_waitcnt lgkmcnt(0)
	s_barrier
	buffer_gl0_inv
	s_and_saveexec_b32 s0, s7
; %bb.22:
	v_lshl_add_u32 v30, v30, 2, -4
	ds_read_b32 v31, v30
; %bb.23:
	s_or_b32 exec_lo, exec_lo, s0
	v_sub_co_u32 v30, vcc_lo, v12, 1
	s_waitcnt lgkmcnt(0)
	v_add_nc_u32_e32 v29, v31, v29
	v_cmp_gt_i32_e64 s0, 0, v30
	v_cndmask_b32_e64 v30, v30, v12, s0
	v_cmp_gt_u32_e64 s0, 0x100, v0
	v_lshlrev_b32_e32 v30, 2, v30
	ds_bpermute_b32 v29, v30, v29
	s_waitcnt lgkmcnt(0)
	v_cndmask_b32_e32 v29, v29, v31, vcc_lo
	v_cmp_ne_u32_e32 vcc_lo, 0, v0
	v_cndmask_b32_e32 v29, 0, v29, vcc_lo
	v_cmp_lt_u32_e32 vcc_lo, 0xff, v0
	v_add_nc_u32_e32 v9, v29, v9
	v_add_nc_u32_e32 v10, v9, v10
	;; [unrolled: 1-line block ×8, first 2 shown]
	ds_write2_b32 v16, v29, v9 offset0:32 offset1:33
	ds_write2_b32 v16, v10, v7 offset0:34 offset1:35
	;; [unrolled: 1-line block ×4, first 2 shown]
	ds_write_b32 v16, v4 offset:160
	s_waitcnt lgkmcnt(0)
	s_barrier
	buffer_gl0_inv
	ds_read_b32 v3, v17 offset:128
	ds_read_b32 v6, v21 offset:128
	;; [unrolled: 1-line block ×4, first 2 shown]
                                        ; implicit-def: $vgpr9
                                        ; implicit-def: $vgpr10
	s_and_saveexec_b32 s2, s0
	s_cbranch_execz .LBB194_27
; %bb.24:
	v_mul_u32_u24_e32 v7, 0x84, v0
	v_add_nc_u32_e32 v8, 1, v0
	s_mov_b32 s3, exec_lo
	ds_read_b32 v9, v7 offset:128
	v_mov_b32_e32 v7, 0x1000
	v_cmpx_ne_u32_e32 0x100, v8
; %bb.25:
	v_mul_u32_u24_e32 v7, 0x84, v8
	ds_read_b32 v7, v7 offset:128
; %bb.26:
	s_or_b32 exec_lo, exec_lo, s3
	s_waitcnt lgkmcnt(0)
	v_sub_nc_u32_e32 v10, v7, v9
.LBB194_27:
	s_or_b32 exec_lo, exec_lo, s2
	v_lshlrev_b32_e32 v7, 2, v14
	v_lshlrev_b32_e32 v8, 2, v20
	;; [unrolled: 1-line block ×5, first 2 shown]
	s_waitcnt lgkmcnt(0)
	v_lshlrev_b32_e32 v4, 2, v4
	v_lshlrev_b32_e32 v6, 2, v6
	v_lshlrev_b32_e32 v16, 2, v24
	v_lshlrev_b32_e32 v17, 2, v22
	v_lshlrev_b32_e32 v5, 2, v5
	v_lshl_add_u32 v3, v3, 2, v7
	v_add3_u32 v7, v18, v20, v4
	v_mov_b32_e32 v4, 0
	v_add3_u32 v6, v8, v14, v6
	v_add3_u32 v5, v16, v17, v5
	s_barrier
	buffer_gl0_inv
	ds_write_b32 v3, v13 offset:1024
	ds_write_b32 v6, v15 offset:1024
	;; [unrolled: 1-line block ×4, first 2 shown]
	s_and_saveexec_b32 s1, s0
	s_cbranch_execz .LBB194_37
; %bb.28:
	v_lshl_add_u32 v3, s6, 8, v0
	v_mov_b32_e32 v13, 0
	s_mov_b32 s2, 0
	s_mov_b32 s3, s6
	v_lshlrev_b64 v[5:6], 2, v[3:4]
	v_or_b32_e32 v3, 2.0, v10
	v_add_co_u32 v5, s0, s10, v5
	v_add_co_ci_u32_e64 v6, null, s11, v6, s0
                                        ; implicit-def: $sgpr0
	global_store_dword v[5:6], v3, off
	s_branch .LBB194_31
	.p2align	6
.LBB194_29:                             ;   in Loop: Header=BB194_31 Depth=1
	s_or_b32 exec_lo, exec_lo, s8
.LBB194_30:                             ;   in Loop: Header=BB194_31 Depth=1
	s_or_b32 exec_lo, exec_lo, s7
	v_and_b32_e32 v7, 0x3fffffff, v3
	v_cmp_gt_i32_e64 s0, -2.0, v3
	v_add_nc_u32_e32 v13, v7, v13
	s_and_b32 s7, exec_lo, s0
	s_or_b32 s2, s7, s2
	s_andn2_b32 exec_lo, exec_lo, s2
	s_cbranch_execz .LBB194_36
.LBB194_31:                             ; =>This Loop Header: Depth=1
                                        ;     Child Loop BB194_34 Depth 2
	s_or_b32 s0, s0, exec_lo
	s_cmp_eq_u32 s3, 0
	s_cbranch_scc1 .LBB194_35
; %bb.32:                               ;   in Loop: Header=BB194_31 Depth=1
	s_add_i32 s3, s3, -1
	s_mov_b32 s7, exec_lo
	v_lshl_or_b32 v3, s3, 8, v0
	v_lshlrev_b64 v[7:8], 2, v[3:4]
	v_add_co_u32 v7, s0, s10, v7
	v_add_co_ci_u32_e64 v8, null, s11, v8, s0
	global_load_dword v3, v[7:8], off glc dlc
	s_waitcnt vmcnt(0)
	v_cmpx_gt_u32_e32 2.0, v3
	s_cbranch_execz .LBB194_30
; %bb.33:                               ;   in Loop: Header=BB194_31 Depth=1
	s_mov_b32 s8, 0
.LBB194_34:                             ;   Parent Loop BB194_31 Depth=1
                                        ; =>  This Inner Loop Header: Depth=2
	global_load_dword v3, v[7:8], off glc dlc
	s_waitcnt vmcnt(0)
	v_cmp_lt_u32_e64 s0, 0x3fffffff, v3
	s_or_b32 s8, s0, s8
	s_andn2_b32 exec_lo, exec_lo, s8
	s_cbranch_execnz .LBB194_34
	s_branch .LBB194_29
.LBB194_35:                             ;   in Loop: Header=BB194_31 Depth=1
                                        ; implicit-def: $sgpr3
	s_and_b32 s7, exec_lo, s0
	s_or_b32 s2, s7, s2
	s_andn2_b32 exec_lo, exec_lo, s2
	s_cbranch_execnz .LBB194_31
.LBB194_36:
	s_or_b32 exec_lo, exec_lo, s2
	v_add_nc_u32_e32 v3, v13, v10
	v_sub_nc_u32_e32 v4, v13, v9
	v_or_b32_e32 v3, 0x80000000, v3
	global_store_dword v[5:6], v3, off
	global_load_dword v3, v11, s[12:13]
	s_waitcnt vmcnt(0)
	v_add_nc_u32_e32 v3, v4, v3
	ds_write_b32 v11, v3
.LBB194_37:
	s_or_b32 exec_lo, exec_lo, s1
	s_mov_b32 s1, exec_lo
	s_waitcnt lgkmcnt(0)
	s_waitcnt_vscnt null, 0x0
	s_barrier
	buffer_gl0_inv
	v_cmpx_gt_u32_e64 s9, v0
	s_cbranch_execz .LBB194_39
; %bb.38:
	ds_read_b32 v5, v11 offset:1024
	v_mov_b32_e32 v4, 0
	s_waitcnt lgkmcnt(0)
	v_lshrrev_b32_e32 v3, s20, v5
	v_xor_b32_e32 v5, 0x80000000, v5
	v_and_b32_e32 v3, s23, v3
	v_lshlrev_b32_e32 v3, 2, v3
	ds_read_b32 v3, v3
	s_waitcnt lgkmcnt(0)
	v_add_nc_u32_e32 v3, v3, v0
	v_lshlrev_b64 v[3:4], 2, v[3:4]
	v_add_co_u32 v3, s0, s18, v3
	v_add_co_ci_u32_e64 v4, null, s19, v4, s0
	global_store_dword v[3:4], v5, off
.LBB194_39:
	s_or_b32 exec_lo, exec_lo, s1
	v_or_b32_e32 v3, 0x400, v0
	s_mov_b32 s1, exec_lo
	v_cmpx_gt_u32_e64 s9, v3
	s_cbranch_execz .LBB194_41
; %bb.40:
	ds_read_b32 v5, v11 offset:5120
	s_waitcnt lgkmcnt(0)
	v_lshrrev_b32_e32 v4, s20, v5
	v_xor_b32_e32 v5, 0x80000000, v5
	v_and_b32_e32 v4, s23, v4
	v_lshlrev_b32_e32 v4, 2, v4
	ds_read_b32 v6, v4
	v_mov_b32_e32 v4, 0
	s_waitcnt lgkmcnt(0)
	v_add_nc_u32_e32 v3, v6, v3
	v_lshlrev_b64 v[3:4], 2, v[3:4]
	v_add_co_u32 v3, s0, s18, v3
	v_add_co_ci_u32_e64 v4, null, s19, v4, s0
	global_store_dword v[3:4], v5, off
.LBB194_41:
	s_or_b32 exec_lo, exec_lo, s1
	v_or_b32_e32 v3, 0x800, v0
	s_mov_b32 s1, exec_lo
	v_cmpx_gt_u32_e64 s9, v3
	s_cbranch_execz .LBB194_43
; %bb.42:
	ds_read_b32 v5, v11 offset:9216
	s_waitcnt lgkmcnt(0)
	v_lshrrev_b32_e32 v4, s20, v5
	v_xor_b32_e32 v5, 0x80000000, v5
	v_and_b32_e32 v4, s23, v4
	v_lshlrev_b32_e32 v4, 2, v4
	ds_read_b32 v6, v4
	v_mov_b32_e32 v4, 0
	s_waitcnt lgkmcnt(0)
	v_add_nc_u32_e32 v3, v6, v3
	v_lshlrev_b64 v[3:4], 2, v[3:4]
	v_add_co_u32 v3, s0, s18, v3
	v_add_co_ci_u32_e64 v4, null, s19, v4, s0
	global_store_dword v[3:4], v5, off
.LBB194_43:
	;; [unrolled: 21-line block ×3, first 2 shown]
	s_or_b32 exec_lo, exec_lo, s1
	s_add_i32 s22, s22, -1
	s_cmp_eq_u32 s6, s22
	s_cselect_b32 s0, -1, 0
	s_xor_b32 s1, vcc_lo, -1
	s_and_b32 s1, s1, s0
	s_and_saveexec_b32 s0, s1
	s_cbranch_execz .LBB194_47
; %bb.46:
	ds_read_b32 v3, v11
	s_waitcnt lgkmcnt(0)
	v_add3_u32 v3, v9, v10, v3
	global_store_dword v11, v3, s[14:15]
.LBB194_47:
	s_or_b32 exec_lo, exec_lo, s0
	s_mov_b32 s0, 0
.LBB194_48:
	s_and_b32 vcc_lo, exec_lo, s0
	s_cbranch_vccz .LBB194_79
; %bb.49:
	s_lshl_b32 s0, s6, 12
	s_mov_b32 s1, 0
	v_lshlrev_b32_e32 v3, 4, v0
	v_lshlrev_b32_e32 v4, 2, v12
	s_lshl_b64 s[0:1], s[0:1], 2
	v_mov_b32_e32 v13, 0
	s_add_u32 s0, s16, s0
	s_addc_u32 s1, s17, s1
	v_and_b32_e32 v3, 0x3e00, v3
	v_add_co_u32 v4, s0, s0, v4
	v_add_co_ci_u32_e64 v5, null, s1, 0, s0
	s_add_u32 s1, s4, 0x58
	v_add_co_u32 v6, vcc_lo, v4, v3
	v_add_co_ci_u32_e64 v7, null, 0, v5, vcc_lo
	s_addc_u32 s2, s5, 0
	global_load_dword v8, v[6:7], off
	s_clause 0x1
	s_load_dword s0, s[4:5], 0x64
	s_load_dword s7, s[4:5], 0x58
	s_waitcnt lgkmcnt(0)
	s_lshr_b32 s3, s0, 16
	s_cmp_lt_u32 s6, s7
	v_mad_u32_u24 v1, v2, s3, v1
	s_cselect_b32 s0, 12, 18
	s_add_u32 s0, s1, s0
	s_addc_u32 s1, s2, 0
	global_load_ushort v10, v13, s[0:1]
	s_clause 0x2
	global_load_dword v5, v[6:7], off offset:128
	global_load_dword v4, v[6:7], off offset:256
	global_load_dword v3, v[6:7], off offset:384
	s_lshl_b32 s0, -1, s21
	s_not_b32 s8, s0
	s_waitcnt vmcnt(4)
	v_xor_b32_e32 v9, 0x80000000, v8
	v_lshrrev_b32_e32 v6, s20, v9
	v_and_b32_e32 v6, s8, v6
	v_and_b32_e32 v7, 1, v6
	v_lshlrev_b32_e32 v8, 30, v6
	v_lshlrev_b32_e32 v14, 29, v6
	;; [unrolled: 1-line block ×4, first 2 shown]
	v_add_co_u32 v7, s0, v7, -1
	v_cndmask_b32_e64 v16, 0, 1, s0
	v_not_b32_e32 v20, v8
	v_cmp_gt_i32_e64 s0, 0, v8
	v_not_b32_e32 v8, v14
	v_lshlrev_b32_e32 v18, 26, v6
	v_cmp_ne_u32_e32 vcc_lo, 0, v16
	v_ashrrev_i32_e32 v20, 31, v20
	v_lshlrev_b32_e32 v19, 25, v6
	v_ashrrev_i32_e32 v8, 31, v8
	v_lshlrev_b32_e32 v16, 24, v6
	v_xor_b32_e32 v7, vcc_lo, v7
	v_cmp_gt_i32_e32 vcc_lo, 0, v14
	v_not_b32_e32 v14, v15
	v_xor_b32_e32 v20, s0, v20
	v_cmp_gt_i32_e64 s0, 0, v15
	v_and_b32_e32 v7, exec_lo, v7
	v_not_b32_e32 v15, v17
	v_ashrrev_i32_e32 v14, 31, v14
	v_xor_b32_e32 v8, vcc_lo, v8
	v_cmp_gt_i32_e32 vcc_lo, 0, v17
	v_and_b32_e32 v7, v7, v20
	v_not_b32_e32 v17, v18
	v_ashrrev_i32_e32 v15, 31, v15
	v_xor_b32_e32 v14, s0, v14
	v_cmp_gt_i32_e64 s0, 0, v18
	v_and_b32_e32 v7, v7, v8
	v_not_b32_e32 v8, v19
	v_ashrrev_i32_e32 v17, 31, v17
	v_xor_b32_e32 v15, vcc_lo, v15
	v_cmp_gt_i32_e32 vcc_lo, 0, v19
	v_and_b32_e32 v7, v7, v14
	v_not_b32_e32 v14, v16
	v_ashrrev_i32_e32 v8, 31, v8
	v_xor_b32_e32 v17, s0, v17
	v_cmp_gt_i32_e64 s0, 0, v16
	v_and_b32_e32 v7, v7, v15
	v_ashrrev_i32_e32 v15, 31, v14
	v_xor_b32_e32 v8, vcc_lo, v8
	s_waitcnt vmcnt(3)
	v_mad_u64_u32 v[1:2], null, v1, v10, v[0:1]
	v_and_b32_e32 v7, v7, v17
	v_xor_b32_e32 v2, s0, v15
	v_mul_lo_u32 v6, 0x84, v6
	v_mul_u32_u24_e32 v14, 36, v0
	v_and_b32_e32 v7, v7, v8
	v_lshrrev_b32_e32 v1, 3, v1
	ds_write2_b32 v14, v13, v13 offset0:32 offset1:33
	ds_write2_b32 v14, v13, v13 offset0:34 offset1:35
	;; [unrolled: 1-line block ×3, first 2 shown]
	v_and_b32_e32 v2, v7, v2
	v_and_b32_e32 v1, 0x1ffffffc, v1
	ds_write2_b32 v14, v13, v13 offset0:38 offset1:39
	ds_write_b32 v14, v13 offset:160
	s_waitcnt vmcnt(0) lgkmcnt(0)
	s_waitcnt_vscnt null, 0x0
	s_barrier
	v_mbcnt_lo_u32_b32 v10, v2, 0
	v_cmp_ne_u32_e64 s0, 0, v2
	v_add_nc_u32_e32 v15, v1, v6
	buffer_gl0_inv
	v_cmp_eq_u32_e32 vcc_lo, 0, v10
	; wave barrier
	s_and_b32 s1, s0, vcc_lo
	s_and_saveexec_b32 s0, s1
; %bb.50:
	v_bcnt_u32_b32 v2, v2, 0
	ds_write_b32 v15, v2 offset:128
; %bb.51:
	s_or_b32 exec_lo, exec_lo, s0
	v_xor_b32_e32 v13, 0x80000000, v5
	; wave barrier
	v_lshrrev_b32_e32 v2, s20, v13
	v_and_b32_e32 v2, s8, v2
	v_and_b32_e32 v6, 1, v2
	v_lshlrev_b32_e32 v7, 30, v2
	v_lshlrev_b32_e32 v8, 29, v2
	;; [unrolled: 1-line block ×4, first 2 shown]
	v_add_co_u32 v6, s0, v6, -1
	v_cndmask_b32_e64 v17, 0, 1, s0
	v_not_b32_e32 v21, v7
	v_cmp_gt_i32_e64 s0, 0, v7
	v_not_b32_e32 v7, v8
	v_lshlrev_b32_e32 v19, 26, v2
	v_cmp_ne_u32_e32 vcc_lo, 0, v17
	v_ashrrev_i32_e32 v17, 31, v21
	v_lshlrev_b32_e32 v20, 25, v2
	v_ashrrev_i32_e32 v7, 31, v7
	v_mul_lo_u32 v5, 0x84, v2
	v_xor_b32_e32 v6, vcc_lo, v6
	v_cmp_gt_i32_e32 vcc_lo, 0, v8
	v_not_b32_e32 v8, v16
	v_xor_b32_e32 v17, s0, v17
	v_cmp_gt_i32_e64 s0, 0, v16
	v_and_b32_e32 v6, exec_lo, v6
	v_not_b32_e32 v16, v18
	v_ashrrev_i32_e32 v8, 31, v8
	v_xor_b32_e32 v7, vcc_lo, v7
	v_cmp_gt_i32_e32 vcc_lo, 0, v18
	v_and_b32_e32 v6, v6, v17
	v_not_b32_e32 v17, v19
	v_ashrrev_i32_e32 v16, 31, v16
	v_xor_b32_e32 v8, s0, v8
	v_lshlrev_b32_e32 v2, 24, v2
	v_and_b32_e32 v6, v6, v7
	v_cmp_gt_i32_e64 s0, 0, v19
	v_not_b32_e32 v7, v20
	v_ashrrev_i32_e32 v17, 31, v17
	v_xor_b32_e32 v16, vcc_lo, v16
	v_and_b32_e32 v6, v6, v8
	v_cmp_gt_i32_e32 vcc_lo, 0, v20
	v_not_b32_e32 v8, v2
	v_ashrrev_i32_e32 v7, 31, v7
	v_xor_b32_e32 v17, s0, v17
	v_and_b32_e32 v6, v6, v16
	v_cmp_gt_i32_e64 s0, 0, v2
	v_ashrrev_i32_e32 v2, 31, v8
	v_xor_b32_e32 v7, vcc_lo, v7
	v_add_nc_u32_e32 v19, v1, v5
	v_and_b32_e32 v6, v6, v17
	v_xor_b32_e32 v2, s0, v2
	ds_read_b32 v16, v19 offset:128
	v_and_b32_e32 v5, v6, v7
	; wave barrier
	v_and_b32_e32 v2, v5, v2
	v_mbcnt_lo_u32_b32 v18, v2, 0
	v_cmp_ne_u32_e64 s0, 0, v2
	v_cmp_eq_u32_e32 vcc_lo, 0, v18
	s_and_b32 s1, s0, vcc_lo
	s_and_saveexec_b32 s0, s1
	s_cbranch_execz .LBB194_53
; %bb.52:
	s_waitcnt lgkmcnt(0)
	v_bcnt_u32_b32 v2, v2, v16
	ds_write_b32 v19, v2 offset:128
.LBB194_53:
	s_or_b32 exec_lo, exec_lo, s0
	v_xor_b32_e32 v17, 0x80000000, v4
	; wave barrier
	v_lshrrev_b32_e32 v2, s20, v17
	v_and_b32_e32 v2, s8, v2
	v_and_b32_e32 v5, 1, v2
	v_lshlrev_b32_e32 v6, 30, v2
	v_lshlrev_b32_e32 v7, 29, v2
	;; [unrolled: 1-line block ×4, first 2 shown]
	v_add_co_u32 v5, s0, v5, -1
	v_cndmask_b32_e64 v20, 0, 1, s0
	v_not_b32_e32 v24, v6
	v_cmp_gt_i32_e64 s0, 0, v6
	v_not_b32_e32 v6, v7
	v_lshlrev_b32_e32 v22, 26, v2
	v_cmp_ne_u32_e32 vcc_lo, 0, v20
	v_ashrrev_i32_e32 v20, 31, v24
	v_lshlrev_b32_e32 v23, 25, v2
	v_ashrrev_i32_e32 v6, 31, v6
	v_mul_lo_u32 v4, 0x84, v2
	v_xor_b32_e32 v5, vcc_lo, v5
	v_cmp_gt_i32_e32 vcc_lo, 0, v7
	v_not_b32_e32 v7, v8
	v_xor_b32_e32 v20, s0, v20
	v_cmp_gt_i32_e64 s0, 0, v8
	v_and_b32_e32 v5, exec_lo, v5
	v_not_b32_e32 v8, v21
	v_ashrrev_i32_e32 v7, 31, v7
	v_xor_b32_e32 v6, vcc_lo, v6
	v_cmp_gt_i32_e32 vcc_lo, 0, v21
	v_and_b32_e32 v5, v5, v20
	v_not_b32_e32 v20, v22
	v_ashrrev_i32_e32 v8, 31, v8
	v_xor_b32_e32 v7, s0, v7
	v_lshlrev_b32_e32 v2, 24, v2
	v_and_b32_e32 v5, v5, v6
	v_cmp_gt_i32_e64 s0, 0, v22
	v_not_b32_e32 v6, v23
	v_ashrrev_i32_e32 v20, 31, v20
	v_xor_b32_e32 v8, vcc_lo, v8
	v_and_b32_e32 v5, v5, v7
	v_cmp_gt_i32_e32 vcc_lo, 0, v23
	v_not_b32_e32 v7, v2
	v_ashrrev_i32_e32 v6, 31, v6
	v_xor_b32_e32 v20, s0, v20
	v_and_b32_e32 v5, v5, v8
	v_cmp_gt_i32_e64 s0, 0, v2
	v_ashrrev_i32_e32 v2, 31, v7
	v_xor_b32_e32 v6, vcc_lo, v6
	v_add_nc_u32_e32 v23, v1, v4
	v_and_b32_e32 v5, v5, v20
	v_xor_b32_e32 v2, s0, v2
	ds_read_b32 v20, v23 offset:128
	v_and_b32_e32 v4, v5, v6
	; wave barrier
	v_and_b32_e32 v2, v4, v2
	v_mbcnt_lo_u32_b32 v22, v2, 0
	v_cmp_ne_u32_e64 s0, 0, v2
	v_cmp_eq_u32_e32 vcc_lo, 0, v22
	s_and_b32 s1, s0, vcc_lo
	s_and_saveexec_b32 s0, s1
	s_cbranch_execz .LBB194_55
; %bb.54:
	s_waitcnt lgkmcnt(0)
	v_bcnt_u32_b32 v2, v2, v20
	ds_write_b32 v23, v2 offset:128
.LBB194_55:
	s_or_b32 exec_lo, exec_lo, s0
	v_xor_b32_e32 v21, 0x80000000, v3
	; wave barrier
	v_lshrrev_b32_e32 v2, s20, v21
	v_and_b32_e32 v2, s8, v2
	v_and_b32_e32 v4, 1, v2
	v_lshlrev_b32_e32 v5, 30, v2
	v_lshlrev_b32_e32 v6, 29, v2
	;; [unrolled: 1-line block ×4, first 2 shown]
	v_add_co_u32 v4, s0, v4, -1
	v_cndmask_b32_e64 v8, 0, 1, s0
	v_not_b32_e32 v27, v5
	v_cmp_gt_i32_e64 s0, 0, v5
	v_not_b32_e32 v5, v6
	v_lshlrev_b32_e32 v25, 26, v2
	v_cmp_ne_u32_e32 vcc_lo, 0, v8
	v_ashrrev_i32_e32 v8, 31, v27
	v_lshlrev_b32_e32 v26, 25, v2
	v_ashrrev_i32_e32 v5, 31, v5
	v_mul_lo_u32 v3, 0x84, v2
	v_xor_b32_e32 v4, vcc_lo, v4
	v_cmp_gt_i32_e32 vcc_lo, 0, v6
	v_not_b32_e32 v6, v7
	v_xor_b32_e32 v8, s0, v8
	v_cmp_gt_i32_e64 s0, 0, v7
	v_and_b32_e32 v4, exec_lo, v4
	v_not_b32_e32 v7, v24
	v_ashrrev_i32_e32 v6, 31, v6
	v_xor_b32_e32 v5, vcc_lo, v5
	v_cmp_gt_i32_e32 vcc_lo, 0, v24
	v_and_b32_e32 v4, v4, v8
	v_not_b32_e32 v8, v25
	v_ashrrev_i32_e32 v7, 31, v7
	v_xor_b32_e32 v6, s0, v6
	v_lshlrev_b32_e32 v2, 24, v2
	v_and_b32_e32 v4, v4, v5
	v_cmp_gt_i32_e64 s0, 0, v25
	v_not_b32_e32 v5, v26
	v_ashrrev_i32_e32 v8, 31, v8
	v_xor_b32_e32 v7, vcc_lo, v7
	v_and_b32_e32 v4, v4, v6
	v_cmp_gt_i32_e32 vcc_lo, 0, v26
	v_not_b32_e32 v6, v2
	v_ashrrev_i32_e32 v5, 31, v5
	v_xor_b32_e32 v8, s0, v8
	v_and_b32_e32 v4, v4, v7
	v_cmp_gt_i32_e64 s0, 0, v2
	v_ashrrev_i32_e32 v2, 31, v6
	v_xor_b32_e32 v5, vcc_lo, v5
	v_add_nc_u32_e32 v26, v1, v3
	v_and_b32_e32 v4, v4, v8
	v_xor_b32_e32 v1, s0, v2
	ds_read_b32 v24, v26 offset:128
	v_and_b32_e32 v2, v4, v5
	; wave barrier
	v_and_b32_e32 v1, v2, v1
	v_mbcnt_lo_u32_b32 v25, v1, 0
	v_cmp_ne_u32_e64 s0, 0, v1
	v_cmp_eq_u32_e32 vcc_lo, 0, v25
	s_and_b32 s1, s0, vcc_lo
	s_and_saveexec_b32 s0, s1
	s_cbranch_execz .LBB194_57
; %bb.56:
	s_waitcnt lgkmcnt(0)
	v_bcnt_u32_b32 v1, v1, v24
	ds_write_b32 v26, v1 offset:128
.LBB194_57:
	s_or_b32 exec_lo, exec_lo, s0
	; wave barrier
	s_waitcnt lgkmcnt(0)
	s_barrier
	buffer_gl0_inv
	ds_read2_b32 v[7:8], v14 offset0:32 offset1:33
	ds_read2_b32 v[5:6], v14 offset0:34 offset1:35
	;; [unrolled: 1-line block ×4, first 2 shown]
	ds_read_b32 v27, v14 offset:160
	v_and_b32_e32 v30, 16, v12
	v_and_b32_e32 v31, 31, v0
	s_mov_b32 s5, exec_lo
	v_cmp_eq_u32_e64 s3, 0, v30
	s_waitcnt lgkmcnt(3)
	v_add3_u32 v28, v8, v7, v5
	s_waitcnt lgkmcnt(2)
	v_add3_u32 v28, v28, v6, v3
	s_waitcnt lgkmcnt(1)
	v_add3_u32 v28, v28, v4, v1
	s_waitcnt lgkmcnt(0)
	v_add3_u32 v27, v28, v2, v27
	v_and_b32_e32 v28, 15, v12
	v_mov_b32_dpp v29, v27 row_shr:1 row_mask:0xf bank_mask:0xf
	v_cmp_eq_u32_e32 vcc_lo, 0, v28
	v_cmp_lt_u32_e64 s0, 1, v28
	v_cmp_lt_u32_e64 s1, 3, v28
	;; [unrolled: 1-line block ×3, first 2 shown]
	v_cndmask_b32_e64 v29, v29, 0, vcc_lo
	v_add_nc_u32_e32 v27, v29, v27
	v_mov_b32_dpp v29, v27 row_shr:2 row_mask:0xf bank_mask:0xf
	v_cndmask_b32_e64 v29, 0, v29, s0
	v_add_nc_u32_e32 v27, v27, v29
	v_mov_b32_dpp v29, v27 row_shr:4 row_mask:0xf bank_mask:0xf
	v_cndmask_b32_e64 v29, 0, v29, s1
	;; [unrolled: 3-line block ×3, first 2 shown]
	v_bfe_i32 v29, v12, 4, 1
	v_add_nc_u32_e32 v27, v27, v28
	ds_swizzle_b32 v28, v27 offset:swizzle(BROADCAST,32,15)
	s_waitcnt lgkmcnt(0)
	v_and_b32_e32 v29, v29, v28
	v_lshrrev_b32_e32 v28, 5, v0
	v_add_nc_u32_e32 v27, v27, v29
	v_cmpx_eq_u32_e32 31, v31
; %bb.58:
	v_lshlrev_b32_e32 v29, 2, v28
	ds_write_b32 v29, v27
; %bb.59:
	s_or_b32 exec_lo, exec_lo, s5
	v_cmp_lt_u32_e64 s4, 31, v0
	s_mov_b32 s9, exec_lo
	s_waitcnt lgkmcnt(0)
	s_barrier
	buffer_gl0_inv
	v_cmpx_gt_u32_e32 32, v0
	s_cbranch_execz .LBB194_61
; %bb.60:
	ds_read_b32 v29, v11
	s_waitcnt lgkmcnt(0)
	v_mov_b32_dpp v30, v29 row_shr:1 row_mask:0xf bank_mask:0xf
	v_cndmask_b32_e64 v30, v30, 0, vcc_lo
	v_add_nc_u32_e32 v29, v30, v29
	v_mov_b32_dpp v30, v29 row_shr:2 row_mask:0xf bank_mask:0xf
	v_cndmask_b32_e64 v30, 0, v30, s0
	v_add_nc_u32_e32 v29, v29, v30
	v_mov_b32_dpp v30, v29 row_shr:4 row_mask:0xf bank_mask:0xf
	v_cndmask_b32_e64 v30, 0, v30, s1
	;; [unrolled: 3-line block ×3, first 2 shown]
	v_add_nc_u32_e32 v29, v29, v30
	ds_swizzle_b32 v30, v29 offset:swizzle(BROADCAST,32,15)
	s_waitcnt lgkmcnt(0)
	v_cndmask_b32_e64 v30, v30, 0, s3
	v_add_nc_u32_e32 v29, v29, v30
	ds_write_b32 v11, v29
.LBB194_61:
	s_or_b32 exec_lo, exec_lo, s9
	v_mov_b32_e32 v29, 0
	s_waitcnt lgkmcnt(0)
	s_barrier
	buffer_gl0_inv
	s_and_saveexec_b32 s0, s4
; %bb.62:
	v_lshl_add_u32 v28, v28, 2, -4
	ds_read_b32 v29, v28
; %bb.63:
	s_or_b32 exec_lo, exec_lo, s0
	v_sub_co_u32 v28, vcc_lo, v12, 1
	s_waitcnt lgkmcnt(0)
	v_add_nc_u32_e32 v27, v29, v27
	v_cmp_gt_i32_e64 s0, 0, v28
	v_cndmask_b32_e64 v12, v28, v12, s0
	v_cmp_gt_u32_e64 s0, 0x100, v0
	v_lshlrev_b32_e32 v12, 2, v12
	ds_bpermute_b32 v12, v12, v27
	s_waitcnt lgkmcnt(0)
	v_cndmask_b32_e32 v12, v12, v29, vcc_lo
	v_cmp_ne_u32_e32 vcc_lo, 0, v0
	v_cndmask_b32_e32 v12, 0, v12, vcc_lo
	v_cmp_lt_u32_e32 vcc_lo, 0xff, v0
	v_add_nc_u32_e32 v7, v12, v7
	v_add_nc_u32_e32 v8, v7, v8
	;; [unrolled: 1-line block ×8, first 2 shown]
	ds_write2_b32 v14, v12, v7 offset0:32 offset1:33
	ds_write2_b32 v14, v8, v5 offset0:34 offset1:35
	;; [unrolled: 1-line block ×4, first 2 shown]
	ds_write_b32 v14, v2 offset:160
	s_waitcnt lgkmcnt(0)
	s_barrier
	buffer_gl0_inv
	ds_read_b32 v1, v15 offset:128
	ds_read_b32 v4, v19 offset:128
	;; [unrolled: 1-line block ×4, first 2 shown]
                                        ; implicit-def: $vgpr7
                                        ; implicit-def: $vgpr8
	s_and_saveexec_b32 s2, s0
	s_cbranch_execz .LBB194_67
; %bb.64:
	v_mul_u32_u24_e32 v5, 0x84, v0
	v_add_nc_u32_e32 v6, 1, v0
	s_mov_b32 s3, exec_lo
	ds_read_b32 v7, v5 offset:128
	v_mov_b32_e32 v5, 0x1000
	v_cmpx_ne_u32_e32 0x100, v6
; %bb.65:
	v_mul_u32_u24_e32 v5, 0x84, v6
	ds_read_b32 v5, v5 offset:128
; %bb.66:
	s_or_b32 exec_lo, exec_lo, s3
	s_waitcnt lgkmcnt(0)
	v_sub_nc_u32_e32 v8, v5, v7
.LBB194_67:
	s_or_b32 exec_lo, exec_lo, s2
	v_lshlrev_b32_e32 v5, 2, v10
	v_lshlrev_b32_e32 v10, 2, v16
	;; [unrolled: 1-line block ×4, first 2 shown]
	s_waitcnt lgkmcnt(0)
	v_lshlrev_b32_e32 v2, 2, v2
	v_lshlrev_b32_e32 v6, 2, v18
	;; [unrolled: 1-line block ×6, first 2 shown]
	v_lshl_add_u32 v1, v1, 2, v5
	v_add3_u32 v5, v15, v16, v2
	v_mov_b32_e32 v2, 0
	v_add3_u32 v4, v6, v10, v4
	v_add3_u32 v3, v12, v14, v3
	s_barrier
	buffer_gl0_inv
	ds_write_b32 v1, v9 offset:1024
	ds_write_b32 v4, v13 offset:1024
	;; [unrolled: 1-line block ×4, first 2 shown]
	s_and_saveexec_b32 s1, s0
	s_cbranch_execz .LBB194_77
; %bb.68:
	v_lshl_add_u32 v1, s6, 8, v0
	v_mov_b32_e32 v9, 0
	s_mov_b32 s2, 0
	s_mov_b32 s3, s6
	v_lshlrev_b64 v[3:4], 2, v[1:2]
	v_or_b32_e32 v1, 2.0, v8
	v_add_co_u32 v3, s0, s10, v3
	v_add_co_ci_u32_e64 v4, null, s11, v4, s0
                                        ; implicit-def: $sgpr0
	global_store_dword v[3:4], v1, off
	s_branch .LBB194_71
	.p2align	6
.LBB194_69:                             ;   in Loop: Header=BB194_71 Depth=1
	s_or_b32 exec_lo, exec_lo, s5
.LBB194_70:                             ;   in Loop: Header=BB194_71 Depth=1
	s_or_b32 exec_lo, exec_lo, s4
	v_and_b32_e32 v5, 0x3fffffff, v1
	v_cmp_gt_i32_e64 s0, -2.0, v1
	v_add_nc_u32_e32 v9, v5, v9
	s_and_b32 s4, exec_lo, s0
	s_or_b32 s2, s4, s2
	s_andn2_b32 exec_lo, exec_lo, s2
	s_cbranch_execz .LBB194_76
.LBB194_71:                             ; =>This Loop Header: Depth=1
                                        ;     Child Loop BB194_74 Depth 2
	s_or_b32 s0, s0, exec_lo
	s_cmp_eq_u32 s3, 0
	s_cbranch_scc1 .LBB194_75
; %bb.72:                               ;   in Loop: Header=BB194_71 Depth=1
	s_add_i32 s3, s3, -1
	s_mov_b32 s4, exec_lo
	v_lshl_or_b32 v1, s3, 8, v0
	v_lshlrev_b64 v[5:6], 2, v[1:2]
	v_add_co_u32 v5, s0, s10, v5
	v_add_co_ci_u32_e64 v6, null, s11, v6, s0
	global_load_dword v1, v[5:6], off glc dlc
	s_waitcnt vmcnt(0)
	v_cmpx_gt_u32_e32 2.0, v1
	s_cbranch_execz .LBB194_70
; %bb.73:                               ;   in Loop: Header=BB194_71 Depth=1
	s_mov_b32 s5, 0
.LBB194_74:                             ;   Parent Loop BB194_71 Depth=1
                                        ; =>  This Inner Loop Header: Depth=2
	global_load_dword v1, v[5:6], off glc dlc
	s_waitcnt vmcnt(0)
	v_cmp_lt_u32_e64 s0, 0x3fffffff, v1
	s_or_b32 s5, s0, s5
	s_andn2_b32 exec_lo, exec_lo, s5
	s_cbranch_execnz .LBB194_74
	s_branch .LBB194_69
.LBB194_75:                             ;   in Loop: Header=BB194_71 Depth=1
                                        ; implicit-def: $sgpr3
	s_and_b32 s4, exec_lo, s0
	s_or_b32 s2, s4, s2
	s_andn2_b32 exec_lo, exec_lo, s2
	s_cbranch_execnz .LBB194_71
.LBB194_76:
	s_or_b32 exec_lo, exec_lo, s2
	v_add_nc_u32_e32 v1, v9, v8
	v_sub_nc_u32_e32 v2, v9, v7
	v_or_b32_e32 v1, 0x80000000, v1
	global_store_dword v[3:4], v1, off
	global_load_dword v1, v11, s[12:13]
	s_waitcnt vmcnt(0)
	v_add_nc_u32_e32 v1, v2, v1
	ds_write_b32 v11, v1
.LBB194_77:
	s_or_b32 exec_lo, exec_lo, s1
	s_waitcnt lgkmcnt(0)
	s_waitcnt_vscnt null, 0x0
	s_barrier
	buffer_gl0_inv
	ds_read2st64_b32 v[1:2], v11 offset0:4 offset1:20
	ds_read2st64_b32 v[3:4], v11 offset0:36 offset1:52
	s_add_i32 s7, s7, -1
	s_cmp_eq_u32 s6, s7
	s_waitcnt lgkmcnt(1)
	v_lshrrev_b32_e32 v5, s20, v1
	v_lshrrev_b32_e32 v6, s20, v2
	s_waitcnt lgkmcnt(0)
	v_lshrrev_b32_e32 v9, s20, v3
	v_lshrrev_b32_e32 v10, s20, v4
	v_xor_b32_e32 v15, 0x80000000, v1
	v_and_b32_e32 v5, s8, v5
	v_and_b32_e32 v6, s8, v6
	v_and_b32_e32 v9, s8, v9
	v_xor_b32_e32 v16, 0x80000000, v2
	v_xor_b32_e32 v4, 0x80000000, v4
	v_lshlrev_b32_e32 v5, 2, v5
	v_lshlrev_b32_e32 v6, 2, v6
	ds_read_b32 v5, v5
	ds_read_b32 v12, v6
	v_lshlrev_b32_e32 v6, 2, v9
	v_and_b32_e32 v9, s8, v10
	ds_read_b32 v13, v6
	v_lshlrev_b32_e32 v6, 2, v9
	ds_read_b32 v14, v6
	v_mov_b32_e32 v6, 0
	s_waitcnt lgkmcnt(3)
	v_add_nc_u32_e32 v5, v5, v0
	v_lshlrev_b64 v[9:10], 2, v[5:6]
	s_waitcnt lgkmcnt(2)
	v_add3_u32 v5, v12, v0, 0x400
	v_lshlrev_b64 v[1:2], 2, v[5:6]
	s_waitcnt lgkmcnt(1)
	v_add3_u32 v5, v13, v0, 0x800
	v_add_co_u32 v9, s0, s18, v9
	v_add_co_ci_u32_e64 v10, null, s19, v10, s0
	v_lshlrev_b64 v[12:13], 2, v[5:6]
	s_waitcnt lgkmcnt(0)
	v_add3_u32 v5, v14, v0, 0xc00
	v_add_co_u32 v0, s0, s18, v1
	v_add_co_ci_u32_e64 v1, null, s19, v2, s0
	v_xor_b32_e32 v14, 0x80000000, v3
	v_lshlrev_b64 v[2:3], 2, v[5:6]
	global_store_dword v[9:10], v15, off
	global_store_dword v[0:1], v16, off
	v_add_co_u32 v0, s0, s18, v12
	v_add_co_ci_u32_e64 v1, null, s19, v13, s0
	v_add_co_u32 v2, s0, s18, v2
	v_add_co_ci_u32_e64 v3, null, s19, v3, s0
	s_cselect_b32 s0, -1, 0
	s_xor_b32 s1, vcc_lo, -1
	global_store_dword v[0:1], v14, off
	s_and_b32 s0, s1, s0
	global_store_dword v[2:3], v4, off
	s_and_saveexec_b32 s1, s0
	s_cbranch_execz .LBB194_79
; %bb.78:
	ds_read_b32 v0, v11
	s_waitcnt lgkmcnt(0)
	v_add3_u32 v0, v7, v8, v0
	global_store_dword v11, v0, s[14:15]
.LBB194_79:
	s_endpgm
	.section	.rodata,"a",@progbits
	.p2align	6, 0x0
	.amdhsa_kernel _ZN7rocprim17ROCPRIM_400000_NS6detail17trampoline_kernelINS0_14default_configENS1_35radix_sort_onesweep_config_selectorIiNS0_10empty_typeEEEZZNS1_29radix_sort_onesweep_iterationIS3_Lb0EN6thrust23THRUST_200600_302600_NS6detail15normal_iteratorINS9_10device_ptrIiEEEESE_PS5_SF_jNS0_19identity_decomposerENS1_16block_id_wrapperIjLb0EEEEE10hipError_tT1_PNSt15iterator_traitsISK_E10value_typeET2_T3_PNSL_ISQ_E10value_typeET4_T5_PSV_SW_PNS1_23onesweep_lookback_stateEbbT6_jjT7_P12ihipStream_tbENKUlT_T0_SK_SP_E_clISE_SE_SF_SF_EEDaS13_S14_SK_SP_EUlS13_E_NS1_11comp_targetILNS1_3genE8ELNS1_11target_archE1030ELNS1_3gpuE2ELNS1_3repE0EEENS1_47radix_sort_onesweep_sort_config_static_selectorELNS0_4arch9wavefront6targetE0EEEvSK_
		.amdhsa_group_segment_fixed_size 37000
		.amdhsa_private_segment_fixed_size 0
		.amdhsa_kernarg_size 344
		.amdhsa_user_sgpr_count 6
		.amdhsa_user_sgpr_private_segment_buffer 1
		.amdhsa_user_sgpr_dispatch_ptr 0
		.amdhsa_user_sgpr_queue_ptr 0
		.amdhsa_user_sgpr_kernarg_segment_ptr 1
		.amdhsa_user_sgpr_dispatch_id 0
		.amdhsa_user_sgpr_flat_scratch_init 0
		.amdhsa_user_sgpr_private_segment_size 0
		.amdhsa_wavefront_size32 1
		.amdhsa_uses_dynamic_stack 0
		.amdhsa_system_sgpr_private_segment_wavefront_offset 0
		.amdhsa_system_sgpr_workgroup_id_x 1
		.amdhsa_system_sgpr_workgroup_id_y 0
		.amdhsa_system_sgpr_workgroup_id_z 0
		.amdhsa_system_sgpr_workgroup_info 0
		.amdhsa_system_vgpr_workitem_id 2
		.amdhsa_next_free_vgpr 34
		.amdhsa_next_free_sgpr 25
		.amdhsa_reserve_vcc 1
		.amdhsa_reserve_flat_scratch 0
		.amdhsa_float_round_mode_32 0
		.amdhsa_float_round_mode_16_64 0
		.amdhsa_float_denorm_mode_32 3
		.amdhsa_float_denorm_mode_16_64 3
		.amdhsa_dx10_clamp 1
		.amdhsa_ieee_mode 1
		.amdhsa_fp16_overflow 0
		.amdhsa_workgroup_processor_mode 1
		.amdhsa_memory_ordered 1
		.amdhsa_forward_progress 1
		.amdhsa_shared_vgpr_count 0
		.amdhsa_exception_fp_ieee_invalid_op 0
		.amdhsa_exception_fp_denorm_src 0
		.amdhsa_exception_fp_ieee_div_zero 0
		.amdhsa_exception_fp_ieee_overflow 0
		.amdhsa_exception_fp_ieee_underflow 0
		.amdhsa_exception_fp_ieee_inexact 0
		.amdhsa_exception_int_div_zero 0
	.end_amdhsa_kernel
	.section	.text._ZN7rocprim17ROCPRIM_400000_NS6detail17trampoline_kernelINS0_14default_configENS1_35radix_sort_onesweep_config_selectorIiNS0_10empty_typeEEEZZNS1_29radix_sort_onesweep_iterationIS3_Lb0EN6thrust23THRUST_200600_302600_NS6detail15normal_iteratorINS9_10device_ptrIiEEEESE_PS5_SF_jNS0_19identity_decomposerENS1_16block_id_wrapperIjLb0EEEEE10hipError_tT1_PNSt15iterator_traitsISK_E10value_typeET2_T3_PNSL_ISQ_E10value_typeET4_T5_PSV_SW_PNS1_23onesweep_lookback_stateEbbT6_jjT7_P12ihipStream_tbENKUlT_T0_SK_SP_E_clISE_SE_SF_SF_EEDaS13_S14_SK_SP_EUlS13_E_NS1_11comp_targetILNS1_3genE8ELNS1_11target_archE1030ELNS1_3gpuE2ELNS1_3repE0EEENS1_47radix_sort_onesweep_sort_config_static_selectorELNS0_4arch9wavefront6targetE0EEEvSK_,"axG",@progbits,_ZN7rocprim17ROCPRIM_400000_NS6detail17trampoline_kernelINS0_14default_configENS1_35radix_sort_onesweep_config_selectorIiNS0_10empty_typeEEEZZNS1_29radix_sort_onesweep_iterationIS3_Lb0EN6thrust23THRUST_200600_302600_NS6detail15normal_iteratorINS9_10device_ptrIiEEEESE_PS5_SF_jNS0_19identity_decomposerENS1_16block_id_wrapperIjLb0EEEEE10hipError_tT1_PNSt15iterator_traitsISK_E10value_typeET2_T3_PNSL_ISQ_E10value_typeET4_T5_PSV_SW_PNS1_23onesweep_lookback_stateEbbT6_jjT7_P12ihipStream_tbENKUlT_T0_SK_SP_E_clISE_SE_SF_SF_EEDaS13_S14_SK_SP_EUlS13_E_NS1_11comp_targetILNS1_3genE8ELNS1_11target_archE1030ELNS1_3gpuE2ELNS1_3repE0EEENS1_47radix_sort_onesweep_sort_config_static_selectorELNS0_4arch9wavefront6targetE0EEEvSK_,comdat
.Lfunc_end194:
	.size	_ZN7rocprim17ROCPRIM_400000_NS6detail17trampoline_kernelINS0_14default_configENS1_35radix_sort_onesweep_config_selectorIiNS0_10empty_typeEEEZZNS1_29radix_sort_onesweep_iterationIS3_Lb0EN6thrust23THRUST_200600_302600_NS6detail15normal_iteratorINS9_10device_ptrIiEEEESE_PS5_SF_jNS0_19identity_decomposerENS1_16block_id_wrapperIjLb0EEEEE10hipError_tT1_PNSt15iterator_traitsISK_E10value_typeET2_T3_PNSL_ISQ_E10value_typeET4_T5_PSV_SW_PNS1_23onesweep_lookback_stateEbbT6_jjT7_P12ihipStream_tbENKUlT_T0_SK_SP_E_clISE_SE_SF_SF_EEDaS13_S14_SK_SP_EUlS13_E_NS1_11comp_targetILNS1_3genE8ELNS1_11target_archE1030ELNS1_3gpuE2ELNS1_3repE0EEENS1_47radix_sort_onesweep_sort_config_static_selectorELNS0_4arch9wavefront6targetE0EEEvSK_, .Lfunc_end194-_ZN7rocprim17ROCPRIM_400000_NS6detail17trampoline_kernelINS0_14default_configENS1_35radix_sort_onesweep_config_selectorIiNS0_10empty_typeEEEZZNS1_29radix_sort_onesweep_iterationIS3_Lb0EN6thrust23THRUST_200600_302600_NS6detail15normal_iteratorINS9_10device_ptrIiEEEESE_PS5_SF_jNS0_19identity_decomposerENS1_16block_id_wrapperIjLb0EEEEE10hipError_tT1_PNSt15iterator_traitsISK_E10value_typeET2_T3_PNSL_ISQ_E10value_typeET4_T5_PSV_SW_PNS1_23onesweep_lookback_stateEbbT6_jjT7_P12ihipStream_tbENKUlT_T0_SK_SP_E_clISE_SE_SF_SF_EEDaS13_S14_SK_SP_EUlS13_E_NS1_11comp_targetILNS1_3genE8ELNS1_11target_archE1030ELNS1_3gpuE2ELNS1_3repE0EEENS1_47radix_sort_onesweep_sort_config_static_selectorELNS0_4arch9wavefront6targetE0EEEvSK_
                                        ; -- End function
	.set _ZN7rocprim17ROCPRIM_400000_NS6detail17trampoline_kernelINS0_14default_configENS1_35radix_sort_onesweep_config_selectorIiNS0_10empty_typeEEEZZNS1_29radix_sort_onesweep_iterationIS3_Lb0EN6thrust23THRUST_200600_302600_NS6detail15normal_iteratorINS9_10device_ptrIiEEEESE_PS5_SF_jNS0_19identity_decomposerENS1_16block_id_wrapperIjLb0EEEEE10hipError_tT1_PNSt15iterator_traitsISK_E10value_typeET2_T3_PNSL_ISQ_E10value_typeET4_T5_PSV_SW_PNS1_23onesweep_lookback_stateEbbT6_jjT7_P12ihipStream_tbENKUlT_T0_SK_SP_E_clISE_SE_SF_SF_EEDaS13_S14_SK_SP_EUlS13_E_NS1_11comp_targetILNS1_3genE8ELNS1_11target_archE1030ELNS1_3gpuE2ELNS1_3repE0EEENS1_47radix_sort_onesweep_sort_config_static_selectorELNS0_4arch9wavefront6targetE0EEEvSK_.num_vgpr, 34
	.set _ZN7rocprim17ROCPRIM_400000_NS6detail17trampoline_kernelINS0_14default_configENS1_35radix_sort_onesweep_config_selectorIiNS0_10empty_typeEEEZZNS1_29radix_sort_onesweep_iterationIS3_Lb0EN6thrust23THRUST_200600_302600_NS6detail15normal_iteratorINS9_10device_ptrIiEEEESE_PS5_SF_jNS0_19identity_decomposerENS1_16block_id_wrapperIjLb0EEEEE10hipError_tT1_PNSt15iterator_traitsISK_E10value_typeET2_T3_PNSL_ISQ_E10value_typeET4_T5_PSV_SW_PNS1_23onesweep_lookback_stateEbbT6_jjT7_P12ihipStream_tbENKUlT_T0_SK_SP_E_clISE_SE_SF_SF_EEDaS13_S14_SK_SP_EUlS13_E_NS1_11comp_targetILNS1_3genE8ELNS1_11target_archE1030ELNS1_3gpuE2ELNS1_3repE0EEENS1_47radix_sort_onesweep_sort_config_static_selectorELNS0_4arch9wavefront6targetE0EEEvSK_.num_agpr, 0
	.set _ZN7rocprim17ROCPRIM_400000_NS6detail17trampoline_kernelINS0_14default_configENS1_35radix_sort_onesweep_config_selectorIiNS0_10empty_typeEEEZZNS1_29radix_sort_onesweep_iterationIS3_Lb0EN6thrust23THRUST_200600_302600_NS6detail15normal_iteratorINS9_10device_ptrIiEEEESE_PS5_SF_jNS0_19identity_decomposerENS1_16block_id_wrapperIjLb0EEEEE10hipError_tT1_PNSt15iterator_traitsISK_E10value_typeET2_T3_PNSL_ISQ_E10value_typeET4_T5_PSV_SW_PNS1_23onesweep_lookback_stateEbbT6_jjT7_P12ihipStream_tbENKUlT_T0_SK_SP_E_clISE_SE_SF_SF_EEDaS13_S14_SK_SP_EUlS13_E_NS1_11comp_targetILNS1_3genE8ELNS1_11target_archE1030ELNS1_3gpuE2ELNS1_3repE0EEENS1_47radix_sort_onesweep_sort_config_static_selectorELNS0_4arch9wavefront6targetE0EEEvSK_.numbered_sgpr, 25
	.set _ZN7rocprim17ROCPRIM_400000_NS6detail17trampoline_kernelINS0_14default_configENS1_35radix_sort_onesweep_config_selectorIiNS0_10empty_typeEEEZZNS1_29radix_sort_onesweep_iterationIS3_Lb0EN6thrust23THRUST_200600_302600_NS6detail15normal_iteratorINS9_10device_ptrIiEEEESE_PS5_SF_jNS0_19identity_decomposerENS1_16block_id_wrapperIjLb0EEEEE10hipError_tT1_PNSt15iterator_traitsISK_E10value_typeET2_T3_PNSL_ISQ_E10value_typeET4_T5_PSV_SW_PNS1_23onesweep_lookback_stateEbbT6_jjT7_P12ihipStream_tbENKUlT_T0_SK_SP_E_clISE_SE_SF_SF_EEDaS13_S14_SK_SP_EUlS13_E_NS1_11comp_targetILNS1_3genE8ELNS1_11target_archE1030ELNS1_3gpuE2ELNS1_3repE0EEENS1_47radix_sort_onesweep_sort_config_static_selectorELNS0_4arch9wavefront6targetE0EEEvSK_.num_named_barrier, 0
	.set _ZN7rocprim17ROCPRIM_400000_NS6detail17trampoline_kernelINS0_14default_configENS1_35radix_sort_onesweep_config_selectorIiNS0_10empty_typeEEEZZNS1_29radix_sort_onesweep_iterationIS3_Lb0EN6thrust23THRUST_200600_302600_NS6detail15normal_iteratorINS9_10device_ptrIiEEEESE_PS5_SF_jNS0_19identity_decomposerENS1_16block_id_wrapperIjLb0EEEEE10hipError_tT1_PNSt15iterator_traitsISK_E10value_typeET2_T3_PNSL_ISQ_E10value_typeET4_T5_PSV_SW_PNS1_23onesweep_lookback_stateEbbT6_jjT7_P12ihipStream_tbENKUlT_T0_SK_SP_E_clISE_SE_SF_SF_EEDaS13_S14_SK_SP_EUlS13_E_NS1_11comp_targetILNS1_3genE8ELNS1_11target_archE1030ELNS1_3gpuE2ELNS1_3repE0EEENS1_47radix_sort_onesweep_sort_config_static_selectorELNS0_4arch9wavefront6targetE0EEEvSK_.private_seg_size, 0
	.set _ZN7rocprim17ROCPRIM_400000_NS6detail17trampoline_kernelINS0_14default_configENS1_35radix_sort_onesweep_config_selectorIiNS0_10empty_typeEEEZZNS1_29radix_sort_onesweep_iterationIS3_Lb0EN6thrust23THRUST_200600_302600_NS6detail15normal_iteratorINS9_10device_ptrIiEEEESE_PS5_SF_jNS0_19identity_decomposerENS1_16block_id_wrapperIjLb0EEEEE10hipError_tT1_PNSt15iterator_traitsISK_E10value_typeET2_T3_PNSL_ISQ_E10value_typeET4_T5_PSV_SW_PNS1_23onesweep_lookback_stateEbbT6_jjT7_P12ihipStream_tbENKUlT_T0_SK_SP_E_clISE_SE_SF_SF_EEDaS13_S14_SK_SP_EUlS13_E_NS1_11comp_targetILNS1_3genE8ELNS1_11target_archE1030ELNS1_3gpuE2ELNS1_3repE0EEENS1_47radix_sort_onesweep_sort_config_static_selectorELNS0_4arch9wavefront6targetE0EEEvSK_.uses_vcc, 1
	.set _ZN7rocprim17ROCPRIM_400000_NS6detail17trampoline_kernelINS0_14default_configENS1_35radix_sort_onesweep_config_selectorIiNS0_10empty_typeEEEZZNS1_29radix_sort_onesweep_iterationIS3_Lb0EN6thrust23THRUST_200600_302600_NS6detail15normal_iteratorINS9_10device_ptrIiEEEESE_PS5_SF_jNS0_19identity_decomposerENS1_16block_id_wrapperIjLb0EEEEE10hipError_tT1_PNSt15iterator_traitsISK_E10value_typeET2_T3_PNSL_ISQ_E10value_typeET4_T5_PSV_SW_PNS1_23onesweep_lookback_stateEbbT6_jjT7_P12ihipStream_tbENKUlT_T0_SK_SP_E_clISE_SE_SF_SF_EEDaS13_S14_SK_SP_EUlS13_E_NS1_11comp_targetILNS1_3genE8ELNS1_11target_archE1030ELNS1_3gpuE2ELNS1_3repE0EEENS1_47radix_sort_onesweep_sort_config_static_selectorELNS0_4arch9wavefront6targetE0EEEvSK_.uses_flat_scratch, 0
	.set _ZN7rocprim17ROCPRIM_400000_NS6detail17trampoline_kernelINS0_14default_configENS1_35radix_sort_onesweep_config_selectorIiNS0_10empty_typeEEEZZNS1_29radix_sort_onesweep_iterationIS3_Lb0EN6thrust23THRUST_200600_302600_NS6detail15normal_iteratorINS9_10device_ptrIiEEEESE_PS5_SF_jNS0_19identity_decomposerENS1_16block_id_wrapperIjLb0EEEEE10hipError_tT1_PNSt15iterator_traitsISK_E10value_typeET2_T3_PNSL_ISQ_E10value_typeET4_T5_PSV_SW_PNS1_23onesweep_lookback_stateEbbT6_jjT7_P12ihipStream_tbENKUlT_T0_SK_SP_E_clISE_SE_SF_SF_EEDaS13_S14_SK_SP_EUlS13_E_NS1_11comp_targetILNS1_3genE8ELNS1_11target_archE1030ELNS1_3gpuE2ELNS1_3repE0EEENS1_47radix_sort_onesweep_sort_config_static_selectorELNS0_4arch9wavefront6targetE0EEEvSK_.has_dyn_sized_stack, 0
	.set _ZN7rocprim17ROCPRIM_400000_NS6detail17trampoline_kernelINS0_14default_configENS1_35radix_sort_onesweep_config_selectorIiNS0_10empty_typeEEEZZNS1_29radix_sort_onesweep_iterationIS3_Lb0EN6thrust23THRUST_200600_302600_NS6detail15normal_iteratorINS9_10device_ptrIiEEEESE_PS5_SF_jNS0_19identity_decomposerENS1_16block_id_wrapperIjLb0EEEEE10hipError_tT1_PNSt15iterator_traitsISK_E10value_typeET2_T3_PNSL_ISQ_E10value_typeET4_T5_PSV_SW_PNS1_23onesweep_lookback_stateEbbT6_jjT7_P12ihipStream_tbENKUlT_T0_SK_SP_E_clISE_SE_SF_SF_EEDaS13_S14_SK_SP_EUlS13_E_NS1_11comp_targetILNS1_3genE8ELNS1_11target_archE1030ELNS1_3gpuE2ELNS1_3repE0EEENS1_47radix_sort_onesweep_sort_config_static_selectorELNS0_4arch9wavefront6targetE0EEEvSK_.has_recursion, 0
	.set _ZN7rocprim17ROCPRIM_400000_NS6detail17trampoline_kernelINS0_14default_configENS1_35radix_sort_onesweep_config_selectorIiNS0_10empty_typeEEEZZNS1_29radix_sort_onesweep_iterationIS3_Lb0EN6thrust23THRUST_200600_302600_NS6detail15normal_iteratorINS9_10device_ptrIiEEEESE_PS5_SF_jNS0_19identity_decomposerENS1_16block_id_wrapperIjLb0EEEEE10hipError_tT1_PNSt15iterator_traitsISK_E10value_typeET2_T3_PNSL_ISQ_E10value_typeET4_T5_PSV_SW_PNS1_23onesweep_lookback_stateEbbT6_jjT7_P12ihipStream_tbENKUlT_T0_SK_SP_E_clISE_SE_SF_SF_EEDaS13_S14_SK_SP_EUlS13_E_NS1_11comp_targetILNS1_3genE8ELNS1_11target_archE1030ELNS1_3gpuE2ELNS1_3repE0EEENS1_47radix_sort_onesweep_sort_config_static_selectorELNS0_4arch9wavefront6targetE0EEEvSK_.has_indirect_call, 0
	.section	.AMDGPU.csdata,"",@progbits
; Kernel info:
; codeLenInByte = 6652
; TotalNumSgprs: 27
; NumVgprs: 34
; ScratchSize: 0
; MemoryBound: 0
; FloatMode: 240
; IeeeMode: 1
; LDSByteSize: 37000 bytes/workgroup (compile time only)
; SGPRBlocks: 0
; VGPRBlocks: 4
; NumSGPRsForWavesPerEU: 27
; NumVGPRsForWavesPerEU: 34
; Occupancy: 16
; WaveLimiterHint : 1
; COMPUTE_PGM_RSRC2:SCRATCH_EN: 0
; COMPUTE_PGM_RSRC2:USER_SGPR: 6
; COMPUTE_PGM_RSRC2:TRAP_HANDLER: 0
; COMPUTE_PGM_RSRC2:TGID_X_EN: 1
; COMPUTE_PGM_RSRC2:TGID_Y_EN: 0
; COMPUTE_PGM_RSRC2:TGID_Z_EN: 0
; COMPUTE_PGM_RSRC2:TIDIG_COMP_CNT: 2
	.section	.text._ZN7rocprim17ROCPRIM_400000_NS6detail17trampoline_kernelINS0_14default_configENS1_35radix_sort_onesweep_config_selectorIiNS0_10empty_typeEEEZZNS1_29radix_sort_onesweep_iterationIS3_Lb0EN6thrust23THRUST_200600_302600_NS6detail15normal_iteratorINS9_10device_ptrIiEEEESE_PS5_SF_jNS0_19identity_decomposerENS1_16block_id_wrapperIjLb0EEEEE10hipError_tT1_PNSt15iterator_traitsISK_E10value_typeET2_T3_PNSL_ISQ_E10value_typeET4_T5_PSV_SW_PNS1_23onesweep_lookback_stateEbbT6_jjT7_P12ihipStream_tbENKUlT_T0_SK_SP_E_clISE_PiSF_SF_EEDaS13_S14_SK_SP_EUlS13_E_NS1_11comp_targetILNS1_3genE0ELNS1_11target_archE4294967295ELNS1_3gpuE0ELNS1_3repE0EEENS1_47radix_sort_onesweep_sort_config_static_selectorELNS0_4arch9wavefront6targetE0EEEvSK_,"axG",@progbits,_ZN7rocprim17ROCPRIM_400000_NS6detail17trampoline_kernelINS0_14default_configENS1_35radix_sort_onesweep_config_selectorIiNS0_10empty_typeEEEZZNS1_29radix_sort_onesweep_iterationIS3_Lb0EN6thrust23THRUST_200600_302600_NS6detail15normal_iteratorINS9_10device_ptrIiEEEESE_PS5_SF_jNS0_19identity_decomposerENS1_16block_id_wrapperIjLb0EEEEE10hipError_tT1_PNSt15iterator_traitsISK_E10value_typeET2_T3_PNSL_ISQ_E10value_typeET4_T5_PSV_SW_PNS1_23onesweep_lookback_stateEbbT6_jjT7_P12ihipStream_tbENKUlT_T0_SK_SP_E_clISE_PiSF_SF_EEDaS13_S14_SK_SP_EUlS13_E_NS1_11comp_targetILNS1_3genE0ELNS1_11target_archE4294967295ELNS1_3gpuE0ELNS1_3repE0EEENS1_47radix_sort_onesweep_sort_config_static_selectorELNS0_4arch9wavefront6targetE0EEEvSK_,comdat
	.protected	_ZN7rocprim17ROCPRIM_400000_NS6detail17trampoline_kernelINS0_14default_configENS1_35radix_sort_onesweep_config_selectorIiNS0_10empty_typeEEEZZNS1_29radix_sort_onesweep_iterationIS3_Lb0EN6thrust23THRUST_200600_302600_NS6detail15normal_iteratorINS9_10device_ptrIiEEEESE_PS5_SF_jNS0_19identity_decomposerENS1_16block_id_wrapperIjLb0EEEEE10hipError_tT1_PNSt15iterator_traitsISK_E10value_typeET2_T3_PNSL_ISQ_E10value_typeET4_T5_PSV_SW_PNS1_23onesweep_lookback_stateEbbT6_jjT7_P12ihipStream_tbENKUlT_T0_SK_SP_E_clISE_PiSF_SF_EEDaS13_S14_SK_SP_EUlS13_E_NS1_11comp_targetILNS1_3genE0ELNS1_11target_archE4294967295ELNS1_3gpuE0ELNS1_3repE0EEENS1_47radix_sort_onesweep_sort_config_static_selectorELNS0_4arch9wavefront6targetE0EEEvSK_ ; -- Begin function _ZN7rocprim17ROCPRIM_400000_NS6detail17trampoline_kernelINS0_14default_configENS1_35radix_sort_onesweep_config_selectorIiNS0_10empty_typeEEEZZNS1_29radix_sort_onesweep_iterationIS3_Lb0EN6thrust23THRUST_200600_302600_NS6detail15normal_iteratorINS9_10device_ptrIiEEEESE_PS5_SF_jNS0_19identity_decomposerENS1_16block_id_wrapperIjLb0EEEEE10hipError_tT1_PNSt15iterator_traitsISK_E10value_typeET2_T3_PNSL_ISQ_E10value_typeET4_T5_PSV_SW_PNS1_23onesweep_lookback_stateEbbT6_jjT7_P12ihipStream_tbENKUlT_T0_SK_SP_E_clISE_PiSF_SF_EEDaS13_S14_SK_SP_EUlS13_E_NS1_11comp_targetILNS1_3genE0ELNS1_11target_archE4294967295ELNS1_3gpuE0ELNS1_3repE0EEENS1_47radix_sort_onesweep_sort_config_static_selectorELNS0_4arch9wavefront6targetE0EEEvSK_
	.globl	_ZN7rocprim17ROCPRIM_400000_NS6detail17trampoline_kernelINS0_14default_configENS1_35radix_sort_onesweep_config_selectorIiNS0_10empty_typeEEEZZNS1_29radix_sort_onesweep_iterationIS3_Lb0EN6thrust23THRUST_200600_302600_NS6detail15normal_iteratorINS9_10device_ptrIiEEEESE_PS5_SF_jNS0_19identity_decomposerENS1_16block_id_wrapperIjLb0EEEEE10hipError_tT1_PNSt15iterator_traitsISK_E10value_typeET2_T3_PNSL_ISQ_E10value_typeET4_T5_PSV_SW_PNS1_23onesweep_lookback_stateEbbT6_jjT7_P12ihipStream_tbENKUlT_T0_SK_SP_E_clISE_PiSF_SF_EEDaS13_S14_SK_SP_EUlS13_E_NS1_11comp_targetILNS1_3genE0ELNS1_11target_archE4294967295ELNS1_3gpuE0ELNS1_3repE0EEENS1_47radix_sort_onesweep_sort_config_static_selectorELNS0_4arch9wavefront6targetE0EEEvSK_
	.p2align	8
	.type	_ZN7rocprim17ROCPRIM_400000_NS6detail17trampoline_kernelINS0_14default_configENS1_35radix_sort_onesweep_config_selectorIiNS0_10empty_typeEEEZZNS1_29radix_sort_onesweep_iterationIS3_Lb0EN6thrust23THRUST_200600_302600_NS6detail15normal_iteratorINS9_10device_ptrIiEEEESE_PS5_SF_jNS0_19identity_decomposerENS1_16block_id_wrapperIjLb0EEEEE10hipError_tT1_PNSt15iterator_traitsISK_E10value_typeET2_T3_PNSL_ISQ_E10value_typeET4_T5_PSV_SW_PNS1_23onesweep_lookback_stateEbbT6_jjT7_P12ihipStream_tbENKUlT_T0_SK_SP_E_clISE_PiSF_SF_EEDaS13_S14_SK_SP_EUlS13_E_NS1_11comp_targetILNS1_3genE0ELNS1_11target_archE4294967295ELNS1_3gpuE0ELNS1_3repE0EEENS1_47radix_sort_onesweep_sort_config_static_selectorELNS0_4arch9wavefront6targetE0EEEvSK_,@function
_ZN7rocprim17ROCPRIM_400000_NS6detail17trampoline_kernelINS0_14default_configENS1_35radix_sort_onesweep_config_selectorIiNS0_10empty_typeEEEZZNS1_29radix_sort_onesweep_iterationIS3_Lb0EN6thrust23THRUST_200600_302600_NS6detail15normal_iteratorINS9_10device_ptrIiEEEESE_PS5_SF_jNS0_19identity_decomposerENS1_16block_id_wrapperIjLb0EEEEE10hipError_tT1_PNSt15iterator_traitsISK_E10value_typeET2_T3_PNSL_ISQ_E10value_typeET4_T5_PSV_SW_PNS1_23onesweep_lookback_stateEbbT6_jjT7_P12ihipStream_tbENKUlT_T0_SK_SP_E_clISE_PiSF_SF_EEDaS13_S14_SK_SP_EUlS13_E_NS1_11comp_targetILNS1_3genE0ELNS1_11target_archE4294967295ELNS1_3gpuE0ELNS1_3repE0EEENS1_47radix_sort_onesweep_sort_config_static_selectorELNS0_4arch9wavefront6targetE0EEEvSK_: ; @_ZN7rocprim17ROCPRIM_400000_NS6detail17trampoline_kernelINS0_14default_configENS1_35radix_sort_onesweep_config_selectorIiNS0_10empty_typeEEEZZNS1_29radix_sort_onesweep_iterationIS3_Lb0EN6thrust23THRUST_200600_302600_NS6detail15normal_iteratorINS9_10device_ptrIiEEEESE_PS5_SF_jNS0_19identity_decomposerENS1_16block_id_wrapperIjLb0EEEEE10hipError_tT1_PNSt15iterator_traitsISK_E10value_typeET2_T3_PNSL_ISQ_E10value_typeET4_T5_PSV_SW_PNS1_23onesweep_lookback_stateEbbT6_jjT7_P12ihipStream_tbENKUlT_T0_SK_SP_E_clISE_PiSF_SF_EEDaS13_S14_SK_SP_EUlS13_E_NS1_11comp_targetILNS1_3genE0ELNS1_11target_archE4294967295ELNS1_3gpuE0ELNS1_3repE0EEENS1_47radix_sort_onesweep_sort_config_static_selectorELNS0_4arch9wavefront6targetE0EEEvSK_
; %bb.0:
	.section	.rodata,"a",@progbits
	.p2align	6, 0x0
	.amdhsa_kernel _ZN7rocprim17ROCPRIM_400000_NS6detail17trampoline_kernelINS0_14default_configENS1_35radix_sort_onesweep_config_selectorIiNS0_10empty_typeEEEZZNS1_29radix_sort_onesweep_iterationIS3_Lb0EN6thrust23THRUST_200600_302600_NS6detail15normal_iteratorINS9_10device_ptrIiEEEESE_PS5_SF_jNS0_19identity_decomposerENS1_16block_id_wrapperIjLb0EEEEE10hipError_tT1_PNSt15iterator_traitsISK_E10value_typeET2_T3_PNSL_ISQ_E10value_typeET4_T5_PSV_SW_PNS1_23onesweep_lookback_stateEbbT6_jjT7_P12ihipStream_tbENKUlT_T0_SK_SP_E_clISE_PiSF_SF_EEDaS13_S14_SK_SP_EUlS13_E_NS1_11comp_targetILNS1_3genE0ELNS1_11target_archE4294967295ELNS1_3gpuE0ELNS1_3repE0EEENS1_47radix_sort_onesweep_sort_config_static_selectorELNS0_4arch9wavefront6targetE0EEEvSK_
		.amdhsa_group_segment_fixed_size 0
		.amdhsa_private_segment_fixed_size 0
		.amdhsa_kernarg_size 88
		.amdhsa_user_sgpr_count 6
		.amdhsa_user_sgpr_private_segment_buffer 1
		.amdhsa_user_sgpr_dispatch_ptr 0
		.amdhsa_user_sgpr_queue_ptr 0
		.amdhsa_user_sgpr_kernarg_segment_ptr 1
		.amdhsa_user_sgpr_dispatch_id 0
		.amdhsa_user_sgpr_flat_scratch_init 0
		.amdhsa_user_sgpr_private_segment_size 0
		.amdhsa_wavefront_size32 1
		.amdhsa_uses_dynamic_stack 0
		.amdhsa_system_sgpr_private_segment_wavefront_offset 0
		.amdhsa_system_sgpr_workgroup_id_x 1
		.amdhsa_system_sgpr_workgroup_id_y 0
		.amdhsa_system_sgpr_workgroup_id_z 0
		.amdhsa_system_sgpr_workgroup_info 0
		.amdhsa_system_vgpr_workitem_id 0
		.amdhsa_next_free_vgpr 1
		.amdhsa_next_free_sgpr 1
		.amdhsa_reserve_vcc 0
		.amdhsa_reserve_flat_scratch 0
		.amdhsa_float_round_mode_32 0
		.amdhsa_float_round_mode_16_64 0
		.amdhsa_float_denorm_mode_32 3
		.amdhsa_float_denorm_mode_16_64 3
		.amdhsa_dx10_clamp 1
		.amdhsa_ieee_mode 1
		.amdhsa_fp16_overflow 0
		.amdhsa_workgroup_processor_mode 1
		.amdhsa_memory_ordered 1
		.amdhsa_forward_progress 1
		.amdhsa_shared_vgpr_count 0
		.amdhsa_exception_fp_ieee_invalid_op 0
		.amdhsa_exception_fp_denorm_src 0
		.amdhsa_exception_fp_ieee_div_zero 0
		.amdhsa_exception_fp_ieee_overflow 0
		.amdhsa_exception_fp_ieee_underflow 0
		.amdhsa_exception_fp_ieee_inexact 0
		.amdhsa_exception_int_div_zero 0
	.end_amdhsa_kernel
	.section	.text._ZN7rocprim17ROCPRIM_400000_NS6detail17trampoline_kernelINS0_14default_configENS1_35radix_sort_onesweep_config_selectorIiNS0_10empty_typeEEEZZNS1_29radix_sort_onesweep_iterationIS3_Lb0EN6thrust23THRUST_200600_302600_NS6detail15normal_iteratorINS9_10device_ptrIiEEEESE_PS5_SF_jNS0_19identity_decomposerENS1_16block_id_wrapperIjLb0EEEEE10hipError_tT1_PNSt15iterator_traitsISK_E10value_typeET2_T3_PNSL_ISQ_E10value_typeET4_T5_PSV_SW_PNS1_23onesweep_lookback_stateEbbT6_jjT7_P12ihipStream_tbENKUlT_T0_SK_SP_E_clISE_PiSF_SF_EEDaS13_S14_SK_SP_EUlS13_E_NS1_11comp_targetILNS1_3genE0ELNS1_11target_archE4294967295ELNS1_3gpuE0ELNS1_3repE0EEENS1_47radix_sort_onesweep_sort_config_static_selectorELNS0_4arch9wavefront6targetE0EEEvSK_,"axG",@progbits,_ZN7rocprim17ROCPRIM_400000_NS6detail17trampoline_kernelINS0_14default_configENS1_35radix_sort_onesweep_config_selectorIiNS0_10empty_typeEEEZZNS1_29radix_sort_onesweep_iterationIS3_Lb0EN6thrust23THRUST_200600_302600_NS6detail15normal_iteratorINS9_10device_ptrIiEEEESE_PS5_SF_jNS0_19identity_decomposerENS1_16block_id_wrapperIjLb0EEEEE10hipError_tT1_PNSt15iterator_traitsISK_E10value_typeET2_T3_PNSL_ISQ_E10value_typeET4_T5_PSV_SW_PNS1_23onesweep_lookback_stateEbbT6_jjT7_P12ihipStream_tbENKUlT_T0_SK_SP_E_clISE_PiSF_SF_EEDaS13_S14_SK_SP_EUlS13_E_NS1_11comp_targetILNS1_3genE0ELNS1_11target_archE4294967295ELNS1_3gpuE0ELNS1_3repE0EEENS1_47radix_sort_onesweep_sort_config_static_selectorELNS0_4arch9wavefront6targetE0EEEvSK_,comdat
.Lfunc_end195:
	.size	_ZN7rocprim17ROCPRIM_400000_NS6detail17trampoline_kernelINS0_14default_configENS1_35radix_sort_onesweep_config_selectorIiNS0_10empty_typeEEEZZNS1_29radix_sort_onesweep_iterationIS3_Lb0EN6thrust23THRUST_200600_302600_NS6detail15normal_iteratorINS9_10device_ptrIiEEEESE_PS5_SF_jNS0_19identity_decomposerENS1_16block_id_wrapperIjLb0EEEEE10hipError_tT1_PNSt15iterator_traitsISK_E10value_typeET2_T3_PNSL_ISQ_E10value_typeET4_T5_PSV_SW_PNS1_23onesweep_lookback_stateEbbT6_jjT7_P12ihipStream_tbENKUlT_T0_SK_SP_E_clISE_PiSF_SF_EEDaS13_S14_SK_SP_EUlS13_E_NS1_11comp_targetILNS1_3genE0ELNS1_11target_archE4294967295ELNS1_3gpuE0ELNS1_3repE0EEENS1_47radix_sort_onesweep_sort_config_static_selectorELNS0_4arch9wavefront6targetE0EEEvSK_, .Lfunc_end195-_ZN7rocprim17ROCPRIM_400000_NS6detail17trampoline_kernelINS0_14default_configENS1_35radix_sort_onesweep_config_selectorIiNS0_10empty_typeEEEZZNS1_29radix_sort_onesweep_iterationIS3_Lb0EN6thrust23THRUST_200600_302600_NS6detail15normal_iteratorINS9_10device_ptrIiEEEESE_PS5_SF_jNS0_19identity_decomposerENS1_16block_id_wrapperIjLb0EEEEE10hipError_tT1_PNSt15iterator_traitsISK_E10value_typeET2_T3_PNSL_ISQ_E10value_typeET4_T5_PSV_SW_PNS1_23onesweep_lookback_stateEbbT6_jjT7_P12ihipStream_tbENKUlT_T0_SK_SP_E_clISE_PiSF_SF_EEDaS13_S14_SK_SP_EUlS13_E_NS1_11comp_targetILNS1_3genE0ELNS1_11target_archE4294967295ELNS1_3gpuE0ELNS1_3repE0EEENS1_47radix_sort_onesweep_sort_config_static_selectorELNS0_4arch9wavefront6targetE0EEEvSK_
                                        ; -- End function
	.set _ZN7rocprim17ROCPRIM_400000_NS6detail17trampoline_kernelINS0_14default_configENS1_35radix_sort_onesweep_config_selectorIiNS0_10empty_typeEEEZZNS1_29radix_sort_onesweep_iterationIS3_Lb0EN6thrust23THRUST_200600_302600_NS6detail15normal_iteratorINS9_10device_ptrIiEEEESE_PS5_SF_jNS0_19identity_decomposerENS1_16block_id_wrapperIjLb0EEEEE10hipError_tT1_PNSt15iterator_traitsISK_E10value_typeET2_T3_PNSL_ISQ_E10value_typeET4_T5_PSV_SW_PNS1_23onesweep_lookback_stateEbbT6_jjT7_P12ihipStream_tbENKUlT_T0_SK_SP_E_clISE_PiSF_SF_EEDaS13_S14_SK_SP_EUlS13_E_NS1_11comp_targetILNS1_3genE0ELNS1_11target_archE4294967295ELNS1_3gpuE0ELNS1_3repE0EEENS1_47radix_sort_onesweep_sort_config_static_selectorELNS0_4arch9wavefront6targetE0EEEvSK_.num_vgpr, 0
	.set _ZN7rocprim17ROCPRIM_400000_NS6detail17trampoline_kernelINS0_14default_configENS1_35radix_sort_onesweep_config_selectorIiNS0_10empty_typeEEEZZNS1_29radix_sort_onesweep_iterationIS3_Lb0EN6thrust23THRUST_200600_302600_NS6detail15normal_iteratorINS9_10device_ptrIiEEEESE_PS5_SF_jNS0_19identity_decomposerENS1_16block_id_wrapperIjLb0EEEEE10hipError_tT1_PNSt15iterator_traitsISK_E10value_typeET2_T3_PNSL_ISQ_E10value_typeET4_T5_PSV_SW_PNS1_23onesweep_lookback_stateEbbT6_jjT7_P12ihipStream_tbENKUlT_T0_SK_SP_E_clISE_PiSF_SF_EEDaS13_S14_SK_SP_EUlS13_E_NS1_11comp_targetILNS1_3genE0ELNS1_11target_archE4294967295ELNS1_3gpuE0ELNS1_3repE0EEENS1_47radix_sort_onesweep_sort_config_static_selectorELNS0_4arch9wavefront6targetE0EEEvSK_.num_agpr, 0
	.set _ZN7rocprim17ROCPRIM_400000_NS6detail17trampoline_kernelINS0_14default_configENS1_35radix_sort_onesweep_config_selectorIiNS0_10empty_typeEEEZZNS1_29radix_sort_onesweep_iterationIS3_Lb0EN6thrust23THRUST_200600_302600_NS6detail15normal_iteratorINS9_10device_ptrIiEEEESE_PS5_SF_jNS0_19identity_decomposerENS1_16block_id_wrapperIjLb0EEEEE10hipError_tT1_PNSt15iterator_traitsISK_E10value_typeET2_T3_PNSL_ISQ_E10value_typeET4_T5_PSV_SW_PNS1_23onesweep_lookback_stateEbbT6_jjT7_P12ihipStream_tbENKUlT_T0_SK_SP_E_clISE_PiSF_SF_EEDaS13_S14_SK_SP_EUlS13_E_NS1_11comp_targetILNS1_3genE0ELNS1_11target_archE4294967295ELNS1_3gpuE0ELNS1_3repE0EEENS1_47radix_sort_onesweep_sort_config_static_selectorELNS0_4arch9wavefront6targetE0EEEvSK_.numbered_sgpr, 0
	.set _ZN7rocprim17ROCPRIM_400000_NS6detail17trampoline_kernelINS0_14default_configENS1_35radix_sort_onesweep_config_selectorIiNS0_10empty_typeEEEZZNS1_29radix_sort_onesweep_iterationIS3_Lb0EN6thrust23THRUST_200600_302600_NS6detail15normal_iteratorINS9_10device_ptrIiEEEESE_PS5_SF_jNS0_19identity_decomposerENS1_16block_id_wrapperIjLb0EEEEE10hipError_tT1_PNSt15iterator_traitsISK_E10value_typeET2_T3_PNSL_ISQ_E10value_typeET4_T5_PSV_SW_PNS1_23onesweep_lookback_stateEbbT6_jjT7_P12ihipStream_tbENKUlT_T0_SK_SP_E_clISE_PiSF_SF_EEDaS13_S14_SK_SP_EUlS13_E_NS1_11comp_targetILNS1_3genE0ELNS1_11target_archE4294967295ELNS1_3gpuE0ELNS1_3repE0EEENS1_47radix_sort_onesweep_sort_config_static_selectorELNS0_4arch9wavefront6targetE0EEEvSK_.num_named_barrier, 0
	.set _ZN7rocprim17ROCPRIM_400000_NS6detail17trampoline_kernelINS0_14default_configENS1_35radix_sort_onesweep_config_selectorIiNS0_10empty_typeEEEZZNS1_29radix_sort_onesweep_iterationIS3_Lb0EN6thrust23THRUST_200600_302600_NS6detail15normal_iteratorINS9_10device_ptrIiEEEESE_PS5_SF_jNS0_19identity_decomposerENS1_16block_id_wrapperIjLb0EEEEE10hipError_tT1_PNSt15iterator_traitsISK_E10value_typeET2_T3_PNSL_ISQ_E10value_typeET4_T5_PSV_SW_PNS1_23onesweep_lookback_stateEbbT6_jjT7_P12ihipStream_tbENKUlT_T0_SK_SP_E_clISE_PiSF_SF_EEDaS13_S14_SK_SP_EUlS13_E_NS1_11comp_targetILNS1_3genE0ELNS1_11target_archE4294967295ELNS1_3gpuE0ELNS1_3repE0EEENS1_47radix_sort_onesweep_sort_config_static_selectorELNS0_4arch9wavefront6targetE0EEEvSK_.private_seg_size, 0
	.set _ZN7rocprim17ROCPRIM_400000_NS6detail17trampoline_kernelINS0_14default_configENS1_35radix_sort_onesweep_config_selectorIiNS0_10empty_typeEEEZZNS1_29radix_sort_onesweep_iterationIS3_Lb0EN6thrust23THRUST_200600_302600_NS6detail15normal_iteratorINS9_10device_ptrIiEEEESE_PS5_SF_jNS0_19identity_decomposerENS1_16block_id_wrapperIjLb0EEEEE10hipError_tT1_PNSt15iterator_traitsISK_E10value_typeET2_T3_PNSL_ISQ_E10value_typeET4_T5_PSV_SW_PNS1_23onesweep_lookback_stateEbbT6_jjT7_P12ihipStream_tbENKUlT_T0_SK_SP_E_clISE_PiSF_SF_EEDaS13_S14_SK_SP_EUlS13_E_NS1_11comp_targetILNS1_3genE0ELNS1_11target_archE4294967295ELNS1_3gpuE0ELNS1_3repE0EEENS1_47radix_sort_onesweep_sort_config_static_selectorELNS0_4arch9wavefront6targetE0EEEvSK_.uses_vcc, 0
	.set _ZN7rocprim17ROCPRIM_400000_NS6detail17trampoline_kernelINS0_14default_configENS1_35radix_sort_onesweep_config_selectorIiNS0_10empty_typeEEEZZNS1_29radix_sort_onesweep_iterationIS3_Lb0EN6thrust23THRUST_200600_302600_NS6detail15normal_iteratorINS9_10device_ptrIiEEEESE_PS5_SF_jNS0_19identity_decomposerENS1_16block_id_wrapperIjLb0EEEEE10hipError_tT1_PNSt15iterator_traitsISK_E10value_typeET2_T3_PNSL_ISQ_E10value_typeET4_T5_PSV_SW_PNS1_23onesweep_lookback_stateEbbT6_jjT7_P12ihipStream_tbENKUlT_T0_SK_SP_E_clISE_PiSF_SF_EEDaS13_S14_SK_SP_EUlS13_E_NS1_11comp_targetILNS1_3genE0ELNS1_11target_archE4294967295ELNS1_3gpuE0ELNS1_3repE0EEENS1_47radix_sort_onesweep_sort_config_static_selectorELNS0_4arch9wavefront6targetE0EEEvSK_.uses_flat_scratch, 0
	.set _ZN7rocprim17ROCPRIM_400000_NS6detail17trampoline_kernelINS0_14default_configENS1_35radix_sort_onesweep_config_selectorIiNS0_10empty_typeEEEZZNS1_29radix_sort_onesweep_iterationIS3_Lb0EN6thrust23THRUST_200600_302600_NS6detail15normal_iteratorINS9_10device_ptrIiEEEESE_PS5_SF_jNS0_19identity_decomposerENS1_16block_id_wrapperIjLb0EEEEE10hipError_tT1_PNSt15iterator_traitsISK_E10value_typeET2_T3_PNSL_ISQ_E10value_typeET4_T5_PSV_SW_PNS1_23onesweep_lookback_stateEbbT6_jjT7_P12ihipStream_tbENKUlT_T0_SK_SP_E_clISE_PiSF_SF_EEDaS13_S14_SK_SP_EUlS13_E_NS1_11comp_targetILNS1_3genE0ELNS1_11target_archE4294967295ELNS1_3gpuE0ELNS1_3repE0EEENS1_47radix_sort_onesweep_sort_config_static_selectorELNS0_4arch9wavefront6targetE0EEEvSK_.has_dyn_sized_stack, 0
	.set _ZN7rocprim17ROCPRIM_400000_NS6detail17trampoline_kernelINS0_14default_configENS1_35radix_sort_onesweep_config_selectorIiNS0_10empty_typeEEEZZNS1_29radix_sort_onesweep_iterationIS3_Lb0EN6thrust23THRUST_200600_302600_NS6detail15normal_iteratorINS9_10device_ptrIiEEEESE_PS5_SF_jNS0_19identity_decomposerENS1_16block_id_wrapperIjLb0EEEEE10hipError_tT1_PNSt15iterator_traitsISK_E10value_typeET2_T3_PNSL_ISQ_E10value_typeET4_T5_PSV_SW_PNS1_23onesweep_lookback_stateEbbT6_jjT7_P12ihipStream_tbENKUlT_T0_SK_SP_E_clISE_PiSF_SF_EEDaS13_S14_SK_SP_EUlS13_E_NS1_11comp_targetILNS1_3genE0ELNS1_11target_archE4294967295ELNS1_3gpuE0ELNS1_3repE0EEENS1_47radix_sort_onesweep_sort_config_static_selectorELNS0_4arch9wavefront6targetE0EEEvSK_.has_recursion, 0
	.set _ZN7rocprim17ROCPRIM_400000_NS6detail17trampoline_kernelINS0_14default_configENS1_35radix_sort_onesweep_config_selectorIiNS0_10empty_typeEEEZZNS1_29radix_sort_onesweep_iterationIS3_Lb0EN6thrust23THRUST_200600_302600_NS6detail15normal_iteratorINS9_10device_ptrIiEEEESE_PS5_SF_jNS0_19identity_decomposerENS1_16block_id_wrapperIjLb0EEEEE10hipError_tT1_PNSt15iterator_traitsISK_E10value_typeET2_T3_PNSL_ISQ_E10value_typeET4_T5_PSV_SW_PNS1_23onesweep_lookback_stateEbbT6_jjT7_P12ihipStream_tbENKUlT_T0_SK_SP_E_clISE_PiSF_SF_EEDaS13_S14_SK_SP_EUlS13_E_NS1_11comp_targetILNS1_3genE0ELNS1_11target_archE4294967295ELNS1_3gpuE0ELNS1_3repE0EEENS1_47radix_sort_onesweep_sort_config_static_selectorELNS0_4arch9wavefront6targetE0EEEvSK_.has_indirect_call, 0
	.section	.AMDGPU.csdata,"",@progbits
; Kernel info:
; codeLenInByte = 0
; TotalNumSgprs: 0
; NumVgprs: 0
; ScratchSize: 0
; MemoryBound: 0
; FloatMode: 240
; IeeeMode: 1
; LDSByteSize: 0 bytes/workgroup (compile time only)
; SGPRBlocks: 0
; VGPRBlocks: 0
; NumSGPRsForWavesPerEU: 1
; NumVGPRsForWavesPerEU: 1
; Occupancy: 16
; WaveLimiterHint : 0
; COMPUTE_PGM_RSRC2:SCRATCH_EN: 0
; COMPUTE_PGM_RSRC2:USER_SGPR: 6
; COMPUTE_PGM_RSRC2:TRAP_HANDLER: 0
; COMPUTE_PGM_RSRC2:TGID_X_EN: 1
; COMPUTE_PGM_RSRC2:TGID_Y_EN: 0
; COMPUTE_PGM_RSRC2:TGID_Z_EN: 0
; COMPUTE_PGM_RSRC2:TIDIG_COMP_CNT: 0
	.section	.text._ZN7rocprim17ROCPRIM_400000_NS6detail17trampoline_kernelINS0_14default_configENS1_35radix_sort_onesweep_config_selectorIiNS0_10empty_typeEEEZZNS1_29radix_sort_onesweep_iterationIS3_Lb0EN6thrust23THRUST_200600_302600_NS6detail15normal_iteratorINS9_10device_ptrIiEEEESE_PS5_SF_jNS0_19identity_decomposerENS1_16block_id_wrapperIjLb0EEEEE10hipError_tT1_PNSt15iterator_traitsISK_E10value_typeET2_T3_PNSL_ISQ_E10value_typeET4_T5_PSV_SW_PNS1_23onesweep_lookback_stateEbbT6_jjT7_P12ihipStream_tbENKUlT_T0_SK_SP_E_clISE_PiSF_SF_EEDaS13_S14_SK_SP_EUlS13_E_NS1_11comp_targetILNS1_3genE6ELNS1_11target_archE950ELNS1_3gpuE13ELNS1_3repE0EEENS1_47radix_sort_onesweep_sort_config_static_selectorELNS0_4arch9wavefront6targetE0EEEvSK_,"axG",@progbits,_ZN7rocprim17ROCPRIM_400000_NS6detail17trampoline_kernelINS0_14default_configENS1_35radix_sort_onesweep_config_selectorIiNS0_10empty_typeEEEZZNS1_29radix_sort_onesweep_iterationIS3_Lb0EN6thrust23THRUST_200600_302600_NS6detail15normal_iteratorINS9_10device_ptrIiEEEESE_PS5_SF_jNS0_19identity_decomposerENS1_16block_id_wrapperIjLb0EEEEE10hipError_tT1_PNSt15iterator_traitsISK_E10value_typeET2_T3_PNSL_ISQ_E10value_typeET4_T5_PSV_SW_PNS1_23onesweep_lookback_stateEbbT6_jjT7_P12ihipStream_tbENKUlT_T0_SK_SP_E_clISE_PiSF_SF_EEDaS13_S14_SK_SP_EUlS13_E_NS1_11comp_targetILNS1_3genE6ELNS1_11target_archE950ELNS1_3gpuE13ELNS1_3repE0EEENS1_47radix_sort_onesweep_sort_config_static_selectorELNS0_4arch9wavefront6targetE0EEEvSK_,comdat
	.protected	_ZN7rocprim17ROCPRIM_400000_NS6detail17trampoline_kernelINS0_14default_configENS1_35radix_sort_onesweep_config_selectorIiNS0_10empty_typeEEEZZNS1_29radix_sort_onesweep_iterationIS3_Lb0EN6thrust23THRUST_200600_302600_NS6detail15normal_iteratorINS9_10device_ptrIiEEEESE_PS5_SF_jNS0_19identity_decomposerENS1_16block_id_wrapperIjLb0EEEEE10hipError_tT1_PNSt15iterator_traitsISK_E10value_typeET2_T3_PNSL_ISQ_E10value_typeET4_T5_PSV_SW_PNS1_23onesweep_lookback_stateEbbT6_jjT7_P12ihipStream_tbENKUlT_T0_SK_SP_E_clISE_PiSF_SF_EEDaS13_S14_SK_SP_EUlS13_E_NS1_11comp_targetILNS1_3genE6ELNS1_11target_archE950ELNS1_3gpuE13ELNS1_3repE0EEENS1_47radix_sort_onesweep_sort_config_static_selectorELNS0_4arch9wavefront6targetE0EEEvSK_ ; -- Begin function _ZN7rocprim17ROCPRIM_400000_NS6detail17trampoline_kernelINS0_14default_configENS1_35radix_sort_onesweep_config_selectorIiNS0_10empty_typeEEEZZNS1_29radix_sort_onesweep_iterationIS3_Lb0EN6thrust23THRUST_200600_302600_NS6detail15normal_iteratorINS9_10device_ptrIiEEEESE_PS5_SF_jNS0_19identity_decomposerENS1_16block_id_wrapperIjLb0EEEEE10hipError_tT1_PNSt15iterator_traitsISK_E10value_typeET2_T3_PNSL_ISQ_E10value_typeET4_T5_PSV_SW_PNS1_23onesweep_lookback_stateEbbT6_jjT7_P12ihipStream_tbENKUlT_T0_SK_SP_E_clISE_PiSF_SF_EEDaS13_S14_SK_SP_EUlS13_E_NS1_11comp_targetILNS1_3genE6ELNS1_11target_archE950ELNS1_3gpuE13ELNS1_3repE0EEENS1_47radix_sort_onesweep_sort_config_static_selectorELNS0_4arch9wavefront6targetE0EEEvSK_
	.globl	_ZN7rocprim17ROCPRIM_400000_NS6detail17trampoline_kernelINS0_14default_configENS1_35radix_sort_onesweep_config_selectorIiNS0_10empty_typeEEEZZNS1_29radix_sort_onesweep_iterationIS3_Lb0EN6thrust23THRUST_200600_302600_NS6detail15normal_iteratorINS9_10device_ptrIiEEEESE_PS5_SF_jNS0_19identity_decomposerENS1_16block_id_wrapperIjLb0EEEEE10hipError_tT1_PNSt15iterator_traitsISK_E10value_typeET2_T3_PNSL_ISQ_E10value_typeET4_T5_PSV_SW_PNS1_23onesweep_lookback_stateEbbT6_jjT7_P12ihipStream_tbENKUlT_T0_SK_SP_E_clISE_PiSF_SF_EEDaS13_S14_SK_SP_EUlS13_E_NS1_11comp_targetILNS1_3genE6ELNS1_11target_archE950ELNS1_3gpuE13ELNS1_3repE0EEENS1_47radix_sort_onesweep_sort_config_static_selectorELNS0_4arch9wavefront6targetE0EEEvSK_
	.p2align	8
	.type	_ZN7rocprim17ROCPRIM_400000_NS6detail17trampoline_kernelINS0_14default_configENS1_35radix_sort_onesweep_config_selectorIiNS0_10empty_typeEEEZZNS1_29radix_sort_onesweep_iterationIS3_Lb0EN6thrust23THRUST_200600_302600_NS6detail15normal_iteratorINS9_10device_ptrIiEEEESE_PS5_SF_jNS0_19identity_decomposerENS1_16block_id_wrapperIjLb0EEEEE10hipError_tT1_PNSt15iterator_traitsISK_E10value_typeET2_T3_PNSL_ISQ_E10value_typeET4_T5_PSV_SW_PNS1_23onesweep_lookback_stateEbbT6_jjT7_P12ihipStream_tbENKUlT_T0_SK_SP_E_clISE_PiSF_SF_EEDaS13_S14_SK_SP_EUlS13_E_NS1_11comp_targetILNS1_3genE6ELNS1_11target_archE950ELNS1_3gpuE13ELNS1_3repE0EEENS1_47radix_sort_onesweep_sort_config_static_selectorELNS0_4arch9wavefront6targetE0EEEvSK_,@function
_ZN7rocprim17ROCPRIM_400000_NS6detail17trampoline_kernelINS0_14default_configENS1_35radix_sort_onesweep_config_selectorIiNS0_10empty_typeEEEZZNS1_29radix_sort_onesweep_iterationIS3_Lb0EN6thrust23THRUST_200600_302600_NS6detail15normal_iteratorINS9_10device_ptrIiEEEESE_PS5_SF_jNS0_19identity_decomposerENS1_16block_id_wrapperIjLb0EEEEE10hipError_tT1_PNSt15iterator_traitsISK_E10value_typeET2_T3_PNSL_ISQ_E10value_typeET4_T5_PSV_SW_PNS1_23onesweep_lookback_stateEbbT6_jjT7_P12ihipStream_tbENKUlT_T0_SK_SP_E_clISE_PiSF_SF_EEDaS13_S14_SK_SP_EUlS13_E_NS1_11comp_targetILNS1_3genE6ELNS1_11target_archE950ELNS1_3gpuE13ELNS1_3repE0EEENS1_47radix_sort_onesweep_sort_config_static_selectorELNS0_4arch9wavefront6targetE0EEEvSK_: ; @_ZN7rocprim17ROCPRIM_400000_NS6detail17trampoline_kernelINS0_14default_configENS1_35radix_sort_onesweep_config_selectorIiNS0_10empty_typeEEEZZNS1_29radix_sort_onesweep_iterationIS3_Lb0EN6thrust23THRUST_200600_302600_NS6detail15normal_iteratorINS9_10device_ptrIiEEEESE_PS5_SF_jNS0_19identity_decomposerENS1_16block_id_wrapperIjLb0EEEEE10hipError_tT1_PNSt15iterator_traitsISK_E10value_typeET2_T3_PNSL_ISQ_E10value_typeET4_T5_PSV_SW_PNS1_23onesweep_lookback_stateEbbT6_jjT7_P12ihipStream_tbENKUlT_T0_SK_SP_E_clISE_PiSF_SF_EEDaS13_S14_SK_SP_EUlS13_E_NS1_11comp_targetILNS1_3genE6ELNS1_11target_archE950ELNS1_3gpuE13ELNS1_3repE0EEENS1_47radix_sort_onesweep_sort_config_static_selectorELNS0_4arch9wavefront6targetE0EEEvSK_
; %bb.0:
	.section	.rodata,"a",@progbits
	.p2align	6, 0x0
	.amdhsa_kernel _ZN7rocprim17ROCPRIM_400000_NS6detail17trampoline_kernelINS0_14default_configENS1_35radix_sort_onesweep_config_selectorIiNS0_10empty_typeEEEZZNS1_29radix_sort_onesweep_iterationIS3_Lb0EN6thrust23THRUST_200600_302600_NS6detail15normal_iteratorINS9_10device_ptrIiEEEESE_PS5_SF_jNS0_19identity_decomposerENS1_16block_id_wrapperIjLb0EEEEE10hipError_tT1_PNSt15iterator_traitsISK_E10value_typeET2_T3_PNSL_ISQ_E10value_typeET4_T5_PSV_SW_PNS1_23onesweep_lookback_stateEbbT6_jjT7_P12ihipStream_tbENKUlT_T0_SK_SP_E_clISE_PiSF_SF_EEDaS13_S14_SK_SP_EUlS13_E_NS1_11comp_targetILNS1_3genE6ELNS1_11target_archE950ELNS1_3gpuE13ELNS1_3repE0EEENS1_47radix_sort_onesweep_sort_config_static_selectorELNS0_4arch9wavefront6targetE0EEEvSK_
		.amdhsa_group_segment_fixed_size 0
		.amdhsa_private_segment_fixed_size 0
		.amdhsa_kernarg_size 88
		.amdhsa_user_sgpr_count 6
		.amdhsa_user_sgpr_private_segment_buffer 1
		.amdhsa_user_sgpr_dispatch_ptr 0
		.amdhsa_user_sgpr_queue_ptr 0
		.amdhsa_user_sgpr_kernarg_segment_ptr 1
		.amdhsa_user_sgpr_dispatch_id 0
		.amdhsa_user_sgpr_flat_scratch_init 0
		.amdhsa_user_sgpr_private_segment_size 0
		.amdhsa_wavefront_size32 1
		.amdhsa_uses_dynamic_stack 0
		.amdhsa_system_sgpr_private_segment_wavefront_offset 0
		.amdhsa_system_sgpr_workgroup_id_x 1
		.amdhsa_system_sgpr_workgroup_id_y 0
		.amdhsa_system_sgpr_workgroup_id_z 0
		.amdhsa_system_sgpr_workgroup_info 0
		.amdhsa_system_vgpr_workitem_id 0
		.amdhsa_next_free_vgpr 1
		.amdhsa_next_free_sgpr 1
		.amdhsa_reserve_vcc 0
		.amdhsa_reserve_flat_scratch 0
		.amdhsa_float_round_mode_32 0
		.amdhsa_float_round_mode_16_64 0
		.amdhsa_float_denorm_mode_32 3
		.amdhsa_float_denorm_mode_16_64 3
		.amdhsa_dx10_clamp 1
		.amdhsa_ieee_mode 1
		.amdhsa_fp16_overflow 0
		.amdhsa_workgroup_processor_mode 1
		.amdhsa_memory_ordered 1
		.amdhsa_forward_progress 1
		.amdhsa_shared_vgpr_count 0
		.amdhsa_exception_fp_ieee_invalid_op 0
		.amdhsa_exception_fp_denorm_src 0
		.amdhsa_exception_fp_ieee_div_zero 0
		.amdhsa_exception_fp_ieee_overflow 0
		.amdhsa_exception_fp_ieee_underflow 0
		.amdhsa_exception_fp_ieee_inexact 0
		.amdhsa_exception_int_div_zero 0
	.end_amdhsa_kernel
	.section	.text._ZN7rocprim17ROCPRIM_400000_NS6detail17trampoline_kernelINS0_14default_configENS1_35radix_sort_onesweep_config_selectorIiNS0_10empty_typeEEEZZNS1_29radix_sort_onesweep_iterationIS3_Lb0EN6thrust23THRUST_200600_302600_NS6detail15normal_iteratorINS9_10device_ptrIiEEEESE_PS5_SF_jNS0_19identity_decomposerENS1_16block_id_wrapperIjLb0EEEEE10hipError_tT1_PNSt15iterator_traitsISK_E10value_typeET2_T3_PNSL_ISQ_E10value_typeET4_T5_PSV_SW_PNS1_23onesweep_lookback_stateEbbT6_jjT7_P12ihipStream_tbENKUlT_T0_SK_SP_E_clISE_PiSF_SF_EEDaS13_S14_SK_SP_EUlS13_E_NS1_11comp_targetILNS1_3genE6ELNS1_11target_archE950ELNS1_3gpuE13ELNS1_3repE0EEENS1_47radix_sort_onesweep_sort_config_static_selectorELNS0_4arch9wavefront6targetE0EEEvSK_,"axG",@progbits,_ZN7rocprim17ROCPRIM_400000_NS6detail17trampoline_kernelINS0_14default_configENS1_35radix_sort_onesweep_config_selectorIiNS0_10empty_typeEEEZZNS1_29radix_sort_onesweep_iterationIS3_Lb0EN6thrust23THRUST_200600_302600_NS6detail15normal_iteratorINS9_10device_ptrIiEEEESE_PS5_SF_jNS0_19identity_decomposerENS1_16block_id_wrapperIjLb0EEEEE10hipError_tT1_PNSt15iterator_traitsISK_E10value_typeET2_T3_PNSL_ISQ_E10value_typeET4_T5_PSV_SW_PNS1_23onesweep_lookback_stateEbbT6_jjT7_P12ihipStream_tbENKUlT_T0_SK_SP_E_clISE_PiSF_SF_EEDaS13_S14_SK_SP_EUlS13_E_NS1_11comp_targetILNS1_3genE6ELNS1_11target_archE950ELNS1_3gpuE13ELNS1_3repE0EEENS1_47radix_sort_onesweep_sort_config_static_selectorELNS0_4arch9wavefront6targetE0EEEvSK_,comdat
.Lfunc_end196:
	.size	_ZN7rocprim17ROCPRIM_400000_NS6detail17trampoline_kernelINS0_14default_configENS1_35radix_sort_onesweep_config_selectorIiNS0_10empty_typeEEEZZNS1_29radix_sort_onesweep_iterationIS3_Lb0EN6thrust23THRUST_200600_302600_NS6detail15normal_iteratorINS9_10device_ptrIiEEEESE_PS5_SF_jNS0_19identity_decomposerENS1_16block_id_wrapperIjLb0EEEEE10hipError_tT1_PNSt15iterator_traitsISK_E10value_typeET2_T3_PNSL_ISQ_E10value_typeET4_T5_PSV_SW_PNS1_23onesweep_lookback_stateEbbT6_jjT7_P12ihipStream_tbENKUlT_T0_SK_SP_E_clISE_PiSF_SF_EEDaS13_S14_SK_SP_EUlS13_E_NS1_11comp_targetILNS1_3genE6ELNS1_11target_archE950ELNS1_3gpuE13ELNS1_3repE0EEENS1_47radix_sort_onesweep_sort_config_static_selectorELNS0_4arch9wavefront6targetE0EEEvSK_, .Lfunc_end196-_ZN7rocprim17ROCPRIM_400000_NS6detail17trampoline_kernelINS0_14default_configENS1_35radix_sort_onesweep_config_selectorIiNS0_10empty_typeEEEZZNS1_29radix_sort_onesweep_iterationIS3_Lb0EN6thrust23THRUST_200600_302600_NS6detail15normal_iteratorINS9_10device_ptrIiEEEESE_PS5_SF_jNS0_19identity_decomposerENS1_16block_id_wrapperIjLb0EEEEE10hipError_tT1_PNSt15iterator_traitsISK_E10value_typeET2_T3_PNSL_ISQ_E10value_typeET4_T5_PSV_SW_PNS1_23onesweep_lookback_stateEbbT6_jjT7_P12ihipStream_tbENKUlT_T0_SK_SP_E_clISE_PiSF_SF_EEDaS13_S14_SK_SP_EUlS13_E_NS1_11comp_targetILNS1_3genE6ELNS1_11target_archE950ELNS1_3gpuE13ELNS1_3repE0EEENS1_47radix_sort_onesweep_sort_config_static_selectorELNS0_4arch9wavefront6targetE0EEEvSK_
                                        ; -- End function
	.set _ZN7rocprim17ROCPRIM_400000_NS6detail17trampoline_kernelINS0_14default_configENS1_35radix_sort_onesweep_config_selectorIiNS0_10empty_typeEEEZZNS1_29radix_sort_onesweep_iterationIS3_Lb0EN6thrust23THRUST_200600_302600_NS6detail15normal_iteratorINS9_10device_ptrIiEEEESE_PS5_SF_jNS0_19identity_decomposerENS1_16block_id_wrapperIjLb0EEEEE10hipError_tT1_PNSt15iterator_traitsISK_E10value_typeET2_T3_PNSL_ISQ_E10value_typeET4_T5_PSV_SW_PNS1_23onesweep_lookback_stateEbbT6_jjT7_P12ihipStream_tbENKUlT_T0_SK_SP_E_clISE_PiSF_SF_EEDaS13_S14_SK_SP_EUlS13_E_NS1_11comp_targetILNS1_3genE6ELNS1_11target_archE950ELNS1_3gpuE13ELNS1_3repE0EEENS1_47radix_sort_onesweep_sort_config_static_selectorELNS0_4arch9wavefront6targetE0EEEvSK_.num_vgpr, 0
	.set _ZN7rocprim17ROCPRIM_400000_NS6detail17trampoline_kernelINS0_14default_configENS1_35radix_sort_onesweep_config_selectorIiNS0_10empty_typeEEEZZNS1_29radix_sort_onesweep_iterationIS3_Lb0EN6thrust23THRUST_200600_302600_NS6detail15normal_iteratorINS9_10device_ptrIiEEEESE_PS5_SF_jNS0_19identity_decomposerENS1_16block_id_wrapperIjLb0EEEEE10hipError_tT1_PNSt15iterator_traitsISK_E10value_typeET2_T3_PNSL_ISQ_E10value_typeET4_T5_PSV_SW_PNS1_23onesweep_lookback_stateEbbT6_jjT7_P12ihipStream_tbENKUlT_T0_SK_SP_E_clISE_PiSF_SF_EEDaS13_S14_SK_SP_EUlS13_E_NS1_11comp_targetILNS1_3genE6ELNS1_11target_archE950ELNS1_3gpuE13ELNS1_3repE0EEENS1_47radix_sort_onesweep_sort_config_static_selectorELNS0_4arch9wavefront6targetE0EEEvSK_.num_agpr, 0
	.set _ZN7rocprim17ROCPRIM_400000_NS6detail17trampoline_kernelINS0_14default_configENS1_35radix_sort_onesweep_config_selectorIiNS0_10empty_typeEEEZZNS1_29radix_sort_onesweep_iterationIS3_Lb0EN6thrust23THRUST_200600_302600_NS6detail15normal_iteratorINS9_10device_ptrIiEEEESE_PS5_SF_jNS0_19identity_decomposerENS1_16block_id_wrapperIjLb0EEEEE10hipError_tT1_PNSt15iterator_traitsISK_E10value_typeET2_T3_PNSL_ISQ_E10value_typeET4_T5_PSV_SW_PNS1_23onesweep_lookback_stateEbbT6_jjT7_P12ihipStream_tbENKUlT_T0_SK_SP_E_clISE_PiSF_SF_EEDaS13_S14_SK_SP_EUlS13_E_NS1_11comp_targetILNS1_3genE6ELNS1_11target_archE950ELNS1_3gpuE13ELNS1_3repE0EEENS1_47radix_sort_onesweep_sort_config_static_selectorELNS0_4arch9wavefront6targetE0EEEvSK_.numbered_sgpr, 0
	.set _ZN7rocprim17ROCPRIM_400000_NS6detail17trampoline_kernelINS0_14default_configENS1_35radix_sort_onesweep_config_selectorIiNS0_10empty_typeEEEZZNS1_29radix_sort_onesweep_iterationIS3_Lb0EN6thrust23THRUST_200600_302600_NS6detail15normal_iteratorINS9_10device_ptrIiEEEESE_PS5_SF_jNS0_19identity_decomposerENS1_16block_id_wrapperIjLb0EEEEE10hipError_tT1_PNSt15iterator_traitsISK_E10value_typeET2_T3_PNSL_ISQ_E10value_typeET4_T5_PSV_SW_PNS1_23onesweep_lookback_stateEbbT6_jjT7_P12ihipStream_tbENKUlT_T0_SK_SP_E_clISE_PiSF_SF_EEDaS13_S14_SK_SP_EUlS13_E_NS1_11comp_targetILNS1_3genE6ELNS1_11target_archE950ELNS1_3gpuE13ELNS1_3repE0EEENS1_47radix_sort_onesweep_sort_config_static_selectorELNS0_4arch9wavefront6targetE0EEEvSK_.num_named_barrier, 0
	.set _ZN7rocprim17ROCPRIM_400000_NS6detail17trampoline_kernelINS0_14default_configENS1_35radix_sort_onesweep_config_selectorIiNS0_10empty_typeEEEZZNS1_29radix_sort_onesweep_iterationIS3_Lb0EN6thrust23THRUST_200600_302600_NS6detail15normal_iteratorINS9_10device_ptrIiEEEESE_PS5_SF_jNS0_19identity_decomposerENS1_16block_id_wrapperIjLb0EEEEE10hipError_tT1_PNSt15iterator_traitsISK_E10value_typeET2_T3_PNSL_ISQ_E10value_typeET4_T5_PSV_SW_PNS1_23onesweep_lookback_stateEbbT6_jjT7_P12ihipStream_tbENKUlT_T0_SK_SP_E_clISE_PiSF_SF_EEDaS13_S14_SK_SP_EUlS13_E_NS1_11comp_targetILNS1_3genE6ELNS1_11target_archE950ELNS1_3gpuE13ELNS1_3repE0EEENS1_47radix_sort_onesweep_sort_config_static_selectorELNS0_4arch9wavefront6targetE0EEEvSK_.private_seg_size, 0
	.set _ZN7rocprim17ROCPRIM_400000_NS6detail17trampoline_kernelINS0_14default_configENS1_35radix_sort_onesweep_config_selectorIiNS0_10empty_typeEEEZZNS1_29radix_sort_onesweep_iterationIS3_Lb0EN6thrust23THRUST_200600_302600_NS6detail15normal_iteratorINS9_10device_ptrIiEEEESE_PS5_SF_jNS0_19identity_decomposerENS1_16block_id_wrapperIjLb0EEEEE10hipError_tT1_PNSt15iterator_traitsISK_E10value_typeET2_T3_PNSL_ISQ_E10value_typeET4_T5_PSV_SW_PNS1_23onesweep_lookback_stateEbbT6_jjT7_P12ihipStream_tbENKUlT_T0_SK_SP_E_clISE_PiSF_SF_EEDaS13_S14_SK_SP_EUlS13_E_NS1_11comp_targetILNS1_3genE6ELNS1_11target_archE950ELNS1_3gpuE13ELNS1_3repE0EEENS1_47radix_sort_onesweep_sort_config_static_selectorELNS0_4arch9wavefront6targetE0EEEvSK_.uses_vcc, 0
	.set _ZN7rocprim17ROCPRIM_400000_NS6detail17trampoline_kernelINS0_14default_configENS1_35radix_sort_onesweep_config_selectorIiNS0_10empty_typeEEEZZNS1_29radix_sort_onesweep_iterationIS3_Lb0EN6thrust23THRUST_200600_302600_NS6detail15normal_iteratorINS9_10device_ptrIiEEEESE_PS5_SF_jNS0_19identity_decomposerENS1_16block_id_wrapperIjLb0EEEEE10hipError_tT1_PNSt15iterator_traitsISK_E10value_typeET2_T3_PNSL_ISQ_E10value_typeET4_T5_PSV_SW_PNS1_23onesweep_lookback_stateEbbT6_jjT7_P12ihipStream_tbENKUlT_T0_SK_SP_E_clISE_PiSF_SF_EEDaS13_S14_SK_SP_EUlS13_E_NS1_11comp_targetILNS1_3genE6ELNS1_11target_archE950ELNS1_3gpuE13ELNS1_3repE0EEENS1_47radix_sort_onesweep_sort_config_static_selectorELNS0_4arch9wavefront6targetE0EEEvSK_.uses_flat_scratch, 0
	.set _ZN7rocprim17ROCPRIM_400000_NS6detail17trampoline_kernelINS0_14default_configENS1_35radix_sort_onesweep_config_selectorIiNS0_10empty_typeEEEZZNS1_29radix_sort_onesweep_iterationIS3_Lb0EN6thrust23THRUST_200600_302600_NS6detail15normal_iteratorINS9_10device_ptrIiEEEESE_PS5_SF_jNS0_19identity_decomposerENS1_16block_id_wrapperIjLb0EEEEE10hipError_tT1_PNSt15iterator_traitsISK_E10value_typeET2_T3_PNSL_ISQ_E10value_typeET4_T5_PSV_SW_PNS1_23onesweep_lookback_stateEbbT6_jjT7_P12ihipStream_tbENKUlT_T0_SK_SP_E_clISE_PiSF_SF_EEDaS13_S14_SK_SP_EUlS13_E_NS1_11comp_targetILNS1_3genE6ELNS1_11target_archE950ELNS1_3gpuE13ELNS1_3repE0EEENS1_47radix_sort_onesweep_sort_config_static_selectorELNS0_4arch9wavefront6targetE0EEEvSK_.has_dyn_sized_stack, 0
	.set _ZN7rocprim17ROCPRIM_400000_NS6detail17trampoline_kernelINS0_14default_configENS1_35radix_sort_onesweep_config_selectorIiNS0_10empty_typeEEEZZNS1_29radix_sort_onesweep_iterationIS3_Lb0EN6thrust23THRUST_200600_302600_NS6detail15normal_iteratorINS9_10device_ptrIiEEEESE_PS5_SF_jNS0_19identity_decomposerENS1_16block_id_wrapperIjLb0EEEEE10hipError_tT1_PNSt15iterator_traitsISK_E10value_typeET2_T3_PNSL_ISQ_E10value_typeET4_T5_PSV_SW_PNS1_23onesweep_lookback_stateEbbT6_jjT7_P12ihipStream_tbENKUlT_T0_SK_SP_E_clISE_PiSF_SF_EEDaS13_S14_SK_SP_EUlS13_E_NS1_11comp_targetILNS1_3genE6ELNS1_11target_archE950ELNS1_3gpuE13ELNS1_3repE0EEENS1_47radix_sort_onesweep_sort_config_static_selectorELNS0_4arch9wavefront6targetE0EEEvSK_.has_recursion, 0
	.set _ZN7rocprim17ROCPRIM_400000_NS6detail17trampoline_kernelINS0_14default_configENS1_35radix_sort_onesweep_config_selectorIiNS0_10empty_typeEEEZZNS1_29radix_sort_onesweep_iterationIS3_Lb0EN6thrust23THRUST_200600_302600_NS6detail15normal_iteratorINS9_10device_ptrIiEEEESE_PS5_SF_jNS0_19identity_decomposerENS1_16block_id_wrapperIjLb0EEEEE10hipError_tT1_PNSt15iterator_traitsISK_E10value_typeET2_T3_PNSL_ISQ_E10value_typeET4_T5_PSV_SW_PNS1_23onesweep_lookback_stateEbbT6_jjT7_P12ihipStream_tbENKUlT_T0_SK_SP_E_clISE_PiSF_SF_EEDaS13_S14_SK_SP_EUlS13_E_NS1_11comp_targetILNS1_3genE6ELNS1_11target_archE950ELNS1_3gpuE13ELNS1_3repE0EEENS1_47radix_sort_onesweep_sort_config_static_selectorELNS0_4arch9wavefront6targetE0EEEvSK_.has_indirect_call, 0
	.section	.AMDGPU.csdata,"",@progbits
; Kernel info:
; codeLenInByte = 0
; TotalNumSgprs: 0
; NumVgprs: 0
; ScratchSize: 0
; MemoryBound: 0
; FloatMode: 240
; IeeeMode: 1
; LDSByteSize: 0 bytes/workgroup (compile time only)
; SGPRBlocks: 0
; VGPRBlocks: 0
; NumSGPRsForWavesPerEU: 1
; NumVGPRsForWavesPerEU: 1
; Occupancy: 16
; WaveLimiterHint : 0
; COMPUTE_PGM_RSRC2:SCRATCH_EN: 0
; COMPUTE_PGM_RSRC2:USER_SGPR: 6
; COMPUTE_PGM_RSRC2:TRAP_HANDLER: 0
; COMPUTE_PGM_RSRC2:TGID_X_EN: 1
; COMPUTE_PGM_RSRC2:TGID_Y_EN: 0
; COMPUTE_PGM_RSRC2:TGID_Z_EN: 0
; COMPUTE_PGM_RSRC2:TIDIG_COMP_CNT: 0
	.section	.text._ZN7rocprim17ROCPRIM_400000_NS6detail17trampoline_kernelINS0_14default_configENS1_35radix_sort_onesweep_config_selectorIiNS0_10empty_typeEEEZZNS1_29radix_sort_onesweep_iterationIS3_Lb0EN6thrust23THRUST_200600_302600_NS6detail15normal_iteratorINS9_10device_ptrIiEEEESE_PS5_SF_jNS0_19identity_decomposerENS1_16block_id_wrapperIjLb0EEEEE10hipError_tT1_PNSt15iterator_traitsISK_E10value_typeET2_T3_PNSL_ISQ_E10value_typeET4_T5_PSV_SW_PNS1_23onesweep_lookback_stateEbbT6_jjT7_P12ihipStream_tbENKUlT_T0_SK_SP_E_clISE_PiSF_SF_EEDaS13_S14_SK_SP_EUlS13_E_NS1_11comp_targetILNS1_3genE5ELNS1_11target_archE942ELNS1_3gpuE9ELNS1_3repE0EEENS1_47radix_sort_onesweep_sort_config_static_selectorELNS0_4arch9wavefront6targetE0EEEvSK_,"axG",@progbits,_ZN7rocprim17ROCPRIM_400000_NS6detail17trampoline_kernelINS0_14default_configENS1_35radix_sort_onesweep_config_selectorIiNS0_10empty_typeEEEZZNS1_29radix_sort_onesweep_iterationIS3_Lb0EN6thrust23THRUST_200600_302600_NS6detail15normal_iteratorINS9_10device_ptrIiEEEESE_PS5_SF_jNS0_19identity_decomposerENS1_16block_id_wrapperIjLb0EEEEE10hipError_tT1_PNSt15iterator_traitsISK_E10value_typeET2_T3_PNSL_ISQ_E10value_typeET4_T5_PSV_SW_PNS1_23onesweep_lookback_stateEbbT6_jjT7_P12ihipStream_tbENKUlT_T0_SK_SP_E_clISE_PiSF_SF_EEDaS13_S14_SK_SP_EUlS13_E_NS1_11comp_targetILNS1_3genE5ELNS1_11target_archE942ELNS1_3gpuE9ELNS1_3repE0EEENS1_47radix_sort_onesweep_sort_config_static_selectorELNS0_4arch9wavefront6targetE0EEEvSK_,comdat
	.protected	_ZN7rocprim17ROCPRIM_400000_NS6detail17trampoline_kernelINS0_14default_configENS1_35radix_sort_onesweep_config_selectorIiNS0_10empty_typeEEEZZNS1_29radix_sort_onesweep_iterationIS3_Lb0EN6thrust23THRUST_200600_302600_NS6detail15normal_iteratorINS9_10device_ptrIiEEEESE_PS5_SF_jNS0_19identity_decomposerENS1_16block_id_wrapperIjLb0EEEEE10hipError_tT1_PNSt15iterator_traitsISK_E10value_typeET2_T3_PNSL_ISQ_E10value_typeET4_T5_PSV_SW_PNS1_23onesweep_lookback_stateEbbT6_jjT7_P12ihipStream_tbENKUlT_T0_SK_SP_E_clISE_PiSF_SF_EEDaS13_S14_SK_SP_EUlS13_E_NS1_11comp_targetILNS1_3genE5ELNS1_11target_archE942ELNS1_3gpuE9ELNS1_3repE0EEENS1_47radix_sort_onesweep_sort_config_static_selectorELNS0_4arch9wavefront6targetE0EEEvSK_ ; -- Begin function _ZN7rocprim17ROCPRIM_400000_NS6detail17trampoline_kernelINS0_14default_configENS1_35radix_sort_onesweep_config_selectorIiNS0_10empty_typeEEEZZNS1_29radix_sort_onesweep_iterationIS3_Lb0EN6thrust23THRUST_200600_302600_NS6detail15normal_iteratorINS9_10device_ptrIiEEEESE_PS5_SF_jNS0_19identity_decomposerENS1_16block_id_wrapperIjLb0EEEEE10hipError_tT1_PNSt15iterator_traitsISK_E10value_typeET2_T3_PNSL_ISQ_E10value_typeET4_T5_PSV_SW_PNS1_23onesweep_lookback_stateEbbT6_jjT7_P12ihipStream_tbENKUlT_T0_SK_SP_E_clISE_PiSF_SF_EEDaS13_S14_SK_SP_EUlS13_E_NS1_11comp_targetILNS1_3genE5ELNS1_11target_archE942ELNS1_3gpuE9ELNS1_3repE0EEENS1_47radix_sort_onesweep_sort_config_static_selectorELNS0_4arch9wavefront6targetE0EEEvSK_
	.globl	_ZN7rocprim17ROCPRIM_400000_NS6detail17trampoline_kernelINS0_14default_configENS1_35radix_sort_onesweep_config_selectorIiNS0_10empty_typeEEEZZNS1_29radix_sort_onesweep_iterationIS3_Lb0EN6thrust23THRUST_200600_302600_NS6detail15normal_iteratorINS9_10device_ptrIiEEEESE_PS5_SF_jNS0_19identity_decomposerENS1_16block_id_wrapperIjLb0EEEEE10hipError_tT1_PNSt15iterator_traitsISK_E10value_typeET2_T3_PNSL_ISQ_E10value_typeET4_T5_PSV_SW_PNS1_23onesweep_lookback_stateEbbT6_jjT7_P12ihipStream_tbENKUlT_T0_SK_SP_E_clISE_PiSF_SF_EEDaS13_S14_SK_SP_EUlS13_E_NS1_11comp_targetILNS1_3genE5ELNS1_11target_archE942ELNS1_3gpuE9ELNS1_3repE0EEENS1_47radix_sort_onesweep_sort_config_static_selectorELNS0_4arch9wavefront6targetE0EEEvSK_
	.p2align	8
	.type	_ZN7rocprim17ROCPRIM_400000_NS6detail17trampoline_kernelINS0_14default_configENS1_35radix_sort_onesweep_config_selectorIiNS0_10empty_typeEEEZZNS1_29radix_sort_onesweep_iterationIS3_Lb0EN6thrust23THRUST_200600_302600_NS6detail15normal_iteratorINS9_10device_ptrIiEEEESE_PS5_SF_jNS0_19identity_decomposerENS1_16block_id_wrapperIjLb0EEEEE10hipError_tT1_PNSt15iterator_traitsISK_E10value_typeET2_T3_PNSL_ISQ_E10value_typeET4_T5_PSV_SW_PNS1_23onesweep_lookback_stateEbbT6_jjT7_P12ihipStream_tbENKUlT_T0_SK_SP_E_clISE_PiSF_SF_EEDaS13_S14_SK_SP_EUlS13_E_NS1_11comp_targetILNS1_3genE5ELNS1_11target_archE942ELNS1_3gpuE9ELNS1_3repE0EEENS1_47radix_sort_onesweep_sort_config_static_selectorELNS0_4arch9wavefront6targetE0EEEvSK_,@function
_ZN7rocprim17ROCPRIM_400000_NS6detail17trampoline_kernelINS0_14default_configENS1_35radix_sort_onesweep_config_selectorIiNS0_10empty_typeEEEZZNS1_29radix_sort_onesweep_iterationIS3_Lb0EN6thrust23THRUST_200600_302600_NS6detail15normal_iteratorINS9_10device_ptrIiEEEESE_PS5_SF_jNS0_19identity_decomposerENS1_16block_id_wrapperIjLb0EEEEE10hipError_tT1_PNSt15iterator_traitsISK_E10value_typeET2_T3_PNSL_ISQ_E10value_typeET4_T5_PSV_SW_PNS1_23onesweep_lookback_stateEbbT6_jjT7_P12ihipStream_tbENKUlT_T0_SK_SP_E_clISE_PiSF_SF_EEDaS13_S14_SK_SP_EUlS13_E_NS1_11comp_targetILNS1_3genE5ELNS1_11target_archE942ELNS1_3gpuE9ELNS1_3repE0EEENS1_47radix_sort_onesweep_sort_config_static_selectorELNS0_4arch9wavefront6targetE0EEEvSK_: ; @_ZN7rocprim17ROCPRIM_400000_NS6detail17trampoline_kernelINS0_14default_configENS1_35radix_sort_onesweep_config_selectorIiNS0_10empty_typeEEEZZNS1_29radix_sort_onesweep_iterationIS3_Lb0EN6thrust23THRUST_200600_302600_NS6detail15normal_iteratorINS9_10device_ptrIiEEEESE_PS5_SF_jNS0_19identity_decomposerENS1_16block_id_wrapperIjLb0EEEEE10hipError_tT1_PNSt15iterator_traitsISK_E10value_typeET2_T3_PNSL_ISQ_E10value_typeET4_T5_PSV_SW_PNS1_23onesweep_lookback_stateEbbT6_jjT7_P12ihipStream_tbENKUlT_T0_SK_SP_E_clISE_PiSF_SF_EEDaS13_S14_SK_SP_EUlS13_E_NS1_11comp_targetILNS1_3genE5ELNS1_11target_archE942ELNS1_3gpuE9ELNS1_3repE0EEENS1_47radix_sort_onesweep_sort_config_static_selectorELNS0_4arch9wavefront6targetE0EEEvSK_
; %bb.0:
	.section	.rodata,"a",@progbits
	.p2align	6, 0x0
	.amdhsa_kernel _ZN7rocprim17ROCPRIM_400000_NS6detail17trampoline_kernelINS0_14default_configENS1_35radix_sort_onesweep_config_selectorIiNS0_10empty_typeEEEZZNS1_29radix_sort_onesweep_iterationIS3_Lb0EN6thrust23THRUST_200600_302600_NS6detail15normal_iteratorINS9_10device_ptrIiEEEESE_PS5_SF_jNS0_19identity_decomposerENS1_16block_id_wrapperIjLb0EEEEE10hipError_tT1_PNSt15iterator_traitsISK_E10value_typeET2_T3_PNSL_ISQ_E10value_typeET4_T5_PSV_SW_PNS1_23onesweep_lookback_stateEbbT6_jjT7_P12ihipStream_tbENKUlT_T0_SK_SP_E_clISE_PiSF_SF_EEDaS13_S14_SK_SP_EUlS13_E_NS1_11comp_targetILNS1_3genE5ELNS1_11target_archE942ELNS1_3gpuE9ELNS1_3repE0EEENS1_47radix_sort_onesweep_sort_config_static_selectorELNS0_4arch9wavefront6targetE0EEEvSK_
		.amdhsa_group_segment_fixed_size 0
		.amdhsa_private_segment_fixed_size 0
		.amdhsa_kernarg_size 88
		.amdhsa_user_sgpr_count 6
		.amdhsa_user_sgpr_private_segment_buffer 1
		.amdhsa_user_sgpr_dispatch_ptr 0
		.amdhsa_user_sgpr_queue_ptr 0
		.amdhsa_user_sgpr_kernarg_segment_ptr 1
		.amdhsa_user_sgpr_dispatch_id 0
		.amdhsa_user_sgpr_flat_scratch_init 0
		.amdhsa_user_sgpr_private_segment_size 0
		.amdhsa_wavefront_size32 1
		.amdhsa_uses_dynamic_stack 0
		.amdhsa_system_sgpr_private_segment_wavefront_offset 0
		.amdhsa_system_sgpr_workgroup_id_x 1
		.amdhsa_system_sgpr_workgroup_id_y 0
		.amdhsa_system_sgpr_workgroup_id_z 0
		.amdhsa_system_sgpr_workgroup_info 0
		.amdhsa_system_vgpr_workitem_id 0
		.amdhsa_next_free_vgpr 1
		.amdhsa_next_free_sgpr 1
		.amdhsa_reserve_vcc 0
		.amdhsa_reserve_flat_scratch 0
		.amdhsa_float_round_mode_32 0
		.amdhsa_float_round_mode_16_64 0
		.amdhsa_float_denorm_mode_32 3
		.amdhsa_float_denorm_mode_16_64 3
		.amdhsa_dx10_clamp 1
		.amdhsa_ieee_mode 1
		.amdhsa_fp16_overflow 0
		.amdhsa_workgroup_processor_mode 1
		.amdhsa_memory_ordered 1
		.amdhsa_forward_progress 1
		.amdhsa_shared_vgpr_count 0
		.amdhsa_exception_fp_ieee_invalid_op 0
		.amdhsa_exception_fp_denorm_src 0
		.amdhsa_exception_fp_ieee_div_zero 0
		.amdhsa_exception_fp_ieee_overflow 0
		.amdhsa_exception_fp_ieee_underflow 0
		.amdhsa_exception_fp_ieee_inexact 0
		.amdhsa_exception_int_div_zero 0
	.end_amdhsa_kernel
	.section	.text._ZN7rocprim17ROCPRIM_400000_NS6detail17trampoline_kernelINS0_14default_configENS1_35radix_sort_onesweep_config_selectorIiNS0_10empty_typeEEEZZNS1_29radix_sort_onesweep_iterationIS3_Lb0EN6thrust23THRUST_200600_302600_NS6detail15normal_iteratorINS9_10device_ptrIiEEEESE_PS5_SF_jNS0_19identity_decomposerENS1_16block_id_wrapperIjLb0EEEEE10hipError_tT1_PNSt15iterator_traitsISK_E10value_typeET2_T3_PNSL_ISQ_E10value_typeET4_T5_PSV_SW_PNS1_23onesweep_lookback_stateEbbT6_jjT7_P12ihipStream_tbENKUlT_T0_SK_SP_E_clISE_PiSF_SF_EEDaS13_S14_SK_SP_EUlS13_E_NS1_11comp_targetILNS1_3genE5ELNS1_11target_archE942ELNS1_3gpuE9ELNS1_3repE0EEENS1_47radix_sort_onesweep_sort_config_static_selectorELNS0_4arch9wavefront6targetE0EEEvSK_,"axG",@progbits,_ZN7rocprim17ROCPRIM_400000_NS6detail17trampoline_kernelINS0_14default_configENS1_35radix_sort_onesweep_config_selectorIiNS0_10empty_typeEEEZZNS1_29radix_sort_onesweep_iterationIS3_Lb0EN6thrust23THRUST_200600_302600_NS6detail15normal_iteratorINS9_10device_ptrIiEEEESE_PS5_SF_jNS0_19identity_decomposerENS1_16block_id_wrapperIjLb0EEEEE10hipError_tT1_PNSt15iterator_traitsISK_E10value_typeET2_T3_PNSL_ISQ_E10value_typeET4_T5_PSV_SW_PNS1_23onesweep_lookback_stateEbbT6_jjT7_P12ihipStream_tbENKUlT_T0_SK_SP_E_clISE_PiSF_SF_EEDaS13_S14_SK_SP_EUlS13_E_NS1_11comp_targetILNS1_3genE5ELNS1_11target_archE942ELNS1_3gpuE9ELNS1_3repE0EEENS1_47radix_sort_onesweep_sort_config_static_selectorELNS0_4arch9wavefront6targetE0EEEvSK_,comdat
.Lfunc_end197:
	.size	_ZN7rocprim17ROCPRIM_400000_NS6detail17trampoline_kernelINS0_14default_configENS1_35radix_sort_onesweep_config_selectorIiNS0_10empty_typeEEEZZNS1_29radix_sort_onesweep_iterationIS3_Lb0EN6thrust23THRUST_200600_302600_NS6detail15normal_iteratorINS9_10device_ptrIiEEEESE_PS5_SF_jNS0_19identity_decomposerENS1_16block_id_wrapperIjLb0EEEEE10hipError_tT1_PNSt15iterator_traitsISK_E10value_typeET2_T3_PNSL_ISQ_E10value_typeET4_T5_PSV_SW_PNS1_23onesweep_lookback_stateEbbT6_jjT7_P12ihipStream_tbENKUlT_T0_SK_SP_E_clISE_PiSF_SF_EEDaS13_S14_SK_SP_EUlS13_E_NS1_11comp_targetILNS1_3genE5ELNS1_11target_archE942ELNS1_3gpuE9ELNS1_3repE0EEENS1_47radix_sort_onesweep_sort_config_static_selectorELNS0_4arch9wavefront6targetE0EEEvSK_, .Lfunc_end197-_ZN7rocprim17ROCPRIM_400000_NS6detail17trampoline_kernelINS0_14default_configENS1_35radix_sort_onesweep_config_selectorIiNS0_10empty_typeEEEZZNS1_29radix_sort_onesweep_iterationIS3_Lb0EN6thrust23THRUST_200600_302600_NS6detail15normal_iteratorINS9_10device_ptrIiEEEESE_PS5_SF_jNS0_19identity_decomposerENS1_16block_id_wrapperIjLb0EEEEE10hipError_tT1_PNSt15iterator_traitsISK_E10value_typeET2_T3_PNSL_ISQ_E10value_typeET4_T5_PSV_SW_PNS1_23onesweep_lookback_stateEbbT6_jjT7_P12ihipStream_tbENKUlT_T0_SK_SP_E_clISE_PiSF_SF_EEDaS13_S14_SK_SP_EUlS13_E_NS1_11comp_targetILNS1_3genE5ELNS1_11target_archE942ELNS1_3gpuE9ELNS1_3repE0EEENS1_47radix_sort_onesweep_sort_config_static_selectorELNS0_4arch9wavefront6targetE0EEEvSK_
                                        ; -- End function
	.set _ZN7rocprim17ROCPRIM_400000_NS6detail17trampoline_kernelINS0_14default_configENS1_35radix_sort_onesweep_config_selectorIiNS0_10empty_typeEEEZZNS1_29radix_sort_onesweep_iterationIS3_Lb0EN6thrust23THRUST_200600_302600_NS6detail15normal_iteratorINS9_10device_ptrIiEEEESE_PS5_SF_jNS0_19identity_decomposerENS1_16block_id_wrapperIjLb0EEEEE10hipError_tT1_PNSt15iterator_traitsISK_E10value_typeET2_T3_PNSL_ISQ_E10value_typeET4_T5_PSV_SW_PNS1_23onesweep_lookback_stateEbbT6_jjT7_P12ihipStream_tbENKUlT_T0_SK_SP_E_clISE_PiSF_SF_EEDaS13_S14_SK_SP_EUlS13_E_NS1_11comp_targetILNS1_3genE5ELNS1_11target_archE942ELNS1_3gpuE9ELNS1_3repE0EEENS1_47radix_sort_onesweep_sort_config_static_selectorELNS0_4arch9wavefront6targetE0EEEvSK_.num_vgpr, 0
	.set _ZN7rocprim17ROCPRIM_400000_NS6detail17trampoline_kernelINS0_14default_configENS1_35radix_sort_onesweep_config_selectorIiNS0_10empty_typeEEEZZNS1_29radix_sort_onesweep_iterationIS3_Lb0EN6thrust23THRUST_200600_302600_NS6detail15normal_iteratorINS9_10device_ptrIiEEEESE_PS5_SF_jNS0_19identity_decomposerENS1_16block_id_wrapperIjLb0EEEEE10hipError_tT1_PNSt15iterator_traitsISK_E10value_typeET2_T3_PNSL_ISQ_E10value_typeET4_T5_PSV_SW_PNS1_23onesweep_lookback_stateEbbT6_jjT7_P12ihipStream_tbENKUlT_T0_SK_SP_E_clISE_PiSF_SF_EEDaS13_S14_SK_SP_EUlS13_E_NS1_11comp_targetILNS1_3genE5ELNS1_11target_archE942ELNS1_3gpuE9ELNS1_3repE0EEENS1_47radix_sort_onesweep_sort_config_static_selectorELNS0_4arch9wavefront6targetE0EEEvSK_.num_agpr, 0
	.set _ZN7rocprim17ROCPRIM_400000_NS6detail17trampoline_kernelINS0_14default_configENS1_35radix_sort_onesweep_config_selectorIiNS0_10empty_typeEEEZZNS1_29radix_sort_onesweep_iterationIS3_Lb0EN6thrust23THRUST_200600_302600_NS6detail15normal_iteratorINS9_10device_ptrIiEEEESE_PS5_SF_jNS0_19identity_decomposerENS1_16block_id_wrapperIjLb0EEEEE10hipError_tT1_PNSt15iterator_traitsISK_E10value_typeET2_T3_PNSL_ISQ_E10value_typeET4_T5_PSV_SW_PNS1_23onesweep_lookback_stateEbbT6_jjT7_P12ihipStream_tbENKUlT_T0_SK_SP_E_clISE_PiSF_SF_EEDaS13_S14_SK_SP_EUlS13_E_NS1_11comp_targetILNS1_3genE5ELNS1_11target_archE942ELNS1_3gpuE9ELNS1_3repE0EEENS1_47radix_sort_onesweep_sort_config_static_selectorELNS0_4arch9wavefront6targetE0EEEvSK_.numbered_sgpr, 0
	.set _ZN7rocprim17ROCPRIM_400000_NS6detail17trampoline_kernelINS0_14default_configENS1_35radix_sort_onesweep_config_selectorIiNS0_10empty_typeEEEZZNS1_29radix_sort_onesweep_iterationIS3_Lb0EN6thrust23THRUST_200600_302600_NS6detail15normal_iteratorINS9_10device_ptrIiEEEESE_PS5_SF_jNS0_19identity_decomposerENS1_16block_id_wrapperIjLb0EEEEE10hipError_tT1_PNSt15iterator_traitsISK_E10value_typeET2_T3_PNSL_ISQ_E10value_typeET4_T5_PSV_SW_PNS1_23onesweep_lookback_stateEbbT6_jjT7_P12ihipStream_tbENKUlT_T0_SK_SP_E_clISE_PiSF_SF_EEDaS13_S14_SK_SP_EUlS13_E_NS1_11comp_targetILNS1_3genE5ELNS1_11target_archE942ELNS1_3gpuE9ELNS1_3repE0EEENS1_47radix_sort_onesweep_sort_config_static_selectorELNS0_4arch9wavefront6targetE0EEEvSK_.num_named_barrier, 0
	.set _ZN7rocprim17ROCPRIM_400000_NS6detail17trampoline_kernelINS0_14default_configENS1_35radix_sort_onesweep_config_selectorIiNS0_10empty_typeEEEZZNS1_29radix_sort_onesweep_iterationIS3_Lb0EN6thrust23THRUST_200600_302600_NS6detail15normal_iteratorINS9_10device_ptrIiEEEESE_PS5_SF_jNS0_19identity_decomposerENS1_16block_id_wrapperIjLb0EEEEE10hipError_tT1_PNSt15iterator_traitsISK_E10value_typeET2_T3_PNSL_ISQ_E10value_typeET4_T5_PSV_SW_PNS1_23onesweep_lookback_stateEbbT6_jjT7_P12ihipStream_tbENKUlT_T0_SK_SP_E_clISE_PiSF_SF_EEDaS13_S14_SK_SP_EUlS13_E_NS1_11comp_targetILNS1_3genE5ELNS1_11target_archE942ELNS1_3gpuE9ELNS1_3repE0EEENS1_47radix_sort_onesweep_sort_config_static_selectorELNS0_4arch9wavefront6targetE0EEEvSK_.private_seg_size, 0
	.set _ZN7rocprim17ROCPRIM_400000_NS6detail17trampoline_kernelINS0_14default_configENS1_35radix_sort_onesweep_config_selectorIiNS0_10empty_typeEEEZZNS1_29radix_sort_onesweep_iterationIS3_Lb0EN6thrust23THRUST_200600_302600_NS6detail15normal_iteratorINS9_10device_ptrIiEEEESE_PS5_SF_jNS0_19identity_decomposerENS1_16block_id_wrapperIjLb0EEEEE10hipError_tT1_PNSt15iterator_traitsISK_E10value_typeET2_T3_PNSL_ISQ_E10value_typeET4_T5_PSV_SW_PNS1_23onesweep_lookback_stateEbbT6_jjT7_P12ihipStream_tbENKUlT_T0_SK_SP_E_clISE_PiSF_SF_EEDaS13_S14_SK_SP_EUlS13_E_NS1_11comp_targetILNS1_3genE5ELNS1_11target_archE942ELNS1_3gpuE9ELNS1_3repE0EEENS1_47radix_sort_onesweep_sort_config_static_selectorELNS0_4arch9wavefront6targetE0EEEvSK_.uses_vcc, 0
	.set _ZN7rocprim17ROCPRIM_400000_NS6detail17trampoline_kernelINS0_14default_configENS1_35radix_sort_onesweep_config_selectorIiNS0_10empty_typeEEEZZNS1_29radix_sort_onesweep_iterationIS3_Lb0EN6thrust23THRUST_200600_302600_NS6detail15normal_iteratorINS9_10device_ptrIiEEEESE_PS5_SF_jNS0_19identity_decomposerENS1_16block_id_wrapperIjLb0EEEEE10hipError_tT1_PNSt15iterator_traitsISK_E10value_typeET2_T3_PNSL_ISQ_E10value_typeET4_T5_PSV_SW_PNS1_23onesweep_lookback_stateEbbT6_jjT7_P12ihipStream_tbENKUlT_T0_SK_SP_E_clISE_PiSF_SF_EEDaS13_S14_SK_SP_EUlS13_E_NS1_11comp_targetILNS1_3genE5ELNS1_11target_archE942ELNS1_3gpuE9ELNS1_3repE0EEENS1_47radix_sort_onesweep_sort_config_static_selectorELNS0_4arch9wavefront6targetE0EEEvSK_.uses_flat_scratch, 0
	.set _ZN7rocprim17ROCPRIM_400000_NS6detail17trampoline_kernelINS0_14default_configENS1_35radix_sort_onesweep_config_selectorIiNS0_10empty_typeEEEZZNS1_29radix_sort_onesweep_iterationIS3_Lb0EN6thrust23THRUST_200600_302600_NS6detail15normal_iteratorINS9_10device_ptrIiEEEESE_PS5_SF_jNS0_19identity_decomposerENS1_16block_id_wrapperIjLb0EEEEE10hipError_tT1_PNSt15iterator_traitsISK_E10value_typeET2_T3_PNSL_ISQ_E10value_typeET4_T5_PSV_SW_PNS1_23onesweep_lookback_stateEbbT6_jjT7_P12ihipStream_tbENKUlT_T0_SK_SP_E_clISE_PiSF_SF_EEDaS13_S14_SK_SP_EUlS13_E_NS1_11comp_targetILNS1_3genE5ELNS1_11target_archE942ELNS1_3gpuE9ELNS1_3repE0EEENS1_47radix_sort_onesweep_sort_config_static_selectorELNS0_4arch9wavefront6targetE0EEEvSK_.has_dyn_sized_stack, 0
	.set _ZN7rocprim17ROCPRIM_400000_NS6detail17trampoline_kernelINS0_14default_configENS1_35radix_sort_onesweep_config_selectorIiNS0_10empty_typeEEEZZNS1_29radix_sort_onesweep_iterationIS3_Lb0EN6thrust23THRUST_200600_302600_NS6detail15normal_iteratorINS9_10device_ptrIiEEEESE_PS5_SF_jNS0_19identity_decomposerENS1_16block_id_wrapperIjLb0EEEEE10hipError_tT1_PNSt15iterator_traitsISK_E10value_typeET2_T3_PNSL_ISQ_E10value_typeET4_T5_PSV_SW_PNS1_23onesweep_lookback_stateEbbT6_jjT7_P12ihipStream_tbENKUlT_T0_SK_SP_E_clISE_PiSF_SF_EEDaS13_S14_SK_SP_EUlS13_E_NS1_11comp_targetILNS1_3genE5ELNS1_11target_archE942ELNS1_3gpuE9ELNS1_3repE0EEENS1_47radix_sort_onesweep_sort_config_static_selectorELNS0_4arch9wavefront6targetE0EEEvSK_.has_recursion, 0
	.set _ZN7rocprim17ROCPRIM_400000_NS6detail17trampoline_kernelINS0_14default_configENS1_35radix_sort_onesweep_config_selectorIiNS0_10empty_typeEEEZZNS1_29radix_sort_onesweep_iterationIS3_Lb0EN6thrust23THRUST_200600_302600_NS6detail15normal_iteratorINS9_10device_ptrIiEEEESE_PS5_SF_jNS0_19identity_decomposerENS1_16block_id_wrapperIjLb0EEEEE10hipError_tT1_PNSt15iterator_traitsISK_E10value_typeET2_T3_PNSL_ISQ_E10value_typeET4_T5_PSV_SW_PNS1_23onesweep_lookback_stateEbbT6_jjT7_P12ihipStream_tbENKUlT_T0_SK_SP_E_clISE_PiSF_SF_EEDaS13_S14_SK_SP_EUlS13_E_NS1_11comp_targetILNS1_3genE5ELNS1_11target_archE942ELNS1_3gpuE9ELNS1_3repE0EEENS1_47radix_sort_onesweep_sort_config_static_selectorELNS0_4arch9wavefront6targetE0EEEvSK_.has_indirect_call, 0
	.section	.AMDGPU.csdata,"",@progbits
; Kernel info:
; codeLenInByte = 0
; TotalNumSgprs: 0
; NumVgprs: 0
; ScratchSize: 0
; MemoryBound: 0
; FloatMode: 240
; IeeeMode: 1
; LDSByteSize: 0 bytes/workgroup (compile time only)
; SGPRBlocks: 0
; VGPRBlocks: 0
; NumSGPRsForWavesPerEU: 1
; NumVGPRsForWavesPerEU: 1
; Occupancy: 16
; WaveLimiterHint : 0
; COMPUTE_PGM_RSRC2:SCRATCH_EN: 0
; COMPUTE_PGM_RSRC2:USER_SGPR: 6
; COMPUTE_PGM_RSRC2:TRAP_HANDLER: 0
; COMPUTE_PGM_RSRC2:TGID_X_EN: 1
; COMPUTE_PGM_RSRC2:TGID_Y_EN: 0
; COMPUTE_PGM_RSRC2:TGID_Z_EN: 0
; COMPUTE_PGM_RSRC2:TIDIG_COMP_CNT: 0
	.section	.text._ZN7rocprim17ROCPRIM_400000_NS6detail17trampoline_kernelINS0_14default_configENS1_35radix_sort_onesweep_config_selectorIiNS0_10empty_typeEEEZZNS1_29radix_sort_onesweep_iterationIS3_Lb0EN6thrust23THRUST_200600_302600_NS6detail15normal_iteratorINS9_10device_ptrIiEEEESE_PS5_SF_jNS0_19identity_decomposerENS1_16block_id_wrapperIjLb0EEEEE10hipError_tT1_PNSt15iterator_traitsISK_E10value_typeET2_T3_PNSL_ISQ_E10value_typeET4_T5_PSV_SW_PNS1_23onesweep_lookback_stateEbbT6_jjT7_P12ihipStream_tbENKUlT_T0_SK_SP_E_clISE_PiSF_SF_EEDaS13_S14_SK_SP_EUlS13_E_NS1_11comp_targetILNS1_3genE2ELNS1_11target_archE906ELNS1_3gpuE6ELNS1_3repE0EEENS1_47radix_sort_onesweep_sort_config_static_selectorELNS0_4arch9wavefront6targetE0EEEvSK_,"axG",@progbits,_ZN7rocprim17ROCPRIM_400000_NS6detail17trampoline_kernelINS0_14default_configENS1_35radix_sort_onesweep_config_selectorIiNS0_10empty_typeEEEZZNS1_29radix_sort_onesweep_iterationIS3_Lb0EN6thrust23THRUST_200600_302600_NS6detail15normal_iteratorINS9_10device_ptrIiEEEESE_PS5_SF_jNS0_19identity_decomposerENS1_16block_id_wrapperIjLb0EEEEE10hipError_tT1_PNSt15iterator_traitsISK_E10value_typeET2_T3_PNSL_ISQ_E10value_typeET4_T5_PSV_SW_PNS1_23onesweep_lookback_stateEbbT6_jjT7_P12ihipStream_tbENKUlT_T0_SK_SP_E_clISE_PiSF_SF_EEDaS13_S14_SK_SP_EUlS13_E_NS1_11comp_targetILNS1_3genE2ELNS1_11target_archE906ELNS1_3gpuE6ELNS1_3repE0EEENS1_47radix_sort_onesweep_sort_config_static_selectorELNS0_4arch9wavefront6targetE0EEEvSK_,comdat
	.protected	_ZN7rocprim17ROCPRIM_400000_NS6detail17trampoline_kernelINS0_14default_configENS1_35radix_sort_onesweep_config_selectorIiNS0_10empty_typeEEEZZNS1_29radix_sort_onesweep_iterationIS3_Lb0EN6thrust23THRUST_200600_302600_NS6detail15normal_iteratorINS9_10device_ptrIiEEEESE_PS5_SF_jNS0_19identity_decomposerENS1_16block_id_wrapperIjLb0EEEEE10hipError_tT1_PNSt15iterator_traitsISK_E10value_typeET2_T3_PNSL_ISQ_E10value_typeET4_T5_PSV_SW_PNS1_23onesweep_lookback_stateEbbT6_jjT7_P12ihipStream_tbENKUlT_T0_SK_SP_E_clISE_PiSF_SF_EEDaS13_S14_SK_SP_EUlS13_E_NS1_11comp_targetILNS1_3genE2ELNS1_11target_archE906ELNS1_3gpuE6ELNS1_3repE0EEENS1_47radix_sort_onesweep_sort_config_static_selectorELNS0_4arch9wavefront6targetE0EEEvSK_ ; -- Begin function _ZN7rocprim17ROCPRIM_400000_NS6detail17trampoline_kernelINS0_14default_configENS1_35radix_sort_onesweep_config_selectorIiNS0_10empty_typeEEEZZNS1_29radix_sort_onesweep_iterationIS3_Lb0EN6thrust23THRUST_200600_302600_NS6detail15normal_iteratorINS9_10device_ptrIiEEEESE_PS5_SF_jNS0_19identity_decomposerENS1_16block_id_wrapperIjLb0EEEEE10hipError_tT1_PNSt15iterator_traitsISK_E10value_typeET2_T3_PNSL_ISQ_E10value_typeET4_T5_PSV_SW_PNS1_23onesweep_lookback_stateEbbT6_jjT7_P12ihipStream_tbENKUlT_T0_SK_SP_E_clISE_PiSF_SF_EEDaS13_S14_SK_SP_EUlS13_E_NS1_11comp_targetILNS1_3genE2ELNS1_11target_archE906ELNS1_3gpuE6ELNS1_3repE0EEENS1_47radix_sort_onesweep_sort_config_static_selectorELNS0_4arch9wavefront6targetE0EEEvSK_
	.globl	_ZN7rocprim17ROCPRIM_400000_NS6detail17trampoline_kernelINS0_14default_configENS1_35radix_sort_onesweep_config_selectorIiNS0_10empty_typeEEEZZNS1_29radix_sort_onesweep_iterationIS3_Lb0EN6thrust23THRUST_200600_302600_NS6detail15normal_iteratorINS9_10device_ptrIiEEEESE_PS5_SF_jNS0_19identity_decomposerENS1_16block_id_wrapperIjLb0EEEEE10hipError_tT1_PNSt15iterator_traitsISK_E10value_typeET2_T3_PNSL_ISQ_E10value_typeET4_T5_PSV_SW_PNS1_23onesweep_lookback_stateEbbT6_jjT7_P12ihipStream_tbENKUlT_T0_SK_SP_E_clISE_PiSF_SF_EEDaS13_S14_SK_SP_EUlS13_E_NS1_11comp_targetILNS1_3genE2ELNS1_11target_archE906ELNS1_3gpuE6ELNS1_3repE0EEENS1_47radix_sort_onesweep_sort_config_static_selectorELNS0_4arch9wavefront6targetE0EEEvSK_
	.p2align	8
	.type	_ZN7rocprim17ROCPRIM_400000_NS6detail17trampoline_kernelINS0_14default_configENS1_35radix_sort_onesweep_config_selectorIiNS0_10empty_typeEEEZZNS1_29radix_sort_onesweep_iterationIS3_Lb0EN6thrust23THRUST_200600_302600_NS6detail15normal_iteratorINS9_10device_ptrIiEEEESE_PS5_SF_jNS0_19identity_decomposerENS1_16block_id_wrapperIjLb0EEEEE10hipError_tT1_PNSt15iterator_traitsISK_E10value_typeET2_T3_PNSL_ISQ_E10value_typeET4_T5_PSV_SW_PNS1_23onesweep_lookback_stateEbbT6_jjT7_P12ihipStream_tbENKUlT_T0_SK_SP_E_clISE_PiSF_SF_EEDaS13_S14_SK_SP_EUlS13_E_NS1_11comp_targetILNS1_3genE2ELNS1_11target_archE906ELNS1_3gpuE6ELNS1_3repE0EEENS1_47radix_sort_onesweep_sort_config_static_selectorELNS0_4arch9wavefront6targetE0EEEvSK_,@function
_ZN7rocprim17ROCPRIM_400000_NS6detail17trampoline_kernelINS0_14default_configENS1_35radix_sort_onesweep_config_selectorIiNS0_10empty_typeEEEZZNS1_29radix_sort_onesweep_iterationIS3_Lb0EN6thrust23THRUST_200600_302600_NS6detail15normal_iteratorINS9_10device_ptrIiEEEESE_PS5_SF_jNS0_19identity_decomposerENS1_16block_id_wrapperIjLb0EEEEE10hipError_tT1_PNSt15iterator_traitsISK_E10value_typeET2_T3_PNSL_ISQ_E10value_typeET4_T5_PSV_SW_PNS1_23onesweep_lookback_stateEbbT6_jjT7_P12ihipStream_tbENKUlT_T0_SK_SP_E_clISE_PiSF_SF_EEDaS13_S14_SK_SP_EUlS13_E_NS1_11comp_targetILNS1_3genE2ELNS1_11target_archE906ELNS1_3gpuE6ELNS1_3repE0EEENS1_47radix_sort_onesweep_sort_config_static_selectorELNS0_4arch9wavefront6targetE0EEEvSK_: ; @_ZN7rocprim17ROCPRIM_400000_NS6detail17trampoline_kernelINS0_14default_configENS1_35radix_sort_onesweep_config_selectorIiNS0_10empty_typeEEEZZNS1_29radix_sort_onesweep_iterationIS3_Lb0EN6thrust23THRUST_200600_302600_NS6detail15normal_iteratorINS9_10device_ptrIiEEEESE_PS5_SF_jNS0_19identity_decomposerENS1_16block_id_wrapperIjLb0EEEEE10hipError_tT1_PNSt15iterator_traitsISK_E10value_typeET2_T3_PNSL_ISQ_E10value_typeET4_T5_PSV_SW_PNS1_23onesweep_lookback_stateEbbT6_jjT7_P12ihipStream_tbENKUlT_T0_SK_SP_E_clISE_PiSF_SF_EEDaS13_S14_SK_SP_EUlS13_E_NS1_11comp_targetILNS1_3genE2ELNS1_11target_archE906ELNS1_3gpuE6ELNS1_3repE0EEENS1_47radix_sort_onesweep_sort_config_static_selectorELNS0_4arch9wavefront6targetE0EEEvSK_
; %bb.0:
	.section	.rodata,"a",@progbits
	.p2align	6, 0x0
	.amdhsa_kernel _ZN7rocprim17ROCPRIM_400000_NS6detail17trampoline_kernelINS0_14default_configENS1_35radix_sort_onesweep_config_selectorIiNS0_10empty_typeEEEZZNS1_29radix_sort_onesweep_iterationIS3_Lb0EN6thrust23THRUST_200600_302600_NS6detail15normal_iteratorINS9_10device_ptrIiEEEESE_PS5_SF_jNS0_19identity_decomposerENS1_16block_id_wrapperIjLb0EEEEE10hipError_tT1_PNSt15iterator_traitsISK_E10value_typeET2_T3_PNSL_ISQ_E10value_typeET4_T5_PSV_SW_PNS1_23onesweep_lookback_stateEbbT6_jjT7_P12ihipStream_tbENKUlT_T0_SK_SP_E_clISE_PiSF_SF_EEDaS13_S14_SK_SP_EUlS13_E_NS1_11comp_targetILNS1_3genE2ELNS1_11target_archE906ELNS1_3gpuE6ELNS1_3repE0EEENS1_47radix_sort_onesweep_sort_config_static_selectorELNS0_4arch9wavefront6targetE0EEEvSK_
		.amdhsa_group_segment_fixed_size 0
		.amdhsa_private_segment_fixed_size 0
		.amdhsa_kernarg_size 88
		.amdhsa_user_sgpr_count 6
		.amdhsa_user_sgpr_private_segment_buffer 1
		.amdhsa_user_sgpr_dispatch_ptr 0
		.amdhsa_user_sgpr_queue_ptr 0
		.amdhsa_user_sgpr_kernarg_segment_ptr 1
		.amdhsa_user_sgpr_dispatch_id 0
		.amdhsa_user_sgpr_flat_scratch_init 0
		.amdhsa_user_sgpr_private_segment_size 0
		.amdhsa_wavefront_size32 1
		.amdhsa_uses_dynamic_stack 0
		.amdhsa_system_sgpr_private_segment_wavefront_offset 0
		.amdhsa_system_sgpr_workgroup_id_x 1
		.amdhsa_system_sgpr_workgroup_id_y 0
		.amdhsa_system_sgpr_workgroup_id_z 0
		.amdhsa_system_sgpr_workgroup_info 0
		.amdhsa_system_vgpr_workitem_id 0
		.amdhsa_next_free_vgpr 1
		.amdhsa_next_free_sgpr 1
		.amdhsa_reserve_vcc 0
		.amdhsa_reserve_flat_scratch 0
		.amdhsa_float_round_mode_32 0
		.amdhsa_float_round_mode_16_64 0
		.amdhsa_float_denorm_mode_32 3
		.amdhsa_float_denorm_mode_16_64 3
		.amdhsa_dx10_clamp 1
		.amdhsa_ieee_mode 1
		.amdhsa_fp16_overflow 0
		.amdhsa_workgroup_processor_mode 1
		.amdhsa_memory_ordered 1
		.amdhsa_forward_progress 1
		.amdhsa_shared_vgpr_count 0
		.amdhsa_exception_fp_ieee_invalid_op 0
		.amdhsa_exception_fp_denorm_src 0
		.amdhsa_exception_fp_ieee_div_zero 0
		.amdhsa_exception_fp_ieee_overflow 0
		.amdhsa_exception_fp_ieee_underflow 0
		.amdhsa_exception_fp_ieee_inexact 0
		.amdhsa_exception_int_div_zero 0
	.end_amdhsa_kernel
	.section	.text._ZN7rocprim17ROCPRIM_400000_NS6detail17trampoline_kernelINS0_14default_configENS1_35radix_sort_onesweep_config_selectorIiNS0_10empty_typeEEEZZNS1_29radix_sort_onesweep_iterationIS3_Lb0EN6thrust23THRUST_200600_302600_NS6detail15normal_iteratorINS9_10device_ptrIiEEEESE_PS5_SF_jNS0_19identity_decomposerENS1_16block_id_wrapperIjLb0EEEEE10hipError_tT1_PNSt15iterator_traitsISK_E10value_typeET2_T3_PNSL_ISQ_E10value_typeET4_T5_PSV_SW_PNS1_23onesweep_lookback_stateEbbT6_jjT7_P12ihipStream_tbENKUlT_T0_SK_SP_E_clISE_PiSF_SF_EEDaS13_S14_SK_SP_EUlS13_E_NS1_11comp_targetILNS1_3genE2ELNS1_11target_archE906ELNS1_3gpuE6ELNS1_3repE0EEENS1_47radix_sort_onesweep_sort_config_static_selectorELNS0_4arch9wavefront6targetE0EEEvSK_,"axG",@progbits,_ZN7rocprim17ROCPRIM_400000_NS6detail17trampoline_kernelINS0_14default_configENS1_35radix_sort_onesweep_config_selectorIiNS0_10empty_typeEEEZZNS1_29radix_sort_onesweep_iterationIS3_Lb0EN6thrust23THRUST_200600_302600_NS6detail15normal_iteratorINS9_10device_ptrIiEEEESE_PS5_SF_jNS0_19identity_decomposerENS1_16block_id_wrapperIjLb0EEEEE10hipError_tT1_PNSt15iterator_traitsISK_E10value_typeET2_T3_PNSL_ISQ_E10value_typeET4_T5_PSV_SW_PNS1_23onesweep_lookback_stateEbbT6_jjT7_P12ihipStream_tbENKUlT_T0_SK_SP_E_clISE_PiSF_SF_EEDaS13_S14_SK_SP_EUlS13_E_NS1_11comp_targetILNS1_3genE2ELNS1_11target_archE906ELNS1_3gpuE6ELNS1_3repE0EEENS1_47radix_sort_onesweep_sort_config_static_selectorELNS0_4arch9wavefront6targetE0EEEvSK_,comdat
.Lfunc_end198:
	.size	_ZN7rocprim17ROCPRIM_400000_NS6detail17trampoline_kernelINS0_14default_configENS1_35radix_sort_onesweep_config_selectorIiNS0_10empty_typeEEEZZNS1_29radix_sort_onesweep_iterationIS3_Lb0EN6thrust23THRUST_200600_302600_NS6detail15normal_iteratorINS9_10device_ptrIiEEEESE_PS5_SF_jNS0_19identity_decomposerENS1_16block_id_wrapperIjLb0EEEEE10hipError_tT1_PNSt15iterator_traitsISK_E10value_typeET2_T3_PNSL_ISQ_E10value_typeET4_T5_PSV_SW_PNS1_23onesweep_lookback_stateEbbT6_jjT7_P12ihipStream_tbENKUlT_T0_SK_SP_E_clISE_PiSF_SF_EEDaS13_S14_SK_SP_EUlS13_E_NS1_11comp_targetILNS1_3genE2ELNS1_11target_archE906ELNS1_3gpuE6ELNS1_3repE0EEENS1_47radix_sort_onesweep_sort_config_static_selectorELNS0_4arch9wavefront6targetE0EEEvSK_, .Lfunc_end198-_ZN7rocprim17ROCPRIM_400000_NS6detail17trampoline_kernelINS0_14default_configENS1_35radix_sort_onesweep_config_selectorIiNS0_10empty_typeEEEZZNS1_29radix_sort_onesweep_iterationIS3_Lb0EN6thrust23THRUST_200600_302600_NS6detail15normal_iteratorINS9_10device_ptrIiEEEESE_PS5_SF_jNS0_19identity_decomposerENS1_16block_id_wrapperIjLb0EEEEE10hipError_tT1_PNSt15iterator_traitsISK_E10value_typeET2_T3_PNSL_ISQ_E10value_typeET4_T5_PSV_SW_PNS1_23onesweep_lookback_stateEbbT6_jjT7_P12ihipStream_tbENKUlT_T0_SK_SP_E_clISE_PiSF_SF_EEDaS13_S14_SK_SP_EUlS13_E_NS1_11comp_targetILNS1_3genE2ELNS1_11target_archE906ELNS1_3gpuE6ELNS1_3repE0EEENS1_47radix_sort_onesweep_sort_config_static_selectorELNS0_4arch9wavefront6targetE0EEEvSK_
                                        ; -- End function
	.set _ZN7rocprim17ROCPRIM_400000_NS6detail17trampoline_kernelINS0_14default_configENS1_35radix_sort_onesweep_config_selectorIiNS0_10empty_typeEEEZZNS1_29radix_sort_onesweep_iterationIS3_Lb0EN6thrust23THRUST_200600_302600_NS6detail15normal_iteratorINS9_10device_ptrIiEEEESE_PS5_SF_jNS0_19identity_decomposerENS1_16block_id_wrapperIjLb0EEEEE10hipError_tT1_PNSt15iterator_traitsISK_E10value_typeET2_T3_PNSL_ISQ_E10value_typeET4_T5_PSV_SW_PNS1_23onesweep_lookback_stateEbbT6_jjT7_P12ihipStream_tbENKUlT_T0_SK_SP_E_clISE_PiSF_SF_EEDaS13_S14_SK_SP_EUlS13_E_NS1_11comp_targetILNS1_3genE2ELNS1_11target_archE906ELNS1_3gpuE6ELNS1_3repE0EEENS1_47radix_sort_onesweep_sort_config_static_selectorELNS0_4arch9wavefront6targetE0EEEvSK_.num_vgpr, 0
	.set _ZN7rocprim17ROCPRIM_400000_NS6detail17trampoline_kernelINS0_14default_configENS1_35radix_sort_onesweep_config_selectorIiNS0_10empty_typeEEEZZNS1_29radix_sort_onesweep_iterationIS3_Lb0EN6thrust23THRUST_200600_302600_NS6detail15normal_iteratorINS9_10device_ptrIiEEEESE_PS5_SF_jNS0_19identity_decomposerENS1_16block_id_wrapperIjLb0EEEEE10hipError_tT1_PNSt15iterator_traitsISK_E10value_typeET2_T3_PNSL_ISQ_E10value_typeET4_T5_PSV_SW_PNS1_23onesweep_lookback_stateEbbT6_jjT7_P12ihipStream_tbENKUlT_T0_SK_SP_E_clISE_PiSF_SF_EEDaS13_S14_SK_SP_EUlS13_E_NS1_11comp_targetILNS1_3genE2ELNS1_11target_archE906ELNS1_3gpuE6ELNS1_3repE0EEENS1_47radix_sort_onesweep_sort_config_static_selectorELNS0_4arch9wavefront6targetE0EEEvSK_.num_agpr, 0
	.set _ZN7rocprim17ROCPRIM_400000_NS6detail17trampoline_kernelINS0_14default_configENS1_35radix_sort_onesweep_config_selectorIiNS0_10empty_typeEEEZZNS1_29radix_sort_onesweep_iterationIS3_Lb0EN6thrust23THRUST_200600_302600_NS6detail15normal_iteratorINS9_10device_ptrIiEEEESE_PS5_SF_jNS0_19identity_decomposerENS1_16block_id_wrapperIjLb0EEEEE10hipError_tT1_PNSt15iterator_traitsISK_E10value_typeET2_T3_PNSL_ISQ_E10value_typeET4_T5_PSV_SW_PNS1_23onesweep_lookback_stateEbbT6_jjT7_P12ihipStream_tbENKUlT_T0_SK_SP_E_clISE_PiSF_SF_EEDaS13_S14_SK_SP_EUlS13_E_NS1_11comp_targetILNS1_3genE2ELNS1_11target_archE906ELNS1_3gpuE6ELNS1_3repE0EEENS1_47radix_sort_onesweep_sort_config_static_selectorELNS0_4arch9wavefront6targetE0EEEvSK_.numbered_sgpr, 0
	.set _ZN7rocprim17ROCPRIM_400000_NS6detail17trampoline_kernelINS0_14default_configENS1_35radix_sort_onesweep_config_selectorIiNS0_10empty_typeEEEZZNS1_29radix_sort_onesweep_iterationIS3_Lb0EN6thrust23THRUST_200600_302600_NS6detail15normal_iteratorINS9_10device_ptrIiEEEESE_PS5_SF_jNS0_19identity_decomposerENS1_16block_id_wrapperIjLb0EEEEE10hipError_tT1_PNSt15iterator_traitsISK_E10value_typeET2_T3_PNSL_ISQ_E10value_typeET4_T5_PSV_SW_PNS1_23onesweep_lookback_stateEbbT6_jjT7_P12ihipStream_tbENKUlT_T0_SK_SP_E_clISE_PiSF_SF_EEDaS13_S14_SK_SP_EUlS13_E_NS1_11comp_targetILNS1_3genE2ELNS1_11target_archE906ELNS1_3gpuE6ELNS1_3repE0EEENS1_47radix_sort_onesweep_sort_config_static_selectorELNS0_4arch9wavefront6targetE0EEEvSK_.num_named_barrier, 0
	.set _ZN7rocprim17ROCPRIM_400000_NS6detail17trampoline_kernelINS0_14default_configENS1_35radix_sort_onesweep_config_selectorIiNS0_10empty_typeEEEZZNS1_29radix_sort_onesweep_iterationIS3_Lb0EN6thrust23THRUST_200600_302600_NS6detail15normal_iteratorINS9_10device_ptrIiEEEESE_PS5_SF_jNS0_19identity_decomposerENS1_16block_id_wrapperIjLb0EEEEE10hipError_tT1_PNSt15iterator_traitsISK_E10value_typeET2_T3_PNSL_ISQ_E10value_typeET4_T5_PSV_SW_PNS1_23onesweep_lookback_stateEbbT6_jjT7_P12ihipStream_tbENKUlT_T0_SK_SP_E_clISE_PiSF_SF_EEDaS13_S14_SK_SP_EUlS13_E_NS1_11comp_targetILNS1_3genE2ELNS1_11target_archE906ELNS1_3gpuE6ELNS1_3repE0EEENS1_47radix_sort_onesweep_sort_config_static_selectorELNS0_4arch9wavefront6targetE0EEEvSK_.private_seg_size, 0
	.set _ZN7rocprim17ROCPRIM_400000_NS6detail17trampoline_kernelINS0_14default_configENS1_35radix_sort_onesweep_config_selectorIiNS0_10empty_typeEEEZZNS1_29radix_sort_onesweep_iterationIS3_Lb0EN6thrust23THRUST_200600_302600_NS6detail15normal_iteratorINS9_10device_ptrIiEEEESE_PS5_SF_jNS0_19identity_decomposerENS1_16block_id_wrapperIjLb0EEEEE10hipError_tT1_PNSt15iterator_traitsISK_E10value_typeET2_T3_PNSL_ISQ_E10value_typeET4_T5_PSV_SW_PNS1_23onesweep_lookback_stateEbbT6_jjT7_P12ihipStream_tbENKUlT_T0_SK_SP_E_clISE_PiSF_SF_EEDaS13_S14_SK_SP_EUlS13_E_NS1_11comp_targetILNS1_3genE2ELNS1_11target_archE906ELNS1_3gpuE6ELNS1_3repE0EEENS1_47radix_sort_onesweep_sort_config_static_selectorELNS0_4arch9wavefront6targetE0EEEvSK_.uses_vcc, 0
	.set _ZN7rocprim17ROCPRIM_400000_NS6detail17trampoline_kernelINS0_14default_configENS1_35radix_sort_onesweep_config_selectorIiNS0_10empty_typeEEEZZNS1_29radix_sort_onesweep_iterationIS3_Lb0EN6thrust23THRUST_200600_302600_NS6detail15normal_iteratorINS9_10device_ptrIiEEEESE_PS5_SF_jNS0_19identity_decomposerENS1_16block_id_wrapperIjLb0EEEEE10hipError_tT1_PNSt15iterator_traitsISK_E10value_typeET2_T3_PNSL_ISQ_E10value_typeET4_T5_PSV_SW_PNS1_23onesweep_lookback_stateEbbT6_jjT7_P12ihipStream_tbENKUlT_T0_SK_SP_E_clISE_PiSF_SF_EEDaS13_S14_SK_SP_EUlS13_E_NS1_11comp_targetILNS1_3genE2ELNS1_11target_archE906ELNS1_3gpuE6ELNS1_3repE0EEENS1_47radix_sort_onesweep_sort_config_static_selectorELNS0_4arch9wavefront6targetE0EEEvSK_.uses_flat_scratch, 0
	.set _ZN7rocprim17ROCPRIM_400000_NS6detail17trampoline_kernelINS0_14default_configENS1_35radix_sort_onesweep_config_selectorIiNS0_10empty_typeEEEZZNS1_29radix_sort_onesweep_iterationIS3_Lb0EN6thrust23THRUST_200600_302600_NS6detail15normal_iteratorINS9_10device_ptrIiEEEESE_PS5_SF_jNS0_19identity_decomposerENS1_16block_id_wrapperIjLb0EEEEE10hipError_tT1_PNSt15iterator_traitsISK_E10value_typeET2_T3_PNSL_ISQ_E10value_typeET4_T5_PSV_SW_PNS1_23onesweep_lookback_stateEbbT6_jjT7_P12ihipStream_tbENKUlT_T0_SK_SP_E_clISE_PiSF_SF_EEDaS13_S14_SK_SP_EUlS13_E_NS1_11comp_targetILNS1_3genE2ELNS1_11target_archE906ELNS1_3gpuE6ELNS1_3repE0EEENS1_47radix_sort_onesweep_sort_config_static_selectorELNS0_4arch9wavefront6targetE0EEEvSK_.has_dyn_sized_stack, 0
	.set _ZN7rocprim17ROCPRIM_400000_NS6detail17trampoline_kernelINS0_14default_configENS1_35radix_sort_onesweep_config_selectorIiNS0_10empty_typeEEEZZNS1_29radix_sort_onesweep_iterationIS3_Lb0EN6thrust23THRUST_200600_302600_NS6detail15normal_iteratorINS9_10device_ptrIiEEEESE_PS5_SF_jNS0_19identity_decomposerENS1_16block_id_wrapperIjLb0EEEEE10hipError_tT1_PNSt15iterator_traitsISK_E10value_typeET2_T3_PNSL_ISQ_E10value_typeET4_T5_PSV_SW_PNS1_23onesweep_lookback_stateEbbT6_jjT7_P12ihipStream_tbENKUlT_T0_SK_SP_E_clISE_PiSF_SF_EEDaS13_S14_SK_SP_EUlS13_E_NS1_11comp_targetILNS1_3genE2ELNS1_11target_archE906ELNS1_3gpuE6ELNS1_3repE0EEENS1_47radix_sort_onesweep_sort_config_static_selectorELNS0_4arch9wavefront6targetE0EEEvSK_.has_recursion, 0
	.set _ZN7rocprim17ROCPRIM_400000_NS6detail17trampoline_kernelINS0_14default_configENS1_35radix_sort_onesweep_config_selectorIiNS0_10empty_typeEEEZZNS1_29radix_sort_onesweep_iterationIS3_Lb0EN6thrust23THRUST_200600_302600_NS6detail15normal_iteratorINS9_10device_ptrIiEEEESE_PS5_SF_jNS0_19identity_decomposerENS1_16block_id_wrapperIjLb0EEEEE10hipError_tT1_PNSt15iterator_traitsISK_E10value_typeET2_T3_PNSL_ISQ_E10value_typeET4_T5_PSV_SW_PNS1_23onesweep_lookback_stateEbbT6_jjT7_P12ihipStream_tbENKUlT_T0_SK_SP_E_clISE_PiSF_SF_EEDaS13_S14_SK_SP_EUlS13_E_NS1_11comp_targetILNS1_3genE2ELNS1_11target_archE906ELNS1_3gpuE6ELNS1_3repE0EEENS1_47radix_sort_onesweep_sort_config_static_selectorELNS0_4arch9wavefront6targetE0EEEvSK_.has_indirect_call, 0
	.section	.AMDGPU.csdata,"",@progbits
; Kernel info:
; codeLenInByte = 0
; TotalNumSgprs: 0
; NumVgprs: 0
; ScratchSize: 0
; MemoryBound: 0
; FloatMode: 240
; IeeeMode: 1
; LDSByteSize: 0 bytes/workgroup (compile time only)
; SGPRBlocks: 0
; VGPRBlocks: 0
; NumSGPRsForWavesPerEU: 1
; NumVGPRsForWavesPerEU: 1
; Occupancy: 16
; WaveLimiterHint : 0
; COMPUTE_PGM_RSRC2:SCRATCH_EN: 0
; COMPUTE_PGM_RSRC2:USER_SGPR: 6
; COMPUTE_PGM_RSRC2:TRAP_HANDLER: 0
; COMPUTE_PGM_RSRC2:TGID_X_EN: 1
; COMPUTE_PGM_RSRC2:TGID_Y_EN: 0
; COMPUTE_PGM_RSRC2:TGID_Z_EN: 0
; COMPUTE_PGM_RSRC2:TIDIG_COMP_CNT: 0
	.section	.text._ZN7rocprim17ROCPRIM_400000_NS6detail17trampoline_kernelINS0_14default_configENS1_35radix_sort_onesweep_config_selectorIiNS0_10empty_typeEEEZZNS1_29radix_sort_onesweep_iterationIS3_Lb0EN6thrust23THRUST_200600_302600_NS6detail15normal_iteratorINS9_10device_ptrIiEEEESE_PS5_SF_jNS0_19identity_decomposerENS1_16block_id_wrapperIjLb0EEEEE10hipError_tT1_PNSt15iterator_traitsISK_E10value_typeET2_T3_PNSL_ISQ_E10value_typeET4_T5_PSV_SW_PNS1_23onesweep_lookback_stateEbbT6_jjT7_P12ihipStream_tbENKUlT_T0_SK_SP_E_clISE_PiSF_SF_EEDaS13_S14_SK_SP_EUlS13_E_NS1_11comp_targetILNS1_3genE4ELNS1_11target_archE910ELNS1_3gpuE8ELNS1_3repE0EEENS1_47radix_sort_onesweep_sort_config_static_selectorELNS0_4arch9wavefront6targetE0EEEvSK_,"axG",@progbits,_ZN7rocprim17ROCPRIM_400000_NS6detail17trampoline_kernelINS0_14default_configENS1_35radix_sort_onesweep_config_selectorIiNS0_10empty_typeEEEZZNS1_29radix_sort_onesweep_iterationIS3_Lb0EN6thrust23THRUST_200600_302600_NS6detail15normal_iteratorINS9_10device_ptrIiEEEESE_PS5_SF_jNS0_19identity_decomposerENS1_16block_id_wrapperIjLb0EEEEE10hipError_tT1_PNSt15iterator_traitsISK_E10value_typeET2_T3_PNSL_ISQ_E10value_typeET4_T5_PSV_SW_PNS1_23onesweep_lookback_stateEbbT6_jjT7_P12ihipStream_tbENKUlT_T0_SK_SP_E_clISE_PiSF_SF_EEDaS13_S14_SK_SP_EUlS13_E_NS1_11comp_targetILNS1_3genE4ELNS1_11target_archE910ELNS1_3gpuE8ELNS1_3repE0EEENS1_47radix_sort_onesweep_sort_config_static_selectorELNS0_4arch9wavefront6targetE0EEEvSK_,comdat
	.protected	_ZN7rocprim17ROCPRIM_400000_NS6detail17trampoline_kernelINS0_14default_configENS1_35radix_sort_onesweep_config_selectorIiNS0_10empty_typeEEEZZNS1_29radix_sort_onesweep_iterationIS3_Lb0EN6thrust23THRUST_200600_302600_NS6detail15normal_iteratorINS9_10device_ptrIiEEEESE_PS5_SF_jNS0_19identity_decomposerENS1_16block_id_wrapperIjLb0EEEEE10hipError_tT1_PNSt15iterator_traitsISK_E10value_typeET2_T3_PNSL_ISQ_E10value_typeET4_T5_PSV_SW_PNS1_23onesweep_lookback_stateEbbT6_jjT7_P12ihipStream_tbENKUlT_T0_SK_SP_E_clISE_PiSF_SF_EEDaS13_S14_SK_SP_EUlS13_E_NS1_11comp_targetILNS1_3genE4ELNS1_11target_archE910ELNS1_3gpuE8ELNS1_3repE0EEENS1_47radix_sort_onesweep_sort_config_static_selectorELNS0_4arch9wavefront6targetE0EEEvSK_ ; -- Begin function _ZN7rocprim17ROCPRIM_400000_NS6detail17trampoline_kernelINS0_14default_configENS1_35radix_sort_onesweep_config_selectorIiNS0_10empty_typeEEEZZNS1_29radix_sort_onesweep_iterationIS3_Lb0EN6thrust23THRUST_200600_302600_NS6detail15normal_iteratorINS9_10device_ptrIiEEEESE_PS5_SF_jNS0_19identity_decomposerENS1_16block_id_wrapperIjLb0EEEEE10hipError_tT1_PNSt15iterator_traitsISK_E10value_typeET2_T3_PNSL_ISQ_E10value_typeET4_T5_PSV_SW_PNS1_23onesweep_lookback_stateEbbT6_jjT7_P12ihipStream_tbENKUlT_T0_SK_SP_E_clISE_PiSF_SF_EEDaS13_S14_SK_SP_EUlS13_E_NS1_11comp_targetILNS1_3genE4ELNS1_11target_archE910ELNS1_3gpuE8ELNS1_3repE0EEENS1_47radix_sort_onesweep_sort_config_static_selectorELNS0_4arch9wavefront6targetE0EEEvSK_
	.globl	_ZN7rocprim17ROCPRIM_400000_NS6detail17trampoline_kernelINS0_14default_configENS1_35radix_sort_onesweep_config_selectorIiNS0_10empty_typeEEEZZNS1_29radix_sort_onesweep_iterationIS3_Lb0EN6thrust23THRUST_200600_302600_NS6detail15normal_iteratorINS9_10device_ptrIiEEEESE_PS5_SF_jNS0_19identity_decomposerENS1_16block_id_wrapperIjLb0EEEEE10hipError_tT1_PNSt15iterator_traitsISK_E10value_typeET2_T3_PNSL_ISQ_E10value_typeET4_T5_PSV_SW_PNS1_23onesweep_lookback_stateEbbT6_jjT7_P12ihipStream_tbENKUlT_T0_SK_SP_E_clISE_PiSF_SF_EEDaS13_S14_SK_SP_EUlS13_E_NS1_11comp_targetILNS1_3genE4ELNS1_11target_archE910ELNS1_3gpuE8ELNS1_3repE0EEENS1_47radix_sort_onesweep_sort_config_static_selectorELNS0_4arch9wavefront6targetE0EEEvSK_
	.p2align	8
	.type	_ZN7rocprim17ROCPRIM_400000_NS6detail17trampoline_kernelINS0_14default_configENS1_35radix_sort_onesweep_config_selectorIiNS0_10empty_typeEEEZZNS1_29radix_sort_onesweep_iterationIS3_Lb0EN6thrust23THRUST_200600_302600_NS6detail15normal_iteratorINS9_10device_ptrIiEEEESE_PS5_SF_jNS0_19identity_decomposerENS1_16block_id_wrapperIjLb0EEEEE10hipError_tT1_PNSt15iterator_traitsISK_E10value_typeET2_T3_PNSL_ISQ_E10value_typeET4_T5_PSV_SW_PNS1_23onesweep_lookback_stateEbbT6_jjT7_P12ihipStream_tbENKUlT_T0_SK_SP_E_clISE_PiSF_SF_EEDaS13_S14_SK_SP_EUlS13_E_NS1_11comp_targetILNS1_3genE4ELNS1_11target_archE910ELNS1_3gpuE8ELNS1_3repE0EEENS1_47radix_sort_onesweep_sort_config_static_selectorELNS0_4arch9wavefront6targetE0EEEvSK_,@function
_ZN7rocprim17ROCPRIM_400000_NS6detail17trampoline_kernelINS0_14default_configENS1_35radix_sort_onesweep_config_selectorIiNS0_10empty_typeEEEZZNS1_29radix_sort_onesweep_iterationIS3_Lb0EN6thrust23THRUST_200600_302600_NS6detail15normal_iteratorINS9_10device_ptrIiEEEESE_PS5_SF_jNS0_19identity_decomposerENS1_16block_id_wrapperIjLb0EEEEE10hipError_tT1_PNSt15iterator_traitsISK_E10value_typeET2_T3_PNSL_ISQ_E10value_typeET4_T5_PSV_SW_PNS1_23onesweep_lookback_stateEbbT6_jjT7_P12ihipStream_tbENKUlT_T0_SK_SP_E_clISE_PiSF_SF_EEDaS13_S14_SK_SP_EUlS13_E_NS1_11comp_targetILNS1_3genE4ELNS1_11target_archE910ELNS1_3gpuE8ELNS1_3repE0EEENS1_47radix_sort_onesweep_sort_config_static_selectorELNS0_4arch9wavefront6targetE0EEEvSK_: ; @_ZN7rocprim17ROCPRIM_400000_NS6detail17trampoline_kernelINS0_14default_configENS1_35radix_sort_onesweep_config_selectorIiNS0_10empty_typeEEEZZNS1_29radix_sort_onesweep_iterationIS3_Lb0EN6thrust23THRUST_200600_302600_NS6detail15normal_iteratorINS9_10device_ptrIiEEEESE_PS5_SF_jNS0_19identity_decomposerENS1_16block_id_wrapperIjLb0EEEEE10hipError_tT1_PNSt15iterator_traitsISK_E10value_typeET2_T3_PNSL_ISQ_E10value_typeET4_T5_PSV_SW_PNS1_23onesweep_lookback_stateEbbT6_jjT7_P12ihipStream_tbENKUlT_T0_SK_SP_E_clISE_PiSF_SF_EEDaS13_S14_SK_SP_EUlS13_E_NS1_11comp_targetILNS1_3genE4ELNS1_11target_archE910ELNS1_3gpuE8ELNS1_3repE0EEENS1_47radix_sort_onesweep_sort_config_static_selectorELNS0_4arch9wavefront6targetE0EEEvSK_
; %bb.0:
	.section	.rodata,"a",@progbits
	.p2align	6, 0x0
	.amdhsa_kernel _ZN7rocprim17ROCPRIM_400000_NS6detail17trampoline_kernelINS0_14default_configENS1_35radix_sort_onesweep_config_selectorIiNS0_10empty_typeEEEZZNS1_29radix_sort_onesweep_iterationIS3_Lb0EN6thrust23THRUST_200600_302600_NS6detail15normal_iteratorINS9_10device_ptrIiEEEESE_PS5_SF_jNS0_19identity_decomposerENS1_16block_id_wrapperIjLb0EEEEE10hipError_tT1_PNSt15iterator_traitsISK_E10value_typeET2_T3_PNSL_ISQ_E10value_typeET4_T5_PSV_SW_PNS1_23onesweep_lookback_stateEbbT6_jjT7_P12ihipStream_tbENKUlT_T0_SK_SP_E_clISE_PiSF_SF_EEDaS13_S14_SK_SP_EUlS13_E_NS1_11comp_targetILNS1_3genE4ELNS1_11target_archE910ELNS1_3gpuE8ELNS1_3repE0EEENS1_47radix_sort_onesweep_sort_config_static_selectorELNS0_4arch9wavefront6targetE0EEEvSK_
		.amdhsa_group_segment_fixed_size 0
		.amdhsa_private_segment_fixed_size 0
		.amdhsa_kernarg_size 88
		.amdhsa_user_sgpr_count 6
		.amdhsa_user_sgpr_private_segment_buffer 1
		.amdhsa_user_sgpr_dispatch_ptr 0
		.amdhsa_user_sgpr_queue_ptr 0
		.amdhsa_user_sgpr_kernarg_segment_ptr 1
		.amdhsa_user_sgpr_dispatch_id 0
		.amdhsa_user_sgpr_flat_scratch_init 0
		.amdhsa_user_sgpr_private_segment_size 0
		.amdhsa_wavefront_size32 1
		.amdhsa_uses_dynamic_stack 0
		.amdhsa_system_sgpr_private_segment_wavefront_offset 0
		.amdhsa_system_sgpr_workgroup_id_x 1
		.amdhsa_system_sgpr_workgroup_id_y 0
		.amdhsa_system_sgpr_workgroup_id_z 0
		.amdhsa_system_sgpr_workgroup_info 0
		.amdhsa_system_vgpr_workitem_id 0
		.amdhsa_next_free_vgpr 1
		.amdhsa_next_free_sgpr 1
		.amdhsa_reserve_vcc 0
		.amdhsa_reserve_flat_scratch 0
		.amdhsa_float_round_mode_32 0
		.amdhsa_float_round_mode_16_64 0
		.amdhsa_float_denorm_mode_32 3
		.amdhsa_float_denorm_mode_16_64 3
		.amdhsa_dx10_clamp 1
		.amdhsa_ieee_mode 1
		.amdhsa_fp16_overflow 0
		.amdhsa_workgroup_processor_mode 1
		.amdhsa_memory_ordered 1
		.amdhsa_forward_progress 1
		.amdhsa_shared_vgpr_count 0
		.amdhsa_exception_fp_ieee_invalid_op 0
		.amdhsa_exception_fp_denorm_src 0
		.amdhsa_exception_fp_ieee_div_zero 0
		.amdhsa_exception_fp_ieee_overflow 0
		.amdhsa_exception_fp_ieee_underflow 0
		.amdhsa_exception_fp_ieee_inexact 0
		.amdhsa_exception_int_div_zero 0
	.end_amdhsa_kernel
	.section	.text._ZN7rocprim17ROCPRIM_400000_NS6detail17trampoline_kernelINS0_14default_configENS1_35radix_sort_onesweep_config_selectorIiNS0_10empty_typeEEEZZNS1_29radix_sort_onesweep_iterationIS3_Lb0EN6thrust23THRUST_200600_302600_NS6detail15normal_iteratorINS9_10device_ptrIiEEEESE_PS5_SF_jNS0_19identity_decomposerENS1_16block_id_wrapperIjLb0EEEEE10hipError_tT1_PNSt15iterator_traitsISK_E10value_typeET2_T3_PNSL_ISQ_E10value_typeET4_T5_PSV_SW_PNS1_23onesweep_lookback_stateEbbT6_jjT7_P12ihipStream_tbENKUlT_T0_SK_SP_E_clISE_PiSF_SF_EEDaS13_S14_SK_SP_EUlS13_E_NS1_11comp_targetILNS1_3genE4ELNS1_11target_archE910ELNS1_3gpuE8ELNS1_3repE0EEENS1_47radix_sort_onesweep_sort_config_static_selectorELNS0_4arch9wavefront6targetE0EEEvSK_,"axG",@progbits,_ZN7rocprim17ROCPRIM_400000_NS6detail17trampoline_kernelINS0_14default_configENS1_35radix_sort_onesweep_config_selectorIiNS0_10empty_typeEEEZZNS1_29radix_sort_onesweep_iterationIS3_Lb0EN6thrust23THRUST_200600_302600_NS6detail15normal_iteratorINS9_10device_ptrIiEEEESE_PS5_SF_jNS0_19identity_decomposerENS1_16block_id_wrapperIjLb0EEEEE10hipError_tT1_PNSt15iterator_traitsISK_E10value_typeET2_T3_PNSL_ISQ_E10value_typeET4_T5_PSV_SW_PNS1_23onesweep_lookback_stateEbbT6_jjT7_P12ihipStream_tbENKUlT_T0_SK_SP_E_clISE_PiSF_SF_EEDaS13_S14_SK_SP_EUlS13_E_NS1_11comp_targetILNS1_3genE4ELNS1_11target_archE910ELNS1_3gpuE8ELNS1_3repE0EEENS1_47radix_sort_onesweep_sort_config_static_selectorELNS0_4arch9wavefront6targetE0EEEvSK_,comdat
.Lfunc_end199:
	.size	_ZN7rocprim17ROCPRIM_400000_NS6detail17trampoline_kernelINS0_14default_configENS1_35radix_sort_onesweep_config_selectorIiNS0_10empty_typeEEEZZNS1_29radix_sort_onesweep_iterationIS3_Lb0EN6thrust23THRUST_200600_302600_NS6detail15normal_iteratorINS9_10device_ptrIiEEEESE_PS5_SF_jNS0_19identity_decomposerENS1_16block_id_wrapperIjLb0EEEEE10hipError_tT1_PNSt15iterator_traitsISK_E10value_typeET2_T3_PNSL_ISQ_E10value_typeET4_T5_PSV_SW_PNS1_23onesweep_lookback_stateEbbT6_jjT7_P12ihipStream_tbENKUlT_T0_SK_SP_E_clISE_PiSF_SF_EEDaS13_S14_SK_SP_EUlS13_E_NS1_11comp_targetILNS1_3genE4ELNS1_11target_archE910ELNS1_3gpuE8ELNS1_3repE0EEENS1_47radix_sort_onesweep_sort_config_static_selectorELNS0_4arch9wavefront6targetE0EEEvSK_, .Lfunc_end199-_ZN7rocprim17ROCPRIM_400000_NS6detail17trampoline_kernelINS0_14default_configENS1_35radix_sort_onesweep_config_selectorIiNS0_10empty_typeEEEZZNS1_29radix_sort_onesweep_iterationIS3_Lb0EN6thrust23THRUST_200600_302600_NS6detail15normal_iteratorINS9_10device_ptrIiEEEESE_PS5_SF_jNS0_19identity_decomposerENS1_16block_id_wrapperIjLb0EEEEE10hipError_tT1_PNSt15iterator_traitsISK_E10value_typeET2_T3_PNSL_ISQ_E10value_typeET4_T5_PSV_SW_PNS1_23onesweep_lookback_stateEbbT6_jjT7_P12ihipStream_tbENKUlT_T0_SK_SP_E_clISE_PiSF_SF_EEDaS13_S14_SK_SP_EUlS13_E_NS1_11comp_targetILNS1_3genE4ELNS1_11target_archE910ELNS1_3gpuE8ELNS1_3repE0EEENS1_47radix_sort_onesweep_sort_config_static_selectorELNS0_4arch9wavefront6targetE0EEEvSK_
                                        ; -- End function
	.set _ZN7rocprim17ROCPRIM_400000_NS6detail17trampoline_kernelINS0_14default_configENS1_35radix_sort_onesweep_config_selectorIiNS0_10empty_typeEEEZZNS1_29radix_sort_onesweep_iterationIS3_Lb0EN6thrust23THRUST_200600_302600_NS6detail15normal_iteratorINS9_10device_ptrIiEEEESE_PS5_SF_jNS0_19identity_decomposerENS1_16block_id_wrapperIjLb0EEEEE10hipError_tT1_PNSt15iterator_traitsISK_E10value_typeET2_T3_PNSL_ISQ_E10value_typeET4_T5_PSV_SW_PNS1_23onesweep_lookback_stateEbbT6_jjT7_P12ihipStream_tbENKUlT_T0_SK_SP_E_clISE_PiSF_SF_EEDaS13_S14_SK_SP_EUlS13_E_NS1_11comp_targetILNS1_3genE4ELNS1_11target_archE910ELNS1_3gpuE8ELNS1_3repE0EEENS1_47radix_sort_onesweep_sort_config_static_selectorELNS0_4arch9wavefront6targetE0EEEvSK_.num_vgpr, 0
	.set _ZN7rocprim17ROCPRIM_400000_NS6detail17trampoline_kernelINS0_14default_configENS1_35radix_sort_onesweep_config_selectorIiNS0_10empty_typeEEEZZNS1_29radix_sort_onesweep_iterationIS3_Lb0EN6thrust23THRUST_200600_302600_NS6detail15normal_iteratorINS9_10device_ptrIiEEEESE_PS5_SF_jNS0_19identity_decomposerENS1_16block_id_wrapperIjLb0EEEEE10hipError_tT1_PNSt15iterator_traitsISK_E10value_typeET2_T3_PNSL_ISQ_E10value_typeET4_T5_PSV_SW_PNS1_23onesweep_lookback_stateEbbT6_jjT7_P12ihipStream_tbENKUlT_T0_SK_SP_E_clISE_PiSF_SF_EEDaS13_S14_SK_SP_EUlS13_E_NS1_11comp_targetILNS1_3genE4ELNS1_11target_archE910ELNS1_3gpuE8ELNS1_3repE0EEENS1_47radix_sort_onesweep_sort_config_static_selectorELNS0_4arch9wavefront6targetE0EEEvSK_.num_agpr, 0
	.set _ZN7rocprim17ROCPRIM_400000_NS6detail17trampoline_kernelINS0_14default_configENS1_35radix_sort_onesweep_config_selectorIiNS0_10empty_typeEEEZZNS1_29radix_sort_onesweep_iterationIS3_Lb0EN6thrust23THRUST_200600_302600_NS6detail15normal_iteratorINS9_10device_ptrIiEEEESE_PS5_SF_jNS0_19identity_decomposerENS1_16block_id_wrapperIjLb0EEEEE10hipError_tT1_PNSt15iterator_traitsISK_E10value_typeET2_T3_PNSL_ISQ_E10value_typeET4_T5_PSV_SW_PNS1_23onesweep_lookback_stateEbbT6_jjT7_P12ihipStream_tbENKUlT_T0_SK_SP_E_clISE_PiSF_SF_EEDaS13_S14_SK_SP_EUlS13_E_NS1_11comp_targetILNS1_3genE4ELNS1_11target_archE910ELNS1_3gpuE8ELNS1_3repE0EEENS1_47radix_sort_onesweep_sort_config_static_selectorELNS0_4arch9wavefront6targetE0EEEvSK_.numbered_sgpr, 0
	.set _ZN7rocprim17ROCPRIM_400000_NS6detail17trampoline_kernelINS0_14default_configENS1_35radix_sort_onesweep_config_selectorIiNS0_10empty_typeEEEZZNS1_29radix_sort_onesweep_iterationIS3_Lb0EN6thrust23THRUST_200600_302600_NS6detail15normal_iteratorINS9_10device_ptrIiEEEESE_PS5_SF_jNS0_19identity_decomposerENS1_16block_id_wrapperIjLb0EEEEE10hipError_tT1_PNSt15iterator_traitsISK_E10value_typeET2_T3_PNSL_ISQ_E10value_typeET4_T5_PSV_SW_PNS1_23onesweep_lookback_stateEbbT6_jjT7_P12ihipStream_tbENKUlT_T0_SK_SP_E_clISE_PiSF_SF_EEDaS13_S14_SK_SP_EUlS13_E_NS1_11comp_targetILNS1_3genE4ELNS1_11target_archE910ELNS1_3gpuE8ELNS1_3repE0EEENS1_47radix_sort_onesweep_sort_config_static_selectorELNS0_4arch9wavefront6targetE0EEEvSK_.num_named_barrier, 0
	.set _ZN7rocprim17ROCPRIM_400000_NS6detail17trampoline_kernelINS0_14default_configENS1_35radix_sort_onesweep_config_selectorIiNS0_10empty_typeEEEZZNS1_29radix_sort_onesweep_iterationIS3_Lb0EN6thrust23THRUST_200600_302600_NS6detail15normal_iteratorINS9_10device_ptrIiEEEESE_PS5_SF_jNS0_19identity_decomposerENS1_16block_id_wrapperIjLb0EEEEE10hipError_tT1_PNSt15iterator_traitsISK_E10value_typeET2_T3_PNSL_ISQ_E10value_typeET4_T5_PSV_SW_PNS1_23onesweep_lookback_stateEbbT6_jjT7_P12ihipStream_tbENKUlT_T0_SK_SP_E_clISE_PiSF_SF_EEDaS13_S14_SK_SP_EUlS13_E_NS1_11comp_targetILNS1_3genE4ELNS1_11target_archE910ELNS1_3gpuE8ELNS1_3repE0EEENS1_47radix_sort_onesweep_sort_config_static_selectorELNS0_4arch9wavefront6targetE0EEEvSK_.private_seg_size, 0
	.set _ZN7rocprim17ROCPRIM_400000_NS6detail17trampoline_kernelINS0_14default_configENS1_35radix_sort_onesweep_config_selectorIiNS0_10empty_typeEEEZZNS1_29radix_sort_onesweep_iterationIS3_Lb0EN6thrust23THRUST_200600_302600_NS6detail15normal_iteratorINS9_10device_ptrIiEEEESE_PS5_SF_jNS0_19identity_decomposerENS1_16block_id_wrapperIjLb0EEEEE10hipError_tT1_PNSt15iterator_traitsISK_E10value_typeET2_T3_PNSL_ISQ_E10value_typeET4_T5_PSV_SW_PNS1_23onesweep_lookback_stateEbbT6_jjT7_P12ihipStream_tbENKUlT_T0_SK_SP_E_clISE_PiSF_SF_EEDaS13_S14_SK_SP_EUlS13_E_NS1_11comp_targetILNS1_3genE4ELNS1_11target_archE910ELNS1_3gpuE8ELNS1_3repE0EEENS1_47radix_sort_onesweep_sort_config_static_selectorELNS0_4arch9wavefront6targetE0EEEvSK_.uses_vcc, 0
	.set _ZN7rocprim17ROCPRIM_400000_NS6detail17trampoline_kernelINS0_14default_configENS1_35radix_sort_onesweep_config_selectorIiNS0_10empty_typeEEEZZNS1_29radix_sort_onesweep_iterationIS3_Lb0EN6thrust23THRUST_200600_302600_NS6detail15normal_iteratorINS9_10device_ptrIiEEEESE_PS5_SF_jNS0_19identity_decomposerENS1_16block_id_wrapperIjLb0EEEEE10hipError_tT1_PNSt15iterator_traitsISK_E10value_typeET2_T3_PNSL_ISQ_E10value_typeET4_T5_PSV_SW_PNS1_23onesweep_lookback_stateEbbT6_jjT7_P12ihipStream_tbENKUlT_T0_SK_SP_E_clISE_PiSF_SF_EEDaS13_S14_SK_SP_EUlS13_E_NS1_11comp_targetILNS1_3genE4ELNS1_11target_archE910ELNS1_3gpuE8ELNS1_3repE0EEENS1_47radix_sort_onesweep_sort_config_static_selectorELNS0_4arch9wavefront6targetE0EEEvSK_.uses_flat_scratch, 0
	.set _ZN7rocprim17ROCPRIM_400000_NS6detail17trampoline_kernelINS0_14default_configENS1_35radix_sort_onesweep_config_selectorIiNS0_10empty_typeEEEZZNS1_29radix_sort_onesweep_iterationIS3_Lb0EN6thrust23THRUST_200600_302600_NS6detail15normal_iteratorINS9_10device_ptrIiEEEESE_PS5_SF_jNS0_19identity_decomposerENS1_16block_id_wrapperIjLb0EEEEE10hipError_tT1_PNSt15iterator_traitsISK_E10value_typeET2_T3_PNSL_ISQ_E10value_typeET4_T5_PSV_SW_PNS1_23onesweep_lookback_stateEbbT6_jjT7_P12ihipStream_tbENKUlT_T0_SK_SP_E_clISE_PiSF_SF_EEDaS13_S14_SK_SP_EUlS13_E_NS1_11comp_targetILNS1_3genE4ELNS1_11target_archE910ELNS1_3gpuE8ELNS1_3repE0EEENS1_47radix_sort_onesweep_sort_config_static_selectorELNS0_4arch9wavefront6targetE0EEEvSK_.has_dyn_sized_stack, 0
	.set _ZN7rocprim17ROCPRIM_400000_NS6detail17trampoline_kernelINS0_14default_configENS1_35radix_sort_onesweep_config_selectorIiNS0_10empty_typeEEEZZNS1_29radix_sort_onesweep_iterationIS3_Lb0EN6thrust23THRUST_200600_302600_NS6detail15normal_iteratorINS9_10device_ptrIiEEEESE_PS5_SF_jNS0_19identity_decomposerENS1_16block_id_wrapperIjLb0EEEEE10hipError_tT1_PNSt15iterator_traitsISK_E10value_typeET2_T3_PNSL_ISQ_E10value_typeET4_T5_PSV_SW_PNS1_23onesweep_lookback_stateEbbT6_jjT7_P12ihipStream_tbENKUlT_T0_SK_SP_E_clISE_PiSF_SF_EEDaS13_S14_SK_SP_EUlS13_E_NS1_11comp_targetILNS1_3genE4ELNS1_11target_archE910ELNS1_3gpuE8ELNS1_3repE0EEENS1_47radix_sort_onesweep_sort_config_static_selectorELNS0_4arch9wavefront6targetE0EEEvSK_.has_recursion, 0
	.set _ZN7rocprim17ROCPRIM_400000_NS6detail17trampoline_kernelINS0_14default_configENS1_35radix_sort_onesweep_config_selectorIiNS0_10empty_typeEEEZZNS1_29radix_sort_onesweep_iterationIS3_Lb0EN6thrust23THRUST_200600_302600_NS6detail15normal_iteratorINS9_10device_ptrIiEEEESE_PS5_SF_jNS0_19identity_decomposerENS1_16block_id_wrapperIjLb0EEEEE10hipError_tT1_PNSt15iterator_traitsISK_E10value_typeET2_T3_PNSL_ISQ_E10value_typeET4_T5_PSV_SW_PNS1_23onesweep_lookback_stateEbbT6_jjT7_P12ihipStream_tbENKUlT_T0_SK_SP_E_clISE_PiSF_SF_EEDaS13_S14_SK_SP_EUlS13_E_NS1_11comp_targetILNS1_3genE4ELNS1_11target_archE910ELNS1_3gpuE8ELNS1_3repE0EEENS1_47radix_sort_onesweep_sort_config_static_selectorELNS0_4arch9wavefront6targetE0EEEvSK_.has_indirect_call, 0
	.section	.AMDGPU.csdata,"",@progbits
; Kernel info:
; codeLenInByte = 0
; TotalNumSgprs: 0
; NumVgprs: 0
; ScratchSize: 0
; MemoryBound: 0
; FloatMode: 240
; IeeeMode: 1
; LDSByteSize: 0 bytes/workgroup (compile time only)
; SGPRBlocks: 0
; VGPRBlocks: 0
; NumSGPRsForWavesPerEU: 1
; NumVGPRsForWavesPerEU: 1
; Occupancy: 16
; WaveLimiterHint : 0
; COMPUTE_PGM_RSRC2:SCRATCH_EN: 0
; COMPUTE_PGM_RSRC2:USER_SGPR: 6
; COMPUTE_PGM_RSRC2:TRAP_HANDLER: 0
; COMPUTE_PGM_RSRC2:TGID_X_EN: 1
; COMPUTE_PGM_RSRC2:TGID_Y_EN: 0
; COMPUTE_PGM_RSRC2:TGID_Z_EN: 0
; COMPUTE_PGM_RSRC2:TIDIG_COMP_CNT: 0
	.section	.text._ZN7rocprim17ROCPRIM_400000_NS6detail17trampoline_kernelINS0_14default_configENS1_35radix_sort_onesweep_config_selectorIiNS0_10empty_typeEEEZZNS1_29radix_sort_onesweep_iterationIS3_Lb0EN6thrust23THRUST_200600_302600_NS6detail15normal_iteratorINS9_10device_ptrIiEEEESE_PS5_SF_jNS0_19identity_decomposerENS1_16block_id_wrapperIjLb0EEEEE10hipError_tT1_PNSt15iterator_traitsISK_E10value_typeET2_T3_PNSL_ISQ_E10value_typeET4_T5_PSV_SW_PNS1_23onesweep_lookback_stateEbbT6_jjT7_P12ihipStream_tbENKUlT_T0_SK_SP_E_clISE_PiSF_SF_EEDaS13_S14_SK_SP_EUlS13_E_NS1_11comp_targetILNS1_3genE3ELNS1_11target_archE908ELNS1_3gpuE7ELNS1_3repE0EEENS1_47radix_sort_onesweep_sort_config_static_selectorELNS0_4arch9wavefront6targetE0EEEvSK_,"axG",@progbits,_ZN7rocprim17ROCPRIM_400000_NS6detail17trampoline_kernelINS0_14default_configENS1_35radix_sort_onesweep_config_selectorIiNS0_10empty_typeEEEZZNS1_29radix_sort_onesweep_iterationIS3_Lb0EN6thrust23THRUST_200600_302600_NS6detail15normal_iteratorINS9_10device_ptrIiEEEESE_PS5_SF_jNS0_19identity_decomposerENS1_16block_id_wrapperIjLb0EEEEE10hipError_tT1_PNSt15iterator_traitsISK_E10value_typeET2_T3_PNSL_ISQ_E10value_typeET4_T5_PSV_SW_PNS1_23onesweep_lookback_stateEbbT6_jjT7_P12ihipStream_tbENKUlT_T0_SK_SP_E_clISE_PiSF_SF_EEDaS13_S14_SK_SP_EUlS13_E_NS1_11comp_targetILNS1_3genE3ELNS1_11target_archE908ELNS1_3gpuE7ELNS1_3repE0EEENS1_47radix_sort_onesweep_sort_config_static_selectorELNS0_4arch9wavefront6targetE0EEEvSK_,comdat
	.protected	_ZN7rocprim17ROCPRIM_400000_NS6detail17trampoline_kernelINS0_14default_configENS1_35radix_sort_onesweep_config_selectorIiNS0_10empty_typeEEEZZNS1_29radix_sort_onesweep_iterationIS3_Lb0EN6thrust23THRUST_200600_302600_NS6detail15normal_iteratorINS9_10device_ptrIiEEEESE_PS5_SF_jNS0_19identity_decomposerENS1_16block_id_wrapperIjLb0EEEEE10hipError_tT1_PNSt15iterator_traitsISK_E10value_typeET2_T3_PNSL_ISQ_E10value_typeET4_T5_PSV_SW_PNS1_23onesweep_lookback_stateEbbT6_jjT7_P12ihipStream_tbENKUlT_T0_SK_SP_E_clISE_PiSF_SF_EEDaS13_S14_SK_SP_EUlS13_E_NS1_11comp_targetILNS1_3genE3ELNS1_11target_archE908ELNS1_3gpuE7ELNS1_3repE0EEENS1_47radix_sort_onesweep_sort_config_static_selectorELNS0_4arch9wavefront6targetE0EEEvSK_ ; -- Begin function _ZN7rocprim17ROCPRIM_400000_NS6detail17trampoline_kernelINS0_14default_configENS1_35radix_sort_onesweep_config_selectorIiNS0_10empty_typeEEEZZNS1_29radix_sort_onesweep_iterationIS3_Lb0EN6thrust23THRUST_200600_302600_NS6detail15normal_iteratorINS9_10device_ptrIiEEEESE_PS5_SF_jNS0_19identity_decomposerENS1_16block_id_wrapperIjLb0EEEEE10hipError_tT1_PNSt15iterator_traitsISK_E10value_typeET2_T3_PNSL_ISQ_E10value_typeET4_T5_PSV_SW_PNS1_23onesweep_lookback_stateEbbT6_jjT7_P12ihipStream_tbENKUlT_T0_SK_SP_E_clISE_PiSF_SF_EEDaS13_S14_SK_SP_EUlS13_E_NS1_11comp_targetILNS1_3genE3ELNS1_11target_archE908ELNS1_3gpuE7ELNS1_3repE0EEENS1_47radix_sort_onesweep_sort_config_static_selectorELNS0_4arch9wavefront6targetE0EEEvSK_
	.globl	_ZN7rocprim17ROCPRIM_400000_NS6detail17trampoline_kernelINS0_14default_configENS1_35radix_sort_onesweep_config_selectorIiNS0_10empty_typeEEEZZNS1_29radix_sort_onesweep_iterationIS3_Lb0EN6thrust23THRUST_200600_302600_NS6detail15normal_iteratorINS9_10device_ptrIiEEEESE_PS5_SF_jNS0_19identity_decomposerENS1_16block_id_wrapperIjLb0EEEEE10hipError_tT1_PNSt15iterator_traitsISK_E10value_typeET2_T3_PNSL_ISQ_E10value_typeET4_T5_PSV_SW_PNS1_23onesweep_lookback_stateEbbT6_jjT7_P12ihipStream_tbENKUlT_T0_SK_SP_E_clISE_PiSF_SF_EEDaS13_S14_SK_SP_EUlS13_E_NS1_11comp_targetILNS1_3genE3ELNS1_11target_archE908ELNS1_3gpuE7ELNS1_3repE0EEENS1_47radix_sort_onesweep_sort_config_static_selectorELNS0_4arch9wavefront6targetE0EEEvSK_
	.p2align	8
	.type	_ZN7rocprim17ROCPRIM_400000_NS6detail17trampoline_kernelINS0_14default_configENS1_35radix_sort_onesweep_config_selectorIiNS0_10empty_typeEEEZZNS1_29radix_sort_onesweep_iterationIS3_Lb0EN6thrust23THRUST_200600_302600_NS6detail15normal_iteratorINS9_10device_ptrIiEEEESE_PS5_SF_jNS0_19identity_decomposerENS1_16block_id_wrapperIjLb0EEEEE10hipError_tT1_PNSt15iterator_traitsISK_E10value_typeET2_T3_PNSL_ISQ_E10value_typeET4_T5_PSV_SW_PNS1_23onesweep_lookback_stateEbbT6_jjT7_P12ihipStream_tbENKUlT_T0_SK_SP_E_clISE_PiSF_SF_EEDaS13_S14_SK_SP_EUlS13_E_NS1_11comp_targetILNS1_3genE3ELNS1_11target_archE908ELNS1_3gpuE7ELNS1_3repE0EEENS1_47radix_sort_onesweep_sort_config_static_selectorELNS0_4arch9wavefront6targetE0EEEvSK_,@function
_ZN7rocprim17ROCPRIM_400000_NS6detail17trampoline_kernelINS0_14default_configENS1_35radix_sort_onesweep_config_selectorIiNS0_10empty_typeEEEZZNS1_29radix_sort_onesweep_iterationIS3_Lb0EN6thrust23THRUST_200600_302600_NS6detail15normal_iteratorINS9_10device_ptrIiEEEESE_PS5_SF_jNS0_19identity_decomposerENS1_16block_id_wrapperIjLb0EEEEE10hipError_tT1_PNSt15iterator_traitsISK_E10value_typeET2_T3_PNSL_ISQ_E10value_typeET4_T5_PSV_SW_PNS1_23onesweep_lookback_stateEbbT6_jjT7_P12ihipStream_tbENKUlT_T0_SK_SP_E_clISE_PiSF_SF_EEDaS13_S14_SK_SP_EUlS13_E_NS1_11comp_targetILNS1_3genE3ELNS1_11target_archE908ELNS1_3gpuE7ELNS1_3repE0EEENS1_47radix_sort_onesweep_sort_config_static_selectorELNS0_4arch9wavefront6targetE0EEEvSK_: ; @_ZN7rocprim17ROCPRIM_400000_NS6detail17trampoline_kernelINS0_14default_configENS1_35radix_sort_onesweep_config_selectorIiNS0_10empty_typeEEEZZNS1_29radix_sort_onesweep_iterationIS3_Lb0EN6thrust23THRUST_200600_302600_NS6detail15normal_iteratorINS9_10device_ptrIiEEEESE_PS5_SF_jNS0_19identity_decomposerENS1_16block_id_wrapperIjLb0EEEEE10hipError_tT1_PNSt15iterator_traitsISK_E10value_typeET2_T3_PNSL_ISQ_E10value_typeET4_T5_PSV_SW_PNS1_23onesweep_lookback_stateEbbT6_jjT7_P12ihipStream_tbENKUlT_T0_SK_SP_E_clISE_PiSF_SF_EEDaS13_S14_SK_SP_EUlS13_E_NS1_11comp_targetILNS1_3genE3ELNS1_11target_archE908ELNS1_3gpuE7ELNS1_3repE0EEENS1_47radix_sort_onesweep_sort_config_static_selectorELNS0_4arch9wavefront6targetE0EEEvSK_
; %bb.0:
	.section	.rodata,"a",@progbits
	.p2align	6, 0x0
	.amdhsa_kernel _ZN7rocprim17ROCPRIM_400000_NS6detail17trampoline_kernelINS0_14default_configENS1_35radix_sort_onesweep_config_selectorIiNS0_10empty_typeEEEZZNS1_29radix_sort_onesweep_iterationIS3_Lb0EN6thrust23THRUST_200600_302600_NS6detail15normal_iteratorINS9_10device_ptrIiEEEESE_PS5_SF_jNS0_19identity_decomposerENS1_16block_id_wrapperIjLb0EEEEE10hipError_tT1_PNSt15iterator_traitsISK_E10value_typeET2_T3_PNSL_ISQ_E10value_typeET4_T5_PSV_SW_PNS1_23onesweep_lookback_stateEbbT6_jjT7_P12ihipStream_tbENKUlT_T0_SK_SP_E_clISE_PiSF_SF_EEDaS13_S14_SK_SP_EUlS13_E_NS1_11comp_targetILNS1_3genE3ELNS1_11target_archE908ELNS1_3gpuE7ELNS1_3repE0EEENS1_47radix_sort_onesweep_sort_config_static_selectorELNS0_4arch9wavefront6targetE0EEEvSK_
		.amdhsa_group_segment_fixed_size 0
		.amdhsa_private_segment_fixed_size 0
		.amdhsa_kernarg_size 88
		.amdhsa_user_sgpr_count 6
		.amdhsa_user_sgpr_private_segment_buffer 1
		.amdhsa_user_sgpr_dispatch_ptr 0
		.amdhsa_user_sgpr_queue_ptr 0
		.amdhsa_user_sgpr_kernarg_segment_ptr 1
		.amdhsa_user_sgpr_dispatch_id 0
		.amdhsa_user_sgpr_flat_scratch_init 0
		.amdhsa_user_sgpr_private_segment_size 0
		.amdhsa_wavefront_size32 1
		.amdhsa_uses_dynamic_stack 0
		.amdhsa_system_sgpr_private_segment_wavefront_offset 0
		.amdhsa_system_sgpr_workgroup_id_x 1
		.amdhsa_system_sgpr_workgroup_id_y 0
		.amdhsa_system_sgpr_workgroup_id_z 0
		.amdhsa_system_sgpr_workgroup_info 0
		.amdhsa_system_vgpr_workitem_id 0
		.amdhsa_next_free_vgpr 1
		.amdhsa_next_free_sgpr 1
		.amdhsa_reserve_vcc 0
		.amdhsa_reserve_flat_scratch 0
		.amdhsa_float_round_mode_32 0
		.amdhsa_float_round_mode_16_64 0
		.amdhsa_float_denorm_mode_32 3
		.amdhsa_float_denorm_mode_16_64 3
		.amdhsa_dx10_clamp 1
		.amdhsa_ieee_mode 1
		.amdhsa_fp16_overflow 0
		.amdhsa_workgroup_processor_mode 1
		.amdhsa_memory_ordered 1
		.amdhsa_forward_progress 1
		.amdhsa_shared_vgpr_count 0
		.amdhsa_exception_fp_ieee_invalid_op 0
		.amdhsa_exception_fp_denorm_src 0
		.amdhsa_exception_fp_ieee_div_zero 0
		.amdhsa_exception_fp_ieee_overflow 0
		.amdhsa_exception_fp_ieee_underflow 0
		.amdhsa_exception_fp_ieee_inexact 0
		.amdhsa_exception_int_div_zero 0
	.end_amdhsa_kernel
	.section	.text._ZN7rocprim17ROCPRIM_400000_NS6detail17trampoline_kernelINS0_14default_configENS1_35radix_sort_onesweep_config_selectorIiNS0_10empty_typeEEEZZNS1_29radix_sort_onesweep_iterationIS3_Lb0EN6thrust23THRUST_200600_302600_NS6detail15normal_iteratorINS9_10device_ptrIiEEEESE_PS5_SF_jNS0_19identity_decomposerENS1_16block_id_wrapperIjLb0EEEEE10hipError_tT1_PNSt15iterator_traitsISK_E10value_typeET2_T3_PNSL_ISQ_E10value_typeET4_T5_PSV_SW_PNS1_23onesweep_lookback_stateEbbT6_jjT7_P12ihipStream_tbENKUlT_T0_SK_SP_E_clISE_PiSF_SF_EEDaS13_S14_SK_SP_EUlS13_E_NS1_11comp_targetILNS1_3genE3ELNS1_11target_archE908ELNS1_3gpuE7ELNS1_3repE0EEENS1_47radix_sort_onesweep_sort_config_static_selectorELNS0_4arch9wavefront6targetE0EEEvSK_,"axG",@progbits,_ZN7rocprim17ROCPRIM_400000_NS6detail17trampoline_kernelINS0_14default_configENS1_35radix_sort_onesweep_config_selectorIiNS0_10empty_typeEEEZZNS1_29radix_sort_onesweep_iterationIS3_Lb0EN6thrust23THRUST_200600_302600_NS6detail15normal_iteratorINS9_10device_ptrIiEEEESE_PS5_SF_jNS0_19identity_decomposerENS1_16block_id_wrapperIjLb0EEEEE10hipError_tT1_PNSt15iterator_traitsISK_E10value_typeET2_T3_PNSL_ISQ_E10value_typeET4_T5_PSV_SW_PNS1_23onesweep_lookback_stateEbbT6_jjT7_P12ihipStream_tbENKUlT_T0_SK_SP_E_clISE_PiSF_SF_EEDaS13_S14_SK_SP_EUlS13_E_NS1_11comp_targetILNS1_3genE3ELNS1_11target_archE908ELNS1_3gpuE7ELNS1_3repE0EEENS1_47radix_sort_onesweep_sort_config_static_selectorELNS0_4arch9wavefront6targetE0EEEvSK_,comdat
.Lfunc_end200:
	.size	_ZN7rocprim17ROCPRIM_400000_NS6detail17trampoline_kernelINS0_14default_configENS1_35radix_sort_onesweep_config_selectorIiNS0_10empty_typeEEEZZNS1_29radix_sort_onesweep_iterationIS3_Lb0EN6thrust23THRUST_200600_302600_NS6detail15normal_iteratorINS9_10device_ptrIiEEEESE_PS5_SF_jNS0_19identity_decomposerENS1_16block_id_wrapperIjLb0EEEEE10hipError_tT1_PNSt15iterator_traitsISK_E10value_typeET2_T3_PNSL_ISQ_E10value_typeET4_T5_PSV_SW_PNS1_23onesweep_lookback_stateEbbT6_jjT7_P12ihipStream_tbENKUlT_T0_SK_SP_E_clISE_PiSF_SF_EEDaS13_S14_SK_SP_EUlS13_E_NS1_11comp_targetILNS1_3genE3ELNS1_11target_archE908ELNS1_3gpuE7ELNS1_3repE0EEENS1_47radix_sort_onesweep_sort_config_static_selectorELNS0_4arch9wavefront6targetE0EEEvSK_, .Lfunc_end200-_ZN7rocprim17ROCPRIM_400000_NS6detail17trampoline_kernelINS0_14default_configENS1_35radix_sort_onesweep_config_selectorIiNS0_10empty_typeEEEZZNS1_29radix_sort_onesweep_iterationIS3_Lb0EN6thrust23THRUST_200600_302600_NS6detail15normal_iteratorINS9_10device_ptrIiEEEESE_PS5_SF_jNS0_19identity_decomposerENS1_16block_id_wrapperIjLb0EEEEE10hipError_tT1_PNSt15iterator_traitsISK_E10value_typeET2_T3_PNSL_ISQ_E10value_typeET4_T5_PSV_SW_PNS1_23onesweep_lookback_stateEbbT6_jjT7_P12ihipStream_tbENKUlT_T0_SK_SP_E_clISE_PiSF_SF_EEDaS13_S14_SK_SP_EUlS13_E_NS1_11comp_targetILNS1_3genE3ELNS1_11target_archE908ELNS1_3gpuE7ELNS1_3repE0EEENS1_47radix_sort_onesweep_sort_config_static_selectorELNS0_4arch9wavefront6targetE0EEEvSK_
                                        ; -- End function
	.set _ZN7rocprim17ROCPRIM_400000_NS6detail17trampoline_kernelINS0_14default_configENS1_35radix_sort_onesweep_config_selectorIiNS0_10empty_typeEEEZZNS1_29radix_sort_onesweep_iterationIS3_Lb0EN6thrust23THRUST_200600_302600_NS6detail15normal_iteratorINS9_10device_ptrIiEEEESE_PS5_SF_jNS0_19identity_decomposerENS1_16block_id_wrapperIjLb0EEEEE10hipError_tT1_PNSt15iterator_traitsISK_E10value_typeET2_T3_PNSL_ISQ_E10value_typeET4_T5_PSV_SW_PNS1_23onesweep_lookback_stateEbbT6_jjT7_P12ihipStream_tbENKUlT_T0_SK_SP_E_clISE_PiSF_SF_EEDaS13_S14_SK_SP_EUlS13_E_NS1_11comp_targetILNS1_3genE3ELNS1_11target_archE908ELNS1_3gpuE7ELNS1_3repE0EEENS1_47radix_sort_onesweep_sort_config_static_selectorELNS0_4arch9wavefront6targetE0EEEvSK_.num_vgpr, 0
	.set _ZN7rocprim17ROCPRIM_400000_NS6detail17trampoline_kernelINS0_14default_configENS1_35radix_sort_onesweep_config_selectorIiNS0_10empty_typeEEEZZNS1_29radix_sort_onesweep_iterationIS3_Lb0EN6thrust23THRUST_200600_302600_NS6detail15normal_iteratorINS9_10device_ptrIiEEEESE_PS5_SF_jNS0_19identity_decomposerENS1_16block_id_wrapperIjLb0EEEEE10hipError_tT1_PNSt15iterator_traitsISK_E10value_typeET2_T3_PNSL_ISQ_E10value_typeET4_T5_PSV_SW_PNS1_23onesweep_lookback_stateEbbT6_jjT7_P12ihipStream_tbENKUlT_T0_SK_SP_E_clISE_PiSF_SF_EEDaS13_S14_SK_SP_EUlS13_E_NS1_11comp_targetILNS1_3genE3ELNS1_11target_archE908ELNS1_3gpuE7ELNS1_3repE0EEENS1_47radix_sort_onesweep_sort_config_static_selectorELNS0_4arch9wavefront6targetE0EEEvSK_.num_agpr, 0
	.set _ZN7rocprim17ROCPRIM_400000_NS6detail17trampoline_kernelINS0_14default_configENS1_35radix_sort_onesweep_config_selectorIiNS0_10empty_typeEEEZZNS1_29radix_sort_onesweep_iterationIS3_Lb0EN6thrust23THRUST_200600_302600_NS6detail15normal_iteratorINS9_10device_ptrIiEEEESE_PS5_SF_jNS0_19identity_decomposerENS1_16block_id_wrapperIjLb0EEEEE10hipError_tT1_PNSt15iterator_traitsISK_E10value_typeET2_T3_PNSL_ISQ_E10value_typeET4_T5_PSV_SW_PNS1_23onesweep_lookback_stateEbbT6_jjT7_P12ihipStream_tbENKUlT_T0_SK_SP_E_clISE_PiSF_SF_EEDaS13_S14_SK_SP_EUlS13_E_NS1_11comp_targetILNS1_3genE3ELNS1_11target_archE908ELNS1_3gpuE7ELNS1_3repE0EEENS1_47radix_sort_onesweep_sort_config_static_selectorELNS0_4arch9wavefront6targetE0EEEvSK_.numbered_sgpr, 0
	.set _ZN7rocprim17ROCPRIM_400000_NS6detail17trampoline_kernelINS0_14default_configENS1_35radix_sort_onesweep_config_selectorIiNS0_10empty_typeEEEZZNS1_29radix_sort_onesweep_iterationIS3_Lb0EN6thrust23THRUST_200600_302600_NS6detail15normal_iteratorINS9_10device_ptrIiEEEESE_PS5_SF_jNS0_19identity_decomposerENS1_16block_id_wrapperIjLb0EEEEE10hipError_tT1_PNSt15iterator_traitsISK_E10value_typeET2_T3_PNSL_ISQ_E10value_typeET4_T5_PSV_SW_PNS1_23onesweep_lookback_stateEbbT6_jjT7_P12ihipStream_tbENKUlT_T0_SK_SP_E_clISE_PiSF_SF_EEDaS13_S14_SK_SP_EUlS13_E_NS1_11comp_targetILNS1_3genE3ELNS1_11target_archE908ELNS1_3gpuE7ELNS1_3repE0EEENS1_47radix_sort_onesweep_sort_config_static_selectorELNS0_4arch9wavefront6targetE0EEEvSK_.num_named_barrier, 0
	.set _ZN7rocprim17ROCPRIM_400000_NS6detail17trampoline_kernelINS0_14default_configENS1_35radix_sort_onesweep_config_selectorIiNS0_10empty_typeEEEZZNS1_29radix_sort_onesweep_iterationIS3_Lb0EN6thrust23THRUST_200600_302600_NS6detail15normal_iteratorINS9_10device_ptrIiEEEESE_PS5_SF_jNS0_19identity_decomposerENS1_16block_id_wrapperIjLb0EEEEE10hipError_tT1_PNSt15iterator_traitsISK_E10value_typeET2_T3_PNSL_ISQ_E10value_typeET4_T5_PSV_SW_PNS1_23onesweep_lookback_stateEbbT6_jjT7_P12ihipStream_tbENKUlT_T0_SK_SP_E_clISE_PiSF_SF_EEDaS13_S14_SK_SP_EUlS13_E_NS1_11comp_targetILNS1_3genE3ELNS1_11target_archE908ELNS1_3gpuE7ELNS1_3repE0EEENS1_47radix_sort_onesweep_sort_config_static_selectorELNS0_4arch9wavefront6targetE0EEEvSK_.private_seg_size, 0
	.set _ZN7rocprim17ROCPRIM_400000_NS6detail17trampoline_kernelINS0_14default_configENS1_35radix_sort_onesweep_config_selectorIiNS0_10empty_typeEEEZZNS1_29radix_sort_onesweep_iterationIS3_Lb0EN6thrust23THRUST_200600_302600_NS6detail15normal_iteratorINS9_10device_ptrIiEEEESE_PS5_SF_jNS0_19identity_decomposerENS1_16block_id_wrapperIjLb0EEEEE10hipError_tT1_PNSt15iterator_traitsISK_E10value_typeET2_T3_PNSL_ISQ_E10value_typeET4_T5_PSV_SW_PNS1_23onesweep_lookback_stateEbbT6_jjT7_P12ihipStream_tbENKUlT_T0_SK_SP_E_clISE_PiSF_SF_EEDaS13_S14_SK_SP_EUlS13_E_NS1_11comp_targetILNS1_3genE3ELNS1_11target_archE908ELNS1_3gpuE7ELNS1_3repE0EEENS1_47radix_sort_onesweep_sort_config_static_selectorELNS0_4arch9wavefront6targetE0EEEvSK_.uses_vcc, 0
	.set _ZN7rocprim17ROCPRIM_400000_NS6detail17trampoline_kernelINS0_14default_configENS1_35radix_sort_onesweep_config_selectorIiNS0_10empty_typeEEEZZNS1_29radix_sort_onesweep_iterationIS3_Lb0EN6thrust23THRUST_200600_302600_NS6detail15normal_iteratorINS9_10device_ptrIiEEEESE_PS5_SF_jNS0_19identity_decomposerENS1_16block_id_wrapperIjLb0EEEEE10hipError_tT1_PNSt15iterator_traitsISK_E10value_typeET2_T3_PNSL_ISQ_E10value_typeET4_T5_PSV_SW_PNS1_23onesweep_lookback_stateEbbT6_jjT7_P12ihipStream_tbENKUlT_T0_SK_SP_E_clISE_PiSF_SF_EEDaS13_S14_SK_SP_EUlS13_E_NS1_11comp_targetILNS1_3genE3ELNS1_11target_archE908ELNS1_3gpuE7ELNS1_3repE0EEENS1_47radix_sort_onesweep_sort_config_static_selectorELNS0_4arch9wavefront6targetE0EEEvSK_.uses_flat_scratch, 0
	.set _ZN7rocprim17ROCPRIM_400000_NS6detail17trampoline_kernelINS0_14default_configENS1_35radix_sort_onesweep_config_selectorIiNS0_10empty_typeEEEZZNS1_29radix_sort_onesweep_iterationIS3_Lb0EN6thrust23THRUST_200600_302600_NS6detail15normal_iteratorINS9_10device_ptrIiEEEESE_PS5_SF_jNS0_19identity_decomposerENS1_16block_id_wrapperIjLb0EEEEE10hipError_tT1_PNSt15iterator_traitsISK_E10value_typeET2_T3_PNSL_ISQ_E10value_typeET4_T5_PSV_SW_PNS1_23onesweep_lookback_stateEbbT6_jjT7_P12ihipStream_tbENKUlT_T0_SK_SP_E_clISE_PiSF_SF_EEDaS13_S14_SK_SP_EUlS13_E_NS1_11comp_targetILNS1_3genE3ELNS1_11target_archE908ELNS1_3gpuE7ELNS1_3repE0EEENS1_47radix_sort_onesweep_sort_config_static_selectorELNS0_4arch9wavefront6targetE0EEEvSK_.has_dyn_sized_stack, 0
	.set _ZN7rocprim17ROCPRIM_400000_NS6detail17trampoline_kernelINS0_14default_configENS1_35radix_sort_onesweep_config_selectorIiNS0_10empty_typeEEEZZNS1_29radix_sort_onesweep_iterationIS3_Lb0EN6thrust23THRUST_200600_302600_NS6detail15normal_iteratorINS9_10device_ptrIiEEEESE_PS5_SF_jNS0_19identity_decomposerENS1_16block_id_wrapperIjLb0EEEEE10hipError_tT1_PNSt15iterator_traitsISK_E10value_typeET2_T3_PNSL_ISQ_E10value_typeET4_T5_PSV_SW_PNS1_23onesweep_lookback_stateEbbT6_jjT7_P12ihipStream_tbENKUlT_T0_SK_SP_E_clISE_PiSF_SF_EEDaS13_S14_SK_SP_EUlS13_E_NS1_11comp_targetILNS1_3genE3ELNS1_11target_archE908ELNS1_3gpuE7ELNS1_3repE0EEENS1_47radix_sort_onesweep_sort_config_static_selectorELNS0_4arch9wavefront6targetE0EEEvSK_.has_recursion, 0
	.set _ZN7rocprim17ROCPRIM_400000_NS6detail17trampoline_kernelINS0_14default_configENS1_35radix_sort_onesweep_config_selectorIiNS0_10empty_typeEEEZZNS1_29radix_sort_onesweep_iterationIS3_Lb0EN6thrust23THRUST_200600_302600_NS6detail15normal_iteratorINS9_10device_ptrIiEEEESE_PS5_SF_jNS0_19identity_decomposerENS1_16block_id_wrapperIjLb0EEEEE10hipError_tT1_PNSt15iterator_traitsISK_E10value_typeET2_T3_PNSL_ISQ_E10value_typeET4_T5_PSV_SW_PNS1_23onesweep_lookback_stateEbbT6_jjT7_P12ihipStream_tbENKUlT_T0_SK_SP_E_clISE_PiSF_SF_EEDaS13_S14_SK_SP_EUlS13_E_NS1_11comp_targetILNS1_3genE3ELNS1_11target_archE908ELNS1_3gpuE7ELNS1_3repE0EEENS1_47radix_sort_onesweep_sort_config_static_selectorELNS0_4arch9wavefront6targetE0EEEvSK_.has_indirect_call, 0
	.section	.AMDGPU.csdata,"",@progbits
; Kernel info:
; codeLenInByte = 0
; TotalNumSgprs: 0
; NumVgprs: 0
; ScratchSize: 0
; MemoryBound: 0
; FloatMode: 240
; IeeeMode: 1
; LDSByteSize: 0 bytes/workgroup (compile time only)
; SGPRBlocks: 0
; VGPRBlocks: 0
; NumSGPRsForWavesPerEU: 1
; NumVGPRsForWavesPerEU: 1
; Occupancy: 16
; WaveLimiterHint : 0
; COMPUTE_PGM_RSRC2:SCRATCH_EN: 0
; COMPUTE_PGM_RSRC2:USER_SGPR: 6
; COMPUTE_PGM_RSRC2:TRAP_HANDLER: 0
; COMPUTE_PGM_RSRC2:TGID_X_EN: 1
; COMPUTE_PGM_RSRC2:TGID_Y_EN: 0
; COMPUTE_PGM_RSRC2:TGID_Z_EN: 0
; COMPUTE_PGM_RSRC2:TIDIG_COMP_CNT: 0
	.section	.text._ZN7rocprim17ROCPRIM_400000_NS6detail17trampoline_kernelINS0_14default_configENS1_35radix_sort_onesweep_config_selectorIiNS0_10empty_typeEEEZZNS1_29radix_sort_onesweep_iterationIS3_Lb0EN6thrust23THRUST_200600_302600_NS6detail15normal_iteratorINS9_10device_ptrIiEEEESE_PS5_SF_jNS0_19identity_decomposerENS1_16block_id_wrapperIjLb0EEEEE10hipError_tT1_PNSt15iterator_traitsISK_E10value_typeET2_T3_PNSL_ISQ_E10value_typeET4_T5_PSV_SW_PNS1_23onesweep_lookback_stateEbbT6_jjT7_P12ihipStream_tbENKUlT_T0_SK_SP_E_clISE_PiSF_SF_EEDaS13_S14_SK_SP_EUlS13_E_NS1_11comp_targetILNS1_3genE10ELNS1_11target_archE1201ELNS1_3gpuE5ELNS1_3repE0EEENS1_47radix_sort_onesweep_sort_config_static_selectorELNS0_4arch9wavefront6targetE0EEEvSK_,"axG",@progbits,_ZN7rocprim17ROCPRIM_400000_NS6detail17trampoline_kernelINS0_14default_configENS1_35radix_sort_onesweep_config_selectorIiNS0_10empty_typeEEEZZNS1_29radix_sort_onesweep_iterationIS3_Lb0EN6thrust23THRUST_200600_302600_NS6detail15normal_iteratorINS9_10device_ptrIiEEEESE_PS5_SF_jNS0_19identity_decomposerENS1_16block_id_wrapperIjLb0EEEEE10hipError_tT1_PNSt15iterator_traitsISK_E10value_typeET2_T3_PNSL_ISQ_E10value_typeET4_T5_PSV_SW_PNS1_23onesweep_lookback_stateEbbT6_jjT7_P12ihipStream_tbENKUlT_T0_SK_SP_E_clISE_PiSF_SF_EEDaS13_S14_SK_SP_EUlS13_E_NS1_11comp_targetILNS1_3genE10ELNS1_11target_archE1201ELNS1_3gpuE5ELNS1_3repE0EEENS1_47radix_sort_onesweep_sort_config_static_selectorELNS0_4arch9wavefront6targetE0EEEvSK_,comdat
	.protected	_ZN7rocprim17ROCPRIM_400000_NS6detail17trampoline_kernelINS0_14default_configENS1_35radix_sort_onesweep_config_selectorIiNS0_10empty_typeEEEZZNS1_29radix_sort_onesweep_iterationIS3_Lb0EN6thrust23THRUST_200600_302600_NS6detail15normal_iteratorINS9_10device_ptrIiEEEESE_PS5_SF_jNS0_19identity_decomposerENS1_16block_id_wrapperIjLb0EEEEE10hipError_tT1_PNSt15iterator_traitsISK_E10value_typeET2_T3_PNSL_ISQ_E10value_typeET4_T5_PSV_SW_PNS1_23onesweep_lookback_stateEbbT6_jjT7_P12ihipStream_tbENKUlT_T0_SK_SP_E_clISE_PiSF_SF_EEDaS13_S14_SK_SP_EUlS13_E_NS1_11comp_targetILNS1_3genE10ELNS1_11target_archE1201ELNS1_3gpuE5ELNS1_3repE0EEENS1_47radix_sort_onesweep_sort_config_static_selectorELNS0_4arch9wavefront6targetE0EEEvSK_ ; -- Begin function _ZN7rocprim17ROCPRIM_400000_NS6detail17trampoline_kernelINS0_14default_configENS1_35radix_sort_onesweep_config_selectorIiNS0_10empty_typeEEEZZNS1_29radix_sort_onesweep_iterationIS3_Lb0EN6thrust23THRUST_200600_302600_NS6detail15normal_iteratorINS9_10device_ptrIiEEEESE_PS5_SF_jNS0_19identity_decomposerENS1_16block_id_wrapperIjLb0EEEEE10hipError_tT1_PNSt15iterator_traitsISK_E10value_typeET2_T3_PNSL_ISQ_E10value_typeET4_T5_PSV_SW_PNS1_23onesweep_lookback_stateEbbT6_jjT7_P12ihipStream_tbENKUlT_T0_SK_SP_E_clISE_PiSF_SF_EEDaS13_S14_SK_SP_EUlS13_E_NS1_11comp_targetILNS1_3genE10ELNS1_11target_archE1201ELNS1_3gpuE5ELNS1_3repE0EEENS1_47radix_sort_onesweep_sort_config_static_selectorELNS0_4arch9wavefront6targetE0EEEvSK_
	.globl	_ZN7rocprim17ROCPRIM_400000_NS6detail17trampoline_kernelINS0_14default_configENS1_35radix_sort_onesweep_config_selectorIiNS0_10empty_typeEEEZZNS1_29radix_sort_onesweep_iterationIS3_Lb0EN6thrust23THRUST_200600_302600_NS6detail15normal_iteratorINS9_10device_ptrIiEEEESE_PS5_SF_jNS0_19identity_decomposerENS1_16block_id_wrapperIjLb0EEEEE10hipError_tT1_PNSt15iterator_traitsISK_E10value_typeET2_T3_PNSL_ISQ_E10value_typeET4_T5_PSV_SW_PNS1_23onesweep_lookback_stateEbbT6_jjT7_P12ihipStream_tbENKUlT_T0_SK_SP_E_clISE_PiSF_SF_EEDaS13_S14_SK_SP_EUlS13_E_NS1_11comp_targetILNS1_3genE10ELNS1_11target_archE1201ELNS1_3gpuE5ELNS1_3repE0EEENS1_47radix_sort_onesweep_sort_config_static_selectorELNS0_4arch9wavefront6targetE0EEEvSK_
	.p2align	8
	.type	_ZN7rocprim17ROCPRIM_400000_NS6detail17trampoline_kernelINS0_14default_configENS1_35radix_sort_onesweep_config_selectorIiNS0_10empty_typeEEEZZNS1_29radix_sort_onesweep_iterationIS3_Lb0EN6thrust23THRUST_200600_302600_NS6detail15normal_iteratorINS9_10device_ptrIiEEEESE_PS5_SF_jNS0_19identity_decomposerENS1_16block_id_wrapperIjLb0EEEEE10hipError_tT1_PNSt15iterator_traitsISK_E10value_typeET2_T3_PNSL_ISQ_E10value_typeET4_T5_PSV_SW_PNS1_23onesweep_lookback_stateEbbT6_jjT7_P12ihipStream_tbENKUlT_T0_SK_SP_E_clISE_PiSF_SF_EEDaS13_S14_SK_SP_EUlS13_E_NS1_11comp_targetILNS1_3genE10ELNS1_11target_archE1201ELNS1_3gpuE5ELNS1_3repE0EEENS1_47radix_sort_onesweep_sort_config_static_selectorELNS0_4arch9wavefront6targetE0EEEvSK_,@function
_ZN7rocprim17ROCPRIM_400000_NS6detail17trampoline_kernelINS0_14default_configENS1_35radix_sort_onesweep_config_selectorIiNS0_10empty_typeEEEZZNS1_29radix_sort_onesweep_iterationIS3_Lb0EN6thrust23THRUST_200600_302600_NS6detail15normal_iteratorINS9_10device_ptrIiEEEESE_PS5_SF_jNS0_19identity_decomposerENS1_16block_id_wrapperIjLb0EEEEE10hipError_tT1_PNSt15iterator_traitsISK_E10value_typeET2_T3_PNSL_ISQ_E10value_typeET4_T5_PSV_SW_PNS1_23onesweep_lookback_stateEbbT6_jjT7_P12ihipStream_tbENKUlT_T0_SK_SP_E_clISE_PiSF_SF_EEDaS13_S14_SK_SP_EUlS13_E_NS1_11comp_targetILNS1_3genE10ELNS1_11target_archE1201ELNS1_3gpuE5ELNS1_3repE0EEENS1_47radix_sort_onesweep_sort_config_static_selectorELNS0_4arch9wavefront6targetE0EEEvSK_: ; @_ZN7rocprim17ROCPRIM_400000_NS6detail17trampoline_kernelINS0_14default_configENS1_35radix_sort_onesweep_config_selectorIiNS0_10empty_typeEEEZZNS1_29radix_sort_onesweep_iterationIS3_Lb0EN6thrust23THRUST_200600_302600_NS6detail15normal_iteratorINS9_10device_ptrIiEEEESE_PS5_SF_jNS0_19identity_decomposerENS1_16block_id_wrapperIjLb0EEEEE10hipError_tT1_PNSt15iterator_traitsISK_E10value_typeET2_T3_PNSL_ISQ_E10value_typeET4_T5_PSV_SW_PNS1_23onesweep_lookback_stateEbbT6_jjT7_P12ihipStream_tbENKUlT_T0_SK_SP_E_clISE_PiSF_SF_EEDaS13_S14_SK_SP_EUlS13_E_NS1_11comp_targetILNS1_3genE10ELNS1_11target_archE1201ELNS1_3gpuE5ELNS1_3repE0EEENS1_47radix_sort_onesweep_sort_config_static_selectorELNS0_4arch9wavefront6targetE0EEEvSK_
; %bb.0:
	.section	.rodata,"a",@progbits
	.p2align	6, 0x0
	.amdhsa_kernel _ZN7rocprim17ROCPRIM_400000_NS6detail17trampoline_kernelINS0_14default_configENS1_35radix_sort_onesweep_config_selectorIiNS0_10empty_typeEEEZZNS1_29radix_sort_onesweep_iterationIS3_Lb0EN6thrust23THRUST_200600_302600_NS6detail15normal_iteratorINS9_10device_ptrIiEEEESE_PS5_SF_jNS0_19identity_decomposerENS1_16block_id_wrapperIjLb0EEEEE10hipError_tT1_PNSt15iterator_traitsISK_E10value_typeET2_T3_PNSL_ISQ_E10value_typeET4_T5_PSV_SW_PNS1_23onesweep_lookback_stateEbbT6_jjT7_P12ihipStream_tbENKUlT_T0_SK_SP_E_clISE_PiSF_SF_EEDaS13_S14_SK_SP_EUlS13_E_NS1_11comp_targetILNS1_3genE10ELNS1_11target_archE1201ELNS1_3gpuE5ELNS1_3repE0EEENS1_47radix_sort_onesweep_sort_config_static_selectorELNS0_4arch9wavefront6targetE0EEEvSK_
		.amdhsa_group_segment_fixed_size 0
		.amdhsa_private_segment_fixed_size 0
		.amdhsa_kernarg_size 88
		.amdhsa_user_sgpr_count 6
		.amdhsa_user_sgpr_private_segment_buffer 1
		.amdhsa_user_sgpr_dispatch_ptr 0
		.amdhsa_user_sgpr_queue_ptr 0
		.amdhsa_user_sgpr_kernarg_segment_ptr 1
		.amdhsa_user_sgpr_dispatch_id 0
		.amdhsa_user_sgpr_flat_scratch_init 0
		.amdhsa_user_sgpr_private_segment_size 0
		.amdhsa_wavefront_size32 1
		.amdhsa_uses_dynamic_stack 0
		.amdhsa_system_sgpr_private_segment_wavefront_offset 0
		.amdhsa_system_sgpr_workgroup_id_x 1
		.amdhsa_system_sgpr_workgroup_id_y 0
		.amdhsa_system_sgpr_workgroup_id_z 0
		.amdhsa_system_sgpr_workgroup_info 0
		.amdhsa_system_vgpr_workitem_id 0
		.amdhsa_next_free_vgpr 1
		.amdhsa_next_free_sgpr 1
		.amdhsa_reserve_vcc 0
		.amdhsa_reserve_flat_scratch 0
		.amdhsa_float_round_mode_32 0
		.amdhsa_float_round_mode_16_64 0
		.amdhsa_float_denorm_mode_32 3
		.amdhsa_float_denorm_mode_16_64 3
		.amdhsa_dx10_clamp 1
		.amdhsa_ieee_mode 1
		.amdhsa_fp16_overflow 0
		.amdhsa_workgroup_processor_mode 1
		.amdhsa_memory_ordered 1
		.amdhsa_forward_progress 1
		.amdhsa_shared_vgpr_count 0
		.amdhsa_exception_fp_ieee_invalid_op 0
		.amdhsa_exception_fp_denorm_src 0
		.amdhsa_exception_fp_ieee_div_zero 0
		.amdhsa_exception_fp_ieee_overflow 0
		.amdhsa_exception_fp_ieee_underflow 0
		.amdhsa_exception_fp_ieee_inexact 0
		.amdhsa_exception_int_div_zero 0
	.end_amdhsa_kernel
	.section	.text._ZN7rocprim17ROCPRIM_400000_NS6detail17trampoline_kernelINS0_14default_configENS1_35radix_sort_onesweep_config_selectorIiNS0_10empty_typeEEEZZNS1_29radix_sort_onesweep_iterationIS3_Lb0EN6thrust23THRUST_200600_302600_NS6detail15normal_iteratorINS9_10device_ptrIiEEEESE_PS5_SF_jNS0_19identity_decomposerENS1_16block_id_wrapperIjLb0EEEEE10hipError_tT1_PNSt15iterator_traitsISK_E10value_typeET2_T3_PNSL_ISQ_E10value_typeET4_T5_PSV_SW_PNS1_23onesweep_lookback_stateEbbT6_jjT7_P12ihipStream_tbENKUlT_T0_SK_SP_E_clISE_PiSF_SF_EEDaS13_S14_SK_SP_EUlS13_E_NS1_11comp_targetILNS1_3genE10ELNS1_11target_archE1201ELNS1_3gpuE5ELNS1_3repE0EEENS1_47radix_sort_onesweep_sort_config_static_selectorELNS0_4arch9wavefront6targetE0EEEvSK_,"axG",@progbits,_ZN7rocprim17ROCPRIM_400000_NS6detail17trampoline_kernelINS0_14default_configENS1_35radix_sort_onesweep_config_selectorIiNS0_10empty_typeEEEZZNS1_29radix_sort_onesweep_iterationIS3_Lb0EN6thrust23THRUST_200600_302600_NS6detail15normal_iteratorINS9_10device_ptrIiEEEESE_PS5_SF_jNS0_19identity_decomposerENS1_16block_id_wrapperIjLb0EEEEE10hipError_tT1_PNSt15iterator_traitsISK_E10value_typeET2_T3_PNSL_ISQ_E10value_typeET4_T5_PSV_SW_PNS1_23onesweep_lookback_stateEbbT6_jjT7_P12ihipStream_tbENKUlT_T0_SK_SP_E_clISE_PiSF_SF_EEDaS13_S14_SK_SP_EUlS13_E_NS1_11comp_targetILNS1_3genE10ELNS1_11target_archE1201ELNS1_3gpuE5ELNS1_3repE0EEENS1_47radix_sort_onesweep_sort_config_static_selectorELNS0_4arch9wavefront6targetE0EEEvSK_,comdat
.Lfunc_end201:
	.size	_ZN7rocprim17ROCPRIM_400000_NS6detail17trampoline_kernelINS0_14default_configENS1_35radix_sort_onesweep_config_selectorIiNS0_10empty_typeEEEZZNS1_29radix_sort_onesweep_iterationIS3_Lb0EN6thrust23THRUST_200600_302600_NS6detail15normal_iteratorINS9_10device_ptrIiEEEESE_PS5_SF_jNS0_19identity_decomposerENS1_16block_id_wrapperIjLb0EEEEE10hipError_tT1_PNSt15iterator_traitsISK_E10value_typeET2_T3_PNSL_ISQ_E10value_typeET4_T5_PSV_SW_PNS1_23onesweep_lookback_stateEbbT6_jjT7_P12ihipStream_tbENKUlT_T0_SK_SP_E_clISE_PiSF_SF_EEDaS13_S14_SK_SP_EUlS13_E_NS1_11comp_targetILNS1_3genE10ELNS1_11target_archE1201ELNS1_3gpuE5ELNS1_3repE0EEENS1_47radix_sort_onesweep_sort_config_static_selectorELNS0_4arch9wavefront6targetE0EEEvSK_, .Lfunc_end201-_ZN7rocprim17ROCPRIM_400000_NS6detail17trampoline_kernelINS0_14default_configENS1_35radix_sort_onesweep_config_selectorIiNS0_10empty_typeEEEZZNS1_29radix_sort_onesweep_iterationIS3_Lb0EN6thrust23THRUST_200600_302600_NS6detail15normal_iteratorINS9_10device_ptrIiEEEESE_PS5_SF_jNS0_19identity_decomposerENS1_16block_id_wrapperIjLb0EEEEE10hipError_tT1_PNSt15iterator_traitsISK_E10value_typeET2_T3_PNSL_ISQ_E10value_typeET4_T5_PSV_SW_PNS1_23onesweep_lookback_stateEbbT6_jjT7_P12ihipStream_tbENKUlT_T0_SK_SP_E_clISE_PiSF_SF_EEDaS13_S14_SK_SP_EUlS13_E_NS1_11comp_targetILNS1_3genE10ELNS1_11target_archE1201ELNS1_3gpuE5ELNS1_3repE0EEENS1_47radix_sort_onesweep_sort_config_static_selectorELNS0_4arch9wavefront6targetE0EEEvSK_
                                        ; -- End function
	.set _ZN7rocprim17ROCPRIM_400000_NS6detail17trampoline_kernelINS0_14default_configENS1_35radix_sort_onesweep_config_selectorIiNS0_10empty_typeEEEZZNS1_29radix_sort_onesweep_iterationIS3_Lb0EN6thrust23THRUST_200600_302600_NS6detail15normal_iteratorINS9_10device_ptrIiEEEESE_PS5_SF_jNS0_19identity_decomposerENS1_16block_id_wrapperIjLb0EEEEE10hipError_tT1_PNSt15iterator_traitsISK_E10value_typeET2_T3_PNSL_ISQ_E10value_typeET4_T5_PSV_SW_PNS1_23onesweep_lookback_stateEbbT6_jjT7_P12ihipStream_tbENKUlT_T0_SK_SP_E_clISE_PiSF_SF_EEDaS13_S14_SK_SP_EUlS13_E_NS1_11comp_targetILNS1_3genE10ELNS1_11target_archE1201ELNS1_3gpuE5ELNS1_3repE0EEENS1_47radix_sort_onesweep_sort_config_static_selectorELNS0_4arch9wavefront6targetE0EEEvSK_.num_vgpr, 0
	.set _ZN7rocprim17ROCPRIM_400000_NS6detail17trampoline_kernelINS0_14default_configENS1_35radix_sort_onesweep_config_selectorIiNS0_10empty_typeEEEZZNS1_29radix_sort_onesweep_iterationIS3_Lb0EN6thrust23THRUST_200600_302600_NS6detail15normal_iteratorINS9_10device_ptrIiEEEESE_PS5_SF_jNS0_19identity_decomposerENS1_16block_id_wrapperIjLb0EEEEE10hipError_tT1_PNSt15iterator_traitsISK_E10value_typeET2_T3_PNSL_ISQ_E10value_typeET4_T5_PSV_SW_PNS1_23onesweep_lookback_stateEbbT6_jjT7_P12ihipStream_tbENKUlT_T0_SK_SP_E_clISE_PiSF_SF_EEDaS13_S14_SK_SP_EUlS13_E_NS1_11comp_targetILNS1_3genE10ELNS1_11target_archE1201ELNS1_3gpuE5ELNS1_3repE0EEENS1_47radix_sort_onesweep_sort_config_static_selectorELNS0_4arch9wavefront6targetE0EEEvSK_.num_agpr, 0
	.set _ZN7rocprim17ROCPRIM_400000_NS6detail17trampoline_kernelINS0_14default_configENS1_35radix_sort_onesweep_config_selectorIiNS0_10empty_typeEEEZZNS1_29radix_sort_onesweep_iterationIS3_Lb0EN6thrust23THRUST_200600_302600_NS6detail15normal_iteratorINS9_10device_ptrIiEEEESE_PS5_SF_jNS0_19identity_decomposerENS1_16block_id_wrapperIjLb0EEEEE10hipError_tT1_PNSt15iterator_traitsISK_E10value_typeET2_T3_PNSL_ISQ_E10value_typeET4_T5_PSV_SW_PNS1_23onesweep_lookback_stateEbbT6_jjT7_P12ihipStream_tbENKUlT_T0_SK_SP_E_clISE_PiSF_SF_EEDaS13_S14_SK_SP_EUlS13_E_NS1_11comp_targetILNS1_3genE10ELNS1_11target_archE1201ELNS1_3gpuE5ELNS1_3repE0EEENS1_47radix_sort_onesweep_sort_config_static_selectorELNS0_4arch9wavefront6targetE0EEEvSK_.numbered_sgpr, 0
	.set _ZN7rocprim17ROCPRIM_400000_NS6detail17trampoline_kernelINS0_14default_configENS1_35radix_sort_onesweep_config_selectorIiNS0_10empty_typeEEEZZNS1_29radix_sort_onesweep_iterationIS3_Lb0EN6thrust23THRUST_200600_302600_NS6detail15normal_iteratorINS9_10device_ptrIiEEEESE_PS5_SF_jNS0_19identity_decomposerENS1_16block_id_wrapperIjLb0EEEEE10hipError_tT1_PNSt15iterator_traitsISK_E10value_typeET2_T3_PNSL_ISQ_E10value_typeET4_T5_PSV_SW_PNS1_23onesweep_lookback_stateEbbT6_jjT7_P12ihipStream_tbENKUlT_T0_SK_SP_E_clISE_PiSF_SF_EEDaS13_S14_SK_SP_EUlS13_E_NS1_11comp_targetILNS1_3genE10ELNS1_11target_archE1201ELNS1_3gpuE5ELNS1_3repE0EEENS1_47radix_sort_onesweep_sort_config_static_selectorELNS0_4arch9wavefront6targetE0EEEvSK_.num_named_barrier, 0
	.set _ZN7rocprim17ROCPRIM_400000_NS6detail17trampoline_kernelINS0_14default_configENS1_35radix_sort_onesweep_config_selectorIiNS0_10empty_typeEEEZZNS1_29radix_sort_onesweep_iterationIS3_Lb0EN6thrust23THRUST_200600_302600_NS6detail15normal_iteratorINS9_10device_ptrIiEEEESE_PS5_SF_jNS0_19identity_decomposerENS1_16block_id_wrapperIjLb0EEEEE10hipError_tT1_PNSt15iterator_traitsISK_E10value_typeET2_T3_PNSL_ISQ_E10value_typeET4_T5_PSV_SW_PNS1_23onesweep_lookback_stateEbbT6_jjT7_P12ihipStream_tbENKUlT_T0_SK_SP_E_clISE_PiSF_SF_EEDaS13_S14_SK_SP_EUlS13_E_NS1_11comp_targetILNS1_3genE10ELNS1_11target_archE1201ELNS1_3gpuE5ELNS1_3repE0EEENS1_47radix_sort_onesweep_sort_config_static_selectorELNS0_4arch9wavefront6targetE0EEEvSK_.private_seg_size, 0
	.set _ZN7rocprim17ROCPRIM_400000_NS6detail17trampoline_kernelINS0_14default_configENS1_35radix_sort_onesweep_config_selectorIiNS0_10empty_typeEEEZZNS1_29radix_sort_onesweep_iterationIS3_Lb0EN6thrust23THRUST_200600_302600_NS6detail15normal_iteratorINS9_10device_ptrIiEEEESE_PS5_SF_jNS0_19identity_decomposerENS1_16block_id_wrapperIjLb0EEEEE10hipError_tT1_PNSt15iterator_traitsISK_E10value_typeET2_T3_PNSL_ISQ_E10value_typeET4_T5_PSV_SW_PNS1_23onesweep_lookback_stateEbbT6_jjT7_P12ihipStream_tbENKUlT_T0_SK_SP_E_clISE_PiSF_SF_EEDaS13_S14_SK_SP_EUlS13_E_NS1_11comp_targetILNS1_3genE10ELNS1_11target_archE1201ELNS1_3gpuE5ELNS1_3repE0EEENS1_47radix_sort_onesweep_sort_config_static_selectorELNS0_4arch9wavefront6targetE0EEEvSK_.uses_vcc, 0
	.set _ZN7rocprim17ROCPRIM_400000_NS6detail17trampoline_kernelINS0_14default_configENS1_35radix_sort_onesweep_config_selectorIiNS0_10empty_typeEEEZZNS1_29radix_sort_onesweep_iterationIS3_Lb0EN6thrust23THRUST_200600_302600_NS6detail15normal_iteratorINS9_10device_ptrIiEEEESE_PS5_SF_jNS0_19identity_decomposerENS1_16block_id_wrapperIjLb0EEEEE10hipError_tT1_PNSt15iterator_traitsISK_E10value_typeET2_T3_PNSL_ISQ_E10value_typeET4_T5_PSV_SW_PNS1_23onesweep_lookback_stateEbbT6_jjT7_P12ihipStream_tbENKUlT_T0_SK_SP_E_clISE_PiSF_SF_EEDaS13_S14_SK_SP_EUlS13_E_NS1_11comp_targetILNS1_3genE10ELNS1_11target_archE1201ELNS1_3gpuE5ELNS1_3repE0EEENS1_47radix_sort_onesweep_sort_config_static_selectorELNS0_4arch9wavefront6targetE0EEEvSK_.uses_flat_scratch, 0
	.set _ZN7rocprim17ROCPRIM_400000_NS6detail17trampoline_kernelINS0_14default_configENS1_35radix_sort_onesweep_config_selectorIiNS0_10empty_typeEEEZZNS1_29radix_sort_onesweep_iterationIS3_Lb0EN6thrust23THRUST_200600_302600_NS6detail15normal_iteratorINS9_10device_ptrIiEEEESE_PS5_SF_jNS0_19identity_decomposerENS1_16block_id_wrapperIjLb0EEEEE10hipError_tT1_PNSt15iterator_traitsISK_E10value_typeET2_T3_PNSL_ISQ_E10value_typeET4_T5_PSV_SW_PNS1_23onesweep_lookback_stateEbbT6_jjT7_P12ihipStream_tbENKUlT_T0_SK_SP_E_clISE_PiSF_SF_EEDaS13_S14_SK_SP_EUlS13_E_NS1_11comp_targetILNS1_3genE10ELNS1_11target_archE1201ELNS1_3gpuE5ELNS1_3repE0EEENS1_47radix_sort_onesweep_sort_config_static_selectorELNS0_4arch9wavefront6targetE0EEEvSK_.has_dyn_sized_stack, 0
	.set _ZN7rocprim17ROCPRIM_400000_NS6detail17trampoline_kernelINS0_14default_configENS1_35radix_sort_onesweep_config_selectorIiNS0_10empty_typeEEEZZNS1_29radix_sort_onesweep_iterationIS3_Lb0EN6thrust23THRUST_200600_302600_NS6detail15normal_iteratorINS9_10device_ptrIiEEEESE_PS5_SF_jNS0_19identity_decomposerENS1_16block_id_wrapperIjLb0EEEEE10hipError_tT1_PNSt15iterator_traitsISK_E10value_typeET2_T3_PNSL_ISQ_E10value_typeET4_T5_PSV_SW_PNS1_23onesweep_lookback_stateEbbT6_jjT7_P12ihipStream_tbENKUlT_T0_SK_SP_E_clISE_PiSF_SF_EEDaS13_S14_SK_SP_EUlS13_E_NS1_11comp_targetILNS1_3genE10ELNS1_11target_archE1201ELNS1_3gpuE5ELNS1_3repE0EEENS1_47radix_sort_onesweep_sort_config_static_selectorELNS0_4arch9wavefront6targetE0EEEvSK_.has_recursion, 0
	.set _ZN7rocprim17ROCPRIM_400000_NS6detail17trampoline_kernelINS0_14default_configENS1_35radix_sort_onesweep_config_selectorIiNS0_10empty_typeEEEZZNS1_29radix_sort_onesweep_iterationIS3_Lb0EN6thrust23THRUST_200600_302600_NS6detail15normal_iteratorINS9_10device_ptrIiEEEESE_PS5_SF_jNS0_19identity_decomposerENS1_16block_id_wrapperIjLb0EEEEE10hipError_tT1_PNSt15iterator_traitsISK_E10value_typeET2_T3_PNSL_ISQ_E10value_typeET4_T5_PSV_SW_PNS1_23onesweep_lookback_stateEbbT6_jjT7_P12ihipStream_tbENKUlT_T0_SK_SP_E_clISE_PiSF_SF_EEDaS13_S14_SK_SP_EUlS13_E_NS1_11comp_targetILNS1_3genE10ELNS1_11target_archE1201ELNS1_3gpuE5ELNS1_3repE0EEENS1_47radix_sort_onesweep_sort_config_static_selectorELNS0_4arch9wavefront6targetE0EEEvSK_.has_indirect_call, 0
	.section	.AMDGPU.csdata,"",@progbits
; Kernel info:
; codeLenInByte = 0
; TotalNumSgprs: 0
; NumVgprs: 0
; ScratchSize: 0
; MemoryBound: 0
; FloatMode: 240
; IeeeMode: 1
; LDSByteSize: 0 bytes/workgroup (compile time only)
; SGPRBlocks: 0
; VGPRBlocks: 0
; NumSGPRsForWavesPerEU: 1
; NumVGPRsForWavesPerEU: 1
; Occupancy: 16
; WaveLimiterHint : 0
; COMPUTE_PGM_RSRC2:SCRATCH_EN: 0
; COMPUTE_PGM_RSRC2:USER_SGPR: 6
; COMPUTE_PGM_RSRC2:TRAP_HANDLER: 0
; COMPUTE_PGM_RSRC2:TGID_X_EN: 1
; COMPUTE_PGM_RSRC2:TGID_Y_EN: 0
; COMPUTE_PGM_RSRC2:TGID_Z_EN: 0
; COMPUTE_PGM_RSRC2:TIDIG_COMP_CNT: 0
	.section	.text._ZN7rocprim17ROCPRIM_400000_NS6detail17trampoline_kernelINS0_14default_configENS1_35radix_sort_onesweep_config_selectorIiNS0_10empty_typeEEEZZNS1_29radix_sort_onesweep_iterationIS3_Lb0EN6thrust23THRUST_200600_302600_NS6detail15normal_iteratorINS9_10device_ptrIiEEEESE_PS5_SF_jNS0_19identity_decomposerENS1_16block_id_wrapperIjLb0EEEEE10hipError_tT1_PNSt15iterator_traitsISK_E10value_typeET2_T3_PNSL_ISQ_E10value_typeET4_T5_PSV_SW_PNS1_23onesweep_lookback_stateEbbT6_jjT7_P12ihipStream_tbENKUlT_T0_SK_SP_E_clISE_PiSF_SF_EEDaS13_S14_SK_SP_EUlS13_E_NS1_11comp_targetILNS1_3genE9ELNS1_11target_archE1100ELNS1_3gpuE3ELNS1_3repE0EEENS1_47radix_sort_onesweep_sort_config_static_selectorELNS0_4arch9wavefront6targetE0EEEvSK_,"axG",@progbits,_ZN7rocprim17ROCPRIM_400000_NS6detail17trampoline_kernelINS0_14default_configENS1_35radix_sort_onesweep_config_selectorIiNS0_10empty_typeEEEZZNS1_29radix_sort_onesweep_iterationIS3_Lb0EN6thrust23THRUST_200600_302600_NS6detail15normal_iteratorINS9_10device_ptrIiEEEESE_PS5_SF_jNS0_19identity_decomposerENS1_16block_id_wrapperIjLb0EEEEE10hipError_tT1_PNSt15iterator_traitsISK_E10value_typeET2_T3_PNSL_ISQ_E10value_typeET4_T5_PSV_SW_PNS1_23onesweep_lookback_stateEbbT6_jjT7_P12ihipStream_tbENKUlT_T0_SK_SP_E_clISE_PiSF_SF_EEDaS13_S14_SK_SP_EUlS13_E_NS1_11comp_targetILNS1_3genE9ELNS1_11target_archE1100ELNS1_3gpuE3ELNS1_3repE0EEENS1_47radix_sort_onesweep_sort_config_static_selectorELNS0_4arch9wavefront6targetE0EEEvSK_,comdat
	.protected	_ZN7rocprim17ROCPRIM_400000_NS6detail17trampoline_kernelINS0_14default_configENS1_35radix_sort_onesweep_config_selectorIiNS0_10empty_typeEEEZZNS1_29radix_sort_onesweep_iterationIS3_Lb0EN6thrust23THRUST_200600_302600_NS6detail15normal_iteratorINS9_10device_ptrIiEEEESE_PS5_SF_jNS0_19identity_decomposerENS1_16block_id_wrapperIjLb0EEEEE10hipError_tT1_PNSt15iterator_traitsISK_E10value_typeET2_T3_PNSL_ISQ_E10value_typeET4_T5_PSV_SW_PNS1_23onesweep_lookback_stateEbbT6_jjT7_P12ihipStream_tbENKUlT_T0_SK_SP_E_clISE_PiSF_SF_EEDaS13_S14_SK_SP_EUlS13_E_NS1_11comp_targetILNS1_3genE9ELNS1_11target_archE1100ELNS1_3gpuE3ELNS1_3repE0EEENS1_47radix_sort_onesweep_sort_config_static_selectorELNS0_4arch9wavefront6targetE0EEEvSK_ ; -- Begin function _ZN7rocprim17ROCPRIM_400000_NS6detail17trampoline_kernelINS0_14default_configENS1_35radix_sort_onesweep_config_selectorIiNS0_10empty_typeEEEZZNS1_29radix_sort_onesweep_iterationIS3_Lb0EN6thrust23THRUST_200600_302600_NS6detail15normal_iteratorINS9_10device_ptrIiEEEESE_PS5_SF_jNS0_19identity_decomposerENS1_16block_id_wrapperIjLb0EEEEE10hipError_tT1_PNSt15iterator_traitsISK_E10value_typeET2_T3_PNSL_ISQ_E10value_typeET4_T5_PSV_SW_PNS1_23onesweep_lookback_stateEbbT6_jjT7_P12ihipStream_tbENKUlT_T0_SK_SP_E_clISE_PiSF_SF_EEDaS13_S14_SK_SP_EUlS13_E_NS1_11comp_targetILNS1_3genE9ELNS1_11target_archE1100ELNS1_3gpuE3ELNS1_3repE0EEENS1_47radix_sort_onesweep_sort_config_static_selectorELNS0_4arch9wavefront6targetE0EEEvSK_
	.globl	_ZN7rocprim17ROCPRIM_400000_NS6detail17trampoline_kernelINS0_14default_configENS1_35radix_sort_onesweep_config_selectorIiNS0_10empty_typeEEEZZNS1_29radix_sort_onesweep_iterationIS3_Lb0EN6thrust23THRUST_200600_302600_NS6detail15normal_iteratorINS9_10device_ptrIiEEEESE_PS5_SF_jNS0_19identity_decomposerENS1_16block_id_wrapperIjLb0EEEEE10hipError_tT1_PNSt15iterator_traitsISK_E10value_typeET2_T3_PNSL_ISQ_E10value_typeET4_T5_PSV_SW_PNS1_23onesweep_lookback_stateEbbT6_jjT7_P12ihipStream_tbENKUlT_T0_SK_SP_E_clISE_PiSF_SF_EEDaS13_S14_SK_SP_EUlS13_E_NS1_11comp_targetILNS1_3genE9ELNS1_11target_archE1100ELNS1_3gpuE3ELNS1_3repE0EEENS1_47radix_sort_onesweep_sort_config_static_selectorELNS0_4arch9wavefront6targetE0EEEvSK_
	.p2align	8
	.type	_ZN7rocprim17ROCPRIM_400000_NS6detail17trampoline_kernelINS0_14default_configENS1_35radix_sort_onesweep_config_selectorIiNS0_10empty_typeEEEZZNS1_29radix_sort_onesweep_iterationIS3_Lb0EN6thrust23THRUST_200600_302600_NS6detail15normal_iteratorINS9_10device_ptrIiEEEESE_PS5_SF_jNS0_19identity_decomposerENS1_16block_id_wrapperIjLb0EEEEE10hipError_tT1_PNSt15iterator_traitsISK_E10value_typeET2_T3_PNSL_ISQ_E10value_typeET4_T5_PSV_SW_PNS1_23onesweep_lookback_stateEbbT6_jjT7_P12ihipStream_tbENKUlT_T0_SK_SP_E_clISE_PiSF_SF_EEDaS13_S14_SK_SP_EUlS13_E_NS1_11comp_targetILNS1_3genE9ELNS1_11target_archE1100ELNS1_3gpuE3ELNS1_3repE0EEENS1_47radix_sort_onesweep_sort_config_static_selectorELNS0_4arch9wavefront6targetE0EEEvSK_,@function
_ZN7rocprim17ROCPRIM_400000_NS6detail17trampoline_kernelINS0_14default_configENS1_35radix_sort_onesweep_config_selectorIiNS0_10empty_typeEEEZZNS1_29radix_sort_onesweep_iterationIS3_Lb0EN6thrust23THRUST_200600_302600_NS6detail15normal_iteratorINS9_10device_ptrIiEEEESE_PS5_SF_jNS0_19identity_decomposerENS1_16block_id_wrapperIjLb0EEEEE10hipError_tT1_PNSt15iterator_traitsISK_E10value_typeET2_T3_PNSL_ISQ_E10value_typeET4_T5_PSV_SW_PNS1_23onesweep_lookback_stateEbbT6_jjT7_P12ihipStream_tbENKUlT_T0_SK_SP_E_clISE_PiSF_SF_EEDaS13_S14_SK_SP_EUlS13_E_NS1_11comp_targetILNS1_3genE9ELNS1_11target_archE1100ELNS1_3gpuE3ELNS1_3repE0EEENS1_47radix_sort_onesweep_sort_config_static_selectorELNS0_4arch9wavefront6targetE0EEEvSK_: ; @_ZN7rocprim17ROCPRIM_400000_NS6detail17trampoline_kernelINS0_14default_configENS1_35radix_sort_onesweep_config_selectorIiNS0_10empty_typeEEEZZNS1_29radix_sort_onesweep_iterationIS3_Lb0EN6thrust23THRUST_200600_302600_NS6detail15normal_iteratorINS9_10device_ptrIiEEEESE_PS5_SF_jNS0_19identity_decomposerENS1_16block_id_wrapperIjLb0EEEEE10hipError_tT1_PNSt15iterator_traitsISK_E10value_typeET2_T3_PNSL_ISQ_E10value_typeET4_T5_PSV_SW_PNS1_23onesweep_lookback_stateEbbT6_jjT7_P12ihipStream_tbENKUlT_T0_SK_SP_E_clISE_PiSF_SF_EEDaS13_S14_SK_SP_EUlS13_E_NS1_11comp_targetILNS1_3genE9ELNS1_11target_archE1100ELNS1_3gpuE3ELNS1_3repE0EEENS1_47radix_sort_onesweep_sort_config_static_selectorELNS0_4arch9wavefront6targetE0EEEvSK_
; %bb.0:
	.section	.rodata,"a",@progbits
	.p2align	6, 0x0
	.amdhsa_kernel _ZN7rocprim17ROCPRIM_400000_NS6detail17trampoline_kernelINS0_14default_configENS1_35radix_sort_onesweep_config_selectorIiNS0_10empty_typeEEEZZNS1_29radix_sort_onesweep_iterationIS3_Lb0EN6thrust23THRUST_200600_302600_NS6detail15normal_iteratorINS9_10device_ptrIiEEEESE_PS5_SF_jNS0_19identity_decomposerENS1_16block_id_wrapperIjLb0EEEEE10hipError_tT1_PNSt15iterator_traitsISK_E10value_typeET2_T3_PNSL_ISQ_E10value_typeET4_T5_PSV_SW_PNS1_23onesweep_lookback_stateEbbT6_jjT7_P12ihipStream_tbENKUlT_T0_SK_SP_E_clISE_PiSF_SF_EEDaS13_S14_SK_SP_EUlS13_E_NS1_11comp_targetILNS1_3genE9ELNS1_11target_archE1100ELNS1_3gpuE3ELNS1_3repE0EEENS1_47radix_sort_onesweep_sort_config_static_selectorELNS0_4arch9wavefront6targetE0EEEvSK_
		.amdhsa_group_segment_fixed_size 0
		.amdhsa_private_segment_fixed_size 0
		.amdhsa_kernarg_size 88
		.amdhsa_user_sgpr_count 6
		.amdhsa_user_sgpr_private_segment_buffer 1
		.amdhsa_user_sgpr_dispatch_ptr 0
		.amdhsa_user_sgpr_queue_ptr 0
		.amdhsa_user_sgpr_kernarg_segment_ptr 1
		.amdhsa_user_sgpr_dispatch_id 0
		.amdhsa_user_sgpr_flat_scratch_init 0
		.amdhsa_user_sgpr_private_segment_size 0
		.amdhsa_wavefront_size32 1
		.amdhsa_uses_dynamic_stack 0
		.amdhsa_system_sgpr_private_segment_wavefront_offset 0
		.amdhsa_system_sgpr_workgroup_id_x 1
		.amdhsa_system_sgpr_workgroup_id_y 0
		.amdhsa_system_sgpr_workgroup_id_z 0
		.amdhsa_system_sgpr_workgroup_info 0
		.amdhsa_system_vgpr_workitem_id 0
		.amdhsa_next_free_vgpr 1
		.amdhsa_next_free_sgpr 1
		.amdhsa_reserve_vcc 0
		.amdhsa_reserve_flat_scratch 0
		.amdhsa_float_round_mode_32 0
		.amdhsa_float_round_mode_16_64 0
		.amdhsa_float_denorm_mode_32 3
		.amdhsa_float_denorm_mode_16_64 3
		.amdhsa_dx10_clamp 1
		.amdhsa_ieee_mode 1
		.amdhsa_fp16_overflow 0
		.amdhsa_workgroup_processor_mode 1
		.amdhsa_memory_ordered 1
		.amdhsa_forward_progress 1
		.amdhsa_shared_vgpr_count 0
		.amdhsa_exception_fp_ieee_invalid_op 0
		.amdhsa_exception_fp_denorm_src 0
		.amdhsa_exception_fp_ieee_div_zero 0
		.amdhsa_exception_fp_ieee_overflow 0
		.amdhsa_exception_fp_ieee_underflow 0
		.amdhsa_exception_fp_ieee_inexact 0
		.amdhsa_exception_int_div_zero 0
	.end_amdhsa_kernel
	.section	.text._ZN7rocprim17ROCPRIM_400000_NS6detail17trampoline_kernelINS0_14default_configENS1_35radix_sort_onesweep_config_selectorIiNS0_10empty_typeEEEZZNS1_29radix_sort_onesweep_iterationIS3_Lb0EN6thrust23THRUST_200600_302600_NS6detail15normal_iteratorINS9_10device_ptrIiEEEESE_PS5_SF_jNS0_19identity_decomposerENS1_16block_id_wrapperIjLb0EEEEE10hipError_tT1_PNSt15iterator_traitsISK_E10value_typeET2_T3_PNSL_ISQ_E10value_typeET4_T5_PSV_SW_PNS1_23onesweep_lookback_stateEbbT6_jjT7_P12ihipStream_tbENKUlT_T0_SK_SP_E_clISE_PiSF_SF_EEDaS13_S14_SK_SP_EUlS13_E_NS1_11comp_targetILNS1_3genE9ELNS1_11target_archE1100ELNS1_3gpuE3ELNS1_3repE0EEENS1_47radix_sort_onesweep_sort_config_static_selectorELNS0_4arch9wavefront6targetE0EEEvSK_,"axG",@progbits,_ZN7rocprim17ROCPRIM_400000_NS6detail17trampoline_kernelINS0_14default_configENS1_35radix_sort_onesweep_config_selectorIiNS0_10empty_typeEEEZZNS1_29radix_sort_onesweep_iterationIS3_Lb0EN6thrust23THRUST_200600_302600_NS6detail15normal_iteratorINS9_10device_ptrIiEEEESE_PS5_SF_jNS0_19identity_decomposerENS1_16block_id_wrapperIjLb0EEEEE10hipError_tT1_PNSt15iterator_traitsISK_E10value_typeET2_T3_PNSL_ISQ_E10value_typeET4_T5_PSV_SW_PNS1_23onesweep_lookback_stateEbbT6_jjT7_P12ihipStream_tbENKUlT_T0_SK_SP_E_clISE_PiSF_SF_EEDaS13_S14_SK_SP_EUlS13_E_NS1_11comp_targetILNS1_3genE9ELNS1_11target_archE1100ELNS1_3gpuE3ELNS1_3repE0EEENS1_47radix_sort_onesweep_sort_config_static_selectorELNS0_4arch9wavefront6targetE0EEEvSK_,comdat
.Lfunc_end202:
	.size	_ZN7rocprim17ROCPRIM_400000_NS6detail17trampoline_kernelINS0_14default_configENS1_35radix_sort_onesweep_config_selectorIiNS0_10empty_typeEEEZZNS1_29radix_sort_onesweep_iterationIS3_Lb0EN6thrust23THRUST_200600_302600_NS6detail15normal_iteratorINS9_10device_ptrIiEEEESE_PS5_SF_jNS0_19identity_decomposerENS1_16block_id_wrapperIjLb0EEEEE10hipError_tT1_PNSt15iterator_traitsISK_E10value_typeET2_T3_PNSL_ISQ_E10value_typeET4_T5_PSV_SW_PNS1_23onesweep_lookback_stateEbbT6_jjT7_P12ihipStream_tbENKUlT_T0_SK_SP_E_clISE_PiSF_SF_EEDaS13_S14_SK_SP_EUlS13_E_NS1_11comp_targetILNS1_3genE9ELNS1_11target_archE1100ELNS1_3gpuE3ELNS1_3repE0EEENS1_47radix_sort_onesweep_sort_config_static_selectorELNS0_4arch9wavefront6targetE0EEEvSK_, .Lfunc_end202-_ZN7rocprim17ROCPRIM_400000_NS6detail17trampoline_kernelINS0_14default_configENS1_35radix_sort_onesweep_config_selectorIiNS0_10empty_typeEEEZZNS1_29radix_sort_onesweep_iterationIS3_Lb0EN6thrust23THRUST_200600_302600_NS6detail15normal_iteratorINS9_10device_ptrIiEEEESE_PS5_SF_jNS0_19identity_decomposerENS1_16block_id_wrapperIjLb0EEEEE10hipError_tT1_PNSt15iterator_traitsISK_E10value_typeET2_T3_PNSL_ISQ_E10value_typeET4_T5_PSV_SW_PNS1_23onesweep_lookback_stateEbbT6_jjT7_P12ihipStream_tbENKUlT_T0_SK_SP_E_clISE_PiSF_SF_EEDaS13_S14_SK_SP_EUlS13_E_NS1_11comp_targetILNS1_3genE9ELNS1_11target_archE1100ELNS1_3gpuE3ELNS1_3repE0EEENS1_47radix_sort_onesweep_sort_config_static_selectorELNS0_4arch9wavefront6targetE0EEEvSK_
                                        ; -- End function
	.set _ZN7rocprim17ROCPRIM_400000_NS6detail17trampoline_kernelINS0_14default_configENS1_35radix_sort_onesweep_config_selectorIiNS0_10empty_typeEEEZZNS1_29radix_sort_onesweep_iterationIS3_Lb0EN6thrust23THRUST_200600_302600_NS6detail15normal_iteratorINS9_10device_ptrIiEEEESE_PS5_SF_jNS0_19identity_decomposerENS1_16block_id_wrapperIjLb0EEEEE10hipError_tT1_PNSt15iterator_traitsISK_E10value_typeET2_T3_PNSL_ISQ_E10value_typeET4_T5_PSV_SW_PNS1_23onesweep_lookback_stateEbbT6_jjT7_P12ihipStream_tbENKUlT_T0_SK_SP_E_clISE_PiSF_SF_EEDaS13_S14_SK_SP_EUlS13_E_NS1_11comp_targetILNS1_3genE9ELNS1_11target_archE1100ELNS1_3gpuE3ELNS1_3repE0EEENS1_47radix_sort_onesweep_sort_config_static_selectorELNS0_4arch9wavefront6targetE0EEEvSK_.num_vgpr, 0
	.set _ZN7rocprim17ROCPRIM_400000_NS6detail17trampoline_kernelINS0_14default_configENS1_35radix_sort_onesweep_config_selectorIiNS0_10empty_typeEEEZZNS1_29radix_sort_onesweep_iterationIS3_Lb0EN6thrust23THRUST_200600_302600_NS6detail15normal_iteratorINS9_10device_ptrIiEEEESE_PS5_SF_jNS0_19identity_decomposerENS1_16block_id_wrapperIjLb0EEEEE10hipError_tT1_PNSt15iterator_traitsISK_E10value_typeET2_T3_PNSL_ISQ_E10value_typeET4_T5_PSV_SW_PNS1_23onesweep_lookback_stateEbbT6_jjT7_P12ihipStream_tbENKUlT_T0_SK_SP_E_clISE_PiSF_SF_EEDaS13_S14_SK_SP_EUlS13_E_NS1_11comp_targetILNS1_3genE9ELNS1_11target_archE1100ELNS1_3gpuE3ELNS1_3repE0EEENS1_47radix_sort_onesweep_sort_config_static_selectorELNS0_4arch9wavefront6targetE0EEEvSK_.num_agpr, 0
	.set _ZN7rocprim17ROCPRIM_400000_NS6detail17trampoline_kernelINS0_14default_configENS1_35radix_sort_onesweep_config_selectorIiNS0_10empty_typeEEEZZNS1_29radix_sort_onesweep_iterationIS3_Lb0EN6thrust23THRUST_200600_302600_NS6detail15normal_iteratorINS9_10device_ptrIiEEEESE_PS5_SF_jNS0_19identity_decomposerENS1_16block_id_wrapperIjLb0EEEEE10hipError_tT1_PNSt15iterator_traitsISK_E10value_typeET2_T3_PNSL_ISQ_E10value_typeET4_T5_PSV_SW_PNS1_23onesweep_lookback_stateEbbT6_jjT7_P12ihipStream_tbENKUlT_T0_SK_SP_E_clISE_PiSF_SF_EEDaS13_S14_SK_SP_EUlS13_E_NS1_11comp_targetILNS1_3genE9ELNS1_11target_archE1100ELNS1_3gpuE3ELNS1_3repE0EEENS1_47radix_sort_onesweep_sort_config_static_selectorELNS0_4arch9wavefront6targetE0EEEvSK_.numbered_sgpr, 0
	.set _ZN7rocprim17ROCPRIM_400000_NS6detail17trampoline_kernelINS0_14default_configENS1_35radix_sort_onesweep_config_selectorIiNS0_10empty_typeEEEZZNS1_29radix_sort_onesweep_iterationIS3_Lb0EN6thrust23THRUST_200600_302600_NS6detail15normal_iteratorINS9_10device_ptrIiEEEESE_PS5_SF_jNS0_19identity_decomposerENS1_16block_id_wrapperIjLb0EEEEE10hipError_tT1_PNSt15iterator_traitsISK_E10value_typeET2_T3_PNSL_ISQ_E10value_typeET4_T5_PSV_SW_PNS1_23onesweep_lookback_stateEbbT6_jjT7_P12ihipStream_tbENKUlT_T0_SK_SP_E_clISE_PiSF_SF_EEDaS13_S14_SK_SP_EUlS13_E_NS1_11comp_targetILNS1_3genE9ELNS1_11target_archE1100ELNS1_3gpuE3ELNS1_3repE0EEENS1_47radix_sort_onesweep_sort_config_static_selectorELNS0_4arch9wavefront6targetE0EEEvSK_.num_named_barrier, 0
	.set _ZN7rocprim17ROCPRIM_400000_NS6detail17trampoline_kernelINS0_14default_configENS1_35radix_sort_onesweep_config_selectorIiNS0_10empty_typeEEEZZNS1_29radix_sort_onesweep_iterationIS3_Lb0EN6thrust23THRUST_200600_302600_NS6detail15normal_iteratorINS9_10device_ptrIiEEEESE_PS5_SF_jNS0_19identity_decomposerENS1_16block_id_wrapperIjLb0EEEEE10hipError_tT1_PNSt15iterator_traitsISK_E10value_typeET2_T3_PNSL_ISQ_E10value_typeET4_T5_PSV_SW_PNS1_23onesweep_lookback_stateEbbT6_jjT7_P12ihipStream_tbENKUlT_T0_SK_SP_E_clISE_PiSF_SF_EEDaS13_S14_SK_SP_EUlS13_E_NS1_11comp_targetILNS1_3genE9ELNS1_11target_archE1100ELNS1_3gpuE3ELNS1_3repE0EEENS1_47radix_sort_onesweep_sort_config_static_selectorELNS0_4arch9wavefront6targetE0EEEvSK_.private_seg_size, 0
	.set _ZN7rocprim17ROCPRIM_400000_NS6detail17trampoline_kernelINS0_14default_configENS1_35radix_sort_onesweep_config_selectorIiNS0_10empty_typeEEEZZNS1_29radix_sort_onesweep_iterationIS3_Lb0EN6thrust23THRUST_200600_302600_NS6detail15normal_iteratorINS9_10device_ptrIiEEEESE_PS5_SF_jNS0_19identity_decomposerENS1_16block_id_wrapperIjLb0EEEEE10hipError_tT1_PNSt15iterator_traitsISK_E10value_typeET2_T3_PNSL_ISQ_E10value_typeET4_T5_PSV_SW_PNS1_23onesweep_lookback_stateEbbT6_jjT7_P12ihipStream_tbENKUlT_T0_SK_SP_E_clISE_PiSF_SF_EEDaS13_S14_SK_SP_EUlS13_E_NS1_11comp_targetILNS1_3genE9ELNS1_11target_archE1100ELNS1_3gpuE3ELNS1_3repE0EEENS1_47radix_sort_onesweep_sort_config_static_selectorELNS0_4arch9wavefront6targetE0EEEvSK_.uses_vcc, 0
	.set _ZN7rocprim17ROCPRIM_400000_NS6detail17trampoline_kernelINS0_14default_configENS1_35radix_sort_onesweep_config_selectorIiNS0_10empty_typeEEEZZNS1_29radix_sort_onesweep_iterationIS3_Lb0EN6thrust23THRUST_200600_302600_NS6detail15normal_iteratorINS9_10device_ptrIiEEEESE_PS5_SF_jNS0_19identity_decomposerENS1_16block_id_wrapperIjLb0EEEEE10hipError_tT1_PNSt15iterator_traitsISK_E10value_typeET2_T3_PNSL_ISQ_E10value_typeET4_T5_PSV_SW_PNS1_23onesweep_lookback_stateEbbT6_jjT7_P12ihipStream_tbENKUlT_T0_SK_SP_E_clISE_PiSF_SF_EEDaS13_S14_SK_SP_EUlS13_E_NS1_11comp_targetILNS1_3genE9ELNS1_11target_archE1100ELNS1_3gpuE3ELNS1_3repE0EEENS1_47radix_sort_onesweep_sort_config_static_selectorELNS0_4arch9wavefront6targetE0EEEvSK_.uses_flat_scratch, 0
	.set _ZN7rocprim17ROCPRIM_400000_NS6detail17trampoline_kernelINS0_14default_configENS1_35radix_sort_onesweep_config_selectorIiNS0_10empty_typeEEEZZNS1_29radix_sort_onesweep_iterationIS3_Lb0EN6thrust23THRUST_200600_302600_NS6detail15normal_iteratorINS9_10device_ptrIiEEEESE_PS5_SF_jNS0_19identity_decomposerENS1_16block_id_wrapperIjLb0EEEEE10hipError_tT1_PNSt15iterator_traitsISK_E10value_typeET2_T3_PNSL_ISQ_E10value_typeET4_T5_PSV_SW_PNS1_23onesweep_lookback_stateEbbT6_jjT7_P12ihipStream_tbENKUlT_T0_SK_SP_E_clISE_PiSF_SF_EEDaS13_S14_SK_SP_EUlS13_E_NS1_11comp_targetILNS1_3genE9ELNS1_11target_archE1100ELNS1_3gpuE3ELNS1_3repE0EEENS1_47radix_sort_onesweep_sort_config_static_selectorELNS0_4arch9wavefront6targetE0EEEvSK_.has_dyn_sized_stack, 0
	.set _ZN7rocprim17ROCPRIM_400000_NS6detail17trampoline_kernelINS0_14default_configENS1_35radix_sort_onesweep_config_selectorIiNS0_10empty_typeEEEZZNS1_29radix_sort_onesweep_iterationIS3_Lb0EN6thrust23THRUST_200600_302600_NS6detail15normal_iteratorINS9_10device_ptrIiEEEESE_PS5_SF_jNS0_19identity_decomposerENS1_16block_id_wrapperIjLb0EEEEE10hipError_tT1_PNSt15iterator_traitsISK_E10value_typeET2_T3_PNSL_ISQ_E10value_typeET4_T5_PSV_SW_PNS1_23onesweep_lookback_stateEbbT6_jjT7_P12ihipStream_tbENKUlT_T0_SK_SP_E_clISE_PiSF_SF_EEDaS13_S14_SK_SP_EUlS13_E_NS1_11comp_targetILNS1_3genE9ELNS1_11target_archE1100ELNS1_3gpuE3ELNS1_3repE0EEENS1_47radix_sort_onesweep_sort_config_static_selectorELNS0_4arch9wavefront6targetE0EEEvSK_.has_recursion, 0
	.set _ZN7rocprim17ROCPRIM_400000_NS6detail17trampoline_kernelINS0_14default_configENS1_35radix_sort_onesweep_config_selectorIiNS0_10empty_typeEEEZZNS1_29radix_sort_onesweep_iterationIS3_Lb0EN6thrust23THRUST_200600_302600_NS6detail15normal_iteratorINS9_10device_ptrIiEEEESE_PS5_SF_jNS0_19identity_decomposerENS1_16block_id_wrapperIjLb0EEEEE10hipError_tT1_PNSt15iterator_traitsISK_E10value_typeET2_T3_PNSL_ISQ_E10value_typeET4_T5_PSV_SW_PNS1_23onesweep_lookback_stateEbbT6_jjT7_P12ihipStream_tbENKUlT_T0_SK_SP_E_clISE_PiSF_SF_EEDaS13_S14_SK_SP_EUlS13_E_NS1_11comp_targetILNS1_3genE9ELNS1_11target_archE1100ELNS1_3gpuE3ELNS1_3repE0EEENS1_47radix_sort_onesweep_sort_config_static_selectorELNS0_4arch9wavefront6targetE0EEEvSK_.has_indirect_call, 0
	.section	.AMDGPU.csdata,"",@progbits
; Kernel info:
; codeLenInByte = 0
; TotalNumSgprs: 0
; NumVgprs: 0
; ScratchSize: 0
; MemoryBound: 0
; FloatMode: 240
; IeeeMode: 1
; LDSByteSize: 0 bytes/workgroup (compile time only)
; SGPRBlocks: 0
; VGPRBlocks: 0
; NumSGPRsForWavesPerEU: 1
; NumVGPRsForWavesPerEU: 1
; Occupancy: 16
; WaveLimiterHint : 0
; COMPUTE_PGM_RSRC2:SCRATCH_EN: 0
; COMPUTE_PGM_RSRC2:USER_SGPR: 6
; COMPUTE_PGM_RSRC2:TRAP_HANDLER: 0
; COMPUTE_PGM_RSRC2:TGID_X_EN: 1
; COMPUTE_PGM_RSRC2:TGID_Y_EN: 0
; COMPUTE_PGM_RSRC2:TGID_Z_EN: 0
; COMPUTE_PGM_RSRC2:TIDIG_COMP_CNT: 0
	.section	.text._ZN7rocprim17ROCPRIM_400000_NS6detail17trampoline_kernelINS0_14default_configENS1_35radix_sort_onesweep_config_selectorIiNS0_10empty_typeEEEZZNS1_29radix_sort_onesweep_iterationIS3_Lb0EN6thrust23THRUST_200600_302600_NS6detail15normal_iteratorINS9_10device_ptrIiEEEESE_PS5_SF_jNS0_19identity_decomposerENS1_16block_id_wrapperIjLb0EEEEE10hipError_tT1_PNSt15iterator_traitsISK_E10value_typeET2_T3_PNSL_ISQ_E10value_typeET4_T5_PSV_SW_PNS1_23onesweep_lookback_stateEbbT6_jjT7_P12ihipStream_tbENKUlT_T0_SK_SP_E_clISE_PiSF_SF_EEDaS13_S14_SK_SP_EUlS13_E_NS1_11comp_targetILNS1_3genE8ELNS1_11target_archE1030ELNS1_3gpuE2ELNS1_3repE0EEENS1_47radix_sort_onesweep_sort_config_static_selectorELNS0_4arch9wavefront6targetE0EEEvSK_,"axG",@progbits,_ZN7rocprim17ROCPRIM_400000_NS6detail17trampoline_kernelINS0_14default_configENS1_35radix_sort_onesweep_config_selectorIiNS0_10empty_typeEEEZZNS1_29radix_sort_onesweep_iterationIS3_Lb0EN6thrust23THRUST_200600_302600_NS6detail15normal_iteratorINS9_10device_ptrIiEEEESE_PS5_SF_jNS0_19identity_decomposerENS1_16block_id_wrapperIjLb0EEEEE10hipError_tT1_PNSt15iterator_traitsISK_E10value_typeET2_T3_PNSL_ISQ_E10value_typeET4_T5_PSV_SW_PNS1_23onesweep_lookback_stateEbbT6_jjT7_P12ihipStream_tbENKUlT_T0_SK_SP_E_clISE_PiSF_SF_EEDaS13_S14_SK_SP_EUlS13_E_NS1_11comp_targetILNS1_3genE8ELNS1_11target_archE1030ELNS1_3gpuE2ELNS1_3repE0EEENS1_47radix_sort_onesweep_sort_config_static_selectorELNS0_4arch9wavefront6targetE0EEEvSK_,comdat
	.protected	_ZN7rocprim17ROCPRIM_400000_NS6detail17trampoline_kernelINS0_14default_configENS1_35radix_sort_onesweep_config_selectorIiNS0_10empty_typeEEEZZNS1_29radix_sort_onesweep_iterationIS3_Lb0EN6thrust23THRUST_200600_302600_NS6detail15normal_iteratorINS9_10device_ptrIiEEEESE_PS5_SF_jNS0_19identity_decomposerENS1_16block_id_wrapperIjLb0EEEEE10hipError_tT1_PNSt15iterator_traitsISK_E10value_typeET2_T3_PNSL_ISQ_E10value_typeET4_T5_PSV_SW_PNS1_23onesweep_lookback_stateEbbT6_jjT7_P12ihipStream_tbENKUlT_T0_SK_SP_E_clISE_PiSF_SF_EEDaS13_S14_SK_SP_EUlS13_E_NS1_11comp_targetILNS1_3genE8ELNS1_11target_archE1030ELNS1_3gpuE2ELNS1_3repE0EEENS1_47radix_sort_onesweep_sort_config_static_selectorELNS0_4arch9wavefront6targetE0EEEvSK_ ; -- Begin function _ZN7rocprim17ROCPRIM_400000_NS6detail17trampoline_kernelINS0_14default_configENS1_35radix_sort_onesweep_config_selectorIiNS0_10empty_typeEEEZZNS1_29radix_sort_onesweep_iterationIS3_Lb0EN6thrust23THRUST_200600_302600_NS6detail15normal_iteratorINS9_10device_ptrIiEEEESE_PS5_SF_jNS0_19identity_decomposerENS1_16block_id_wrapperIjLb0EEEEE10hipError_tT1_PNSt15iterator_traitsISK_E10value_typeET2_T3_PNSL_ISQ_E10value_typeET4_T5_PSV_SW_PNS1_23onesweep_lookback_stateEbbT6_jjT7_P12ihipStream_tbENKUlT_T0_SK_SP_E_clISE_PiSF_SF_EEDaS13_S14_SK_SP_EUlS13_E_NS1_11comp_targetILNS1_3genE8ELNS1_11target_archE1030ELNS1_3gpuE2ELNS1_3repE0EEENS1_47radix_sort_onesweep_sort_config_static_selectorELNS0_4arch9wavefront6targetE0EEEvSK_
	.globl	_ZN7rocprim17ROCPRIM_400000_NS6detail17trampoline_kernelINS0_14default_configENS1_35radix_sort_onesweep_config_selectorIiNS0_10empty_typeEEEZZNS1_29radix_sort_onesweep_iterationIS3_Lb0EN6thrust23THRUST_200600_302600_NS6detail15normal_iteratorINS9_10device_ptrIiEEEESE_PS5_SF_jNS0_19identity_decomposerENS1_16block_id_wrapperIjLb0EEEEE10hipError_tT1_PNSt15iterator_traitsISK_E10value_typeET2_T3_PNSL_ISQ_E10value_typeET4_T5_PSV_SW_PNS1_23onesweep_lookback_stateEbbT6_jjT7_P12ihipStream_tbENKUlT_T0_SK_SP_E_clISE_PiSF_SF_EEDaS13_S14_SK_SP_EUlS13_E_NS1_11comp_targetILNS1_3genE8ELNS1_11target_archE1030ELNS1_3gpuE2ELNS1_3repE0EEENS1_47radix_sort_onesweep_sort_config_static_selectorELNS0_4arch9wavefront6targetE0EEEvSK_
	.p2align	8
	.type	_ZN7rocprim17ROCPRIM_400000_NS6detail17trampoline_kernelINS0_14default_configENS1_35radix_sort_onesweep_config_selectorIiNS0_10empty_typeEEEZZNS1_29radix_sort_onesweep_iterationIS3_Lb0EN6thrust23THRUST_200600_302600_NS6detail15normal_iteratorINS9_10device_ptrIiEEEESE_PS5_SF_jNS0_19identity_decomposerENS1_16block_id_wrapperIjLb0EEEEE10hipError_tT1_PNSt15iterator_traitsISK_E10value_typeET2_T3_PNSL_ISQ_E10value_typeET4_T5_PSV_SW_PNS1_23onesweep_lookback_stateEbbT6_jjT7_P12ihipStream_tbENKUlT_T0_SK_SP_E_clISE_PiSF_SF_EEDaS13_S14_SK_SP_EUlS13_E_NS1_11comp_targetILNS1_3genE8ELNS1_11target_archE1030ELNS1_3gpuE2ELNS1_3repE0EEENS1_47radix_sort_onesweep_sort_config_static_selectorELNS0_4arch9wavefront6targetE0EEEvSK_,@function
_ZN7rocprim17ROCPRIM_400000_NS6detail17trampoline_kernelINS0_14default_configENS1_35radix_sort_onesweep_config_selectorIiNS0_10empty_typeEEEZZNS1_29radix_sort_onesweep_iterationIS3_Lb0EN6thrust23THRUST_200600_302600_NS6detail15normal_iteratorINS9_10device_ptrIiEEEESE_PS5_SF_jNS0_19identity_decomposerENS1_16block_id_wrapperIjLb0EEEEE10hipError_tT1_PNSt15iterator_traitsISK_E10value_typeET2_T3_PNSL_ISQ_E10value_typeET4_T5_PSV_SW_PNS1_23onesweep_lookback_stateEbbT6_jjT7_P12ihipStream_tbENKUlT_T0_SK_SP_E_clISE_PiSF_SF_EEDaS13_S14_SK_SP_EUlS13_E_NS1_11comp_targetILNS1_3genE8ELNS1_11target_archE1030ELNS1_3gpuE2ELNS1_3repE0EEENS1_47radix_sort_onesweep_sort_config_static_selectorELNS0_4arch9wavefront6targetE0EEEvSK_: ; @_ZN7rocprim17ROCPRIM_400000_NS6detail17trampoline_kernelINS0_14default_configENS1_35radix_sort_onesweep_config_selectorIiNS0_10empty_typeEEEZZNS1_29radix_sort_onesweep_iterationIS3_Lb0EN6thrust23THRUST_200600_302600_NS6detail15normal_iteratorINS9_10device_ptrIiEEEESE_PS5_SF_jNS0_19identity_decomposerENS1_16block_id_wrapperIjLb0EEEEE10hipError_tT1_PNSt15iterator_traitsISK_E10value_typeET2_T3_PNSL_ISQ_E10value_typeET4_T5_PSV_SW_PNS1_23onesweep_lookback_stateEbbT6_jjT7_P12ihipStream_tbENKUlT_T0_SK_SP_E_clISE_PiSF_SF_EEDaS13_S14_SK_SP_EUlS13_E_NS1_11comp_targetILNS1_3genE8ELNS1_11target_archE1030ELNS1_3gpuE2ELNS1_3repE0EEENS1_47radix_sort_onesweep_sort_config_static_selectorELNS0_4arch9wavefront6targetE0EEEvSK_
; %bb.0:
	s_clause 0x3
	s_load_dwordx4 s[20:23], s[4:5], 0x44
	s_load_dwordx2 s[10:11], s[4:5], 0x38
	s_load_dwordx4 s[16:19], s[4:5], 0x0
	s_load_dwordx4 s[12:15], s[4:5], 0x28
	v_mbcnt_lo_u32_b32 v12, -1, 0
	v_lshlrev_b32_e32 v11, 2, v0
	s_mov_b32 s0, -1
	s_waitcnt lgkmcnt(0)
	s_cmp_ge_u32 s6, s22
	s_cbranch_scc0 .LBB203_48
; %bb.1:
	s_load_dword s2, s[4:5], 0x20
	s_lshl_b32 s0, s6, 12
	s_mov_b32 s1, 0
	s_lshl_b32 s3, s22, 12
	v_and_b32_e32 v4, 0xf80, v11
	v_lshlrev_b32_e32 v6, 2, v12
	s_lshl_b64 s[0:1], s[0:1], 2
	v_bfrev_b32_e32 v3, -2
	v_lshlrev_b32_e32 v7, 2, v4
	v_or_b32_e32 v9, v12, v4
	v_mov_b32_e32 v4, v3
	v_mov_b32_e32 v5, v3
	s_waitcnt lgkmcnt(0)
	s_sub_i32 s9, s2, s3
	s_add_u32 s0, s16, s0
	s_addc_u32 s1, s17, s1
	v_add_co_u32 v6, s0, s0, v6
	v_add_co_ci_u32_e64 v8, null, s1, 0, s0
	v_add_co_u32 v7, s0, v6, v7
	v_add_co_ci_u32_e64 v8, null, 0, v8, s0
	v_mov_b32_e32 v6, v3
	s_mov_b32 s0, exec_lo
	v_cmpx_gt_u32_e64 s9, v9
	s_cbranch_execz .LBB203_3
; %bb.2:
	global_load_dword v13, v[7:8], off
	v_mov_b32_e32 v14, v3
	v_mov_b32_e32 v15, v3
	;; [unrolled: 1-line block ×3, first 2 shown]
	s_waitcnt vmcnt(0)
	v_mov_b32_e32 v3, v13
	v_mov_b32_e32 v4, v14
	;; [unrolled: 1-line block ×4, first 2 shown]
.LBB203_3:
	s_or_b32 exec_lo, exec_lo, s0
	v_or_b32_e32 v10, 32, v9
	s_mov_b32 s0, exec_lo
	v_cmpx_gt_u32_e64 s9, v10
	s_cbranch_execz .LBB203_5
; %bb.4:
	global_load_dword v4, v[7:8], off offset:128
.LBB203_5:
	s_or_b32 exec_lo, exec_lo, s0
	v_or_b32_e32 v10, 64, v9
	s_mov_b32 s0, exec_lo
	v_cmpx_gt_u32_e64 s9, v10
	s_cbranch_execz .LBB203_7
; %bb.6:
	global_load_dword v5, v[7:8], off offset:256
.LBB203_7:
	;; [unrolled: 8-line block ×3, first 2 shown]
	s_or_b32 exec_lo, exec_lo, s0
	s_clause 0x1
	s_load_dword s0, s[4:5], 0x64
	s_load_dword s22, s[4:5], 0x58
	s_add_u32 s1, s4, 0x58
	s_addc_u32 s2, s5, 0
	v_mov_b32_e32 v10, 0
	v_xor_b32_e32 v13, 0x80000000, v3
	v_lshrrev_b32_e32 v3, s20, v13
	s_waitcnt lgkmcnt(0)
	s_lshr_b32 s3, s0, 16
	s_cmp_lt_u32 s6, s22
	s_cselect_b32 s0, 12, 18
	s_add_u32 s0, s1, s0
	s_addc_u32 s1, s2, 0
	global_load_ushort v7, v10, s[0:1]
	s_lshl_b32 s0, -1, s21
	s_not_b32 s23, s0
	v_and_b32_e32 v3, s23, v3
	v_and_b32_e32 v8, 1, v3
	v_lshlrev_b32_e32 v9, 30, v3
	v_lshlrev_b32_e32 v14, 29, v3
	;; [unrolled: 1-line block ×4, first 2 shown]
	v_add_co_u32 v8, s0, v8, -1
	v_cndmask_b32_e64 v15, 0, 1, s0
	v_not_b32_e32 v19, v9
	v_cmp_gt_i32_e64 s0, 0, v9
	v_not_b32_e32 v9, v14
	v_lshlrev_b32_e32 v18, 26, v3
	v_cmp_ne_u32_e32 vcc_lo, 0, v15
	v_ashrrev_i32_e32 v19, 31, v19
	v_lshlrev_b32_e32 v15, 25, v3
	v_ashrrev_i32_e32 v9, 31, v9
	v_xor_b32_e32 v8, vcc_lo, v8
	v_cmp_gt_i32_e32 vcc_lo, 0, v14
	v_not_b32_e32 v14, v16
	v_xor_b32_e32 v19, s0, v19
	v_cmp_gt_i32_e64 s0, 0, v16
	v_and_b32_e32 v8, exec_lo, v8
	v_not_b32_e32 v16, v17
	v_ashrrev_i32_e32 v14, 31, v14
	v_xor_b32_e32 v9, vcc_lo, v9
	v_cmp_gt_i32_e32 vcc_lo, 0, v17
	v_and_b32_e32 v8, v8, v19
	v_not_b32_e32 v17, v18
	v_ashrrev_i32_e32 v16, 31, v16
	v_xor_b32_e32 v14, s0, v14
	v_cmp_gt_i32_e64 s0, 0, v18
	v_and_b32_e32 v8, v8, v9
	v_not_b32_e32 v9, v15
	v_ashrrev_i32_e32 v17, 31, v17
	v_xor_b32_e32 v16, vcc_lo, v16
	v_cmp_gt_i32_e32 vcc_lo, 0, v15
	v_and_b32_e32 v8, v8, v14
	v_lshlrev_b32_e32 v14, 24, v3
	v_ashrrev_i32_e32 v9, 31, v9
	v_xor_b32_e32 v15, s0, v17
	v_and_b32_e32 v8, v8, v16
	v_not_b32_e32 v16, v14
	v_xor_b32_e32 v9, vcc_lo, v9
	v_cmp_gt_i32_e32 vcc_lo, 0, v14
	v_and_b32_e32 v8, v8, v15
	v_mad_u32_u24 v15, v2, s3, v1
	v_ashrrev_i32_e32 v14, 31, v16
	v_mul_u32_u24_e32 v16, 36, v0
	v_and_b32_e32 v17, v8, v9
	ds_write2_b32 v16, v10, v10 offset0:32 offset1:33
	ds_write2_b32 v16, v10, v10 offset0:34 offset1:35
	ds_write2_b32 v16, v10, v10 offset0:36 offset1:37
	ds_write2_b32 v16, v10, v10 offset0:38 offset1:39
	ds_write_b32 v16, v10 offset:160
	s_waitcnt vmcnt(0) lgkmcnt(0)
	s_barrier
	buffer_gl0_inv
	; wave barrier
	v_mad_u64_u32 v[8:9], null, v15, v7, v[0:1]
	v_xor_b32_e32 v7, vcc_lo, v14
	v_mul_lo_u32 v9, 0x84, v3
	v_and_b32_e32 v7, v17, v7
	v_lshrrev_b32_e32 v8, 3, v8
	v_mbcnt_lo_u32_b32 v14, v7, 0
	v_and_b32_e32 v3, 0x1ffffffc, v8
	v_cmp_ne_u32_e64 s0, 0, v7
	v_cmp_eq_u32_e32 vcc_lo, 0, v14
	v_add_nc_u32_e32 v17, v3, v9
	s_and_b32 s1, s0, vcc_lo
	s_and_saveexec_b32 s0, s1
; %bb.10:
	v_bcnt_u32_b32 v7, v7, 0
	ds_write_b32 v17, v7 offset:128
; %bb.11:
	s_or_b32 exec_lo, exec_lo, s0
	v_xor_b32_e32 v15, 0x80000000, v4
	; wave barrier
	v_lshrrev_b32_e32 v4, s20, v15
	v_and_b32_e32 v4, s23, v4
	v_and_b32_e32 v8, 1, v4
	v_lshlrev_b32_e32 v9, 30, v4
	v_lshlrev_b32_e32 v10, 29, v4
	;; [unrolled: 1-line block ×4, first 2 shown]
	v_add_co_u32 v8, s0, v8, -1
	v_cndmask_b32_e64 v19, 0, 1, s0
	v_not_b32_e32 v23, v9
	v_cmp_gt_i32_e64 s0, 0, v9
	v_not_b32_e32 v9, v10
	v_lshlrev_b32_e32 v21, 26, v4
	v_cmp_ne_u32_e32 vcc_lo, 0, v19
	v_ashrrev_i32_e32 v19, 31, v23
	v_lshlrev_b32_e32 v22, 25, v4
	v_ashrrev_i32_e32 v9, 31, v9
	v_mul_lo_u32 v7, 0x84, v4
	v_xor_b32_e32 v8, vcc_lo, v8
	v_cmp_gt_i32_e32 vcc_lo, 0, v10
	v_not_b32_e32 v10, v18
	v_xor_b32_e32 v19, s0, v19
	v_cmp_gt_i32_e64 s0, 0, v18
	v_and_b32_e32 v8, exec_lo, v8
	v_not_b32_e32 v18, v20
	v_ashrrev_i32_e32 v10, 31, v10
	v_xor_b32_e32 v9, vcc_lo, v9
	v_cmp_gt_i32_e32 vcc_lo, 0, v20
	v_and_b32_e32 v8, v8, v19
	v_not_b32_e32 v19, v21
	v_ashrrev_i32_e32 v18, 31, v18
	v_xor_b32_e32 v10, s0, v10
	v_lshlrev_b32_e32 v4, 24, v4
	v_and_b32_e32 v8, v8, v9
	v_cmp_gt_i32_e64 s0, 0, v21
	v_not_b32_e32 v9, v22
	v_ashrrev_i32_e32 v19, 31, v19
	v_xor_b32_e32 v18, vcc_lo, v18
	v_and_b32_e32 v8, v8, v10
	v_cmp_gt_i32_e32 vcc_lo, 0, v22
	v_not_b32_e32 v10, v4
	v_ashrrev_i32_e32 v9, 31, v9
	v_xor_b32_e32 v19, s0, v19
	v_and_b32_e32 v8, v8, v18
	v_cmp_gt_i32_e64 s0, 0, v4
	v_ashrrev_i32_e32 v4, 31, v10
	v_xor_b32_e32 v9, vcc_lo, v9
	v_add_nc_u32_e32 v21, v3, v7
	v_and_b32_e32 v8, v8, v19
	v_xor_b32_e32 v4, s0, v4
	ds_read_b32 v18, v21 offset:128
	v_and_b32_e32 v7, v8, v9
	; wave barrier
	v_and_b32_e32 v4, v7, v4
	v_mbcnt_lo_u32_b32 v20, v4, 0
	v_cmp_ne_u32_e64 s0, 0, v4
	v_cmp_eq_u32_e32 vcc_lo, 0, v20
	s_and_b32 s1, s0, vcc_lo
	s_and_saveexec_b32 s0, s1
	s_cbranch_execz .LBB203_13
; %bb.12:
	s_waitcnt lgkmcnt(0)
	v_bcnt_u32_b32 v4, v4, v18
	ds_write_b32 v21, v4 offset:128
.LBB203_13:
	s_or_b32 exec_lo, exec_lo, s0
	v_xor_b32_e32 v19, 0x80000000, v5
	; wave barrier
	v_lshrrev_b32_e32 v4, s20, v19
	v_and_b32_e32 v4, s23, v4
	v_and_b32_e32 v7, 1, v4
	v_lshlrev_b32_e32 v8, 30, v4
	v_lshlrev_b32_e32 v9, 29, v4
	v_lshlrev_b32_e32 v10, 28, v4
	v_lshlrev_b32_e32 v23, 27, v4
	v_add_co_u32 v7, s0, v7, -1
	v_cndmask_b32_e64 v22, 0, 1, s0
	v_not_b32_e32 v26, v8
	v_cmp_gt_i32_e64 s0, 0, v8
	v_not_b32_e32 v8, v9
	v_lshlrev_b32_e32 v24, 26, v4
	v_cmp_ne_u32_e32 vcc_lo, 0, v22
	v_ashrrev_i32_e32 v22, 31, v26
	v_lshlrev_b32_e32 v25, 25, v4
	v_ashrrev_i32_e32 v8, 31, v8
	v_mul_lo_u32 v5, 0x84, v4
	v_xor_b32_e32 v7, vcc_lo, v7
	v_cmp_gt_i32_e32 vcc_lo, 0, v9
	v_not_b32_e32 v9, v10
	v_xor_b32_e32 v22, s0, v22
	v_cmp_gt_i32_e64 s0, 0, v10
	v_and_b32_e32 v7, exec_lo, v7
	v_not_b32_e32 v10, v23
	v_ashrrev_i32_e32 v9, 31, v9
	v_xor_b32_e32 v8, vcc_lo, v8
	v_cmp_gt_i32_e32 vcc_lo, 0, v23
	v_and_b32_e32 v7, v7, v22
	v_not_b32_e32 v22, v24
	v_ashrrev_i32_e32 v10, 31, v10
	v_xor_b32_e32 v9, s0, v9
	v_lshlrev_b32_e32 v4, 24, v4
	v_and_b32_e32 v7, v7, v8
	v_cmp_gt_i32_e64 s0, 0, v24
	v_not_b32_e32 v8, v25
	v_ashrrev_i32_e32 v22, 31, v22
	v_xor_b32_e32 v10, vcc_lo, v10
	v_and_b32_e32 v7, v7, v9
	v_cmp_gt_i32_e32 vcc_lo, 0, v25
	v_not_b32_e32 v9, v4
	v_ashrrev_i32_e32 v8, 31, v8
	v_xor_b32_e32 v22, s0, v22
	v_and_b32_e32 v7, v7, v10
	v_cmp_gt_i32_e64 s0, 0, v4
	v_ashrrev_i32_e32 v4, 31, v9
	v_xor_b32_e32 v8, vcc_lo, v8
	v_add_nc_u32_e32 v25, v3, v5
	v_and_b32_e32 v7, v7, v22
	v_xor_b32_e32 v4, s0, v4
	ds_read_b32 v22, v25 offset:128
	v_and_b32_e32 v5, v7, v8
	; wave barrier
	v_and_b32_e32 v4, v5, v4
	v_mbcnt_lo_u32_b32 v24, v4, 0
	v_cmp_ne_u32_e64 s0, 0, v4
	v_cmp_eq_u32_e32 vcc_lo, 0, v24
	s_and_b32 s1, s0, vcc_lo
	s_and_saveexec_b32 s0, s1
	s_cbranch_execz .LBB203_15
; %bb.14:
	s_waitcnt lgkmcnt(0)
	v_bcnt_u32_b32 v4, v4, v22
	ds_write_b32 v25, v4 offset:128
.LBB203_15:
	s_or_b32 exec_lo, exec_lo, s0
	v_xor_b32_e32 v23, 0x80000000, v6
	; wave barrier
	v_lshrrev_b32_e32 v4, s20, v23
	v_and_b32_e32 v4, s23, v4
	v_and_b32_e32 v6, 1, v4
	v_lshlrev_b32_e32 v7, 30, v4
	v_lshlrev_b32_e32 v8, 29, v4
	;; [unrolled: 1-line block ×4, first 2 shown]
	v_add_co_u32 v6, s0, v6, -1
	v_cndmask_b32_e64 v10, 0, 1, s0
	v_not_b32_e32 v29, v7
	v_cmp_gt_i32_e64 s0, 0, v7
	v_not_b32_e32 v7, v8
	v_lshlrev_b32_e32 v27, 26, v4
	v_cmp_ne_u32_e32 vcc_lo, 0, v10
	v_ashrrev_i32_e32 v10, 31, v29
	v_lshlrev_b32_e32 v28, 25, v4
	v_ashrrev_i32_e32 v7, 31, v7
	v_mul_lo_u32 v5, 0x84, v4
	v_xor_b32_e32 v6, vcc_lo, v6
	v_cmp_gt_i32_e32 vcc_lo, 0, v8
	v_not_b32_e32 v8, v9
	v_xor_b32_e32 v10, s0, v10
	v_cmp_gt_i32_e64 s0, 0, v9
	v_and_b32_e32 v6, exec_lo, v6
	v_not_b32_e32 v9, v26
	v_ashrrev_i32_e32 v8, 31, v8
	v_xor_b32_e32 v7, vcc_lo, v7
	v_cmp_gt_i32_e32 vcc_lo, 0, v26
	v_and_b32_e32 v6, v6, v10
	v_not_b32_e32 v10, v27
	v_ashrrev_i32_e32 v9, 31, v9
	v_xor_b32_e32 v8, s0, v8
	v_lshlrev_b32_e32 v4, 24, v4
	v_and_b32_e32 v6, v6, v7
	v_cmp_gt_i32_e64 s0, 0, v27
	v_not_b32_e32 v7, v28
	v_ashrrev_i32_e32 v10, 31, v10
	v_xor_b32_e32 v9, vcc_lo, v9
	v_and_b32_e32 v6, v6, v8
	v_cmp_gt_i32_e32 vcc_lo, 0, v28
	v_not_b32_e32 v8, v4
	v_ashrrev_i32_e32 v7, 31, v7
	v_xor_b32_e32 v10, s0, v10
	v_and_b32_e32 v6, v6, v9
	v_cmp_gt_i32_e64 s0, 0, v4
	v_ashrrev_i32_e32 v4, 31, v8
	v_xor_b32_e32 v7, vcc_lo, v7
	v_add_nc_u32_e32 v28, v3, v5
	v_and_b32_e32 v6, v6, v10
	v_xor_b32_e32 v3, s0, v4
	ds_read_b32 v26, v28 offset:128
	v_and_b32_e32 v4, v6, v7
	; wave barrier
	v_and_b32_e32 v3, v4, v3
	v_mbcnt_lo_u32_b32 v27, v3, 0
	v_cmp_ne_u32_e64 s0, 0, v3
	v_cmp_eq_u32_e32 vcc_lo, 0, v27
	s_and_b32 s1, s0, vcc_lo
	s_and_saveexec_b32 s0, s1
	s_cbranch_execz .LBB203_17
; %bb.16:
	s_waitcnt lgkmcnt(0)
	v_bcnt_u32_b32 v3, v3, v26
	ds_write_b32 v28, v3 offset:128
.LBB203_17:
	s_or_b32 exec_lo, exec_lo, s0
	; wave barrier
	s_waitcnt lgkmcnt(0)
	s_barrier
	buffer_gl0_inv
	ds_read2_b32 v[9:10], v16 offset0:32 offset1:33
	ds_read2_b32 v[7:8], v16 offset0:34 offset1:35
	;; [unrolled: 1-line block ×4, first 2 shown]
	ds_read_b32 v29, v16 offset:160
	v_and_b32_e32 v32, 16, v12
	v_and_b32_e32 v33, 31, v0
	s_mov_b32 s8, exec_lo
	v_cmp_eq_u32_e64 s3, 0, v32
	s_waitcnt lgkmcnt(3)
	v_add3_u32 v30, v10, v9, v7
	s_waitcnt lgkmcnt(2)
	v_add3_u32 v30, v30, v8, v5
	;; [unrolled: 2-line block ×4, first 2 shown]
	v_and_b32_e32 v30, 15, v12
	v_mov_b32_dpp v31, v29 row_shr:1 row_mask:0xf bank_mask:0xf
	v_cmp_eq_u32_e32 vcc_lo, 0, v30
	v_cmp_lt_u32_e64 s0, 1, v30
	v_cmp_lt_u32_e64 s1, 3, v30
	;; [unrolled: 1-line block ×3, first 2 shown]
	v_cndmask_b32_e64 v31, v31, 0, vcc_lo
	v_add_nc_u32_e32 v29, v31, v29
	v_mov_b32_dpp v31, v29 row_shr:2 row_mask:0xf bank_mask:0xf
	v_cndmask_b32_e64 v31, 0, v31, s0
	v_add_nc_u32_e32 v29, v29, v31
	v_mov_b32_dpp v31, v29 row_shr:4 row_mask:0xf bank_mask:0xf
	v_cndmask_b32_e64 v31, 0, v31, s1
	;; [unrolled: 3-line block ×3, first 2 shown]
	v_bfe_i32 v31, v12, 4, 1
	v_add_nc_u32_e32 v29, v29, v30
	ds_swizzle_b32 v30, v29 offset:swizzle(BROADCAST,32,15)
	s_waitcnt lgkmcnt(0)
	v_and_b32_e32 v31, v31, v30
	v_lshrrev_b32_e32 v30, 5, v0
	v_add_nc_u32_e32 v29, v29, v31
	v_cmpx_eq_u32_e32 31, v33
; %bb.18:
	v_lshlrev_b32_e32 v31, 2, v30
	ds_write_b32 v31, v29
; %bb.19:
	s_or_b32 exec_lo, exec_lo, s8
	v_cmp_lt_u32_e64 s7, 31, v0
	s_mov_b32 s24, exec_lo
	s_waitcnt lgkmcnt(0)
	s_barrier
	buffer_gl0_inv
	v_cmpx_gt_u32_e32 32, v0
	s_cbranch_execz .LBB203_21
; %bb.20:
	ds_read_b32 v31, v11
	s_waitcnt lgkmcnt(0)
	v_mov_b32_dpp v32, v31 row_shr:1 row_mask:0xf bank_mask:0xf
	v_cndmask_b32_e64 v32, v32, 0, vcc_lo
	v_add_nc_u32_e32 v31, v32, v31
	v_mov_b32_dpp v32, v31 row_shr:2 row_mask:0xf bank_mask:0xf
	v_cndmask_b32_e64 v32, 0, v32, s0
	v_add_nc_u32_e32 v31, v31, v32
	v_mov_b32_dpp v32, v31 row_shr:4 row_mask:0xf bank_mask:0xf
	v_cndmask_b32_e64 v32, 0, v32, s1
	;; [unrolled: 3-line block ×3, first 2 shown]
	v_add_nc_u32_e32 v31, v31, v32
	ds_swizzle_b32 v32, v31 offset:swizzle(BROADCAST,32,15)
	s_waitcnt lgkmcnt(0)
	v_cndmask_b32_e64 v32, v32, 0, s3
	v_add_nc_u32_e32 v31, v31, v32
	ds_write_b32 v11, v31
.LBB203_21:
	s_or_b32 exec_lo, exec_lo, s24
	v_mov_b32_e32 v31, 0
	s_waitcnt lgkmcnt(0)
	s_barrier
	buffer_gl0_inv
	s_and_saveexec_b32 s0, s7
; %bb.22:
	v_lshl_add_u32 v30, v30, 2, -4
	ds_read_b32 v31, v30
; %bb.23:
	s_or_b32 exec_lo, exec_lo, s0
	v_sub_co_u32 v30, vcc_lo, v12, 1
	s_waitcnt lgkmcnt(0)
	v_add_nc_u32_e32 v29, v31, v29
	v_cmp_gt_i32_e64 s0, 0, v30
	v_cndmask_b32_e64 v30, v30, v12, s0
	v_cmp_gt_u32_e64 s0, 0x100, v0
	v_lshlrev_b32_e32 v30, 2, v30
	ds_bpermute_b32 v29, v30, v29
	s_waitcnt lgkmcnt(0)
	v_cndmask_b32_e32 v29, v29, v31, vcc_lo
	v_cmp_ne_u32_e32 vcc_lo, 0, v0
	v_cndmask_b32_e32 v29, 0, v29, vcc_lo
	v_cmp_lt_u32_e32 vcc_lo, 0xff, v0
	v_add_nc_u32_e32 v9, v29, v9
	v_add_nc_u32_e32 v10, v9, v10
	;; [unrolled: 1-line block ×8, first 2 shown]
	ds_write2_b32 v16, v29, v9 offset0:32 offset1:33
	ds_write2_b32 v16, v10, v7 offset0:34 offset1:35
	;; [unrolled: 1-line block ×4, first 2 shown]
	ds_write_b32 v16, v4 offset:160
	s_waitcnt lgkmcnt(0)
	s_barrier
	buffer_gl0_inv
	ds_read_b32 v3, v17 offset:128
	ds_read_b32 v6, v21 offset:128
	;; [unrolled: 1-line block ×4, first 2 shown]
                                        ; implicit-def: $vgpr9
                                        ; implicit-def: $vgpr10
	s_and_saveexec_b32 s2, s0
	s_cbranch_execz .LBB203_27
; %bb.24:
	v_mul_u32_u24_e32 v7, 0x84, v0
	v_add_nc_u32_e32 v8, 1, v0
	s_mov_b32 s3, exec_lo
	ds_read_b32 v9, v7 offset:128
	v_mov_b32_e32 v7, 0x1000
	v_cmpx_ne_u32_e32 0x100, v8
; %bb.25:
	v_mul_u32_u24_e32 v7, 0x84, v8
	ds_read_b32 v7, v7 offset:128
; %bb.26:
	s_or_b32 exec_lo, exec_lo, s3
	s_waitcnt lgkmcnt(0)
	v_sub_nc_u32_e32 v10, v7, v9
.LBB203_27:
	s_or_b32 exec_lo, exec_lo, s2
	v_lshlrev_b32_e32 v7, 2, v14
	v_lshlrev_b32_e32 v8, 2, v20
	;; [unrolled: 1-line block ×5, first 2 shown]
	s_waitcnt lgkmcnt(0)
	v_lshlrev_b32_e32 v4, 2, v4
	v_lshlrev_b32_e32 v6, 2, v6
	v_lshlrev_b32_e32 v16, 2, v24
	v_lshlrev_b32_e32 v17, 2, v22
	v_lshlrev_b32_e32 v5, 2, v5
	v_lshl_add_u32 v3, v3, 2, v7
	v_add3_u32 v7, v18, v20, v4
	v_mov_b32_e32 v4, 0
	v_add3_u32 v6, v8, v14, v6
	v_add3_u32 v5, v16, v17, v5
	s_barrier
	buffer_gl0_inv
	ds_write_b32 v3, v13 offset:1024
	ds_write_b32 v6, v15 offset:1024
	ds_write_b32 v5, v19 offset:1024
	ds_write_b32 v7, v23 offset:1024
	s_and_saveexec_b32 s1, s0
	s_cbranch_execz .LBB203_37
; %bb.28:
	v_lshl_add_u32 v3, s6, 8, v0
	v_mov_b32_e32 v13, 0
	s_mov_b32 s2, 0
	s_mov_b32 s3, s6
	v_lshlrev_b64 v[5:6], 2, v[3:4]
	v_or_b32_e32 v3, 2.0, v10
	v_add_co_u32 v5, s0, s10, v5
	v_add_co_ci_u32_e64 v6, null, s11, v6, s0
                                        ; implicit-def: $sgpr0
	global_store_dword v[5:6], v3, off
	s_branch .LBB203_31
	.p2align	6
.LBB203_29:                             ;   in Loop: Header=BB203_31 Depth=1
	s_or_b32 exec_lo, exec_lo, s8
.LBB203_30:                             ;   in Loop: Header=BB203_31 Depth=1
	s_or_b32 exec_lo, exec_lo, s7
	v_and_b32_e32 v7, 0x3fffffff, v3
	v_cmp_gt_i32_e64 s0, -2.0, v3
	v_add_nc_u32_e32 v13, v7, v13
	s_and_b32 s7, exec_lo, s0
	s_or_b32 s2, s7, s2
	s_andn2_b32 exec_lo, exec_lo, s2
	s_cbranch_execz .LBB203_36
.LBB203_31:                             ; =>This Loop Header: Depth=1
                                        ;     Child Loop BB203_34 Depth 2
	s_or_b32 s0, s0, exec_lo
	s_cmp_eq_u32 s3, 0
	s_cbranch_scc1 .LBB203_35
; %bb.32:                               ;   in Loop: Header=BB203_31 Depth=1
	s_add_i32 s3, s3, -1
	s_mov_b32 s7, exec_lo
	v_lshl_or_b32 v3, s3, 8, v0
	v_lshlrev_b64 v[7:8], 2, v[3:4]
	v_add_co_u32 v7, s0, s10, v7
	v_add_co_ci_u32_e64 v8, null, s11, v8, s0
	global_load_dword v3, v[7:8], off glc dlc
	s_waitcnt vmcnt(0)
	v_cmpx_gt_u32_e32 2.0, v3
	s_cbranch_execz .LBB203_30
; %bb.33:                               ;   in Loop: Header=BB203_31 Depth=1
	s_mov_b32 s8, 0
.LBB203_34:                             ;   Parent Loop BB203_31 Depth=1
                                        ; =>  This Inner Loop Header: Depth=2
	global_load_dword v3, v[7:8], off glc dlc
	s_waitcnt vmcnt(0)
	v_cmp_lt_u32_e64 s0, 0x3fffffff, v3
	s_or_b32 s8, s0, s8
	s_andn2_b32 exec_lo, exec_lo, s8
	s_cbranch_execnz .LBB203_34
	s_branch .LBB203_29
.LBB203_35:                             ;   in Loop: Header=BB203_31 Depth=1
                                        ; implicit-def: $sgpr3
	s_and_b32 s7, exec_lo, s0
	s_or_b32 s2, s7, s2
	s_andn2_b32 exec_lo, exec_lo, s2
	s_cbranch_execnz .LBB203_31
.LBB203_36:
	s_or_b32 exec_lo, exec_lo, s2
	v_add_nc_u32_e32 v3, v13, v10
	v_sub_nc_u32_e32 v4, v13, v9
	v_or_b32_e32 v3, 0x80000000, v3
	global_store_dword v[5:6], v3, off
	global_load_dword v3, v11, s[12:13]
	s_waitcnt vmcnt(0)
	v_add_nc_u32_e32 v3, v4, v3
	ds_write_b32 v11, v3
.LBB203_37:
	s_or_b32 exec_lo, exec_lo, s1
	s_mov_b32 s1, exec_lo
	s_waitcnt lgkmcnt(0)
	s_waitcnt_vscnt null, 0x0
	s_barrier
	buffer_gl0_inv
	v_cmpx_gt_u32_e64 s9, v0
	s_cbranch_execz .LBB203_39
; %bb.38:
	ds_read_b32 v5, v11 offset:1024
	v_mov_b32_e32 v4, 0
	s_waitcnt lgkmcnt(0)
	v_lshrrev_b32_e32 v3, s20, v5
	v_xor_b32_e32 v5, 0x80000000, v5
	v_and_b32_e32 v3, s23, v3
	v_lshlrev_b32_e32 v3, 2, v3
	ds_read_b32 v3, v3
	s_waitcnt lgkmcnt(0)
	v_add_nc_u32_e32 v3, v3, v0
	v_lshlrev_b64 v[3:4], 2, v[3:4]
	v_add_co_u32 v3, s0, s18, v3
	v_add_co_ci_u32_e64 v4, null, s19, v4, s0
	global_store_dword v[3:4], v5, off
.LBB203_39:
	s_or_b32 exec_lo, exec_lo, s1
	v_or_b32_e32 v3, 0x400, v0
	s_mov_b32 s1, exec_lo
	v_cmpx_gt_u32_e64 s9, v3
	s_cbranch_execz .LBB203_41
; %bb.40:
	ds_read_b32 v5, v11 offset:5120
	s_waitcnt lgkmcnt(0)
	v_lshrrev_b32_e32 v4, s20, v5
	v_xor_b32_e32 v5, 0x80000000, v5
	v_and_b32_e32 v4, s23, v4
	v_lshlrev_b32_e32 v4, 2, v4
	ds_read_b32 v6, v4
	v_mov_b32_e32 v4, 0
	s_waitcnt lgkmcnt(0)
	v_add_nc_u32_e32 v3, v6, v3
	v_lshlrev_b64 v[3:4], 2, v[3:4]
	v_add_co_u32 v3, s0, s18, v3
	v_add_co_ci_u32_e64 v4, null, s19, v4, s0
	global_store_dword v[3:4], v5, off
.LBB203_41:
	s_or_b32 exec_lo, exec_lo, s1
	v_or_b32_e32 v3, 0x800, v0
	s_mov_b32 s1, exec_lo
	v_cmpx_gt_u32_e64 s9, v3
	s_cbranch_execz .LBB203_43
; %bb.42:
	ds_read_b32 v5, v11 offset:9216
	s_waitcnt lgkmcnt(0)
	v_lshrrev_b32_e32 v4, s20, v5
	v_xor_b32_e32 v5, 0x80000000, v5
	v_and_b32_e32 v4, s23, v4
	v_lshlrev_b32_e32 v4, 2, v4
	ds_read_b32 v6, v4
	v_mov_b32_e32 v4, 0
	s_waitcnt lgkmcnt(0)
	v_add_nc_u32_e32 v3, v6, v3
	v_lshlrev_b64 v[3:4], 2, v[3:4]
	v_add_co_u32 v3, s0, s18, v3
	v_add_co_ci_u32_e64 v4, null, s19, v4, s0
	global_store_dword v[3:4], v5, off
.LBB203_43:
	;; [unrolled: 21-line block ×3, first 2 shown]
	s_or_b32 exec_lo, exec_lo, s1
	s_add_i32 s22, s22, -1
	s_cmp_eq_u32 s6, s22
	s_cselect_b32 s0, -1, 0
	s_xor_b32 s1, vcc_lo, -1
	s_and_b32 s1, s1, s0
	s_and_saveexec_b32 s0, s1
	s_cbranch_execz .LBB203_47
; %bb.46:
	ds_read_b32 v3, v11
	s_waitcnt lgkmcnt(0)
	v_add3_u32 v3, v9, v10, v3
	global_store_dword v11, v3, s[14:15]
.LBB203_47:
	s_or_b32 exec_lo, exec_lo, s0
	s_mov_b32 s0, 0
.LBB203_48:
	s_and_b32 vcc_lo, exec_lo, s0
	s_cbranch_vccz .LBB203_79
; %bb.49:
	s_lshl_b32 s0, s6, 12
	s_mov_b32 s1, 0
	v_lshlrev_b32_e32 v3, 4, v0
	v_lshlrev_b32_e32 v4, 2, v12
	s_lshl_b64 s[0:1], s[0:1], 2
	v_mov_b32_e32 v13, 0
	s_add_u32 s0, s16, s0
	s_addc_u32 s1, s17, s1
	v_and_b32_e32 v3, 0x3e00, v3
	v_add_co_u32 v4, s0, s0, v4
	v_add_co_ci_u32_e64 v5, null, s1, 0, s0
	s_add_u32 s1, s4, 0x58
	v_add_co_u32 v6, vcc_lo, v4, v3
	v_add_co_ci_u32_e64 v7, null, 0, v5, vcc_lo
	s_addc_u32 s2, s5, 0
	global_load_dword v8, v[6:7], off
	s_clause 0x1
	s_load_dword s0, s[4:5], 0x64
	s_load_dword s7, s[4:5], 0x58
	s_waitcnt lgkmcnt(0)
	s_lshr_b32 s3, s0, 16
	s_cmp_lt_u32 s6, s7
	v_mad_u32_u24 v1, v2, s3, v1
	s_cselect_b32 s0, 12, 18
	s_add_u32 s0, s1, s0
	s_addc_u32 s1, s2, 0
	global_load_ushort v10, v13, s[0:1]
	s_clause 0x2
	global_load_dword v5, v[6:7], off offset:128
	global_load_dword v4, v[6:7], off offset:256
	;; [unrolled: 1-line block ×3, first 2 shown]
	s_lshl_b32 s0, -1, s21
	s_not_b32 s8, s0
	s_waitcnt vmcnt(4)
	v_xor_b32_e32 v9, 0x80000000, v8
	v_lshrrev_b32_e32 v6, s20, v9
	v_and_b32_e32 v6, s8, v6
	v_and_b32_e32 v7, 1, v6
	v_lshlrev_b32_e32 v8, 30, v6
	v_lshlrev_b32_e32 v14, 29, v6
	;; [unrolled: 1-line block ×4, first 2 shown]
	v_add_co_u32 v7, s0, v7, -1
	v_cndmask_b32_e64 v16, 0, 1, s0
	v_not_b32_e32 v20, v8
	v_cmp_gt_i32_e64 s0, 0, v8
	v_not_b32_e32 v8, v14
	v_lshlrev_b32_e32 v18, 26, v6
	v_cmp_ne_u32_e32 vcc_lo, 0, v16
	v_ashrrev_i32_e32 v20, 31, v20
	v_lshlrev_b32_e32 v19, 25, v6
	v_ashrrev_i32_e32 v8, 31, v8
	v_lshlrev_b32_e32 v16, 24, v6
	v_xor_b32_e32 v7, vcc_lo, v7
	v_cmp_gt_i32_e32 vcc_lo, 0, v14
	v_not_b32_e32 v14, v15
	v_xor_b32_e32 v20, s0, v20
	v_cmp_gt_i32_e64 s0, 0, v15
	v_and_b32_e32 v7, exec_lo, v7
	v_not_b32_e32 v15, v17
	v_ashrrev_i32_e32 v14, 31, v14
	v_xor_b32_e32 v8, vcc_lo, v8
	v_cmp_gt_i32_e32 vcc_lo, 0, v17
	v_and_b32_e32 v7, v7, v20
	v_not_b32_e32 v17, v18
	v_ashrrev_i32_e32 v15, 31, v15
	v_xor_b32_e32 v14, s0, v14
	v_cmp_gt_i32_e64 s0, 0, v18
	v_and_b32_e32 v7, v7, v8
	v_not_b32_e32 v8, v19
	v_ashrrev_i32_e32 v17, 31, v17
	v_xor_b32_e32 v15, vcc_lo, v15
	v_cmp_gt_i32_e32 vcc_lo, 0, v19
	v_and_b32_e32 v7, v7, v14
	v_not_b32_e32 v14, v16
	v_ashrrev_i32_e32 v8, 31, v8
	v_xor_b32_e32 v17, s0, v17
	v_cmp_gt_i32_e64 s0, 0, v16
	v_and_b32_e32 v7, v7, v15
	v_ashrrev_i32_e32 v15, 31, v14
	v_xor_b32_e32 v8, vcc_lo, v8
	s_waitcnt vmcnt(3)
	v_mad_u64_u32 v[1:2], null, v1, v10, v[0:1]
	v_and_b32_e32 v7, v7, v17
	v_xor_b32_e32 v2, s0, v15
	v_mul_lo_u32 v6, 0x84, v6
	v_mul_u32_u24_e32 v14, 36, v0
	v_and_b32_e32 v7, v7, v8
	v_lshrrev_b32_e32 v1, 3, v1
	ds_write2_b32 v14, v13, v13 offset0:32 offset1:33
	ds_write2_b32 v14, v13, v13 offset0:34 offset1:35
	;; [unrolled: 1-line block ×3, first 2 shown]
	v_and_b32_e32 v2, v7, v2
	v_and_b32_e32 v1, 0x1ffffffc, v1
	ds_write2_b32 v14, v13, v13 offset0:38 offset1:39
	ds_write_b32 v14, v13 offset:160
	s_waitcnt vmcnt(0) lgkmcnt(0)
	s_waitcnt_vscnt null, 0x0
	s_barrier
	v_mbcnt_lo_u32_b32 v10, v2, 0
	v_cmp_ne_u32_e64 s0, 0, v2
	v_add_nc_u32_e32 v15, v1, v6
	buffer_gl0_inv
	v_cmp_eq_u32_e32 vcc_lo, 0, v10
	; wave barrier
	s_and_b32 s1, s0, vcc_lo
	s_and_saveexec_b32 s0, s1
; %bb.50:
	v_bcnt_u32_b32 v2, v2, 0
	ds_write_b32 v15, v2 offset:128
; %bb.51:
	s_or_b32 exec_lo, exec_lo, s0
	v_xor_b32_e32 v13, 0x80000000, v5
	; wave barrier
	v_lshrrev_b32_e32 v2, s20, v13
	v_and_b32_e32 v2, s8, v2
	v_and_b32_e32 v6, 1, v2
	v_lshlrev_b32_e32 v7, 30, v2
	v_lshlrev_b32_e32 v8, 29, v2
	;; [unrolled: 1-line block ×4, first 2 shown]
	v_add_co_u32 v6, s0, v6, -1
	v_cndmask_b32_e64 v17, 0, 1, s0
	v_not_b32_e32 v21, v7
	v_cmp_gt_i32_e64 s0, 0, v7
	v_not_b32_e32 v7, v8
	v_lshlrev_b32_e32 v19, 26, v2
	v_cmp_ne_u32_e32 vcc_lo, 0, v17
	v_ashrrev_i32_e32 v17, 31, v21
	v_lshlrev_b32_e32 v20, 25, v2
	v_ashrrev_i32_e32 v7, 31, v7
	v_mul_lo_u32 v5, 0x84, v2
	v_xor_b32_e32 v6, vcc_lo, v6
	v_cmp_gt_i32_e32 vcc_lo, 0, v8
	v_not_b32_e32 v8, v16
	v_xor_b32_e32 v17, s0, v17
	v_cmp_gt_i32_e64 s0, 0, v16
	v_and_b32_e32 v6, exec_lo, v6
	v_not_b32_e32 v16, v18
	v_ashrrev_i32_e32 v8, 31, v8
	v_xor_b32_e32 v7, vcc_lo, v7
	v_cmp_gt_i32_e32 vcc_lo, 0, v18
	v_and_b32_e32 v6, v6, v17
	v_not_b32_e32 v17, v19
	v_ashrrev_i32_e32 v16, 31, v16
	v_xor_b32_e32 v8, s0, v8
	v_lshlrev_b32_e32 v2, 24, v2
	v_and_b32_e32 v6, v6, v7
	v_cmp_gt_i32_e64 s0, 0, v19
	v_not_b32_e32 v7, v20
	v_ashrrev_i32_e32 v17, 31, v17
	v_xor_b32_e32 v16, vcc_lo, v16
	v_and_b32_e32 v6, v6, v8
	v_cmp_gt_i32_e32 vcc_lo, 0, v20
	v_not_b32_e32 v8, v2
	v_ashrrev_i32_e32 v7, 31, v7
	v_xor_b32_e32 v17, s0, v17
	v_and_b32_e32 v6, v6, v16
	v_cmp_gt_i32_e64 s0, 0, v2
	v_ashrrev_i32_e32 v2, 31, v8
	v_xor_b32_e32 v7, vcc_lo, v7
	v_add_nc_u32_e32 v19, v1, v5
	v_and_b32_e32 v6, v6, v17
	v_xor_b32_e32 v2, s0, v2
	ds_read_b32 v16, v19 offset:128
	v_and_b32_e32 v5, v6, v7
	; wave barrier
	v_and_b32_e32 v2, v5, v2
	v_mbcnt_lo_u32_b32 v18, v2, 0
	v_cmp_ne_u32_e64 s0, 0, v2
	v_cmp_eq_u32_e32 vcc_lo, 0, v18
	s_and_b32 s1, s0, vcc_lo
	s_and_saveexec_b32 s0, s1
	s_cbranch_execz .LBB203_53
; %bb.52:
	s_waitcnt lgkmcnt(0)
	v_bcnt_u32_b32 v2, v2, v16
	ds_write_b32 v19, v2 offset:128
.LBB203_53:
	s_or_b32 exec_lo, exec_lo, s0
	v_xor_b32_e32 v17, 0x80000000, v4
	; wave barrier
	v_lshrrev_b32_e32 v2, s20, v17
	v_and_b32_e32 v2, s8, v2
	v_and_b32_e32 v5, 1, v2
	v_lshlrev_b32_e32 v6, 30, v2
	v_lshlrev_b32_e32 v7, 29, v2
	;; [unrolled: 1-line block ×4, first 2 shown]
	v_add_co_u32 v5, s0, v5, -1
	v_cndmask_b32_e64 v20, 0, 1, s0
	v_not_b32_e32 v24, v6
	v_cmp_gt_i32_e64 s0, 0, v6
	v_not_b32_e32 v6, v7
	v_lshlrev_b32_e32 v22, 26, v2
	v_cmp_ne_u32_e32 vcc_lo, 0, v20
	v_ashrrev_i32_e32 v20, 31, v24
	v_lshlrev_b32_e32 v23, 25, v2
	v_ashrrev_i32_e32 v6, 31, v6
	v_mul_lo_u32 v4, 0x84, v2
	v_xor_b32_e32 v5, vcc_lo, v5
	v_cmp_gt_i32_e32 vcc_lo, 0, v7
	v_not_b32_e32 v7, v8
	v_xor_b32_e32 v20, s0, v20
	v_cmp_gt_i32_e64 s0, 0, v8
	v_and_b32_e32 v5, exec_lo, v5
	v_not_b32_e32 v8, v21
	v_ashrrev_i32_e32 v7, 31, v7
	v_xor_b32_e32 v6, vcc_lo, v6
	v_cmp_gt_i32_e32 vcc_lo, 0, v21
	v_and_b32_e32 v5, v5, v20
	v_not_b32_e32 v20, v22
	v_ashrrev_i32_e32 v8, 31, v8
	v_xor_b32_e32 v7, s0, v7
	v_lshlrev_b32_e32 v2, 24, v2
	v_and_b32_e32 v5, v5, v6
	v_cmp_gt_i32_e64 s0, 0, v22
	v_not_b32_e32 v6, v23
	v_ashrrev_i32_e32 v20, 31, v20
	v_xor_b32_e32 v8, vcc_lo, v8
	v_and_b32_e32 v5, v5, v7
	v_cmp_gt_i32_e32 vcc_lo, 0, v23
	v_not_b32_e32 v7, v2
	v_ashrrev_i32_e32 v6, 31, v6
	v_xor_b32_e32 v20, s0, v20
	v_and_b32_e32 v5, v5, v8
	v_cmp_gt_i32_e64 s0, 0, v2
	v_ashrrev_i32_e32 v2, 31, v7
	v_xor_b32_e32 v6, vcc_lo, v6
	v_add_nc_u32_e32 v23, v1, v4
	v_and_b32_e32 v5, v5, v20
	v_xor_b32_e32 v2, s0, v2
	ds_read_b32 v20, v23 offset:128
	v_and_b32_e32 v4, v5, v6
	; wave barrier
	v_and_b32_e32 v2, v4, v2
	v_mbcnt_lo_u32_b32 v22, v2, 0
	v_cmp_ne_u32_e64 s0, 0, v2
	v_cmp_eq_u32_e32 vcc_lo, 0, v22
	s_and_b32 s1, s0, vcc_lo
	s_and_saveexec_b32 s0, s1
	s_cbranch_execz .LBB203_55
; %bb.54:
	s_waitcnt lgkmcnt(0)
	v_bcnt_u32_b32 v2, v2, v20
	ds_write_b32 v23, v2 offset:128
.LBB203_55:
	s_or_b32 exec_lo, exec_lo, s0
	v_xor_b32_e32 v21, 0x80000000, v3
	; wave barrier
	v_lshrrev_b32_e32 v2, s20, v21
	v_and_b32_e32 v2, s8, v2
	v_and_b32_e32 v4, 1, v2
	v_lshlrev_b32_e32 v5, 30, v2
	v_lshlrev_b32_e32 v6, 29, v2
	v_lshlrev_b32_e32 v7, 28, v2
	v_lshlrev_b32_e32 v24, 27, v2
	v_add_co_u32 v4, s0, v4, -1
	v_cndmask_b32_e64 v8, 0, 1, s0
	v_not_b32_e32 v27, v5
	v_cmp_gt_i32_e64 s0, 0, v5
	v_not_b32_e32 v5, v6
	v_lshlrev_b32_e32 v25, 26, v2
	v_cmp_ne_u32_e32 vcc_lo, 0, v8
	v_ashrrev_i32_e32 v8, 31, v27
	v_lshlrev_b32_e32 v26, 25, v2
	v_ashrrev_i32_e32 v5, 31, v5
	v_mul_lo_u32 v3, 0x84, v2
	v_xor_b32_e32 v4, vcc_lo, v4
	v_cmp_gt_i32_e32 vcc_lo, 0, v6
	v_not_b32_e32 v6, v7
	v_xor_b32_e32 v8, s0, v8
	v_cmp_gt_i32_e64 s0, 0, v7
	v_and_b32_e32 v4, exec_lo, v4
	v_not_b32_e32 v7, v24
	v_ashrrev_i32_e32 v6, 31, v6
	v_xor_b32_e32 v5, vcc_lo, v5
	v_cmp_gt_i32_e32 vcc_lo, 0, v24
	v_and_b32_e32 v4, v4, v8
	v_not_b32_e32 v8, v25
	v_ashrrev_i32_e32 v7, 31, v7
	v_xor_b32_e32 v6, s0, v6
	v_lshlrev_b32_e32 v2, 24, v2
	v_and_b32_e32 v4, v4, v5
	v_cmp_gt_i32_e64 s0, 0, v25
	v_not_b32_e32 v5, v26
	v_ashrrev_i32_e32 v8, 31, v8
	v_xor_b32_e32 v7, vcc_lo, v7
	v_and_b32_e32 v4, v4, v6
	v_cmp_gt_i32_e32 vcc_lo, 0, v26
	v_not_b32_e32 v6, v2
	v_ashrrev_i32_e32 v5, 31, v5
	v_xor_b32_e32 v8, s0, v8
	v_and_b32_e32 v4, v4, v7
	v_cmp_gt_i32_e64 s0, 0, v2
	v_ashrrev_i32_e32 v2, 31, v6
	v_xor_b32_e32 v5, vcc_lo, v5
	v_add_nc_u32_e32 v26, v1, v3
	v_and_b32_e32 v4, v4, v8
	v_xor_b32_e32 v1, s0, v2
	ds_read_b32 v24, v26 offset:128
	v_and_b32_e32 v2, v4, v5
	; wave barrier
	v_and_b32_e32 v1, v2, v1
	v_mbcnt_lo_u32_b32 v25, v1, 0
	v_cmp_ne_u32_e64 s0, 0, v1
	v_cmp_eq_u32_e32 vcc_lo, 0, v25
	s_and_b32 s1, s0, vcc_lo
	s_and_saveexec_b32 s0, s1
	s_cbranch_execz .LBB203_57
; %bb.56:
	s_waitcnt lgkmcnt(0)
	v_bcnt_u32_b32 v1, v1, v24
	ds_write_b32 v26, v1 offset:128
.LBB203_57:
	s_or_b32 exec_lo, exec_lo, s0
	; wave barrier
	s_waitcnt lgkmcnt(0)
	s_barrier
	buffer_gl0_inv
	ds_read2_b32 v[7:8], v14 offset0:32 offset1:33
	ds_read2_b32 v[5:6], v14 offset0:34 offset1:35
	;; [unrolled: 1-line block ×4, first 2 shown]
	ds_read_b32 v27, v14 offset:160
	v_and_b32_e32 v30, 16, v12
	v_and_b32_e32 v31, 31, v0
	s_mov_b32 s5, exec_lo
	v_cmp_eq_u32_e64 s3, 0, v30
	s_waitcnt lgkmcnt(3)
	v_add3_u32 v28, v8, v7, v5
	s_waitcnt lgkmcnt(2)
	v_add3_u32 v28, v28, v6, v3
	;; [unrolled: 2-line block ×4, first 2 shown]
	v_and_b32_e32 v28, 15, v12
	v_mov_b32_dpp v29, v27 row_shr:1 row_mask:0xf bank_mask:0xf
	v_cmp_eq_u32_e32 vcc_lo, 0, v28
	v_cmp_lt_u32_e64 s0, 1, v28
	v_cmp_lt_u32_e64 s1, 3, v28
	;; [unrolled: 1-line block ×3, first 2 shown]
	v_cndmask_b32_e64 v29, v29, 0, vcc_lo
	v_add_nc_u32_e32 v27, v29, v27
	v_mov_b32_dpp v29, v27 row_shr:2 row_mask:0xf bank_mask:0xf
	v_cndmask_b32_e64 v29, 0, v29, s0
	v_add_nc_u32_e32 v27, v27, v29
	v_mov_b32_dpp v29, v27 row_shr:4 row_mask:0xf bank_mask:0xf
	v_cndmask_b32_e64 v29, 0, v29, s1
	;; [unrolled: 3-line block ×3, first 2 shown]
	v_bfe_i32 v29, v12, 4, 1
	v_add_nc_u32_e32 v27, v27, v28
	ds_swizzle_b32 v28, v27 offset:swizzle(BROADCAST,32,15)
	s_waitcnt lgkmcnt(0)
	v_and_b32_e32 v29, v29, v28
	v_lshrrev_b32_e32 v28, 5, v0
	v_add_nc_u32_e32 v27, v27, v29
	v_cmpx_eq_u32_e32 31, v31
; %bb.58:
	v_lshlrev_b32_e32 v29, 2, v28
	ds_write_b32 v29, v27
; %bb.59:
	s_or_b32 exec_lo, exec_lo, s5
	v_cmp_lt_u32_e64 s4, 31, v0
	s_mov_b32 s9, exec_lo
	s_waitcnt lgkmcnt(0)
	s_barrier
	buffer_gl0_inv
	v_cmpx_gt_u32_e32 32, v0
	s_cbranch_execz .LBB203_61
; %bb.60:
	ds_read_b32 v29, v11
	s_waitcnt lgkmcnt(0)
	v_mov_b32_dpp v30, v29 row_shr:1 row_mask:0xf bank_mask:0xf
	v_cndmask_b32_e64 v30, v30, 0, vcc_lo
	v_add_nc_u32_e32 v29, v30, v29
	v_mov_b32_dpp v30, v29 row_shr:2 row_mask:0xf bank_mask:0xf
	v_cndmask_b32_e64 v30, 0, v30, s0
	v_add_nc_u32_e32 v29, v29, v30
	v_mov_b32_dpp v30, v29 row_shr:4 row_mask:0xf bank_mask:0xf
	v_cndmask_b32_e64 v30, 0, v30, s1
	;; [unrolled: 3-line block ×3, first 2 shown]
	v_add_nc_u32_e32 v29, v29, v30
	ds_swizzle_b32 v30, v29 offset:swizzle(BROADCAST,32,15)
	s_waitcnt lgkmcnt(0)
	v_cndmask_b32_e64 v30, v30, 0, s3
	v_add_nc_u32_e32 v29, v29, v30
	ds_write_b32 v11, v29
.LBB203_61:
	s_or_b32 exec_lo, exec_lo, s9
	v_mov_b32_e32 v29, 0
	s_waitcnt lgkmcnt(0)
	s_barrier
	buffer_gl0_inv
	s_and_saveexec_b32 s0, s4
; %bb.62:
	v_lshl_add_u32 v28, v28, 2, -4
	ds_read_b32 v29, v28
; %bb.63:
	s_or_b32 exec_lo, exec_lo, s0
	v_sub_co_u32 v28, vcc_lo, v12, 1
	s_waitcnt lgkmcnt(0)
	v_add_nc_u32_e32 v27, v29, v27
	v_cmp_gt_i32_e64 s0, 0, v28
	v_cndmask_b32_e64 v12, v28, v12, s0
	v_cmp_gt_u32_e64 s0, 0x100, v0
	v_lshlrev_b32_e32 v12, 2, v12
	ds_bpermute_b32 v12, v12, v27
	s_waitcnt lgkmcnt(0)
	v_cndmask_b32_e32 v12, v12, v29, vcc_lo
	v_cmp_ne_u32_e32 vcc_lo, 0, v0
	v_cndmask_b32_e32 v12, 0, v12, vcc_lo
	v_cmp_lt_u32_e32 vcc_lo, 0xff, v0
	v_add_nc_u32_e32 v7, v12, v7
	v_add_nc_u32_e32 v8, v7, v8
	;; [unrolled: 1-line block ×8, first 2 shown]
	ds_write2_b32 v14, v12, v7 offset0:32 offset1:33
	ds_write2_b32 v14, v8, v5 offset0:34 offset1:35
	;; [unrolled: 1-line block ×4, first 2 shown]
	ds_write_b32 v14, v2 offset:160
	s_waitcnt lgkmcnt(0)
	s_barrier
	buffer_gl0_inv
	ds_read_b32 v1, v15 offset:128
	ds_read_b32 v4, v19 offset:128
	;; [unrolled: 1-line block ×4, first 2 shown]
                                        ; implicit-def: $vgpr7
                                        ; implicit-def: $vgpr8
	s_and_saveexec_b32 s2, s0
	s_cbranch_execz .LBB203_67
; %bb.64:
	v_mul_u32_u24_e32 v5, 0x84, v0
	v_add_nc_u32_e32 v6, 1, v0
	s_mov_b32 s3, exec_lo
	ds_read_b32 v7, v5 offset:128
	v_mov_b32_e32 v5, 0x1000
	v_cmpx_ne_u32_e32 0x100, v6
; %bb.65:
	v_mul_u32_u24_e32 v5, 0x84, v6
	ds_read_b32 v5, v5 offset:128
; %bb.66:
	s_or_b32 exec_lo, exec_lo, s3
	s_waitcnt lgkmcnt(0)
	v_sub_nc_u32_e32 v8, v5, v7
.LBB203_67:
	s_or_b32 exec_lo, exec_lo, s2
	v_lshlrev_b32_e32 v5, 2, v10
	v_lshlrev_b32_e32 v10, 2, v16
	v_lshlrev_b32_e32 v15, 2, v25
	v_lshlrev_b32_e32 v16, 2, v24
	s_waitcnt lgkmcnt(0)
	v_lshlrev_b32_e32 v2, 2, v2
	v_lshlrev_b32_e32 v6, 2, v18
	v_lshlrev_b32_e32 v4, 2, v4
	v_lshlrev_b32_e32 v12, 2, v22
	v_lshlrev_b32_e32 v14, 2, v20
	v_lshlrev_b32_e32 v3, 2, v3
	v_lshl_add_u32 v1, v1, 2, v5
	v_add3_u32 v5, v15, v16, v2
	v_mov_b32_e32 v2, 0
	v_add3_u32 v4, v6, v10, v4
	v_add3_u32 v3, v12, v14, v3
	s_barrier
	buffer_gl0_inv
	ds_write_b32 v1, v9 offset:1024
	ds_write_b32 v4, v13 offset:1024
	ds_write_b32 v3, v17 offset:1024
	ds_write_b32 v5, v21 offset:1024
	s_and_saveexec_b32 s1, s0
	s_cbranch_execz .LBB203_77
; %bb.68:
	v_lshl_add_u32 v1, s6, 8, v0
	v_mov_b32_e32 v9, 0
	s_mov_b32 s2, 0
	s_mov_b32 s3, s6
	v_lshlrev_b64 v[3:4], 2, v[1:2]
	v_or_b32_e32 v1, 2.0, v8
	v_add_co_u32 v3, s0, s10, v3
	v_add_co_ci_u32_e64 v4, null, s11, v4, s0
                                        ; implicit-def: $sgpr0
	global_store_dword v[3:4], v1, off
	s_branch .LBB203_71
	.p2align	6
.LBB203_69:                             ;   in Loop: Header=BB203_71 Depth=1
	s_or_b32 exec_lo, exec_lo, s5
.LBB203_70:                             ;   in Loop: Header=BB203_71 Depth=1
	s_or_b32 exec_lo, exec_lo, s4
	v_and_b32_e32 v5, 0x3fffffff, v1
	v_cmp_gt_i32_e64 s0, -2.0, v1
	v_add_nc_u32_e32 v9, v5, v9
	s_and_b32 s4, exec_lo, s0
	s_or_b32 s2, s4, s2
	s_andn2_b32 exec_lo, exec_lo, s2
	s_cbranch_execz .LBB203_76
.LBB203_71:                             ; =>This Loop Header: Depth=1
                                        ;     Child Loop BB203_74 Depth 2
	s_or_b32 s0, s0, exec_lo
	s_cmp_eq_u32 s3, 0
	s_cbranch_scc1 .LBB203_75
; %bb.72:                               ;   in Loop: Header=BB203_71 Depth=1
	s_add_i32 s3, s3, -1
	s_mov_b32 s4, exec_lo
	v_lshl_or_b32 v1, s3, 8, v0
	v_lshlrev_b64 v[5:6], 2, v[1:2]
	v_add_co_u32 v5, s0, s10, v5
	v_add_co_ci_u32_e64 v6, null, s11, v6, s0
	global_load_dword v1, v[5:6], off glc dlc
	s_waitcnt vmcnt(0)
	v_cmpx_gt_u32_e32 2.0, v1
	s_cbranch_execz .LBB203_70
; %bb.73:                               ;   in Loop: Header=BB203_71 Depth=1
	s_mov_b32 s5, 0
.LBB203_74:                             ;   Parent Loop BB203_71 Depth=1
                                        ; =>  This Inner Loop Header: Depth=2
	global_load_dword v1, v[5:6], off glc dlc
	s_waitcnt vmcnt(0)
	v_cmp_lt_u32_e64 s0, 0x3fffffff, v1
	s_or_b32 s5, s0, s5
	s_andn2_b32 exec_lo, exec_lo, s5
	s_cbranch_execnz .LBB203_74
	s_branch .LBB203_69
.LBB203_75:                             ;   in Loop: Header=BB203_71 Depth=1
                                        ; implicit-def: $sgpr3
	s_and_b32 s4, exec_lo, s0
	s_or_b32 s2, s4, s2
	s_andn2_b32 exec_lo, exec_lo, s2
	s_cbranch_execnz .LBB203_71
.LBB203_76:
	s_or_b32 exec_lo, exec_lo, s2
	v_add_nc_u32_e32 v1, v9, v8
	v_sub_nc_u32_e32 v2, v9, v7
	v_or_b32_e32 v1, 0x80000000, v1
	global_store_dword v[3:4], v1, off
	global_load_dword v1, v11, s[12:13]
	s_waitcnt vmcnt(0)
	v_add_nc_u32_e32 v1, v2, v1
	ds_write_b32 v11, v1
.LBB203_77:
	s_or_b32 exec_lo, exec_lo, s1
	s_waitcnt lgkmcnt(0)
	s_waitcnt_vscnt null, 0x0
	s_barrier
	buffer_gl0_inv
	ds_read2st64_b32 v[1:2], v11 offset0:4 offset1:20
	ds_read2st64_b32 v[3:4], v11 offset0:36 offset1:52
	s_add_i32 s7, s7, -1
	s_cmp_eq_u32 s6, s7
	s_waitcnt lgkmcnt(1)
	v_lshrrev_b32_e32 v5, s20, v1
	v_lshrrev_b32_e32 v6, s20, v2
	s_waitcnt lgkmcnt(0)
	v_lshrrev_b32_e32 v9, s20, v3
	v_lshrrev_b32_e32 v10, s20, v4
	v_xor_b32_e32 v15, 0x80000000, v1
	v_and_b32_e32 v5, s8, v5
	v_and_b32_e32 v6, s8, v6
	;; [unrolled: 1-line block ×3, first 2 shown]
	v_xor_b32_e32 v16, 0x80000000, v2
	v_xor_b32_e32 v4, 0x80000000, v4
	v_lshlrev_b32_e32 v5, 2, v5
	v_lshlrev_b32_e32 v6, 2, v6
	ds_read_b32 v5, v5
	ds_read_b32 v12, v6
	v_lshlrev_b32_e32 v6, 2, v9
	v_and_b32_e32 v9, s8, v10
	ds_read_b32 v13, v6
	v_lshlrev_b32_e32 v6, 2, v9
	ds_read_b32 v14, v6
	v_mov_b32_e32 v6, 0
	s_waitcnt lgkmcnt(3)
	v_add_nc_u32_e32 v5, v5, v0
	v_lshlrev_b64 v[9:10], 2, v[5:6]
	s_waitcnt lgkmcnt(2)
	v_add3_u32 v5, v12, v0, 0x400
	v_lshlrev_b64 v[1:2], 2, v[5:6]
	s_waitcnt lgkmcnt(1)
	v_add3_u32 v5, v13, v0, 0x800
	v_add_co_u32 v9, s0, s18, v9
	v_add_co_ci_u32_e64 v10, null, s19, v10, s0
	v_lshlrev_b64 v[12:13], 2, v[5:6]
	s_waitcnt lgkmcnt(0)
	v_add3_u32 v5, v14, v0, 0xc00
	v_add_co_u32 v0, s0, s18, v1
	v_add_co_ci_u32_e64 v1, null, s19, v2, s0
	v_xor_b32_e32 v14, 0x80000000, v3
	v_lshlrev_b64 v[2:3], 2, v[5:6]
	global_store_dword v[9:10], v15, off
	global_store_dword v[0:1], v16, off
	v_add_co_u32 v0, s0, s18, v12
	v_add_co_ci_u32_e64 v1, null, s19, v13, s0
	v_add_co_u32 v2, s0, s18, v2
	v_add_co_ci_u32_e64 v3, null, s19, v3, s0
	s_cselect_b32 s0, -1, 0
	s_xor_b32 s1, vcc_lo, -1
	global_store_dword v[0:1], v14, off
	s_and_b32 s0, s1, s0
	global_store_dword v[2:3], v4, off
	s_and_saveexec_b32 s1, s0
	s_cbranch_execz .LBB203_79
; %bb.78:
	ds_read_b32 v0, v11
	s_waitcnt lgkmcnt(0)
	v_add3_u32 v0, v7, v8, v0
	global_store_dword v11, v0, s[14:15]
.LBB203_79:
	s_endpgm
	.section	.rodata,"a",@progbits
	.p2align	6, 0x0
	.amdhsa_kernel _ZN7rocprim17ROCPRIM_400000_NS6detail17trampoline_kernelINS0_14default_configENS1_35radix_sort_onesweep_config_selectorIiNS0_10empty_typeEEEZZNS1_29radix_sort_onesweep_iterationIS3_Lb0EN6thrust23THRUST_200600_302600_NS6detail15normal_iteratorINS9_10device_ptrIiEEEESE_PS5_SF_jNS0_19identity_decomposerENS1_16block_id_wrapperIjLb0EEEEE10hipError_tT1_PNSt15iterator_traitsISK_E10value_typeET2_T3_PNSL_ISQ_E10value_typeET4_T5_PSV_SW_PNS1_23onesweep_lookback_stateEbbT6_jjT7_P12ihipStream_tbENKUlT_T0_SK_SP_E_clISE_PiSF_SF_EEDaS13_S14_SK_SP_EUlS13_E_NS1_11comp_targetILNS1_3genE8ELNS1_11target_archE1030ELNS1_3gpuE2ELNS1_3repE0EEENS1_47radix_sort_onesweep_sort_config_static_selectorELNS0_4arch9wavefront6targetE0EEEvSK_
		.amdhsa_group_segment_fixed_size 37000
		.amdhsa_private_segment_fixed_size 0
		.amdhsa_kernarg_size 344
		.amdhsa_user_sgpr_count 6
		.amdhsa_user_sgpr_private_segment_buffer 1
		.amdhsa_user_sgpr_dispatch_ptr 0
		.amdhsa_user_sgpr_queue_ptr 0
		.amdhsa_user_sgpr_kernarg_segment_ptr 1
		.amdhsa_user_sgpr_dispatch_id 0
		.amdhsa_user_sgpr_flat_scratch_init 0
		.amdhsa_user_sgpr_private_segment_size 0
		.amdhsa_wavefront_size32 1
		.amdhsa_uses_dynamic_stack 0
		.amdhsa_system_sgpr_private_segment_wavefront_offset 0
		.amdhsa_system_sgpr_workgroup_id_x 1
		.amdhsa_system_sgpr_workgroup_id_y 0
		.amdhsa_system_sgpr_workgroup_id_z 0
		.amdhsa_system_sgpr_workgroup_info 0
		.amdhsa_system_vgpr_workitem_id 2
		.amdhsa_next_free_vgpr 34
		.amdhsa_next_free_sgpr 25
		.amdhsa_reserve_vcc 1
		.amdhsa_reserve_flat_scratch 0
		.amdhsa_float_round_mode_32 0
		.amdhsa_float_round_mode_16_64 0
		.amdhsa_float_denorm_mode_32 3
		.amdhsa_float_denorm_mode_16_64 3
		.amdhsa_dx10_clamp 1
		.amdhsa_ieee_mode 1
		.amdhsa_fp16_overflow 0
		.amdhsa_workgroup_processor_mode 1
		.amdhsa_memory_ordered 1
		.amdhsa_forward_progress 1
		.amdhsa_shared_vgpr_count 0
		.amdhsa_exception_fp_ieee_invalid_op 0
		.amdhsa_exception_fp_denorm_src 0
		.amdhsa_exception_fp_ieee_div_zero 0
		.amdhsa_exception_fp_ieee_overflow 0
		.amdhsa_exception_fp_ieee_underflow 0
		.amdhsa_exception_fp_ieee_inexact 0
		.amdhsa_exception_int_div_zero 0
	.end_amdhsa_kernel
	.section	.text._ZN7rocprim17ROCPRIM_400000_NS6detail17trampoline_kernelINS0_14default_configENS1_35radix_sort_onesweep_config_selectorIiNS0_10empty_typeEEEZZNS1_29radix_sort_onesweep_iterationIS3_Lb0EN6thrust23THRUST_200600_302600_NS6detail15normal_iteratorINS9_10device_ptrIiEEEESE_PS5_SF_jNS0_19identity_decomposerENS1_16block_id_wrapperIjLb0EEEEE10hipError_tT1_PNSt15iterator_traitsISK_E10value_typeET2_T3_PNSL_ISQ_E10value_typeET4_T5_PSV_SW_PNS1_23onesweep_lookback_stateEbbT6_jjT7_P12ihipStream_tbENKUlT_T0_SK_SP_E_clISE_PiSF_SF_EEDaS13_S14_SK_SP_EUlS13_E_NS1_11comp_targetILNS1_3genE8ELNS1_11target_archE1030ELNS1_3gpuE2ELNS1_3repE0EEENS1_47radix_sort_onesweep_sort_config_static_selectorELNS0_4arch9wavefront6targetE0EEEvSK_,"axG",@progbits,_ZN7rocprim17ROCPRIM_400000_NS6detail17trampoline_kernelINS0_14default_configENS1_35radix_sort_onesweep_config_selectorIiNS0_10empty_typeEEEZZNS1_29radix_sort_onesweep_iterationIS3_Lb0EN6thrust23THRUST_200600_302600_NS6detail15normal_iteratorINS9_10device_ptrIiEEEESE_PS5_SF_jNS0_19identity_decomposerENS1_16block_id_wrapperIjLb0EEEEE10hipError_tT1_PNSt15iterator_traitsISK_E10value_typeET2_T3_PNSL_ISQ_E10value_typeET4_T5_PSV_SW_PNS1_23onesweep_lookback_stateEbbT6_jjT7_P12ihipStream_tbENKUlT_T0_SK_SP_E_clISE_PiSF_SF_EEDaS13_S14_SK_SP_EUlS13_E_NS1_11comp_targetILNS1_3genE8ELNS1_11target_archE1030ELNS1_3gpuE2ELNS1_3repE0EEENS1_47radix_sort_onesweep_sort_config_static_selectorELNS0_4arch9wavefront6targetE0EEEvSK_,comdat
.Lfunc_end203:
	.size	_ZN7rocprim17ROCPRIM_400000_NS6detail17trampoline_kernelINS0_14default_configENS1_35radix_sort_onesweep_config_selectorIiNS0_10empty_typeEEEZZNS1_29radix_sort_onesweep_iterationIS3_Lb0EN6thrust23THRUST_200600_302600_NS6detail15normal_iteratorINS9_10device_ptrIiEEEESE_PS5_SF_jNS0_19identity_decomposerENS1_16block_id_wrapperIjLb0EEEEE10hipError_tT1_PNSt15iterator_traitsISK_E10value_typeET2_T3_PNSL_ISQ_E10value_typeET4_T5_PSV_SW_PNS1_23onesweep_lookback_stateEbbT6_jjT7_P12ihipStream_tbENKUlT_T0_SK_SP_E_clISE_PiSF_SF_EEDaS13_S14_SK_SP_EUlS13_E_NS1_11comp_targetILNS1_3genE8ELNS1_11target_archE1030ELNS1_3gpuE2ELNS1_3repE0EEENS1_47radix_sort_onesweep_sort_config_static_selectorELNS0_4arch9wavefront6targetE0EEEvSK_, .Lfunc_end203-_ZN7rocprim17ROCPRIM_400000_NS6detail17trampoline_kernelINS0_14default_configENS1_35radix_sort_onesweep_config_selectorIiNS0_10empty_typeEEEZZNS1_29radix_sort_onesweep_iterationIS3_Lb0EN6thrust23THRUST_200600_302600_NS6detail15normal_iteratorINS9_10device_ptrIiEEEESE_PS5_SF_jNS0_19identity_decomposerENS1_16block_id_wrapperIjLb0EEEEE10hipError_tT1_PNSt15iterator_traitsISK_E10value_typeET2_T3_PNSL_ISQ_E10value_typeET4_T5_PSV_SW_PNS1_23onesweep_lookback_stateEbbT6_jjT7_P12ihipStream_tbENKUlT_T0_SK_SP_E_clISE_PiSF_SF_EEDaS13_S14_SK_SP_EUlS13_E_NS1_11comp_targetILNS1_3genE8ELNS1_11target_archE1030ELNS1_3gpuE2ELNS1_3repE0EEENS1_47radix_sort_onesweep_sort_config_static_selectorELNS0_4arch9wavefront6targetE0EEEvSK_
                                        ; -- End function
	.set _ZN7rocprim17ROCPRIM_400000_NS6detail17trampoline_kernelINS0_14default_configENS1_35radix_sort_onesweep_config_selectorIiNS0_10empty_typeEEEZZNS1_29radix_sort_onesweep_iterationIS3_Lb0EN6thrust23THRUST_200600_302600_NS6detail15normal_iteratorINS9_10device_ptrIiEEEESE_PS5_SF_jNS0_19identity_decomposerENS1_16block_id_wrapperIjLb0EEEEE10hipError_tT1_PNSt15iterator_traitsISK_E10value_typeET2_T3_PNSL_ISQ_E10value_typeET4_T5_PSV_SW_PNS1_23onesweep_lookback_stateEbbT6_jjT7_P12ihipStream_tbENKUlT_T0_SK_SP_E_clISE_PiSF_SF_EEDaS13_S14_SK_SP_EUlS13_E_NS1_11comp_targetILNS1_3genE8ELNS1_11target_archE1030ELNS1_3gpuE2ELNS1_3repE0EEENS1_47radix_sort_onesweep_sort_config_static_selectorELNS0_4arch9wavefront6targetE0EEEvSK_.num_vgpr, 34
	.set _ZN7rocprim17ROCPRIM_400000_NS6detail17trampoline_kernelINS0_14default_configENS1_35radix_sort_onesweep_config_selectorIiNS0_10empty_typeEEEZZNS1_29radix_sort_onesweep_iterationIS3_Lb0EN6thrust23THRUST_200600_302600_NS6detail15normal_iteratorINS9_10device_ptrIiEEEESE_PS5_SF_jNS0_19identity_decomposerENS1_16block_id_wrapperIjLb0EEEEE10hipError_tT1_PNSt15iterator_traitsISK_E10value_typeET2_T3_PNSL_ISQ_E10value_typeET4_T5_PSV_SW_PNS1_23onesweep_lookback_stateEbbT6_jjT7_P12ihipStream_tbENKUlT_T0_SK_SP_E_clISE_PiSF_SF_EEDaS13_S14_SK_SP_EUlS13_E_NS1_11comp_targetILNS1_3genE8ELNS1_11target_archE1030ELNS1_3gpuE2ELNS1_3repE0EEENS1_47radix_sort_onesweep_sort_config_static_selectorELNS0_4arch9wavefront6targetE0EEEvSK_.num_agpr, 0
	.set _ZN7rocprim17ROCPRIM_400000_NS6detail17trampoline_kernelINS0_14default_configENS1_35radix_sort_onesweep_config_selectorIiNS0_10empty_typeEEEZZNS1_29radix_sort_onesweep_iterationIS3_Lb0EN6thrust23THRUST_200600_302600_NS6detail15normal_iteratorINS9_10device_ptrIiEEEESE_PS5_SF_jNS0_19identity_decomposerENS1_16block_id_wrapperIjLb0EEEEE10hipError_tT1_PNSt15iterator_traitsISK_E10value_typeET2_T3_PNSL_ISQ_E10value_typeET4_T5_PSV_SW_PNS1_23onesweep_lookback_stateEbbT6_jjT7_P12ihipStream_tbENKUlT_T0_SK_SP_E_clISE_PiSF_SF_EEDaS13_S14_SK_SP_EUlS13_E_NS1_11comp_targetILNS1_3genE8ELNS1_11target_archE1030ELNS1_3gpuE2ELNS1_3repE0EEENS1_47radix_sort_onesweep_sort_config_static_selectorELNS0_4arch9wavefront6targetE0EEEvSK_.numbered_sgpr, 25
	.set _ZN7rocprim17ROCPRIM_400000_NS6detail17trampoline_kernelINS0_14default_configENS1_35radix_sort_onesweep_config_selectorIiNS0_10empty_typeEEEZZNS1_29radix_sort_onesweep_iterationIS3_Lb0EN6thrust23THRUST_200600_302600_NS6detail15normal_iteratorINS9_10device_ptrIiEEEESE_PS5_SF_jNS0_19identity_decomposerENS1_16block_id_wrapperIjLb0EEEEE10hipError_tT1_PNSt15iterator_traitsISK_E10value_typeET2_T3_PNSL_ISQ_E10value_typeET4_T5_PSV_SW_PNS1_23onesweep_lookback_stateEbbT6_jjT7_P12ihipStream_tbENKUlT_T0_SK_SP_E_clISE_PiSF_SF_EEDaS13_S14_SK_SP_EUlS13_E_NS1_11comp_targetILNS1_3genE8ELNS1_11target_archE1030ELNS1_3gpuE2ELNS1_3repE0EEENS1_47radix_sort_onesweep_sort_config_static_selectorELNS0_4arch9wavefront6targetE0EEEvSK_.num_named_barrier, 0
	.set _ZN7rocprim17ROCPRIM_400000_NS6detail17trampoline_kernelINS0_14default_configENS1_35radix_sort_onesweep_config_selectorIiNS0_10empty_typeEEEZZNS1_29radix_sort_onesweep_iterationIS3_Lb0EN6thrust23THRUST_200600_302600_NS6detail15normal_iteratorINS9_10device_ptrIiEEEESE_PS5_SF_jNS0_19identity_decomposerENS1_16block_id_wrapperIjLb0EEEEE10hipError_tT1_PNSt15iterator_traitsISK_E10value_typeET2_T3_PNSL_ISQ_E10value_typeET4_T5_PSV_SW_PNS1_23onesweep_lookback_stateEbbT6_jjT7_P12ihipStream_tbENKUlT_T0_SK_SP_E_clISE_PiSF_SF_EEDaS13_S14_SK_SP_EUlS13_E_NS1_11comp_targetILNS1_3genE8ELNS1_11target_archE1030ELNS1_3gpuE2ELNS1_3repE0EEENS1_47radix_sort_onesweep_sort_config_static_selectorELNS0_4arch9wavefront6targetE0EEEvSK_.private_seg_size, 0
	.set _ZN7rocprim17ROCPRIM_400000_NS6detail17trampoline_kernelINS0_14default_configENS1_35radix_sort_onesweep_config_selectorIiNS0_10empty_typeEEEZZNS1_29radix_sort_onesweep_iterationIS3_Lb0EN6thrust23THRUST_200600_302600_NS6detail15normal_iteratorINS9_10device_ptrIiEEEESE_PS5_SF_jNS0_19identity_decomposerENS1_16block_id_wrapperIjLb0EEEEE10hipError_tT1_PNSt15iterator_traitsISK_E10value_typeET2_T3_PNSL_ISQ_E10value_typeET4_T5_PSV_SW_PNS1_23onesweep_lookback_stateEbbT6_jjT7_P12ihipStream_tbENKUlT_T0_SK_SP_E_clISE_PiSF_SF_EEDaS13_S14_SK_SP_EUlS13_E_NS1_11comp_targetILNS1_3genE8ELNS1_11target_archE1030ELNS1_3gpuE2ELNS1_3repE0EEENS1_47radix_sort_onesweep_sort_config_static_selectorELNS0_4arch9wavefront6targetE0EEEvSK_.uses_vcc, 1
	.set _ZN7rocprim17ROCPRIM_400000_NS6detail17trampoline_kernelINS0_14default_configENS1_35radix_sort_onesweep_config_selectorIiNS0_10empty_typeEEEZZNS1_29radix_sort_onesweep_iterationIS3_Lb0EN6thrust23THRUST_200600_302600_NS6detail15normal_iteratorINS9_10device_ptrIiEEEESE_PS5_SF_jNS0_19identity_decomposerENS1_16block_id_wrapperIjLb0EEEEE10hipError_tT1_PNSt15iterator_traitsISK_E10value_typeET2_T3_PNSL_ISQ_E10value_typeET4_T5_PSV_SW_PNS1_23onesweep_lookback_stateEbbT6_jjT7_P12ihipStream_tbENKUlT_T0_SK_SP_E_clISE_PiSF_SF_EEDaS13_S14_SK_SP_EUlS13_E_NS1_11comp_targetILNS1_3genE8ELNS1_11target_archE1030ELNS1_3gpuE2ELNS1_3repE0EEENS1_47radix_sort_onesweep_sort_config_static_selectorELNS0_4arch9wavefront6targetE0EEEvSK_.uses_flat_scratch, 0
	.set _ZN7rocprim17ROCPRIM_400000_NS6detail17trampoline_kernelINS0_14default_configENS1_35radix_sort_onesweep_config_selectorIiNS0_10empty_typeEEEZZNS1_29radix_sort_onesweep_iterationIS3_Lb0EN6thrust23THRUST_200600_302600_NS6detail15normal_iteratorINS9_10device_ptrIiEEEESE_PS5_SF_jNS0_19identity_decomposerENS1_16block_id_wrapperIjLb0EEEEE10hipError_tT1_PNSt15iterator_traitsISK_E10value_typeET2_T3_PNSL_ISQ_E10value_typeET4_T5_PSV_SW_PNS1_23onesweep_lookback_stateEbbT6_jjT7_P12ihipStream_tbENKUlT_T0_SK_SP_E_clISE_PiSF_SF_EEDaS13_S14_SK_SP_EUlS13_E_NS1_11comp_targetILNS1_3genE8ELNS1_11target_archE1030ELNS1_3gpuE2ELNS1_3repE0EEENS1_47radix_sort_onesweep_sort_config_static_selectorELNS0_4arch9wavefront6targetE0EEEvSK_.has_dyn_sized_stack, 0
	.set _ZN7rocprim17ROCPRIM_400000_NS6detail17trampoline_kernelINS0_14default_configENS1_35radix_sort_onesweep_config_selectorIiNS0_10empty_typeEEEZZNS1_29radix_sort_onesweep_iterationIS3_Lb0EN6thrust23THRUST_200600_302600_NS6detail15normal_iteratorINS9_10device_ptrIiEEEESE_PS5_SF_jNS0_19identity_decomposerENS1_16block_id_wrapperIjLb0EEEEE10hipError_tT1_PNSt15iterator_traitsISK_E10value_typeET2_T3_PNSL_ISQ_E10value_typeET4_T5_PSV_SW_PNS1_23onesweep_lookback_stateEbbT6_jjT7_P12ihipStream_tbENKUlT_T0_SK_SP_E_clISE_PiSF_SF_EEDaS13_S14_SK_SP_EUlS13_E_NS1_11comp_targetILNS1_3genE8ELNS1_11target_archE1030ELNS1_3gpuE2ELNS1_3repE0EEENS1_47radix_sort_onesweep_sort_config_static_selectorELNS0_4arch9wavefront6targetE0EEEvSK_.has_recursion, 0
	.set _ZN7rocprim17ROCPRIM_400000_NS6detail17trampoline_kernelINS0_14default_configENS1_35radix_sort_onesweep_config_selectorIiNS0_10empty_typeEEEZZNS1_29radix_sort_onesweep_iterationIS3_Lb0EN6thrust23THRUST_200600_302600_NS6detail15normal_iteratorINS9_10device_ptrIiEEEESE_PS5_SF_jNS0_19identity_decomposerENS1_16block_id_wrapperIjLb0EEEEE10hipError_tT1_PNSt15iterator_traitsISK_E10value_typeET2_T3_PNSL_ISQ_E10value_typeET4_T5_PSV_SW_PNS1_23onesweep_lookback_stateEbbT6_jjT7_P12ihipStream_tbENKUlT_T0_SK_SP_E_clISE_PiSF_SF_EEDaS13_S14_SK_SP_EUlS13_E_NS1_11comp_targetILNS1_3genE8ELNS1_11target_archE1030ELNS1_3gpuE2ELNS1_3repE0EEENS1_47radix_sort_onesweep_sort_config_static_selectorELNS0_4arch9wavefront6targetE0EEEvSK_.has_indirect_call, 0
	.section	.AMDGPU.csdata,"",@progbits
; Kernel info:
; codeLenInByte = 6652
; TotalNumSgprs: 27
; NumVgprs: 34
; ScratchSize: 0
; MemoryBound: 0
; FloatMode: 240
; IeeeMode: 1
; LDSByteSize: 37000 bytes/workgroup (compile time only)
; SGPRBlocks: 0
; VGPRBlocks: 4
; NumSGPRsForWavesPerEU: 27
; NumVGPRsForWavesPerEU: 34
; Occupancy: 16
; WaveLimiterHint : 1
; COMPUTE_PGM_RSRC2:SCRATCH_EN: 0
; COMPUTE_PGM_RSRC2:USER_SGPR: 6
; COMPUTE_PGM_RSRC2:TRAP_HANDLER: 0
; COMPUTE_PGM_RSRC2:TGID_X_EN: 1
; COMPUTE_PGM_RSRC2:TGID_Y_EN: 0
; COMPUTE_PGM_RSRC2:TGID_Z_EN: 0
; COMPUTE_PGM_RSRC2:TIDIG_COMP_CNT: 2
	.section	.text._ZN7rocprim17ROCPRIM_400000_NS6detail17trampoline_kernelINS0_14default_configENS1_35radix_sort_onesweep_config_selectorIiNS0_10empty_typeEEEZZNS1_29radix_sort_onesweep_iterationIS3_Lb0EN6thrust23THRUST_200600_302600_NS6detail15normal_iteratorINS9_10device_ptrIiEEEESE_PS5_SF_jNS0_19identity_decomposerENS1_16block_id_wrapperIjLb0EEEEE10hipError_tT1_PNSt15iterator_traitsISK_E10value_typeET2_T3_PNSL_ISQ_E10value_typeET4_T5_PSV_SW_PNS1_23onesweep_lookback_stateEbbT6_jjT7_P12ihipStream_tbENKUlT_T0_SK_SP_E_clIPiSE_SF_SF_EEDaS13_S14_SK_SP_EUlS13_E_NS1_11comp_targetILNS1_3genE0ELNS1_11target_archE4294967295ELNS1_3gpuE0ELNS1_3repE0EEENS1_47radix_sort_onesweep_sort_config_static_selectorELNS0_4arch9wavefront6targetE0EEEvSK_,"axG",@progbits,_ZN7rocprim17ROCPRIM_400000_NS6detail17trampoline_kernelINS0_14default_configENS1_35radix_sort_onesweep_config_selectorIiNS0_10empty_typeEEEZZNS1_29radix_sort_onesweep_iterationIS3_Lb0EN6thrust23THRUST_200600_302600_NS6detail15normal_iteratorINS9_10device_ptrIiEEEESE_PS5_SF_jNS0_19identity_decomposerENS1_16block_id_wrapperIjLb0EEEEE10hipError_tT1_PNSt15iterator_traitsISK_E10value_typeET2_T3_PNSL_ISQ_E10value_typeET4_T5_PSV_SW_PNS1_23onesweep_lookback_stateEbbT6_jjT7_P12ihipStream_tbENKUlT_T0_SK_SP_E_clIPiSE_SF_SF_EEDaS13_S14_SK_SP_EUlS13_E_NS1_11comp_targetILNS1_3genE0ELNS1_11target_archE4294967295ELNS1_3gpuE0ELNS1_3repE0EEENS1_47radix_sort_onesweep_sort_config_static_selectorELNS0_4arch9wavefront6targetE0EEEvSK_,comdat
	.protected	_ZN7rocprim17ROCPRIM_400000_NS6detail17trampoline_kernelINS0_14default_configENS1_35radix_sort_onesweep_config_selectorIiNS0_10empty_typeEEEZZNS1_29radix_sort_onesweep_iterationIS3_Lb0EN6thrust23THRUST_200600_302600_NS6detail15normal_iteratorINS9_10device_ptrIiEEEESE_PS5_SF_jNS0_19identity_decomposerENS1_16block_id_wrapperIjLb0EEEEE10hipError_tT1_PNSt15iterator_traitsISK_E10value_typeET2_T3_PNSL_ISQ_E10value_typeET4_T5_PSV_SW_PNS1_23onesweep_lookback_stateEbbT6_jjT7_P12ihipStream_tbENKUlT_T0_SK_SP_E_clIPiSE_SF_SF_EEDaS13_S14_SK_SP_EUlS13_E_NS1_11comp_targetILNS1_3genE0ELNS1_11target_archE4294967295ELNS1_3gpuE0ELNS1_3repE0EEENS1_47radix_sort_onesweep_sort_config_static_selectorELNS0_4arch9wavefront6targetE0EEEvSK_ ; -- Begin function _ZN7rocprim17ROCPRIM_400000_NS6detail17trampoline_kernelINS0_14default_configENS1_35radix_sort_onesweep_config_selectorIiNS0_10empty_typeEEEZZNS1_29radix_sort_onesweep_iterationIS3_Lb0EN6thrust23THRUST_200600_302600_NS6detail15normal_iteratorINS9_10device_ptrIiEEEESE_PS5_SF_jNS0_19identity_decomposerENS1_16block_id_wrapperIjLb0EEEEE10hipError_tT1_PNSt15iterator_traitsISK_E10value_typeET2_T3_PNSL_ISQ_E10value_typeET4_T5_PSV_SW_PNS1_23onesweep_lookback_stateEbbT6_jjT7_P12ihipStream_tbENKUlT_T0_SK_SP_E_clIPiSE_SF_SF_EEDaS13_S14_SK_SP_EUlS13_E_NS1_11comp_targetILNS1_3genE0ELNS1_11target_archE4294967295ELNS1_3gpuE0ELNS1_3repE0EEENS1_47radix_sort_onesweep_sort_config_static_selectorELNS0_4arch9wavefront6targetE0EEEvSK_
	.globl	_ZN7rocprim17ROCPRIM_400000_NS6detail17trampoline_kernelINS0_14default_configENS1_35radix_sort_onesweep_config_selectorIiNS0_10empty_typeEEEZZNS1_29radix_sort_onesweep_iterationIS3_Lb0EN6thrust23THRUST_200600_302600_NS6detail15normal_iteratorINS9_10device_ptrIiEEEESE_PS5_SF_jNS0_19identity_decomposerENS1_16block_id_wrapperIjLb0EEEEE10hipError_tT1_PNSt15iterator_traitsISK_E10value_typeET2_T3_PNSL_ISQ_E10value_typeET4_T5_PSV_SW_PNS1_23onesweep_lookback_stateEbbT6_jjT7_P12ihipStream_tbENKUlT_T0_SK_SP_E_clIPiSE_SF_SF_EEDaS13_S14_SK_SP_EUlS13_E_NS1_11comp_targetILNS1_3genE0ELNS1_11target_archE4294967295ELNS1_3gpuE0ELNS1_3repE0EEENS1_47radix_sort_onesweep_sort_config_static_selectorELNS0_4arch9wavefront6targetE0EEEvSK_
	.p2align	8
	.type	_ZN7rocprim17ROCPRIM_400000_NS6detail17trampoline_kernelINS0_14default_configENS1_35radix_sort_onesweep_config_selectorIiNS0_10empty_typeEEEZZNS1_29radix_sort_onesweep_iterationIS3_Lb0EN6thrust23THRUST_200600_302600_NS6detail15normal_iteratorINS9_10device_ptrIiEEEESE_PS5_SF_jNS0_19identity_decomposerENS1_16block_id_wrapperIjLb0EEEEE10hipError_tT1_PNSt15iterator_traitsISK_E10value_typeET2_T3_PNSL_ISQ_E10value_typeET4_T5_PSV_SW_PNS1_23onesweep_lookback_stateEbbT6_jjT7_P12ihipStream_tbENKUlT_T0_SK_SP_E_clIPiSE_SF_SF_EEDaS13_S14_SK_SP_EUlS13_E_NS1_11comp_targetILNS1_3genE0ELNS1_11target_archE4294967295ELNS1_3gpuE0ELNS1_3repE0EEENS1_47radix_sort_onesweep_sort_config_static_selectorELNS0_4arch9wavefront6targetE0EEEvSK_,@function
_ZN7rocprim17ROCPRIM_400000_NS6detail17trampoline_kernelINS0_14default_configENS1_35radix_sort_onesweep_config_selectorIiNS0_10empty_typeEEEZZNS1_29radix_sort_onesweep_iterationIS3_Lb0EN6thrust23THRUST_200600_302600_NS6detail15normal_iteratorINS9_10device_ptrIiEEEESE_PS5_SF_jNS0_19identity_decomposerENS1_16block_id_wrapperIjLb0EEEEE10hipError_tT1_PNSt15iterator_traitsISK_E10value_typeET2_T3_PNSL_ISQ_E10value_typeET4_T5_PSV_SW_PNS1_23onesweep_lookback_stateEbbT6_jjT7_P12ihipStream_tbENKUlT_T0_SK_SP_E_clIPiSE_SF_SF_EEDaS13_S14_SK_SP_EUlS13_E_NS1_11comp_targetILNS1_3genE0ELNS1_11target_archE4294967295ELNS1_3gpuE0ELNS1_3repE0EEENS1_47radix_sort_onesweep_sort_config_static_selectorELNS0_4arch9wavefront6targetE0EEEvSK_: ; @_ZN7rocprim17ROCPRIM_400000_NS6detail17trampoline_kernelINS0_14default_configENS1_35radix_sort_onesweep_config_selectorIiNS0_10empty_typeEEEZZNS1_29radix_sort_onesweep_iterationIS3_Lb0EN6thrust23THRUST_200600_302600_NS6detail15normal_iteratorINS9_10device_ptrIiEEEESE_PS5_SF_jNS0_19identity_decomposerENS1_16block_id_wrapperIjLb0EEEEE10hipError_tT1_PNSt15iterator_traitsISK_E10value_typeET2_T3_PNSL_ISQ_E10value_typeET4_T5_PSV_SW_PNS1_23onesweep_lookback_stateEbbT6_jjT7_P12ihipStream_tbENKUlT_T0_SK_SP_E_clIPiSE_SF_SF_EEDaS13_S14_SK_SP_EUlS13_E_NS1_11comp_targetILNS1_3genE0ELNS1_11target_archE4294967295ELNS1_3gpuE0ELNS1_3repE0EEENS1_47radix_sort_onesweep_sort_config_static_selectorELNS0_4arch9wavefront6targetE0EEEvSK_
; %bb.0:
	.section	.rodata,"a",@progbits
	.p2align	6, 0x0
	.amdhsa_kernel _ZN7rocprim17ROCPRIM_400000_NS6detail17trampoline_kernelINS0_14default_configENS1_35radix_sort_onesweep_config_selectorIiNS0_10empty_typeEEEZZNS1_29radix_sort_onesweep_iterationIS3_Lb0EN6thrust23THRUST_200600_302600_NS6detail15normal_iteratorINS9_10device_ptrIiEEEESE_PS5_SF_jNS0_19identity_decomposerENS1_16block_id_wrapperIjLb0EEEEE10hipError_tT1_PNSt15iterator_traitsISK_E10value_typeET2_T3_PNSL_ISQ_E10value_typeET4_T5_PSV_SW_PNS1_23onesweep_lookback_stateEbbT6_jjT7_P12ihipStream_tbENKUlT_T0_SK_SP_E_clIPiSE_SF_SF_EEDaS13_S14_SK_SP_EUlS13_E_NS1_11comp_targetILNS1_3genE0ELNS1_11target_archE4294967295ELNS1_3gpuE0ELNS1_3repE0EEENS1_47radix_sort_onesweep_sort_config_static_selectorELNS0_4arch9wavefront6targetE0EEEvSK_
		.amdhsa_group_segment_fixed_size 0
		.amdhsa_private_segment_fixed_size 0
		.amdhsa_kernarg_size 88
		.amdhsa_user_sgpr_count 6
		.amdhsa_user_sgpr_private_segment_buffer 1
		.amdhsa_user_sgpr_dispatch_ptr 0
		.amdhsa_user_sgpr_queue_ptr 0
		.amdhsa_user_sgpr_kernarg_segment_ptr 1
		.amdhsa_user_sgpr_dispatch_id 0
		.amdhsa_user_sgpr_flat_scratch_init 0
		.amdhsa_user_sgpr_private_segment_size 0
		.amdhsa_wavefront_size32 1
		.amdhsa_uses_dynamic_stack 0
		.amdhsa_system_sgpr_private_segment_wavefront_offset 0
		.amdhsa_system_sgpr_workgroup_id_x 1
		.amdhsa_system_sgpr_workgroup_id_y 0
		.amdhsa_system_sgpr_workgroup_id_z 0
		.amdhsa_system_sgpr_workgroup_info 0
		.amdhsa_system_vgpr_workitem_id 0
		.amdhsa_next_free_vgpr 1
		.amdhsa_next_free_sgpr 1
		.amdhsa_reserve_vcc 0
		.amdhsa_reserve_flat_scratch 0
		.amdhsa_float_round_mode_32 0
		.amdhsa_float_round_mode_16_64 0
		.amdhsa_float_denorm_mode_32 3
		.amdhsa_float_denorm_mode_16_64 3
		.amdhsa_dx10_clamp 1
		.amdhsa_ieee_mode 1
		.amdhsa_fp16_overflow 0
		.amdhsa_workgroup_processor_mode 1
		.amdhsa_memory_ordered 1
		.amdhsa_forward_progress 1
		.amdhsa_shared_vgpr_count 0
		.amdhsa_exception_fp_ieee_invalid_op 0
		.amdhsa_exception_fp_denorm_src 0
		.amdhsa_exception_fp_ieee_div_zero 0
		.amdhsa_exception_fp_ieee_overflow 0
		.amdhsa_exception_fp_ieee_underflow 0
		.amdhsa_exception_fp_ieee_inexact 0
		.amdhsa_exception_int_div_zero 0
	.end_amdhsa_kernel
	.section	.text._ZN7rocprim17ROCPRIM_400000_NS6detail17trampoline_kernelINS0_14default_configENS1_35radix_sort_onesweep_config_selectorIiNS0_10empty_typeEEEZZNS1_29radix_sort_onesweep_iterationIS3_Lb0EN6thrust23THRUST_200600_302600_NS6detail15normal_iteratorINS9_10device_ptrIiEEEESE_PS5_SF_jNS0_19identity_decomposerENS1_16block_id_wrapperIjLb0EEEEE10hipError_tT1_PNSt15iterator_traitsISK_E10value_typeET2_T3_PNSL_ISQ_E10value_typeET4_T5_PSV_SW_PNS1_23onesweep_lookback_stateEbbT6_jjT7_P12ihipStream_tbENKUlT_T0_SK_SP_E_clIPiSE_SF_SF_EEDaS13_S14_SK_SP_EUlS13_E_NS1_11comp_targetILNS1_3genE0ELNS1_11target_archE4294967295ELNS1_3gpuE0ELNS1_3repE0EEENS1_47radix_sort_onesweep_sort_config_static_selectorELNS0_4arch9wavefront6targetE0EEEvSK_,"axG",@progbits,_ZN7rocprim17ROCPRIM_400000_NS6detail17trampoline_kernelINS0_14default_configENS1_35radix_sort_onesweep_config_selectorIiNS0_10empty_typeEEEZZNS1_29radix_sort_onesweep_iterationIS3_Lb0EN6thrust23THRUST_200600_302600_NS6detail15normal_iteratorINS9_10device_ptrIiEEEESE_PS5_SF_jNS0_19identity_decomposerENS1_16block_id_wrapperIjLb0EEEEE10hipError_tT1_PNSt15iterator_traitsISK_E10value_typeET2_T3_PNSL_ISQ_E10value_typeET4_T5_PSV_SW_PNS1_23onesweep_lookback_stateEbbT6_jjT7_P12ihipStream_tbENKUlT_T0_SK_SP_E_clIPiSE_SF_SF_EEDaS13_S14_SK_SP_EUlS13_E_NS1_11comp_targetILNS1_3genE0ELNS1_11target_archE4294967295ELNS1_3gpuE0ELNS1_3repE0EEENS1_47radix_sort_onesweep_sort_config_static_selectorELNS0_4arch9wavefront6targetE0EEEvSK_,comdat
.Lfunc_end204:
	.size	_ZN7rocprim17ROCPRIM_400000_NS6detail17trampoline_kernelINS0_14default_configENS1_35radix_sort_onesweep_config_selectorIiNS0_10empty_typeEEEZZNS1_29radix_sort_onesweep_iterationIS3_Lb0EN6thrust23THRUST_200600_302600_NS6detail15normal_iteratorINS9_10device_ptrIiEEEESE_PS5_SF_jNS0_19identity_decomposerENS1_16block_id_wrapperIjLb0EEEEE10hipError_tT1_PNSt15iterator_traitsISK_E10value_typeET2_T3_PNSL_ISQ_E10value_typeET4_T5_PSV_SW_PNS1_23onesweep_lookback_stateEbbT6_jjT7_P12ihipStream_tbENKUlT_T0_SK_SP_E_clIPiSE_SF_SF_EEDaS13_S14_SK_SP_EUlS13_E_NS1_11comp_targetILNS1_3genE0ELNS1_11target_archE4294967295ELNS1_3gpuE0ELNS1_3repE0EEENS1_47radix_sort_onesweep_sort_config_static_selectorELNS0_4arch9wavefront6targetE0EEEvSK_, .Lfunc_end204-_ZN7rocprim17ROCPRIM_400000_NS6detail17trampoline_kernelINS0_14default_configENS1_35radix_sort_onesweep_config_selectorIiNS0_10empty_typeEEEZZNS1_29radix_sort_onesweep_iterationIS3_Lb0EN6thrust23THRUST_200600_302600_NS6detail15normal_iteratorINS9_10device_ptrIiEEEESE_PS5_SF_jNS0_19identity_decomposerENS1_16block_id_wrapperIjLb0EEEEE10hipError_tT1_PNSt15iterator_traitsISK_E10value_typeET2_T3_PNSL_ISQ_E10value_typeET4_T5_PSV_SW_PNS1_23onesweep_lookback_stateEbbT6_jjT7_P12ihipStream_tbENKUlT_T0_SK_SP_E_clIPiSE_SF_SF_EEDaS13_S14_SK_SP_EUlS13_E_NS1_11comp_targetILNS1_3genE0ELNS1_11target_archE4294967295ELNS1_3gpuE0ELNS1_3repE0EEENS1_47radix_sort_onesweep_sort_config_static_selectorELNS0_4arch9wavefront6targetE0EEEvSK_
                                        ; -- End function
	.set _ZN7rocprim17ROCPRIM_400000_NS6detail17trampoline_kernelINS0_14default_configENS1_35radix_sort_onesweep_config_selectorIiNS0_10empty_typeEEEZZNS1_29radix_sort_onesweep_iterationIS3_Lb0EN6thrust23THRUST_200600_302600_NS6detail15normal_iteratorINS9_10device_ptrIiEEEESE_PS5_SF_jNS0_19identity_decomposerENS1_16block_id_wrapperIjLb0EEEEE10hipError_tT1_PNSt15iterator_traitsISK_E10value_typeET2_T3_PNSL_ISQ_E10value_typeET4_T5_PSV_SW_PNS1_23onesweep_lookback_stateEbbT6_jjT7_P12ihipStream_tbENKUlT_T0_SK_SP_E_clIPiSE_SF_SF_EEDaS13_S14_SK_SP_EUlS13_E_NS1_11comp_targetILNS1_3genE0ELNS1_11target_archE4294967295ELNS1_3gpuE0ELNS1_3repE0EEENS1_47radix_sort_onesweep_sort_config_static_selectorELNS0_4arch9wavefront6targetE0EEEvSK_.num_vgpr, 0
	.set _ZN7rocprim17ROCPRIM_400000_NS6detail17trampoline_kernelINS0_14default_configENS1_35radix_sort_onesweep_config_selectorIiNS0_10empty_typeEEEZZNS1_29radix_sort_onesweep_iterationIS3_Lb0EN6thrust23THRUST_200600_302600_NS6detail15normal_iteratorINS9_10device_ptrIiEEEESE_PS5_SF_jNS0_19identity_decomposerENS1_16block_id_wrapperIjLb0EEEEE10hipError_tT1_PNSt15iterator_traitsISK_E10value_typeET2_T3_PNSL_ISQ_E10value_typeET4_T5_PSV_SW_PNS1_23onesweep_lookback_stateEbbT6_jjT7_P12ihipStream_tbENKUlT_T0_SK_SP_E_clIPiSE_SF_SF_EEDaS13_S14_SK_SP_EUlS13_E_NS1_11comp_targetILNS1_3genE0ELNS1_11target_archE4294967295ELNS1_3gpuE0ELNS1_3repE0EEENS1_47radix_sort_onesweep_sort_config_static_selectorELNS0_4arch9wavefront6targetE0EEEvSK_.num_agpr, 0
	.set _ZN7rocprim17ROCPRIM_400000_NS6detail17trampoline_kernelINS0_14default_configENS1_35radix_sort_onesweep_config_selectorIiNS0_10empty_typeEEEZZNS1_29radix_sort_onesweep_iterationIS3_Lb0EN6thrust23THRUST_200600_302600_NS6detail15normal_iteratorINS9_10device_ptrIiEEEESE_PS5_SF_jNS0_19identity_decomposerENS1_16block_id_wrapperIjLb0EEEEE10hipError_tT1_PNSt15iterator_traitsISK_E10value_typeET2_T3_PNSL_ISQ_E10value_typeET4_T5_PSV_SW_PNS1_23onesweep_lookback_stateEbbT6_jjT7_P12ihipStream_tbENKUlT_T0_SK_SP_E_clIPiSE_SF_SF_EEDaS13_S14_SK_SP_EUlS13_E_NS1_11comp_targetILNS1_3genE0ELNS1_11target_archE4294967295ELNS1_3gpuE0ELNS1_3repE0EEENS1_47radix_sort_onesweep_sort_config_static_selectorELNS0_4arch9wavefront6targetE0EEEvSK_.numbered_sgpr, 0
	.set _ZN7rocprim17ROCPRIM_400000_NS6detail17trampoline_kernelINS0_14default_configENS1_35radix_sort_onesweep_config_selectorIiNS0_10empty_typeEEEZZNS1_29radix_sort_onesweep_iterationIS3_Lb0EN6thrust23THRUST_200600_302600_NS6detail15normal_iteratorINS9_10device_ptrIiEEEESE_PS5_SF_jNS0_19identity_decomposerENS1_16block_id_wrapperIjLb0EEEEE10hipError_tT1_PNSt15iterator_traitsISK_E10value_typeET2_T3_PNSL_ISQ_E10value_typeET4_T5_PSV_SW_PNS1_23onesweep_lookback_stateEbbT6_jjT7_P12ihipStream_tbENKUlT_T0_SK_SP_E_clIPiSE_SF_SF_EEDaS13_S14_SK_SP_EUlS13_E_NS1_11comp_targetILNS1_3genE0ELNS1_11target_archE4294967295ELNS1_3gpuE0ELNS1_3repE0EEENS1_47radix_sort_onesweep_sort_config_static_selectorELNS0_4arch9wavefront6targetE0EEEvSK_.num_named_barrier, 0
	.set _ZN7rocprim17ROCPRIM_400000_NS6detail17trampoline_kernelINS0_14default_configENS1_35radix_sort_onesweep_config_selectorIiNS0_10empty_typeEEEZZNS1_29radix_sort_onesweep_iterationIS3_Lb0EN6thrust23THRUST_200600_302600_NS6detail15normal_iteratorINS9_10device_ptrIiEEEESE_PS5_SF_jNS0_19identity_decomposerENS1_16block_id_wrapperIjLb0EEEEE10hipError_tT1_PNSt15iterator_traitsISK_E10value_typeET2_T3_PNSL_ISQ_E10value_typeET4_T5_PSV_SW_PNS1_23onesweep_lookback_stateEbbT6_jjT7_P12ihipStream_tbENKUlT_T0_SK_SP_E_clIPiSE_SF_SF_EEDaS13_S14_SK_SP_EUlS13_E_NS1_11comp_targetILNS1_3genE0ELNS1_11target_archE4294967295ELNS1_3gpuE0ELNS1_3repE0EEENS1_47radix_sort_onesweep_sort_config_static_selectorELNS0_4arch9wavefront6targetE0EEEvSK_.private_seg_size, 0
	.set _ZN7rocprim17ROCPRIM_400000_NS6detail17trampoline_kernelINS0_14default_configENS1_35radix_sort_onesweep_config_selectorIiNS0_10empty_typeEEEZZNS1_29radix_sort_onesweep_iterationIS3_Lb0EN6thrust23THRUST_200600_302600_NS6detail15normal_iteratorINS9_10device_ptrIiEEEESE_PS5_SF_jNS0_19identity_decomposerENS1_16block_id_wrapperIjLb0EEEEE10hipError_tT1_PNSt15iterator_traitsISK_E10value_typeET2_T3_PNSL_ISQ_E10value_typeET4_T5_PSV_SW_PNS1_23onesweep_lookback_stateEbbT6_jjT7_P12ihipStream_tbENKUlT_T0_SK_SP_E_clIPiSE_SF_SF_EEDaS13_S14_SK_SP_EUlS13_E_NS1_11comp_targetILNS1_3genE0ELNS1_11target_archE4294967295ELNS1_3gpuE0ELNS1_3repE0EEENS1_47radix_sort_onesweep_sort_config_static_selectorELNS0_4arch9wavefront6targetE0EEEvSK_.uses_vcc, 0
	.set _ZN7rocprim17ROCPRIM_400000_NS6detail17trampoline_kernelINS0_14default_configENS1_35radix_sort_onesweep_config_selectorIiNS0_10empty_typeEEEZZNS1_29radix_sort_onesweep_iterationIS3_Lb0EN6thrust23THRUST_200600_302600_NS6detail15normal_iteratorINS9_10device_ptrIiEEEESE_PS5_SF_jNS0_19identity_decomposerENS1_16block_id_wrapperIjLb0EEEEE10hipError_tT1_PNSt15iterator_traitsISK_E10value_typeET2_T3_PNSL_ISQ_E10value_typeET4_T5_PSV_SW_PNS1_23onesweep_lookback_stateEbbT6_jjT7_P12ihipStream_tbENKUlT_T0_SK_SP_E_clIPiSE_SF_SF_EEDaS13_S14_SK_SP_EUlS13_E_NS1_11comp_targetILNS1_3genE0ELNS1_11target_archE4294967295ELNS1_3gpuE0ELNS1_3repE0EEENS1_47radix_sort_onesweep_sort_config_static_selectorELNS0_4arch9wavefront6targetE0EEEvSK_.uses_flat_scratch, 0
	.set _ZN7rocprim17ROCPRIM_400000_NS6detail17trampoline_kernelINS0_14default_configENS1_35radix_sort_onesweep_config_selectorIiNS0_10empty_typeEEEZZNS1_29radix_sort_onesweep_iterationIS3_Lb0EN6thrust23THRUST_200600_302600_NS6detail15normal_iteratorINS9_10device_ptrIiEEEESE_PS5_SF_jNS0_19identity_decomposerENS1_16block_id_wrapperIjLb0EEEEE10hipError_tT1_PNSt15iterator_traitsISK_E10value_typeET2_T3_PNSL_ISQ_E10value_typeET4_T5_PSV_SW_PNS1_23onesweep_lookback_stateEbbT6_jjT7_P12ihipStream_tbENKUlT_T0_SK_SP_E_clIPiSE_SF_SF_EEDaS13_S14_SK_SP_EUlS13_E_NS1_11comp_targetILNS1_3genE0ELNS1_11target_archE4294967295ELNS1_3gpuE0ELNS1_3repE0EEENS1_47radix_sort_onesweep_sort_config_static_selectorELNS0_4arch9wavefront6targetE0EEEvSK_.has_dyn_sized_stack, 0
	.set _ZN7rocprim17ROCPRIM_400000_NS6detail17trampoline_kernelINS0_14default_configENS1_35radix_sort_onesweep_config_selectorIiNS0_10empty_typeEEEZZNS1_29radix_sort_onesweep_iterationIS3_Lb0EN6thrust23THRUST_200600_302600_NS6detail15normal_iteratorINS9_10device_ptrIiEEEESE_PS5_SF_jNS0_19identity_decomposerENS1_16block_id_wrapperIjLb0EEEEE10hipError_tT1_PNSt15iterator_traitsISK_E10value_typeET2_T3_PNSL_ISQ_E10value_typeET4_T5_PSV_SW_PNS1_23onesweep_lookback_stateEbbT6_jjT7_P12ihipStream_tbENKUlT_T0_SK_SP_E_clIPiSE_SF_SF_EEDaS13_S14_SK_SP_EUlS13_E_NS1_11comp_targetILNS1_3genE0ELNS1_11target_archE4294967295ELNS1_3gpuE0ELNS1_3repE0EEENS1_47radix_sort_onesweep_sort_config_static_selectorELNS0_4arch9wavefront6targetE0EEEvSK_.has_recursion, 0
	.set _ZN7rocprim17ROCPRIM_400000_NS6detail17trampoline_kernelINS0_14default_configENS1_35radix_sort_onesweep_config_selectorIiNS0_10empty_typeEEEZZNS1_29radix_sort_onesweep_iterationIS3_Lb0EN6thrust23THRUST_200600_302600_NS6detail15normal_iteratorINS9_10device_ptrIiEEEESE_PS5_SF_jNS0_19identity_decomposerENS1_16block_id_wrapperIjLb0EEEEE10hipError_tT1_PNSt15iterator_traitsISK_E10value_typeET2_T3_PNSL_ISQ_E10value_typeET4_T5_PSV_SW_PNS1_23onesweep_lookback_stateEbbT6_jjT7_P12ihipStream_tbENKUlT_T0_SK_SP_E_clIPiSE_SF_SF_EEDaS13_S14_SK_SP_EUlS13_E_NS1_11comp_targetILNS1_3genE0ELNS1_11target_archE4294967295ELNS1_3gpuE0ELNS1_3repE0EEENS1_47radix_sort_onesweep_sort_config_static_selectorELNS0_4arch9wavefront6targetE0EEEvSK_.has_indirect_call, 0
	.section	.AMDGPU.csdata,"",@progbits
; Kernel info:
; codeLenInByte = 0
; TotalNumSgprs: 0
; NumVgprs: 0
; ScratchSize: 0
; MemoryBound: 0
; FloatMode: 240
; IeeeMode: 1
; LDSByteSize: 0 bytes/workgroup (compile time only)
; SGPRBlocks: 0
; VGPRBlocks: 0
; NumSGPRsForWavesPerEU: 1
; NumVGPRsForWavesPerEU: 1
; Occupancy: 16
; WaveLimiterHint : 0
; COMPUTE_PGM_RSRC2:SCRATCH_EN: 0
; COMPUTE_PGM_RSRC2:USER_SGPR: 6
; COMPUTE_PGM_RSRC2:TRAP_HANDLER: 0
; COMPUTE_PGM_RSRC2:TGID_X_EN: 1
; COMPUTE_PGM_RSRC2:TGID_Y_EN: 0
; COMPUTE_PGM_RSRC2:TGID_Z_EN: 0
; COMPUTE_PGM_RSRC2:TIDIG_COMP_CNT: 0
	.section	.text._ZN7rocprim17ROCPRIM_400000_NS6detail17trampoline_kernelINS0_14default_configENS1_35radix_sort_onesweep_config_selectorIiNS0_10empty_typeEEEZZNS1_29radix_sort_onesweep_iterationIS3_Lb0EN6thrust23THRUST_200600_302600_NS6detail15normal_iteratorINS9_10device_ptrIiEEEESE_PS5_SF_jNS0_19identity_decomposerENS1_16block_id_wrapperIjLb0EEEEE10hipError_tT1_PNSt15iterator_traitsISK_E10value_typeET2_T3_PNSL_ISQ_E10value_typeET4_T5_PSV_SW_PNS1_23onesweep_lookback_stateEbbT6_jjT7_P12ihipStream_tbENKUlT_T0_SK_SP_E_clIPiSE_SF_SF_EEDaS13_S14_SK_SP_EUlS13_E_NS1_11comp_targetILNS1_3genE6ELNS1_11target_archE950ELNS1_3gpuE13ELNS1_3repE0EEENS1_47radix_sort_onesweep_sort_config_static_selectorELNS0_4arch9wavefront6targetE0EEEvSK_,"axG",@progbits,_ZN7rocprim17ROCPRIM_400000_NS6detail17trampoline_kernelINS0_14default_configENS1_35radix_sort_onesweep_config_selectorIiNS0_10empty_typeEEEZZNS1_29radix_sort_onesweep_iterationIS3_Lb0EN6thrust23THRUST_200600_302600_NS6detail15normal_iteratorINS9_10device_ptrIiEEEESE_PS5_SF_jNS0_19identity_decomposerENS1_16block_id_wrapperIjLb0EEEEE10hipError_tT1_PNSt15iterator_traitsISK_E10value_typeET2_T3_PNSL_ISQ_E10value_typeET4_T5_PSV_SW_PNS1_23onesweep_lookback_stateEbbT6_jjT7_P12ihipStream_tbENKUlT_T0_SK_SP_E_clIPiSE_SF_SF_EEDaS13_S14_SK_SP_EUlS13_E_NS1_11comp_targetILNS1_3genE6ELNS1_11target_archE950ELNS1_3gpuE13ELNS1_3repE0EEENS1_47radix_sort_onesweep_sort_config_static_selectorELNS0_4arch9wavefront6targetE0EEEvSK_,comdat
	.protected	_ZN7rocprim17ROCPRIM_400000_NS6detail17trampoline_kernelINS0_14default_configENS1_35radix_sort_onesweep_config_selectorIiNS0_10empty_typeEEEZZNS1_29radix_sort_onesweep_iterationIS3_Lb0EN6thrust23THRUST_200600_302600_NS6detail15normal_iteratorINS9_10device_ptrIiEEEESE_PS5_SF_jNS0_19identity_decomposerENS1_16block_id_wrapperIjLb0EEEEE10hipError_tT1_PNSt15iterator_traitsISK_E10value_typeET2_T3_PNSL_ISQ_E10value_typeET4_T5_PSV_SW_PNS1_23onesweep_lookback_stateEbbT6_jjT7_P12ihipStream_tbENKUlT_T0_SK_SP_E_clIPiSE_SF_SF_EEDaS13_S14_SK_SP_EUlS13_E_NS1_11comp_targetILNS1_3genE6ELNS1_11target_archE950ELNS1_3gpuE13ELNS1_3repE0EEENS1_47radix_sort_onesweep_sort_config_static_selectorELNS0_4arch9wavefront6targetE0EEEvSK_ ; -- Begin function _ZN7rocprim17ROCPRIM_400000_NS6detail17trampoline_kernelINS0_14default_configENS1_35radix_sort_onesweep_config_selectorIiNS0_10empty_typeEEEZZNS1_29radix_sort_onesweep_iterationIS3_Lb0EN6thrust23THRUST_200600_302600_NS6detail15normal_iteratorINS9_10device_ptrIiEEEESE_PS5_SF_jNS0_19identity_decomposerENS1_16block_id_wrapperIjLb0EEEEE10hipError_tT1_PNSt15iterator_traitsISK_E10value_typeET2_T3_PNSL_ISQ_E10value_typeET4_T5_PSV_SW_PNS1_23onesweep_lookback_stateEbbT6_jjT7_P12ihipStream_tbENKUlT_T0_SK_SP_E_clIPiSE_SF_SF_EEDaS13_S14_SK_SP_EUlS13_E_NS1_11comp_targetILNS1_3genE6ELNS1_11target_archE950ELNS1_3gpuE13ELNS1_3repE0EEENS1_47radix_sort_onesweep_sort_config_static_selectorELNS0_4arch9wavefront6targetE0EEEvSK_
	.globl	_ZN7rocprim17ROCPRIM_400000_NS6detail17trampoline_kernelINS0_14default_configENS1_35radix_sort_onesweep_config_selectorIiNS0_10empty_typeEEEZZNS1_29radix_sort_onesweep_iterationIS3_Lb0EN6thrust23THRUST_200600_302600_NS6detail15normal_iteratorINS9_10device_ptrIiEEEESE_PS5_SF_jNS0_19identity_decomposerENS1_16block_id_wrapperIjLb0EEEEE10hipError_tT1_PNSt15iterator_traitsISK_E10value_typeET2_T3_PNSL_ISQ_E10value_typeET4_T5_PSV_SW_PNS1_23onesweep_lookback_stateEbbT6_jjT7_P12ihipStream_tbENKUlT_T0_SK_SP_E_clIPiSE_SF_SF_EEDaS13_S14_SK_SP_EUlS13_E_NS1_11comp_targetILNS1_3genE6ELNS1_11target_archE950ELNS1_3gpuE13ELNS1_3repE0EEENS1_47radix_sort_onesweep_sort_config_static_selectorELNS0_4arch9wavefront6targetE0EEEvSK_
	.p2align	8
	.type	_ZN7rocprim17ROCPRIM_400000_NS6detail17trampoline_kernelINS0_14default_configENS1_35radix_sort_onesweep_config_selectorIiNS0_10empty_typeEEEZZNS1_29radix_sort_onesweep_iterationIS3_Lb0EN6thrust23THRUST_200600_302600_NS6detail15normal_iteratorINS9_10device_ptrIiEEEESE_PS5_SF_jNS0_19identity_decomposerENS1_16block_id_wrapperIjLb0EEEEE10hipError_tT1_PNSt15iterator_traitsISK_E10value_typeET2_T3_PNSL_ISQ_E10value_typeET4_T5_PSV_SW_PNS1_23onesweep_lookback_stateEbbT6_jjT7_P12ihipStream_tbENKUlT_T0_SK_SP_E_clIPiSE_SF_SF_EEDaS13_S14_SK_SP_EUlS13_E_NS1_11comp_targetILNS1_3genE6ELNS1_11target_archE950ELNS1_3gpuE13ELNS1_3repE0EEENS1_47radix_sort_onesweep_sort_config_static_selectorELNS0_4arch9wavefront6targetE0EEEvSK_,@function
_ZN7rocprim17ROCPRIM_400000_NS6detail17trampoline_kernelINS0_14default_configENS1_35radix_sort_onesweep_config_selectorIiNS0_10empty_typeEEEZZNS1_29radix_sort_onesweep_iterationIS3_Lb0EN6thrust23THRUST_200600_302600_NS6detail15normal_iteratorINS9_10device_ptrIiEEEESE_PS5_SF_jNS0_19identity_decomposerENS1_16block_id_wrapperIjLb0EEEEE10hipError_tT1_PNSt15iterator_traitsISK_E10value_typeET2_T3_PNSL_ISQ_E10value_typeET4_T5_PSV_SW_PNS1_23onesweep_lookback_stateEbbT6_jjT7_P12ihipStream_tbENKUlT_T0_SK_SP_E_clIPiSE_SF_SF_EEDaS13_S14_SK_SP_EUlS13_E_NS1_11comp_targetILNS1_3genE6ELNS1_11target_archE950ELNS1_3gpuE13ELNS1_3repE0EEENS1_47radix_sort_onesweep_sort_config_static_selectorELNS0_4arch9wavefront6targetE0EEEvSK_: ; @_ZN7rocprim17ROCPRIM_400000_NS6detail17trampoline_kernelINS0_14default_configENS1_35radix_sort_onesweep_config_selectorIiNS0_10empty_typeEEEZZNS1_29radix_sort_onesweep_iterationIS3_Lb0EN6thrust23THRUST_200600_302600_NS6detail15normal_iteratorINS9_10device_ptrIiEEEESE_PS5_SF_jNS0_19identity_decomposerENS1_16block_id_wrapperIjLb0EEEEE10hipError_tT1_PNSt15iterator_traitsISK_E10value_typeET2_T3_PNSL_ISQ_E10value_typeET4_T5_PSV_SW_PNS1_23onesweep_lookback_stateEbbT6_jjT7_P12ihipStream_tbENKUlT_T0_SK_SP_E_clIPiSE_SF_SF_EEDaS13_S14_SK_SP_EUlS13_E_NS1_11comp_targetILNS1_3genE6ELNS1_11target_archE950ELNS1_3gpuE13ELNS1_3repE0EEENS1_47radix_sort_onesweep_sort_config_static_selectorELNS0_4arch9wavefront6targetE0EEEvSK_
; %bb.0:
	.section	.rodata,"a",@progbits
	.p2align	6, 0x0
	.amdhsa_kernel _ZN7rocprim17ROCPRIM_400000_NS6detail17trampoline_kernelINS0_14default_configENS1_35radix_sort_onesweep_config_selectorIiNS0_10empty_typeEEEZZNS1_29radix_sort_onesweep_iterationIS3_Lb0EN6thrust23THRUST_200600_302600_NS6detail15normal_iteratorINS9_10device_ptrIiEEEESE_PS5_SF_jNS0_19identity_decomposerENS1_16block_id_wrapperIjLb0EEEEE10hipError_tT1_PNSt15iterator_traitsISK_E10value_typeET2_T3_PNSL_ISQ_E10value_typeET4_T5_PSV_SW_PNS1_23onesweep_lookback_stateEbbT6_jjT7_P12ihipStream_tbENKUlT_T0_SK_SP_E_clIPiSE_SF_SF_EEDaS13_S14_SK_SP_EUlS13_E_NS1_11comp_targetILNS1_3genE6ELNS1_11target_archE950ELNS1_3gpuE13ELNS1_3repE0EEENS1_47radix_sort_onesweep_sort_config_static_selectorELNS0_4arch9wavefront6targetE0EEEvSK_
		.amdhsa_group_segment_fixed_size 0
		.amdhsa_private_segment_fixed_size 0
		.amdhsa_kernarg_size 88
		.amdhsa_user_sgpr_count 6
		.amdhsa_user_sgpr_private_segment_buffer 1
		.amdhsa_user_sgpr_dispatch_ptr 0
		.amdhsa_user_sgpr_queue_ptr 0
		.amdhsa_user_sgpr_kernarg_segment_ptr 1
		.amdhsa_user_sgpr_dispatch_id 0
		.amdhsa_user_sgpr_flat_scratch_init 0
		.amdhsa_user_sgpr_private_segment_size 0
		.amdhsa_wavefront_size32 1
		.amdhsa_uses_dynamic_stack 0
		.amdhsa_system_sgpr_private_segment_wavefront_offset 0
		.amdhsa_system_sgpr_workgroup_id_x 1
		.amdhsa_system_sgpr_workgroup_id_y 0
		.amdhsa_system_sgpr_workgroup_id_z 0
		.amdhsa_system_sgpr_workgroup_info 0
		.amdhsa_system_vgpr_workitem_id 0
		.amdhsa_next_free_vgpr 1
		.amdhsa_next_free_sgpr 1
		.amdhsa_reserve_vcc 0
		.amdhsa_reserve_flat_scratch 0
		.amdhsa_float_round_mode_32 0
		.amdhsa_float_round_mode_16_64 0
		.amdhsa_float_denorm_mode_32 3
		.amdhsa_float_denorm_mode_16_64 3
		.amdhsa_dx10_clamp 1
		.amdhsa_ieee_mode 1
		.amdhsa_fp16_overflow 0
		.amdhsa_workgroup_processor_mode 1
		.amdhsa_memory_ordered 1
		.amdhsa_forward_progress 1
		.amdhsa_shared_vgpr_count 0
		.amdhsa_exception_fp_ieee_invalid_op 0
		.amdhsa_exception_fp_denorm_src 0
		.amdhsa_exception_fp_ieee_div_zero 0
		.amdhsa_exception_fp_ieee_overflow 0
		.amdhsa_exception_fp_ieee_underflow 0
		.amdhsa_exception_fp_ieee_inexact 0
		.amdhsa_exception_int_div_zero 0
	.end_amdhsa_kernel
	.section	.text._ZN7rocprim17ROCPRIM_400000_NS6detail17trampoline_kernelINS0_14default_configENS1_35radix_sort_onesweep_config_selectorIiNS0_10empty_typeEEEZZNS1_29radix_sort_onesweep_iterationIS3_Lb0EN6thrust23THRUST_200600_302600_NS6detail15normal_iteratorINS9_10device_ptrIiEEEESE_PS5_SF_jNS0_19identity_decomposerENS1_16block_id_wrapperIjLb0EEEEE10hipError_tT1_PNSt15iterator_traitsISK_E10value_typeET2_T3_PNSL_ISQ_E10value_typeET4_T5_PSV_SW_PNS1_23onesweep_lookback_stateEbbT6_jjT7_P12ihipStream_tbENKUlT_T0_SK_SP_E_clIPiSE_SF_SF_EEDaS13_S14_SK_SP_EUlS13_E_NS1_11comp_targetILNS1_3genE6ELNS1_11target_archE950ELNS1_3gpuE13ELNS1_3repE0EEENS1_47radix_sort_onesweep_sort_config_static_selectorELNS0_4arch9wavefront6targetE0EEEvSK_,"axG",@progbits,_ZN7rocprim17ROCPRIM_400000_NS6detail17trampoline_kernelINS0_14default_configENS1_35radix_sort_onesweep_config_selectorIiNS0_10empty_typeEEEZZNS1_29radix_sort_onesweep_iterationIS3_Lb0EN6thrust23THRUST_200600_302600_NS6detail15normal_iteratorINS9_10device_ptrIiEEEESE_PS5_SF_jNS0_19identity_decomposerENS1_16block_id_wrapperIjLb0EEEEE10hipError_tT1_PNSt15iterator_traitsISK_E10value_typeET2_T3_PNSL_ISQ_E10value_typeET4_T5_PSV_SW_PNS1_23onesweep_lookback_stateEbbT6_jjT7_P12ihipStream_tbENKUlT_T0_SK_SP_E_clIPiSE_SF_SF_EEDaS13_S14_SK_SP_EUlS13_E_NS1_11comp_targetILNS1_3genE6ELNS1_11target_archE950ELNS1_3gpuE13ELNS1_3repE0EEENS1_47radix_sort_onesweep_sort_config_static_selectorELNS0_4arch9wavefront6targetE0EEEvSK_,comdat
.Lfunc_end205:
	.size	_ZN7rocprim17ROCPRIM_400000_NS6detail17trampoline_kernelINS0_14default_configENS1_35radix_sort_onesweep_config_selectorIiNS0_10empty_typeEEEZZNS1_29radix_sort_onesweep_iterationIS3_Lb0EN6thrust23THRUST_200600_302600_NS6detail15normal_iteratorINS9_10device_ptrIiEEEESE_PS5_SF_jNS0_19identity_decomposerENS1_16block_id_wrapperIjLb0EEEEE10hipError_tT1_PNSt15iterator_traitsISK_E10value_typeET2_T3_PNSL_ISQ_E10value_typeET4_T5_PSV_SW_PNS1_23onesweep_lookback_stateEbbT6_jjT7_P12ihipStream_tbENKUlT_T0_SK_SP_E_clIPiSE_SF_SF_EEDaS13_S14_SK_SP_EUlS13_E_NS1_11comp_targetILNS1_3genE6ELNS1_11target_archE950ELNS1_3gpuE13ELNS1_3repE0EEENS1_47radix_sort_onesweep_sort_config_static_selectorELNS0_4arch9wavefront6targetE0EEEvSK_, .Lfunc_end205-_ZN7rocprim17ROCPRIM_400000_NS6detail17trampoline_kernelINS0_14default_configENS1_35radix_sort_onesweep_config_selectorIiNS0_10empty_typeEEEZZNS1_29radix_sort_onesweep_iterationIS3_Lb0EN6thrust23THRUST_200600_302600_NS6detail15normal_iteratorINS9_10device_ptrIiEEEESE_PS5_SF_jNS0_19identity_decomposerENS1_16block_id_wrapperIjLb0EEEEE10hipError_tT1_PNSt15iterator_traitsISK_E10value_typeET2_T3_PNSL_ISQ_E10value_typeET4_T5_PSV_SW_PNS1_23onesweep_lookback_stateEbbT6_jjT7_P12ihipStream_tbENKUlT_T0_SK_SP_E_clIPiSE_SF_SF_EEDaS13_S14_SK_SP_EUlS13_E_NS1_11comp_targetILNS1_3genE6ELNS1_11target_archE950ELNS1_3gpuE13ELNS1_3repE0EEENS1_47radix_sort_onesweep_sort_config_static_selectorELNS0_4arch9wavefront6targetE0EEEvSK_
                                        ; -- End function
	.set _ZN7rocprim17ROCPRIM_400000_NS6detail17trampoline_kernelINS0_14default_configENS1_35radix_sort_onesweep_config_selectorIiNS0_10empty_typeEEEZZNS1_29radix_sort_onesweep_iterationIS3_Lb0EN6thrust23THRUST_200600_302600_NS6detail15normal_iteratorINS9_10device_ptrIiEEEESE_PS5_SF_jNS0_19identity_decomposerENS1_16block_id_wrapperIjLb0EEEEE10hipError_tT1_PNSt15iterator_traitsISK_E10value_typeET2_T3_PNSL_ISQ_E10value_typeET4_T5_PSV_SW_PNS1_23onesweep_lookback_stateEbbT6_jjT7_P12ihipStream_tbENKUlT_T0_SK_SP_E_clIPiSE_SF_SF_EEDaS13_S14_SK_SP_EUlS13_E_NS1_11comp_targetILNS1_3genE6ELNS1_11target_archE950ELNS1_3gpuE13ELNS1_3repE0EEENS1_47radix_sort_onesweep_sort_config_static_selectorELNS0_4arch9wavefront6targetE0EEEvSK_.num_vgpr, 0
	.set _ZN7rocprim17ROCPRIM_400000_NS6detail17trampoline_kernelINS0_14default_configENS1_35radix_sort_onesweep_config_selectorIiNS0_10empty_typeEEEZZNS1_29radix_sort_onesweep_iterationIS3_Lb0EN6thrust23THRUST_200600_302600_NS6detail15normal_iteratorINS9_10device_ptrIiEEEESE_PS5_SF_jNS0_19identity_decomposerENS1_16block_id_wrapperIjLb0EEEEE10hipError_tT1_PNSt15iterator_traitsISK_E10value_typeET2_T3_PNSL_ISQ_E10value_typeET4_T5_PSV_SW_PNS1_23onesweep_lookback_stateEbbT6_jjT7_P12ihipStream_tbENKUlT_T0_SK_SP_E_clIPiSE_SF_SF_EEDaS13_S14_SK_SP_EUlS13_E_NS1_11comp_targetILNS1_3genE6ELNS1_11target_archE950ELNS1_3gpuE13ELNS1_3repE0EEENS1_47radix_sort_onesweep_sort_config_static_selectorELNS0_4arch9wavefront6targetE0EEEvSK_.num_agpr, 0
	.set _ZN7rocprim17ROCPRIM_400000_NS6detail17trampoline_kernelINS0_14default_configENS1_35radix_sort_onesweep_config_selectorIiNS0_10empty_typeEEEZZNS1_29radix_sort_onesweep_iterationIS3_Lb0EN6thrust23THRUST_200600_302600_NS6detail15normal_iteratorINS9_10device_ptrIiEEEESE_PS5_SF_jNS0_19identity_decomposerENS1_16block_id_wrapperIjLb0EEEEE10hipError_tT1_PNSt15iterator_traitsISK_E10value_typeET2_T3_PNSL_ISQ_E10value_typeET4_T5_PSV_SW_PNS1_23onesweep_lookback_stateEbbT6_jjT7_P12ihipStream_tbENKUlT_T0_SK_SP_E_clIPiSE_SF_SF_EEDaS13_S14_SK_SP_EUlS13_E_NS1_11comp_targetILNS1_3genE6ELNS1_11target_archE950ELNS1_3gpuE13ELNS1_3repE0EEENS1_47radix_sort_onesweep_sort_config_static_selectorELNS0_4arch9wavefront6targetE0EEEvSK_.numbered_sgpr, 0
	.set _ZN7rocprim17ROCPRIM_400000_NS6detail17trampoline_kernelINS0_14default_configENS1_35radix_sort_onesweep_config_selectorIiNS0_10empty_typeEEEZZNS1_29radix_sort_onesweep_iterationIS3_Lb0EN6thrust23THRUST_200600_302600_NS6detail15normal_iteratorINS9_10device_ptrIiEEEESE_PS5_SF_jNS0_19identity_decomposerENS1_16block_id_wrapperIjLb0EEEEE10hipError_tT1_PNSt15iterator_traitsISK_E10value_typeET2_T3_PNSL_ISQ_E10value_typeET4_T5_PSV_SW_PNS1_23onesweep_lookback_stateEbbT6_jjT7_P12ihipStream_tbENKUlT_T0_SK_SP_E_clIPiSE_SF_SF_EEDaS13_S14_SK_SP_EUlS13_E_NS1_11comp_targetILNS1_3genE6ELNS1_11target_archE950ELNS1_3gpuE13ELNS1_3repE0EEENS1_47radix_sort_onesweep_sort_config_static_selectorELNS0_4arch9wavefront6targetE0EEEvSK_.num_named_barrier, 0
	.set _ZN7rocprim17ROCPRIM_400000_NS6detail17trampoline_kernelINS0_14default_configENS1_35radix_sort_onesweep_config_selectorIiNS0_10empty_typeEEEZZNS1_29radix_sort_onesweep_iterationIS3_Lb0EN6thrust23THRUST_200600_302600_NS6detail15normal_iteratorINS9_10device_ptrIiEEEESE_PS5_SF_jNS0_19identity_decomposerENS1_16block_id_wrapperIjLb0EEEEE10hipError_tT1_PNSt15iterator_traitsISK_E10value_typeET2_T3_PNSL_ISQ_E10value_typeET4_T5_PSV_SW_PNS1_23onesweep_lookback_stateEbbT6_jjT7_P12ihipStream_tbENKUlT_T0_SK_SP_E_clIPiSE_SF_SF_EEDaS13_S14_SK_SP_EUlS13_E_NS1_11comp_targetILNS1_3genE6ELNS1_11target_archE950ELNS1_3gpuE13ELNS1_3repE0EEENS1_47radix_sort_onesweep_sort_config_static_selectorELNS0_4arch9wavefront6targetE0EEEvSK_.private_seg_size, 0
	.set _ZN7rocprim17ROCPRIM_400000_NS6detail17trampoline_kernelINS0_14default_configENS1_35radix_sort_onesweep_config_selectorIiNS0_10empty_typeEEEZZNS1_29radix_sort_onesweep_iterationIS3_Lb0EN6thrust23THRUST_200600_302600_NS6detail15normal_iteratorINS9_10device_ptrIiEEEESE_PS5_SF_jNS0_19identity_decomposerENS1_16block_id_wrapperIjLb0EEEEE10hipError_tT1_PNSt15iterator_traitsISK_E10value_typeET2_T3_PNSL_ISQ_E10value_typeET4_T5_PSV_SW_PNS1_23onesweep_lookback_stateEbbT6_jjT7_P12ihipStream_tbENKUlT_T0_SK_SP_E_clIPiSE_SF_SF_EEDaS13_S14_SK_SP_EUlS13_E_NS1_11comp_targetILNS1_3genE6ELNS1_11target_archE950ELNS1_3gpuE13ELNS1_3repE0EEENS1_47radix_sort_onesweep_sort_config_static_selectorELNS0_4arch9wavefront6targetE0EEEvSK_.uses_vcc, 0
	.set _ZN7rocprim17ROCPRIM_400000_NS6detail17trampoline_kernelINS0_14default_configENS1_35radix_sort_onesweep_config_selectorIiNS0_10empty_typeEEEZZNS1_29radix_sort_onesweep_iterationIS3_Lb0EN6thrust23THRUST_200600_302600_NS6detail15normal_iteratorINS9_10device_ptrIiEEEESE_PS5_SF_jNS0_19identity_decomposerENS1_16block_id_wrapperIjLb0EEEEE10hipError_tT1_PNSt15iterator_traitsISK_E10value_typeET2_T3_PNSL_ISQ_E10value_typeET4_T5_PSV_SW_PNS1_23onesweep_lookback_stateEbbT6_jjT7_P12ihipStream_tbENKUlT_T0_SK_SP_E_clIPiSE_SF_SF_EEDaS13_S14_SK_SP_EUlS13_E_NS1_11comp_targetILNS1_3genE6ELNS1_11target_archE950ELNS1_3gpuE13ELNS1_3repE0EEENS1_47radix_sort_onesweep_sort_config_static_selectorELNS0_4arch9wavefront6targetE0EEEvSK_.uses_flat_scratch, 0
	.set _ZN7rocprim17ROCPRIM_400000_NS6detail17trampoline_kernelINS0_14default_configENS1_35radix_sort_onesweep_config_selectorIiNS0_10empty_typeEEEZZNS1_29radix_sort_onesweep_iterationIS3_Lb0EN6thrust23THRUST_200600_302600_NS6detail15normal_iteratorINS9_10device_ptrIiEEEESE_PS5_SF_jNS0_19identity_decomposerENS1_16block_id_wrapperIjLb0EEEEE10hipError_tT1_PNSt15iterator_traitsISK_E10value_typeET2_T3_PNSL_ISQ_E10value_typeET4_T5_PSV_SW_PNS1_23onesweep_lookback_stateEbbT6_jjT7_P12ihipStream_tbENKUlT_T0_SK_SP_E_clIPiSE_SF_SF_EEDaS13_S14_SK_SP_EUlS13_E_NS1_11comp_targetILNS1_3genE6ELNS1_11target_archE950ELNS1_3gpuE13ELNS1_3repE0EEENS1_47radix_sort_onesweep_sort_config_static_selectorELNS0_4arch9wavefront6targetE0EEEvSK_.has_dyn_sized_stack, 0
	.set _ZN7rocprim17ROCPRIM_400000_NS6detail17trampoline_kernelINS0_14default_configENS1_35radix_sort_onesweep_config_selectorIiNS0_10empty_typeEEEZZNS1_29radix_sort_onesweep_iterationIS3_Lb0EN6thrust23THRUST_200600_302600_NS6detail15normal_iteratorINS9_10device_ptrIiEEEESE_PS5_SF_jNS0_19identity_decomposerENS1_16block_id_wrapperIjLb0EEEEE10hipError_tT1_PNSt15iterator_traitsISK_E10value_typeET2_T3_PNSL_ISQ_E10value_typeET4_T5_PSV_SW_PNS1_23onesweep_lookback_stateEbbT6_jjT7_P12ihipStream_tbENKUlT_T0_SK_SP_E_clIPiSE_SF_SF_EEDaS13_S14_SK_SP_EUlS13_E_NS1_11comp_targetILNS1_3genE6ELNS1_11target_archE950ELNS1_3gpuE13ELNS1_3repE0EEENS1_47radix_sort_onesweep_sort_config_static_selectorELNS0_4arch9wavefront6targetE0EEEvSK_.has_recursion, 0
	.set _ZN7rocprim17ROCPRIM_400000_NS6detail17trampoline_kernelINS0_14default_configENS1_35radix_sort_onesweep_config_selectorIiNS0_10empty_typeEEEZZNS1_29radix_sort_onesweep_iterationIS3_Lb0EN6thrust23THRUST_200600_302600_NS6detail15normal_iteratorINS9_10device_ptrIiEEEESE_PS5_SF_jNS0_19identity_decomposerENS1_16block_id_wrapperIjLb0EEEEE10hipError_tT1_PNSt15iterator_traitsISK_E10value_typeET2_T3_PNSL_ISQ_E10value_typeET4_T5_PSV_SW_PNS1_23onesweep_lookback_stateEbbT6_jjT7_P12ihipStream_tbENKUlT_T0_SK_SP_E_clIPiSE_SF_SF_EEDaS13_S14_SK_SP_EUlS13_E_NS1_11comp_targetILNS1_3genE6ELNS1_11target_archE950ELNS1_3gpuE13ELNS1_3repE0EEENS1_47radix_sort_onesweep_sort_config_static_selectorELNS0_4arch9wavefront6targetE0EEEvSK_.has_indirect_call, 0
	.section	.AMDGPU.csdata,"",@progbits
; Kernel info:
; codeLenInByte = 0
; TotalNumSgprs: 0
; NumVgprs: 0
; ScratchSize: 0
; MemoryBound: 0
; FloatMode: 240
; IeeeMode: 1
; LDSByteSize: 0 bytes/workgroup (compile time only)
; SGPRBlocks: 0
; VGPRBlocks: 0
; NumSGPRsForWavesPerEU: 1
; NumVGPRsForWavesPerEU: 1
; Occupancy: 16
; WaveLimiterHint : 0
; COMPUTE_PGM_RSRC2:SCRATCH_EN: 0
; COMPUTE_PGM_RSRC2:USER_SGPR: 6
; COMPUTE_PGM_RSRC2:TRAP_HANDLER: 0
; COMPUTE_PGM_RSRC2:TGID_X_EN: 1
; COMPUTE_PGM_RSRC2:TGID_Y_EN: 0
; COMPUTE_PGM_RSRC2:TGID_Z_EN: 0
; COMPUTE_PGM_RSRC2:TIDIG_COMP_CNT: 0
	.section	.text._ZN7rocprim17ROCPRIM_400000_NS6detail17trampoline_kernelINS0_14default_configENS1_35radix_sort_onesweep_config_selectorIiNS0_10empty_typeEEEZZNS1_29radix_sort_onesweep_iterationIS3_Lb0EN6thrust23THRUST_200600_302600_NS6detail15normal_iteratorINS9_10device_ptrIiEEEESE_PS5_SF_jNS0_19identity_decomposerENS1_16block_id_wrapperIjLb0EEEEE10hipError_tT1_PNSt15iterator_traitsISK_E10value_typeET2_T3_PNSL_ISQ_E10value_typeET4_T5_PSV_SW_PNS1_23onesweep_lookback_stateEbbT6_jjT7_P12ihipStream_tbENKUlT_T0_SK_SP_E_clIPiSE_SF_SF_EEDaS13_S14_SK_SP_EUlS13_E_NS1_11comp_targetILNS1_3genE5ELNS1_11target_archE942ELNS1_3gpuE9ELNS1_3repE0EEENS1_47radix_sort_onesweep_sort_config_static_selectorELNS0_4arch9wavefront6targetE0EEEvSK_,"axG",@progbits,_ZN7rocprim17ROCPRIM_400000_NS6detail17trampoline_kernelINS0_14default_configENS1_35radix_sort_onesweep_config_selectorIiNS0_10empty_typeEEEZZNS1_29radix_sort_onesweep_iterationIS3_Lb0EN6thrust23THRUST_200600_302600_NS6detail15normal_iteratorINS9_10device_ptrIiEEEESE_PS5_SF_jNS0_19identity_decomposerENS1_16block_id_wrapperIjLb0EEEEE10hipError_tT1_PNSt15iterator_traitsISK_E10value_typeET2_T3_PNSL_ISQ_E10value_typeET4_T5_PSV_SW_PNS1_23onesweep_lookback_stateEbbT6_jjT7_P12ihipStream_tbENKUlT_T0_SK_SP_E_clIPiSE_SF_SF_EEDaS13_S14_SK_SP_EUlS13_E_NS1_11comp_targetILNS1_3genE5ELNS1_11target_archE942ELNS1_3gpuE9ELNS1_3repE0EEENS1_47radix_sort_onesweep_sort_config_static_selectorELNS0_4arch9wavefront6targetE0EEEvSK_,comdat
	.protected	_ZN7rocprim17ROCPRIM_400000_NS6detail17trampoline_kernelINS0_14default_configENS1_35radix_sort_onesweep_config_selectorIiNS0_10empty_typeEEEZZNS1_29radix_sort_onesweep_iterationIS3_Lb0EN6thrust23THRUST_200600_302600_NS6detail15normal_iteratorINS9_10device_ptrIiEEEESE_PS5_SF_jNS0_19identity_decomposerENS1_16block_id_wrapperIjLb0EEEEE10hipError_tT1_PNSt15iterator_traitsISK_E10value_typeET2_T3_PNSL_ISQ_E10value_typeET4_T5_PSV_SW_PNS1_23onesweep_lookback_stateEbbT6_jjT7_P12ihipStream_tbENKUlT_T0_SK_SP_E_clIPiSE_SF_SF_EEDaS13_S14_SK_SP_EUlS13_E_NS1_11comp_targetILNS1_3genE5ELNS1_11target_archE942ELNS1_3gpuE9ELNS1_3repE0EEENS1_47radix_sort_onesweep_sort_config_static_selectorELNS0_4arch9wavefront6targetE0EEEvSK_ ; -- Begin function _ZN7rocprim17ROCPRIM_400000_NS6detail17trampoline_kernelINS0_14default_configENS1_35radix_sort_onesweep_config_selectorIiNS0_10empty_typeEEEZZNS1_29radix_sort_onesweep_iterationIS3_Lb0EN6thrust23THRUST_200600_302600_NS6detail15normal_iteratorINS9_10device_ptrIiEEEESE_PS5_SF_jNS0_19identity_decomposerENS1_16block_id_wrapperIjLb0EEEEE10hipError_tT1_PNSt15iterator_traitsISK_E10value_typeET2_T3_PNSL_ISQ_E10value_typeET4_T5_PSV_SW_PNS1_23onesweep_lookback_stateEbbT6_jjT7_P12ihipStream_tbENKUlT_T0_SK_SP_E_clIPiSE_SF_SF_EEDaS13_S14_SK_SP_EUlS13_E_NS1_11comp_targetILNS1_3genE5ELNS1_11target_archE942ELNS1_3gpuE9ELNS1_3repE0EEENS1_47radix_sort_onesweep_sort_config_static_selectorELNS0_4arch9wavefront6targetE0EEEvSK_
	.globl	_ZN7rocprim17ROCPRIM_400000_NS6detail17trampoline_kernelINS0_14default_configENS1_35radix_sort_onesweep_config_selectorIiNS0_10empty_typeEEEZZNS1_29radix_sort_onesweep_iterationIS3_Lb0EN6thrust23THRUST_200600_302600_NS6detail15normal_iteratorINS9_10device_ptrIiEEEESE_PS5_SF_jNS0_19identity_decomposerENS1_16block_id_wrapperIjLb0EEEEE10hipError_tT1_PNSt15iterator_traitsISK_E10value_typeET2_T3_PNSL_ISQ_E10value_typeET4_T5_PSV_SW_PNS1_23onesweep_lookback_stateEbbT6_jjT7_P12ihipStream_tbENKUlT_T0_SK_SP_E_clIPiSE_SF_SF_EEDaS13_S14_SK_SP_EUlS13_E_NS1_11comp_targetILNS1_3genE5ELNS1_11target_archE942ELNS1_3gpuE9ELNS1_3repE0EEENS1_47radix_sort_onesweep_sort_config_static_selectorELNS0_4arch9wavefront6targetE0EEEvSK_
	.p2align	8
	.type	_ZN7rocprim17ROCPRIM_400000_NS6detail17trampoline_kernelINS0_14default_configENS1_35radix_sort_onesweep_config_selectorIiNS0_10empty_typeEEEZZNS1_29radix_sort_onesweep_iterationIS3_Lb0EN6thrust23THRUST_200600_302600_NS6detail15normal_iteratorINS9_10device_ptrIiEEEESE_PS5_SF_jNS0_19identity_decomposerENS1_16block_id_wrapperIjLb0EEEEE10hipError_tT1_PNSt15iterator_traitsISK_E10value_typeET2_T3_PNSL_ISQ_E10value_typeET4_T5_PSV_SW_PNS1_23onesweep_lookback_stateEbbT6_jjT7_P12ihipStream_tbENKUlT_T0_SK_SP_E_clIPiSE_SF_SF_EEDaS13_S14_SK_SP_EUlS13_E_NS1_11comp_targetILNS1_3genE5ELNS1_11target_archE942ELNS1_3gpuE9ELNS1_3repE0EEENS1_47radix_sort_onesweep_sort_config_static_selectorELNS0_4arch9wavefront6targetE0EEEvSK_,@function
_ZN7rocprim17ROCPRIM_400000_NS6detail17trampoline_kernelINS0_14default_configENS1_35radix_sort_onesweep_config_selectorIiNS0_10empty_typeEEEZZNS1_29radix_sort_onesweep_iterationIS3_Lb0EN6thrust23THRUST_200600_302600_NS6detail15normal_iteratorINS9_10device_ptrIiEEEESE_PS5_SF_jNS0_19identity_decomposerENS1_16block_id_wrapperIjLb0EEEEE10hipError_tT1_PNSt15iterator_traitsISK_E10value_typeET2_T3_PNSL_ISQ_E10value_typeET4_T5_PSV_SW_PNS1_23onesweep_lookback_stateEbbT6_jjT7_P12ihipStream_tbENKUlT_T0_SK_SP_E_clIPiSE_SF_SF_EEDaS13_S14_SK_SP_EUlS13_E_NS1_11comp_targetILNS1_3genE5ELNS1_11target_archE942ELNS1_3gpuE9ELNS1_3repE0EEENS1_47radix_sort_onesweep_sort_config_static_selectorELNS0_4arch9wavefront6targetE0EEEvSK_: ; @_ZN7rocprim17ROCPRIM_400000_NS6detail17trampoline_kernelINS0_14default_configENS1_35radix_sort_onesweep_config_selectorIiNS0_10empty_typeEEEZZNS1_29radix_sort_onesweep_iterationIS3_Lb0EN6thrust23THRUST_200600_302600_NS6detail15normal_iteratorINS9_10device_ptrIiEEEESE_PS5_SF_jNS0_19identity_decomposerENS1_16block_id_wrapperIjLb0EEEEE10hipError_tT1_PNSt15iterator_traitsISK_E10value_typeET2_T3_PNSL_ISQ_E10value_typeET4_T5_PSV_SW_PNS1_23onesweep_lookback_stateEbbT6_jjT7_P12ihipStream_tbENKUlT_T0_SK_SP_E_clIPiSE_SF_SF_EEDaS13_S14_SK_SP_EUlS13_E_NS1_11comp_targetILNS1_3genE5ELNS1_11target_archE942ELNS1_3gpuE9ELNS1_3repE0EEENS1_47radix_sort_onesweep_sort_config_static_selectorELNS0_4arch9wavefront6targetE0EEEvSK_
; %bb.0:
	.section	.rodata,"a",@progbits
	.p2align	6, 0x0
	.amdhsa_kernel _ZN7rocprim17ROCPRIM_400000_NS6detail17trampoline_kernelINS0_14default_configENS1_35radix_sort_onesweep_config_selectorIiNS0_10empty_typeEEEZZNS1_29radix_sort_onesweep_iterationIS3_Lb0EN6thrust23THRUST_200600_302600_NS6detail15normal_iteratorINS9_10device_ptrIiEEEESE_PS5_SF_jNS0_19identity_decomposerENS1_16block_id_wrapperIjLb0EEEEE10hipError_tT1_PNSt15iterator_traitsISK_E10value_typeET2_T3_PNSL_ISQ_E10value_typeET4_T5_PSV_SW_PNS1_23onesweep_lookback_stateEbbT6_jjT7_P12ihipStream_tbENKUlT_T0_SK_SP_E_clIPiSE_SF_SF_EEDaS13_S14_SK_SP_EUlS13_E_NS1_11comp_targetILNS1_3genE5ELNS1_11target_archE942ELNS1_3gpuE9ELNS1_3repE0EEENS1_47radix_sort_onesweep_sort_config_static_selectorELNS0_4arch9wavefront6targetE0EEEvSK_
		.amdhsa_group_segment_fixed_size 0
		.amdhsa_private_segment_fixed_size 0
		.amdhsa_kernarg_size 88
		.amdhsa_user_sgpr_count 6
		.amdhsa_user_sgpr_private_segment_buffer 1
		.amdhsa_user_sgpr_dispatch_ptr 0
		.amdhsa_user_sgpr_queue_ptr 0
		.amdhsa_user_sgpr_kernarg_segment_ptr 1
		.amdhsa_user_sgpr_dispatch_id 0
		.amdhsa_user_sgpr_flat_scratch_init 0
		.amdhsa_user_sgpr_private_segment_size 0
		.amdhsa_wavefront_size32 1
		.amdhsa_uses_dynamic_stack 0
		.amdhsa_system_sgpr_private_segment_wavefront_offset 0
		.amdhsa_system_sgpr_workgroup_id_x 1
		.amdhsa_system_sgpr_workgroup_id_y 0
		.amdhsa_system_sgpr_workgroup_id_z 0
		.amdhsa_system_sgpr_workgroup_info 0
		.amdhsa_system_vgpr_workitem_id 0
		.amdhsa_next_free_vgpr 1
		.amdhsa_next_free_sgpr 1
		.amdhsa_reserve_vcc 0
		.amdhsa_reserve_flat_scratch 0
		.amdhsa_float_round_mode_32 0
		.amdhsa_float_round_mode_16_64 0
		.amdhsa_float_denorm_mode_32 3
		.amdhsa_float_denorm_mode_16_64 3
		.amdhsa_dx10_clamp 1
		.amdhsa_ieee_mode 1
		.amdhsa_fp16_overflow 0
		.amdhsa_workgroup_processor_mode 1
		.amdhsa_memory_ordered 1
		.amdhsa_forward_progress 1
		.amdhsa_shared_vgpr_count 0
		.amdhsa_exception_fp_ieee_invalid_op 0
		.amdhsa_exception_fp_denorm_src 0
		.amdhsa_exception_fp_ieee_div_zero 0
		.amdhsa_exception_fp_ieee_overflow 0
		.amdhsa_exception_fp_ieee_underflow 0
		.amdhsa_exception_fp_ieee_inexact 0
		.amdhsa_exception_int_div_zero 0
	.end_amdhsa_kernel
	.section	.text._ZN7rocprim17ROCPRIM_400000_NS6detail17trampoline_kernelINS0_14default_configENS1_35radix_sort_onesweep_config_selectorIiNS0_10empty_typeEEEZZNS1_29radix_sort_onesweep_iterationIS3_Lb0EN6thrust23THRUST_200600_302600_NS6detail15normal_iteratorINS9_10device_ptrIiEEEESE_PS5_SF_jNS0_19identity_decomposerENS1_16block_id_wrapperIjLb0EEEEE10hipError_tT1_PNSt15iterator_traitsISK_E10value_typeET2_T3_PNSL_ISQ_E10value_typeET4_T5_PSV_SW_PNS1_23onesweep_lookback_stateEbbT6_jjT7_P12ihipStream_tbENKUlT_T0_SK_SP_E_clIPiSE_SF_SF_EEDaS13_S14_SK_SP_EUlS13_E_NS1_11comp_targetILNS1_3genE5ELNS1_11target_archE942ELNS1_3gpuE9ELNS1_3repE0EEENS1_47radix_sort_onesweep_sort_config_static_selectorELNS0_4arch9wavefront6targetE0EEEvSK_,"axG",@progbits,_ZN7rocprim17ROCPRIM_400000_NS6detail17trampoline_kernelINS0_14default_configENS1_35radix_sort_onesweep_config_selectorIiNS0_10empty_typeEEEZZNS1_29radix_sort_onesweep_iterationIS3_Lb0EN6thrust23THRUST_200600_302600_NS6detail15normal_iteratorINS9_10device_ptrIiEEEESE_PS5_SF_jNS0_19identity_decomposerENS1_16block_id_wrapperIjLb0EEEEE10hipError_tT1_PNSt15iterator_traitsISK_E10value_typeET2_T3_PNSL_ISQ_E10value_typeET4_T5_PSV_SW_PNS1_23onesweep_lookback_stateEbbT6_jjT7_P12ihipStream_tbENKUlT_T0_SK_SP_E_clIPiSE_SF_SF_EEDaS13_S14_SK_SP_EUlS13_E_NS1_11comp_targetILNS1_3genE5ELNS1_11target_archE942ELNS1_3gpuE9ELNS1_3repE0EEENS1_47radix_sort_onesweep_sort_config_static_selectorELNS0_4arch9wavefront6targetE0EEEvSK_,comdat
.Lfunc_end206:
	.size	_ZN7rocprim17ROCPRIM_400000_NS6detail17trampoline_kernelINS0_14default_configENS1_35radix_sort_onesweep_config_selectorIiNS0_10empty_typeEEEZZNS1_29radix_sort_onesweep_iterationIS3_Lb0EN6thrust23THRUST_200600_302600_NS6detail15normal_iteratorINS9_10device_ptrIiEEEESE_PS5_SF_jNS0_19identity_decomposerENS1_16block_id_wrapperIjLb0EEEEE10hipError_tT1_PNSt15iterator_traitsISK_E10value_typeET2_T3_PNSL_ISQ_E10value_typeET4_T5_PSV_SW_PNS1_23onesweep_lookback_stateEbbT6_jjT7_P12ihipStream_tbENKUlT_T0_SK_SP_E_clIPiSE_SF_SF_EEDaS13_S14_SK_SP_EUlS13_E_NS1_11comp_targetILNS1_3genE5ELNS1_11target_archE942ELNS1_3gpuE9ELNS1_3repE0EEENS1_47radix_sort_onesweep_sort_config_static_selectorELNS0_4arch9wavefront6targetE0EEEvSK_, .Lfunc_end206-_ZN7rocprim17ROCPRIM_400000_NS6detail17trampoline_kernelINS0_14default_configENS1_35radix_sort_onesweep_config_selectorIiNS0_10empty_typeEEEZZNS1_29radix_sort_onesweep_iterationIS3_Lb0EN6thrust23THRUST_200600_302600_NS6detail15normal_iteratorINS9_10device_ptrIiEEEESE_PS5_SF_jNS0_19identity_decomposerENS1_16block_id_wrapperIjLb0EEEEE10hipError_tT1_PNSt15iterator_traitsISK_E10value_typeET2_T3_PNSL_ISQ_E10value_typeET4_T5_PSV_SW_PNS1_23onesweep_lookback_stateEbbT6_jjT7_P12ihipStream_tbENKUlT_T0_SK_SP_E_clIPiSE_SF_SF_EEDaS13_S14_SK_SP_EUlS13_E_NS1_11comp_targetILNS1_3genE5ELNS1_11target_archE942ELNS1_3gpuE9ELNS1_3repE0EEENS1_47radix_sort_onesweep_sort_config_static_selectorELNS0_4arch9wavefront6targetE0EEEvSK_
                                        ; -- End function
	.set _ZN7rocprim17ROCPRIM_400000_NS6detail17trampoline_kernelINS0_14default_configENS1_35radix_sort_onesweep_config_selectorIiNS0_10empty_typeEEEZZNS1_29radix_sort_onesweep_iterationIS3_Lb0EN6thrust23THRUST_200600_302600_NS6detail15normal_iteratorINS9_10device_ptrIiEEEESE_PS5_SF_jNS0_19identity_decomposerENS1_16block_id_wrapperIjLb0EEEEE10hipError_tT1_PNSt15iterator_traitsISK_E10value_typeET2_T3_PNSL_ISQ_E10value_typeET4_T5_PSV_SW_PNS1_23onesweep_lookback_stateEbbT6_jjT7_P12ihipStream_tbENKUlT_T0_SK_SP_E_clIPiSE_SF_SF_EEDaS13_S14_SK_SP_EUlS13_E_NS1_11comp_targetILNS1_3genE5ELNS1_11target_archE942ELNS1_3gpuE9ELNS1_3repE0EEENS1_47radix_sort_onesweep_sort_config_static_selectorELNS0_4arch9wavefront6targetE0EEEvSK_.num_vgpr, 0
	.set _ZN7rocprim17ROCPRIM_400000_NS6detail17trampoline_kernelINS0_14default_configENS1_35radix_sort_onesweep_config_selectorIiNS0_10empty_typeEEEZZNS1_29radix_sort_onesweep_iterationIS3_Lb0EN6thrust23THRUST_200600_302600_NS6detail15normal_iteratorINS9_10device_ptrIiEEEESE_PS5_SF_jNS0_19identity_decomposerENS1_16block_id_wrapperIjLb0EEEEE10hipError_tT1_PNSt15iterator_traitsISK_E10value_typeET2_T3_PNSL_ISQ_E10value_typeET4_T5_PSV_SW_PNS1_23onesweep_lookback_stateEbbT6_jjT7_P12ihipStream_tbENKUlT_T0_SK_SP_E_clIPiSE_SF_SF_EEDaS13_S14_SK_SP_EUlS13_E_NS1_11comp_targetILNS1_3genE5ELNS1_11target_archE942ELNS1_3gpuE9ELNS1_3repE0EEENS1_47radix_sort_onesweep_sort_config_static_selectorELNS0_4arch9wavefront6targetE0EEEvSK_.num_agpr, 0
	.set _ZN7rocprim17ROCPRIM_400000_NS6detail17trampoline_kernelINS0_14default_configENS1_35radix_sort_onesweep_config_selectorIiNS0_10empty_typeEEEZZNS1_29radix_sort_onesweep_iterationIS3_Lb0EN6thrust23THRUST_200600_302600_NS6detail15normal_iteratorINS9_10device_ptrIiEEEESE_PS5_SF_jNS0_19identity_decomposerENS1_16block_id_wrapperIjLb0EEEEE10hipError_tT1_PNSt15iterator_traitsISK_E10value_typeET2_T3_PNSL_ISQ_E10value_typeET4_T5_PSV_SW_PNS1_23onesweep_lookback_stateEbbT6_jjT7_P12ihipStream_tbENKUlT_T0_SK_SP_E_clIPiSE_SF_SF_EEDaS13_S14_SK_SP_EUlS13_E_NS1_11comp_targetILNS1_3genE5ELNS1_11target_archE942ELNS1_3gpuE9ELNS1_3repE0EEENS1_47radix_sort_onesweep_sort_config_static_selectorELNS0_4arch9wavefront6targetE0EEEvSK_.numbered_sgpr, 0
	.set _ZN7rocprim17ROCPRIM_400000_NS6detail17trampoline_kernelINS0_14default_configENS1_35radix_sort_onesweep_config_selectorIiNS0_10empty_typeEEEZZNS1_29radix_sort_onesweep_iterationIS3_Lb0EN6thrust23THRUST_200600_302600_NS6detail15normal_iteratorINS9_10device_ptrIiEEEESE_PS5_SF_jNS0_19identity_decomposerENS1_16block_id_wrapperIjLb0EEEEE10hipError_tT1_PNSt15iterator_traitsISK_E10value_typeET2_T3_PNSL_ISQ_E10value_typeET4_T5_PSV_SW_PNS1_23onesweep_lookback_stateEbbT6_jjT7_P12ihipStream_tbENKUlT_T0_SK_SP_E_clIPiSE_SF_SF_EEDaS13_S14_SK_SP_EUlS13_E_NS1_11comp_targetILNS1_3genE5ELNS1_11target_archE942ELNS1_3gpuE9ELNS1_3repE0EEENS1_47radix_sort_onesweep_sort_config_static_selectorELNS0_4arch9wavefront6targetE0EEEvSK_.num_named_barrier, 0
	.set _ZN7rocprim17ROCPRIM_400000_NS6detail17trampoline_kernelINS0_14default_configENS1_35radix_sort_onesweep_config_selectorIiNS0_10empty_typeEEEZZNS1_29radix_sort_onesweep_iterationIS3_Lb0EN6thrust23THRUST_200600_302600_NS6detail15normal_iteratorINS9_10device_ptrIiEEEESE_PS5_SF_jNS0_19identity_decomposerENS1_16block_id_wrapperIjLb0EEEEE10hipError_tT1_PNSt15iterator_traitsISK_E10value_typeET2_T3_PNSL_ISQ_E10value_typeET4_T5_PSV_SW_PNS1_23onesweep_lookback_stateEbbT6_jjT7_P12ihipStream_tbENKUlT_T0_SK_SP_E_clIPiSE_SF_SF_EEDaS13_S14_SK_SP_EUlS13_E_NS1_11comp_targetILNS1_3genE5ELNS1_11target_archE942ELNS1_3gpuE9ELNS1_3repE0EEENS1_47radix_sort_onesweep_sort_config_static_selectorELNS0_4arch9wavefront6targetE0EEEvSK_.private_seg_size, 0
	.set _ZN7rocprim17ROCPRIM_400000_NS6detail17trampoline_kernelINS0_14default_configENS1_35radix_sort_onesweep_config_selectorIiNS0_10empty_typeEEEZZNS1_29radix_sort_onesweep_iterationIS3_Lb0EN6thrust23THRUST_200600_302600_NS6detail15normal_iteratorINS9_10device_ptrIiEEEESE_PS5_SF_jNS0_19identity_decomposerENS1_16block_id_wrapperIjLb0EEEEE10hipError_tT1_PNSt15iterator_traitsISK_E10value_typeET2_T3_PNSL_ISQ_E10value_typeET4_T5_PSV_SW_PNS1_23onesweep_lookback_stateEbbT6_jjT7_P12ihipStream_tbENKUlT_T0_SK_SP_E_clIPiSE_SF_SF_EEDaS13_S14_SK_SP_EUlS13_E_NS1_11comp_targetILNS1_3genE5ELNS1_11target_archE942ELNS1_3gpuE9ELNS1_3repE0EEENS1_47radix_sort_onesweep_sort_config_static_selectorELNS0_4arch9wavefront6targetE0EEEvSK_.uses_vcc, 0
	.set _ZN7rocprim17ROCPRIM_400000_NS6detail17trampoline_kernelINS0_14default_configENS1_35radix_sort_onesweep_config_selectorIiNS0_10empty_typeEEEZZNS1_29radix_sort_onesweep_iterationIS3_Lb0EN6thrust23THRUST_200600_302600_NS6detail15normal_iteratorINS9_10device_ptrIiEEEESE_PS5_SF_jNS0_19identity_decomposerENS1_16block_id_wrapperIjLb0EEEEE10hipError_tT1_PNSt15iterator_traitsISK_E10value_typeET2_T3_PNSL_ISQ_E10value_typeET4_T5_PSV_SW_PNS1_23onesweep_lookback_stateEbbT6_jjT7_P12ihipStream_tbENKUlT_T0_SK_SP_E_clIPiSE_SF_SF_EEDaS13_S14_SK_SP_EUlS13_E_NS1_11comp_targetILNS1_3genE5ELNS1_11target_archE942ELNS1_3gpuE9ELNS1_3repE0EEENS1_47radix_sort_onesweep_sort_config_static_selectorELNS0_4arch9wavefront6targetE0EEEvSK_.uses_flat_scratch, 0
	.set _ZN7rocprim17ROCPRIM_400000_NS6detail17trampoline_kernelINS0_14default_configENS1_35radix_sort_onesweep_config_selectorIiNS0_10empty_typeEEEZZNS1_29radix_sort_onesweep_iterationIS3_Lb0EN6thrust23THRUST_200600_302600_NS6detail15normal_iteratorINS9_10device_ptrIiEEEESE_PS5_SF_jNS0_19identity_decomposerENS1_16block_id_wrapperIjLb0EEEEE10hipError_tT1_PNSt15iterator_traitsISK_E10value_typeET2_T3_PNSL_ISQ_E10value_typeET4_T5_PSV_SW_PNS1_23onesweep_lookback_stateEbbT6_jjT7_P12ihipStream_tbENKUlT_T0_SK_SP_E_clIPiSE_SF_SF_EEDaS13_S14_SK_SP_EUlS13_E_NS1_11comp_targetILNS1_3genE5ELNS1_11target_archE942ELNS1_3gpuE9ELNS1_3repE0EEENS1_47radix_sort_onesweep_sort_config_static_selectorELNS0_4arch9wavefront6targetE0EEEvSK_.has_dyn_sized_stack, 0
	.set _ZN7rocprim17ROCPRIM_400000_NS6detail17trampoline_kernelINS0_14default_configENS1_35radix_sort_onesweep_config_selectorIiNS0_10empty_typeEEEZZNS1_29radix_sort_onesweep_iterationIS3_Lb0EN6thrust23THRUST_200600_302600_NS6detail15normal_iteratorINS9_10device_ptrIiEEEESE_PS5_SF_jNS0_19identity_decomposerENS1_16block_id_wrapperIjLb0EEEEE10hipError_tT1_PNSt15iterator_traitsISK_E10value_typeET2_T3_PNSL_ISQ_E10value_typeET4_T5_PSV_SW_PNS1_23onesweep_lookback_stateEbbT6_jjT7_P12ihipStream_tbENKUlT_T0_SK_SP_E_clIPiSE_SF_SF_EEDaS13_S14_SK_SP_EUlS13_E_NS1_11comp_targetILNS1_3genE5ELNS1_11target_archE942ELNS1_3gpuE9ELNS1_3repE0EEENS1_47radix_sort_onesweep_sort_config_static_selectorELNS0_4arch9wavefront6targetE0EEEvSK_.has_recursion, 0
	.set _ZN7rocprim17ROCPRIM_400000_NS6detail17trampoline_kernelINS0_14default_configENS1_35radix_sort_onesweep_config_selectorIiNS0_10empty_typeEEEZZNS1_29radix_sort_onesweep_iterationIS3_Lb0EN6thrust23THRUST_200600_302600_NS6detail15normal_iteratorINS9_10device_ptrIiEEEESE_PS5_SF_jNS0_19identity_decomposerENS1_16block_id_wrapperIjLb0EEEEE10hipError_tT1_PNSt15iterator_traitsISK_E10value_typeET2_T3_PNSL_ISQ_E10value_typeET4_T5_PSV_SW_PNS1_23onesweep_lookback_stateEbbT6_jjT7_P12ihipStream_tbENKUlT_T0_SK_SP_E_clIPiSE_SF_SF_EEDaS13_S14_SK_SP_EUlS13_E_NS1_11comp_targetILNS1_3genE5ELNS1_11target_archE942ELNS1_3gpuE9ELNS1_3repE0EEENS1_47radix_sort_onesweep_sort_config_static_selectorELNS0_4arch9wavefront6targetE0EEEvSK_.has_indirect_call, 0
	.section	.AMDGPU.csdata,"",@progbits
; Kernel info:
; codeLenInByte = 0
; TotalNumSgprs: 0
; NumVgprs: 0
; ScratchSize: 0
; MemoryBound: 0
; FloatMode: 240
; IeeeMode: 1
; LDSByteSize: 0 bytes/workgroup (compile time only)
; SGPRBlocks: 0
; VGPRBlocks: 0
; NumSGPRsForWavesPerEU: 1
; NumVGPRsForWavesPerEU: 1
; Occupancy: 16
; WaveLimiterHint : 0
; COMPUTE_PGM_RSRC2:SCRATCH_EN: 0
; COMPUTE_PGM_RSRC2:USER_SGPR: 6
; COMPUTE_PGM_RSRC2:TRAP_HANDLER: 0
; COMPUTE_PGM_RSRC2:TGID_X_EN: 1
; COMPUTE_PGM_RSRC2:TGID_Y_EN: 0
; COMPUTE_PGM_RSRC2:TGID_Z_EN: 0
; COMPUTE_PGM_RSRC2:TIDIG_COMP_CNT: 0
	.section	.text._ZN7rocprim17ROCPRIM_400000_NS6detail17trampoline_kernelINS0_14default_configENS1_35radix_sort_onesweep_config_selectorIiNS0_10empty_typeEEEZZNS1_29radix_sort_onesweep_iterationIS3_Lb0EN6thrust23THRUST_200600_302600_NS6detail15normal_iteratorINS9_10device_ptrIiEEEESE_PS5_SF_jNS0_19identity_decomposerENS1_16block_id_wrapperIjLb0EEEEE10hipError_tT1_PNSt15iterator_traitsISK_E10value_typeET2_T3_PNSL_ISQ_E10value_typeET4_T5_PSV_SW_PNS1_23onesweep_lookback_stateEbbT6_jjT7_P12ihipStream_tbENKUlT_T0_SK_SP_E_clIPiSE_SF_SF_EEDaS13_S14_SK_SP_EUlS13_E_NS1_11comp_targetILNS1_3genE2ELNS1_11target_archE906ELNS1_3gpuE6ELNS1_3repE0EEENS1_47radix_sort_onesweep_sort_config_static_selectorELNS0_4arch9wavefront6targetE0EEEvSK_,"axG",@progbits,_ZN7rocprim17ROCPRIM_400000_NS6detail17trampoline_kernelINS0_14default_configENS1_35radix_sort_onesweep_config_selectorIiNS0_10empty_typeEEEZZNS1_29radix_sort_onesweep_iterationIS3_Lb0EN6thrust23THRUST_200600_302600_NS6detail15normal_iteratorINS9_10device_ptrIiEEEESE_PS5_SF_jNS0_19identity_decomposerENS1_16block_id_wrapperIjLb0EEEEE10hipError_tT1_PNSt15iterator_traitsISK_E10value_typeET2_T3_PNSL_ISQ_E10value_typeET4_T5_PSV_SW_PNS1_23onesweep_lookback_stateEbbT6_jjT7_P12ihipStream_tbENKUlT_T0_SK_SP_E_clIPiSE_SF_SF_EEDaS13_S14_SK_SP_EUlS13_E_NS1_11comp_targetILNS1_3genE2ELNS1_11target_archE906ELNS1_3gpuE6ELNS1_3repE0EEENS1_47radix_sort_onesweep_sort_config_static_selectorELNS0_4arch9wavefront6targetE0EEEvSK_,comdat
	.protected	_ZN7rocprim17ROCPRIM_400000_NS6detail17trampoline_kernelINS0_14default_configENS1_35radix_sort_onesweep_config_selectorIiNS0_10empty_typeEEEZZNS1_29radix_sort_onesweep_iterationIS3_Lb0EN6thrust23THRUST_200600_302600_NS6detail15normal_iteratorINS9_10device_ptrIiEEEESE_PS5_SF_jNS0_19identity_decomposerENS1_16block_id_wrapperIjLb0EEEEE10hipError_tT1_PNSt15iterator_traitsISK_E10value_typeET2_T3_PNSL_ISQ_E10value_typeET4_T5_PSV_SW_PNS1_23onesweep_lookback_stateEbbT6_jjT7_P12ihipStream_tbENKUlT_T0_SK_SP_E_clIPiSE_SF_SF_EEDaS13_S14_SK_SP_EUlS13_E_NS1_11comp_targetILNS1_3genE2ELNS1_11target_archE906ELNS1_3gpuE6ELNS1_3repE0EEENS1_47radix_sort_onesweep_sort_config_static_selectorELNS0_4arch9wavefront6targetE0EEEvSK_ ; -- Begin function _ZN7rocprim17ROCPRIM_400000_NS6detail17trampoline_kernelINS0_14default_configENS1_35radix_sort_onesweep_config_selectorIiNS0_10empty_typeEEEZZNS1_29radix_sort_onesweep_iterationIS3_Lb0EN6thrust23THRUST_200600_302600_NS6detail15normal_iteratorINS9_10device_ptrIiEEEESE_PS5_SF_jNS0_19identity_decomposerENS1_16block_id_wrapperIjLb0EEEEE10hipError_tT1_PNSt15iterator_traitsISK_E10value_typeET2_T3_PNSL_ISQ_E10value_typeET4_T5_PSV_SW_PNS1_23onesweep_lookback_stateEbbT6_jjT7_P12ihipStream_tbENKUlT_T0_SK_SP_E_clIPiSE_SF_SF_EEDaS13_S14_SK_SP_EUlS13_E_NS1_11comp_targetILNS1_3genE2ELNS1_11target_archE906ELNS1_3gpuE6ELNS1_3repE0EEENS1_47radix_sort_onesweep_sort_config_static_selectorELNS0_4arch9wavefront6targetE0EEEvSK_
	.globl	_ZN7rocprim17ROCPRIM_400000_NS6detail17trampoline_kernelINS0_14default_configENS1_35radix_sort_onesweep_config_selectorIiNS0_10empty_typeEEEZZNS1_29radix_sort_onesweep_iterationIS3_Lb0EN6thrust23THRUST_200600_302600_NS6detail15normal_iteratorINS9_10device_ptrIiEEEESE_PS5_SF_jNS0_19identity_decomposerENS1_16block_id_wrapperIjLb0EEEEE10hipError_tT1_PNSt15iterator_traitsISK_E10value_typeET2_T3_PNSL_ISQ_E10value_typeET4_T5_PSV_SW_PNS1_23onesweep_lookback_stateEbbT6_jjT7_P12ihipStream_tbENKUlT_T0_SK_SP_E_clIPiSE_SF_SF_EEDaS13_S14_SK_SP_EUlS13_E_NS1_11comp_targetILNS1_3genE2ELNS1_11target_archE906ELNS1_3gpuE6ELNS1_3repE0EEENS1_47radix_sort_onesweep_sort_config_static_selectorELNS0_4arch9wavefront6targetE0EEEvSK_
	.p2align	8
	.type	_ZN7rocprim17ROCPRIM_400000_NS6detail17trampoline_kernelINS0_14default_configENS1_35radix_sort_onesweep_config_selectorIiNS0_10empty_typeEEEZZNS1_29radix_sort_onesweep_iterationIS3_Lb0EN6thrust23THRUST_200600_302600_NS6detail15normal_iteratorINS9_10device_ptrIiEEEESE_PS5_SF_jNS0_19identity_decomposerENS1_16block_id_wrapperIjLb0EEEEE10hipError_tT1_PNSt15iterator_traitsISK_E10value_typeET2_T3_PNSL_ISQ_E10value_typeET4_T5_PSV_SW_PNS1_23onesweep_lookback_stateEbbT6_jjT7_P12ihipStream_tbENKUlT_T0_SK_SP_E_clIPiSE_SF_SF_EEDaS13_S14_SK_SP_EUlS13_E_NS1_11comp_targetILNS1_3genE2ELNS1_11target_archE906ELNS1_3gpuE6ELNS1_3repE0EEENS1_47radix_sort_onesweep_sort_config_static_selectorELNS0_4arch9wavefront6targetE0EEEvSK_,@function
_ZN7rocprim17ROCPRIM_400000_NS6detail17trampoline_kernelINS0_14default_configENS1_35radix_sort_onesweep_config_selectorIiNS0_10empty_typeEEEZZNS1_29radix_sort_onesweep_iterationIS3_Lb0EN6thrust23THRUST_200600_302600_NS6detail15normal_iteratorINS9_10device_ptrIiEEEESE_PS5_SF_jNS0_19identity_decomposerENS1_16block_id_wrapperIjLb0EEEEE10hipError_tT1_PNSt15iterator_traitsISK_E10value_typeET2_T3_PNSL_ISQ_E10value_typeET4_T5_PSV_SW_PNS1_23onesweep_lookback_stateEbbT6_jjT7_P12ihipStream_tbENKUlT_T0_SK_SP_E_clIPiSE_SF_SF_EEDaS13_S14_SK_SP_EUlS13_E_NS1_11comp_targetILNS1_3genE2ELNS1_11target_archE906ELNS1_3gpuE6ELNS1_3repE0EEENS1_47radix_sort_onesweep_sort_config_static_selectorELNS0_4arch9wavefront6targetE0EEEvSK_: ; @_ZN7rocprim17ROCPRIM_400000_NS6detail17trampoline_kernelINS0_14default_configENS1_35radix_sort_onesweep_config_selectorIiNS0_10empty_typeEEEZZNS1_29radix_sort_onesweep_iterationIS3_Lb0EN6thrust23THRUST_200600_302600_NS6detail15normal_iteratorINS9_10device_ptrIiEEEESE_PS5_SF_jNS0_19identity_decomposerENS1_16block_id_wrapperIjLb0EEEEE10hipError_tT1_PNSt15iterator_traitsISK_E10value_typeET2_T3_PNSL_ISQ_E10value_typeET4_T5_PSV_SW_PNS1_23onesweep_lookback_stateEbbT6_jjT7_P12ihipStream_tbENKUlT_T0_SK_SP_E_clIPiSE_SF_SF_EEDaS13_S14_SK_SP_EUlS13_E_NS1_11comp_targetILNS1_3genE2ELNS1_11target_archE906ELNS1_3gpuE6ELNS1_3repE0EEENS1_47radix_sort_onesweep_sort_config_static_selectorELNS0_4arch9wavefront6targetE0EEEvSK_
; %bb.0:
	.section	.rodata,"a",@progbits
	.p2align	6, 0x0
	.amdhsa_kernel _ZN7rocprim17ROCPRIM_400000_NS6detail17trampoline_kernelINS0_14default_configENS1_35radix_sort_onesweep_config_selectorIiNS0_10empty_typeEEEZZNS1_29radix_sort_onesweep_iterationIS3_Lb0EN6thrust23THRUST_200600_302600_NS6detail15normal_iteratorINS9_10device_ptrIiEEEESE_PS5_SF_jNS0_19identity_decomposerENS1_16block_id_wrapperIjLb0EEEEE10hipError_tT1_PNSt15iterator_traitsISK_E10value_typeET2_T3_PNSL_ISQ_E10value_typeET4_T5_PSV_SW_PNS1_23onesweep_lookback_stateEbbT6_jjT7_P12ihipStream_tbENKUlT_T0_SK_SP_E_clIPiSE_SF_SF_EEDaS13_S14_SK_SP_EUlS13_E_NS1_11comp_targetILNS1_3genE2ELNS1_11target_archE906ELNS1_3gpuE6ELNS1_3repE0EEENS1_47radix_sort_onesweep_sort_config_static_selectorELNS0_4arch9wavefront6targetE0EEEvSK_
		.amdhsa_group_segment_fixed_size 0
		.amdhsa_private_segment_fixed_size 0
		.amdhsa_kernarg_size 88
		.amdhsa_user_sgpr_count 6
		.amdhsa_user_sgpr_private_segment_buffer 1
		.amdhsa_user_sgpr_dispatch_ptr 0
		.amdhsa_user_sgpr_queue_ptr 0
		.amdhsa_user_sgpr_kernarg_segment_ptr 1
		.amdhsa_user_sgpr_dispatch_id 0
		.amdhsa_user_sgpr_flat_scratch_init 0
		.amdhsa_user_sgpr_private_segment_size 0
		.amdhsa_wavefront_size32 1
		.amdhsa_uses_dynamic_stack 0
		.amdhsa_system_sgpr_private_segment_wavefront_offset 0
		.amdhsa_system_sgpr_workgroup_id_x 1
		.amdhsa_system_sgpr_workgroup_id_y 0
		.amdhsa_system_sgpr_workgroup_id_z 0
		.amdhsa_system_sgpr_workgroup_info 0
		.amdhsa_system_vgpr_workitem_id 0
		.amdhsa_next_free_vgpr 1
		.amdhsa_next_free_sgpr 1
		.amdhsa_reserve_vcc 0
		.amdhsa_reserve_flat_scratch 0
		.amdhsa_float_round_mode_32 0
		.amdhsa_float_round_mode_16_64 0
		.amdhsa_float_denorm_mode_32 3
		.amdhsa_float_denorm_mode_16_64 3
		.amdhsa_dx10_clamp 1
		.amdhsa_ieee_mode 1
		.amdhsa_fp16_overflow 0
		.amdhsa_workgroup_processor_mode 1
		.amdhsa_memory_ordered 1
		.amdhsa_forward_progress 1
		.amdhsa_shared_vgpr_count 0
		.amdhsa_exception_fp_ieee_invalid_op 0
		.amdhsa_exception_fp_denorm_src 0
		.amdhsa_exception_fp_ieee_div_zero 0
		.amdhsa_exception_fp_ieee_overflow 0
		.amdhsa_exception_fp_ieee_underflow 0
		.amdhsa_exception_fp_ieee_inexact 0
		.amdhsa_exception_int_div_zero 0
	.end_amdhsa_kernel
	.section	.text._ZN7rocprim17ROCPRIM_400000_NS6detail17trampoline_kernelINS0_14default_configENS1_35radix_sort_onesweep_config_selectorIiNS0_10empty_typeEEEZZNS1_29radix_sort_onesweep_iterationIS3_Lb0EN6thrust23THRUST_200600_302600_NS6detail15normal_iteratorINS9_10device_ptrIiEEEESE_PS5_SF_jNS0_19identity_decomposerENS1_16block_id_wrapperIjLb0EEEEE10hipError_tT1_PNSt15iterator_traitsISK_E10value_typeET2_T3_PNSL_ISQ_E10value_typeET4_T5_PSV_SW_PNS1_23onesweep_lookback_stateEbbT6_jjT7_P12ihipStream_tbENKUlT_T0_SK_SP_E_clIPiSE_SF_SF_EEDaS13_S14_SK_SP_EUlS13_E_NS1_11comp_targetILNS1_3genE2ELNS1_11target_archE906ELNS1_3gpuE6ELNS1_3repE0EEENS1_47radix_sort_onesweep_sort_config_static_selectorELNS0_4arch9wavefront6targetE0EEEvSK_,"axG",@progbits,_ZN7rocprim17ROCPRIM_400000_NS6detail17trampoline_kernelINS0_14default_configENS1_35radix_sort_onesweep_config_selectorIiNS0_10empty_typeEEEZZNS1_29radix_sort_onesweep_iterationIS3_Lb0EN6thrust23THRUST_200600_302600_NS6detail15normal_iteratorINS9_10device_ptrIiEEEESE_PS5_SF_jNS0_19identity_decomposerENS1_16block_id_wrapperIjLb0EEEEE10hipError_tT1_PNSt15iterator_traitsISK_E10value_typeET2_T3_PNSL_ISQ_E10value_typeET4_T5_PSV_SW_PNS1_23onesweep_lookback_stateEbbT6_jjT7_P12ihipStream_tbENKUlT_T0_SK_SP_E_clIPiSE_SF_SF_EEDaS13_S14_SK_SP_EUlS13_E_NS1_11comp_targetILNS1_3genE2ELNS1_11target_archE906ELNS1_3gpuE6ELNS1_3repE0EEENS1_47radix_sort_onesweep_sort_config_static_selectorELNS0_4arch9wavefront6targetE0EEEvSK_,comdat
.Lfunc_end207:
	.size	_ZN7rocprim17ROCPRIM_400000_NS6detail17trampoline_kernelINS0_14default_configENS1_35radix_sort_onesweep_config_selectorIiNS0_10empty_typeEEEZZNS1_29radix_sort_onesweep_iterationIS3_Lb0EN6thrust23THRUST_200600_302600_NS6detail15normal_iteratorINS9_10device_ptrIiEEEESE_PS5_SF_jNS0_19identity_decomposerENS1_16block_id_wrapperIjLb0EEEEE10hipError_tT1_PNSt15iterator_traitsISK_E10value_typeET2_T3_PNSL_ISQ_E10value_typeET4_T5_PSV_SW_PNS1_23onesweep_lookback_stateEbbT6_jjT7_P12ihipStream_tbENKUlT_T0_SK_SP_E_clIPiSE_SF_SF_EEDaS13_S14_SK_SP_EUlS13_E_NS1_11comp_targetILNS1_3genE2ELNS1_11target_archE906ELNS1_3gpuE6ELNS1_3repE0EEENS1_47radix_sort_onesweep_sort_config_static_selectorELNS0_4arch9wavefront6targetE0EEEvSK_, .Lfunc_end207-_ZN7rocprim17ROCPRIM_400000_NS6detail17trampoline_kernelINS0_14default_configENS1_35radix_sort_onesweep_config_selectorIiNS0_10empty_typeEEEZZNS1_29radix_sort_onesweep_iterationIS3_Lb0EN6thrust23THRUST_200600_302600_NS6detail15normal_iteratorINS9_10device_ptrIiEEEESE_PS5_SF_jNS0_19identity_decomposerENS1_16block_id_wrapperIjLb0EEEEE10hipError_tT1_PNSt15iterator_traitsISK_E10value_typeET2_T3_PNSL_ISQ_E10value_typeET4_T5_PSV_SW_PNS1_23onesweep_lookback_stateEbbT6_jjT7_P12ihipStream_tbENKUlT_T0_SK_SP_E_clIPiSE_SF_SF_EEDaS13_S14_SK_SP_EUlS13_E_NS1_11comp_targetILNS1_3genE2ELNS1_11target_archE906ELNS1_3gpuE6ELNS1_3repE0EEENS1_47radix_sort_onesweep_sort_config_static_selectorELNS0_4arch9wavefront6targetE0EEEvSK_
                                        ; -- End function
	.set _ZN7rocprim17ROCPRIM_400000_NS6detail17trampoline_kernelINS0_14default_configENS1_35radix_sort_onesweep_config_selectorIiNS0_10empty_typeEEEZZNS1_29radix_sort_onesweep_iterationIS3_Lb0EN6thrust23THRUST_200600_302600_NS6detail15normal_iteratorINS9_10device_ptrIiEEEESE_PS5_SF_jNS0_19identity_decomposerENS1_16block_id_wrapperIjLb0EEEEE10hipError_tT1_PNSt15iterator_traitsISK_E10value_typeET2_T3_PNSL_ISQ_E10value_typeET4_T5_PSV_SW_PNS1_23onesweep_lookback_stateEbbT6_jjT7_P12ihipStream_tbENKUlT_T0_SK_SP_E_clIPiSE_SF_SF_EEDaS13_S14_SK_SP_EUlS13_E_NS1_11comp_targetILNS1_3genE2ELNS1_11target_archE906ELNS1_3gpuE6ELNS1_3repE0EEENS1_47radix_sort_onesweep_sort_config_static_selectorELNS0_4arch9wavefront6targetE0EEEvSK_.num_vgpr, 0
	.set _ZN7rocprim17ROCPRIM_400000_NS6detail17trampoline_kernelINS0_14default_configENS1_35radix_sort_onesweep_config_selectorIiNS0_10empty_typeEEEZZNS1_29radix_sort_onesweep_iterationIS3_Lb0EN6thrust23THRUST_200600_302600_NS6detail15normal_iteratorINS9_10device_ptrIiEEEESE_PS5_SF_jNS0_19identity_decomposerENS1_16block_id_wrapperIjLb0EEEEE10hipError_tT1_PNSt15iterator_traitsISK_E10value_typeET2_T3_PNSL_ISQ_E10value_typeET4_T5_PSV_SW_PNS1_23onesweep_lookback_stateEbbT6_jjT7_P12ihipStream_tbENKUlT_T0_SK_SP_E_clIPiSE_SF_SF_EEDaS13_S14_SK_SP_EUlS13_E_NS1_11comp_targetILNS1_3genE2ELNS1_11target_archE906ELNS1_3gpuE6ELNS1_3repE0EEENS1_47radix_sort_onesweep_sort_config_static_selectorELNS0_4arch9wavefront6targetE0EEEvSK_.num_agpr, 0
	.set _ZN7rocprim17ROCPRIM_400000_NS6detail17trampoline_kernelINS0_14default_configENS1_35radix_sort_onesweep_config_selectorIiNS0_10empty_typeEEEZZNS1_29radix_sort_onesweep_iterationIS3_Lb0EN6thrust23THRUST_200600_302600_NS6detail15normal_iteratorINS9_10device_ptrIiEEEESE_PS5_SF_jNS0_19identity_decomposerENS1_16block_id_wrapperIjLb0EEEEE10hipError_tT1_PNSt15iterator_traitsISK_E10value_typeET2_T3_PNSL_ISQ_E10value_typeET4_T5_PSV_SW_PNS1_23onesweep_lookback_stateEbbT6_jjT7_P12ihipStream_tbENKUlT_T0_SK_SP_E_clIPiSE_SF_SF_EEDaS13_S14_SK_SP_EUlS13_E_NS1_11comp_targetILNS1_3genE2ELNS1_11target_archE906ELNS1_3gpuE6ELNS1_3repE0EEENS1_47radix_sort_onesweep_sort_config_static_selectorELNS0_4arch9wavefront6targetE0EEEvSK_.numbered_sgpr, 0
	.set _ZN7rocprim17ROCPRIM_400000_NS6detail17trampoline_kernelINS0_14default_configENS1_35radix_sort_onesweep_config_selectorIiNS0_10empty_typeEEEZZNS1_29radix_sort_onesweep_iterationIS3_Lb0EN6thrust23THRUST_200600_302600_NS6detail15normal_iteratorINS9_10device_ptrIiEEEESE_PS5_SF_jNS0_19identity_decomposerENS1_16block_id_wrapperIjLb0EEEEE10hipError_tT1_PNSt15iterator_traitsISK_E10value_typeET2_T3_PNSL_ISQ_E10value_typeET4_T5_PSV_SW_PNS1_23onesweep_lookback_stateEbbT6_jjT7_P12ihipStream_tbENKUlT_T0_SK_SP_E_clIPiSE_SF_SF_EEDaS13_S14_SK_SP_EUlS13_E_NS1_11comp_targetILNS1_3genE2ELNS1_11target_archE906ELNS1_3gpuE6ELNS1_3repE0EEENS1_47radix_sort_onesweep_sort_config_static_selectorELNS0_4arch9wavefront6targetE0EEEvSK_.num_named_barrier, 0
	.set _ZN7rocprim17ROCPRIM_400000_NS6detail17trampoline_kernelINS0_14default_configENS1_35radix_sort_onesweep_config_selectorIiNS0_10empty_typeEEEZZNS1_29radix_sort_onesweep_iterationIS3_Lb0EN6thrust23THRUST_200600_302600_NS6detail15normal_iteratorINS9_10device_ptrIiEEEESE_PS5_SF_jNS0_19identity_decomposerENS1_16block_id_wrapperIjLb0EEEEE10hipError_tT1_PNSt15iterator_traitsISK_E10value_typeET2_T3_PNSL_ISQ_E10value_typeET4_T5_PSV_SW_PNS1_23onesweep_lookback_stateEbbT6_jjT7_P12ihipStream_tbENKUlT_T0_SK_SP_E_clIPiSE_SF_SF_EEDaS13_S14_SK_SP_EUlS13_E_NS1_11comp_targetILNS1_3genE2ELNS1_11target_archE906ELNS1_3gpuE6ELNS1_3repE0EEENS1_47radix_sort_onesweep_sort_config_static_selectorELNS0_4arch9wavefront6targetE0EEEvSK_.private_seg_size, 0
	.set _ZN7rocprim17ROCPRIM_400000_NS6detail17trampoline_kernelINS0_14default_configENS1_35radix_sort_onesweep_config_selectorIiNS0_10empty_typeEEEZZNS1_29radix_sort_onesweep_iterationIS3_Lb0EN6thrust23THRUST_200600_302600_NS6detail15normal_iteratorINS9_10device_ptrIiEEEESE_PS5_SF_jNS0_19identity_decomposerENS1_16block_id_wrapperIjLb0EEEEE10hipError_tT1_PNSt15iterator_traitsISK_E10value_typeET2_T3_PNSL_ISQ_E10value_typeET4_T5_PSV_SW_PNS1_23onesweep_lookback_stateEbbT6_jjT7_P12ihipStream_tbENKUlT_T0_SK_SP_E_clIPiSE_SF_SF_EEDaS13_S14_SK_SP_EUlS13_E_NS1_11comp_targetILNS1_3genE2ELNS1_11target_archE906ELNS1_3gpuE6ELNS1_3repE0EEENS1_47radix_sort_onesweep_sort_config_static_selectorELNS0_4arch9wavefront6targetE0EEEvSK_.uses_vcc, 0
	.set _ZN7rocprim17ROCPRIM_400000_NS6detail17trampoline_kernelINS0_14default_configENS1_35radix_sort_onesweep_config_selectorIiNS0_10empty_typeEEEZZNS1_29radix_sort_onesweep_iterationIS3_Lb0EN6thrust23THRUST_200600_302600_NS6detail15normal_iteratorINS9_10device_ptrIiEEEESE_PS5_SF_jNS0_19identity_decomposerENS1_16block_id_wrapperIjLb0EEEEE10hipError_tT1_PNSt15iterator_traitsISK_E10value_typeET2_T3_PNSL_ISQ_E10value_typeET4_T5_PSV_SW_PNS1_23onesweep_lookback_stateEbbT6_jjT7_P12ihipStream_tbENKUlT_T0_SK_SP_E_clIPiSE_SF_SF_EEDaS13_S14_SK_SP_EUlS13_E_NS1_11comp_targetILNS1_3genE2ELNS1_11target_archE906ELNS1_3gpuE6ELNS1_3repE0EEENS1_47radix_sort_onesweep_sort_config_static_selectorELNS0_4arch9wavefront6targetE0EEEvSK_.uses_flat_scratch, 0
	.set _ZN7rocprim17ROCPRIM_400000_NS6detail17trampoline_kernelINS0_14default_configENS1_35radix_sort_onesweep_config_selectorIiNS0_10empty_typeEEEZZNS1_29radix_sort_onesweep_iterationIS3_Lb0EN6thrust23THRUST_200600_302600_NS6detail15normal_iteratorINS9_10device_ptrIiEEEESE_PS5_SF_jNS0_19identity_decomposerENS1_16block_id_wrapperIjLb0EEEEE10hipError_tT1_PNSt15iterator_traitsISK_E10value_typeET2_T3_PNSL_ISQ_E10value_typeET4_T5_PSV_SW_PNS1_23onesweep_lookback_stateEbbT6_jjT7_P12ihipStream_tbENKUlT_T0_SK_SP_E_clIPiSE_SF_SF_EEDaS13_S14_SK_SP_EUlS13_E_NS1_11comp_targetILNS1_3genE2ELNS1_11target_archE906ELNS1_3gpuE6ELNS1_3repE0EEENS1_47radix_sort_onesweep_sort_config_static_selectorELNS0_4arch9wavefront6targetE0EEEvSK_.has_dyn_sized_stack, 0
	.set _ZN7rocprim17ROCPRIM_400000_NS6detail17trampoline_kernelINS0_14default_configENS1_35radix_sort_onesweep_config_selectorIiNS0_10empty_typeEEEZZNS1_29radix_sort_onesweep_iterationIS3_Lb0EN6thrust23THRUST_200600_302600_NS6detail15normal_iteratorINS9_10device_ptrIiEEEESE_PS5_SF_jNS0_19identity_decomposerENS1_16block_id_wrapperIjLb0EEEEE10hipError_tT1_PNSt15iterator_traitsISK_E10value_typeET2_T3_PNSL_ISQ_E10value_typeET4_T5_PSV_SW_PNS1_23onesweep_lookback_stateEbbT6_jjT7_P12ihipStream_tbENKUlT_T0_SK_SP_E_clIPiSE_SF_SF_EEDaS13_S14_SK_SP_EUlS13_E_NS1_11comp_targetILNS1_3genE2ELNS1_11target_archE906ELNS1_3gpuE6ELNS1_3repE0EEENS1_47radix_sort_onesweep_sort_config_static_selectorELNS0_4arch9wavefront6targetE0EEEvSK_.has_recursion, 0
	.set _ZN7rocprim17ROCPRIM_400000_NS6detail17trampoline_kernelINS0_14default_configENS1_35radix_sort_onesweep_config_selectorIiNS0_10empty_typeEEEZZNS1_29radix_sort_onesweep_iterationIS3_Lb0EN6thrust23THRUST_200600_302600_NS6detail15normal_iteratorINS9_10device_ptrIiEEEESE_PS5_SF_jNS0_19identity_decomposerENS1_16block_id_wrapperIjLb0EEEEE10hipError_tT1_PNSt15iterator_traitsISK_E10value_typeET2_T3_PNSL_ISQ_E10value_typeET4_T5_PSV_SW_PNS1_23onesweep_lookback_stateEbbT6_jjT7_P12ihipStream_tbENKUlT_T0_SK_SP_E_clIPiSE_SF_SF_EEDaS13_S14_SK_SP_EUlS13_E_NS1_11comp_targetILNS1_3genE2ELNS1_11target_archE906ELNS1_3gpuE6ELNS1_3repE0EEENS1_47radix_sort_onesweep_sort_config_static_selectorELNS0_4arch9wavefront6targetE0EEEvSK_.has_indirect_call, 0
	.section	.AMDGPU.csdata,"",@progbits
; Kernel info:
; codeLenInByte = 0
; TotalNumSgprs: 0
; NumVgprs: 0
; ScratchSize: 0
; MemoryBound: 0
; FloatMode: 240
; IeeeMode: 1
; LDSByteSize: 0 bytes/workgroup (compile time only)
; SGPRBlocks: 0
; VGPRBlocks: 0
; NumSGPRsForWavesPerEU: 1
; NumVGPRsForWavesPerEU: 1
; Occupancy: 16
; WaveLimiterHint : 0
; COMPUTE_PGM_RSRC2:SCRATCH_EN: 0
; COMPUTE_PGM_RSRC2:USER_SGPR: 6
; COMPUTE_PGM_RSRC2:TRAP_HANDLER: 0
; COMPUTE_PGM_RSRC2:TGID_X_EN: 1
; COMPUTE_PGM_RSRC2:TGID_Y_EN: 0
; COMPUTE_PGM_RSRC2:TGID_Z_EN: 0
; COMPUTE_PGM_RSRC2:TIDIG_COMP_CNT: 0
	.section	.text._ZN7rocprim17ROCPRIM_400000_NS6detail17trampoline_kernelINS0_14default_configENS1_35radix_sort_onesweep_config_selectorIiNS0_10empty_typeEEEZZNS1_29radix_sort_onesweep_iterationIS3_Lb0EN6thrust23THRUST_200600_302600_NS6detail15normal_iteratorINS9_10device_ptrIiEEEESE_PS5_SF_jNS0_19identity_decomposerENS1_16block_id_wrapperIjLb0EEEEE10hipError_tT1_PNSt15iterator_traitsISK_E10value_typeET2_T3_PNSL_ISQ_E10value_typeET4_T5_PSV_SW_PNS1_23onesweep_lookback_stateEbbT6_jjT7_P12ihipStream_tbENKUlT_T0_SK_SP_E_clIPiSE_SF_SF_EEDaS13_S14_SK_SP_EUlS13_E_NS1_11comp_targetILNS1_3genE4ELNS1_11target_archE910ELNS1_3gpuE8ELNS1_3repE0EEENS1_47radix_sort_onesweep_sort_config_static_selectorELNS0_4arch9wavefront6targetE0EEEvSK_,"axG",@progbits,_ZN7rocprim17ROCPRIM_400000_NS6detail17trampoline_kernelINS0_14default_configENS1_35radix_sort_onesweep_config_selectorIiNS0_10empty_typeEEEZZNS1_29radix_sort_onesweep_iterationIS3_Lb0EN6thrust23THRUST_200600_302600_NS6detail15normal_iteratorINS9_10device_ptrIiEEEESE_PS5_SF_jNS0_19identity_decomposerENS1_16block_id_wrapperIjLb0EEEEE10hipError_tT1_PNSt15iterator_traitsISK_E10value_typeET2_T3_PNSL_ISQ_E10value_typeET4_T5_PSV_SW_PNS1_23onesweep_lookback_stateEbbT6_jjT7_P12ihipStream_tbENKUlT_T0_SK_SP_E_clIPiSE_SF_SF_EEDaS13_S14_SK_SP_EUlS13_E_NS1_11comp_targetILNS1_3genE4ELNS1_11target_archE910ELNS1_3gpuE8ELNS1_3repE0EEENS1_47radix_sort_onesweep_sort_config_static_selectorELNS0_4arch9wavefront6targetE0EEEvSK_,comdat
	.protected	_ZN7rocprim17ROCPRIM_400000_NS6detail17trampoline_kernelINS0_14default_configENS1_35radix_sort_onesweep_config_selectorIiNS0_10empty_typeEEEZZNS1_29radix_sort_onesweep_iterationIS3_Lb0EN6thrust23THRUST_200600_302600_NS6detail15normal_iteratorINS9_10device_ptrIiEEEESE_PS5_SF_jNS0_19identity_decomposerENS1_16block_id_wrapperIjLb0EEEEE10hipError_tT1_PNSt15iterator_traitsISK_E10value_typeET2_T3_PNSL_ISQ_E10value_typeET4_T5_PSV_SW_PNS1_23onesweep_lookback_stateEbbT6_jjT7_P12ihipStream_tbENKUlT_T0_SK_SP_E_clIPiSE_SF_SF_EEDaS13_S14_SK_SP_EUlS13_E_NS1_11comp_targetILNS1_3genE4ELNS1_11target_archE910ELNS1_3gpuE8ELNS1_3repE0EEENS1_47radix_sort_onesweep_sort_config_static_selectorELNS0_4arch9wavefront6targetE0EEEvSK_ ; -- Begin function _ZN7rocprim17ROCPRIM_400000_NS6detail17trampoline_kernelINS0_14default_configENS1_35radix_sort_onesweep_config_selectorIiNS0_10empty_typeEEEZZNS1_29radix_sort_onesweep_iterationIS3_Lb0EN6thrust23THRUST_200600_302600_NS6detail15normal_iteratorINS9_10device_ptrIiEEEESE_PS5_SF_jNS0_19identity_decomposerENS1_16block_id_wrapperIjLb0EEEEE10hipError_tT1_PNSt15iterator_traitsISK_E10value_typeET2_T3_PNSL_ISQ_E10value_typeET4_T5_PSV_SW_PNS1_23onesweep_lookback_stateEbbT6_jjT7_P12ihipStream_tbENKUlT_T0_SK_SP_E_clIPiSE_SF_SF_EEDaS13_S14_SK_SP_EUlS13_E_NS1_11comp_targetILNS1_3genE4ELNS1_11target_archE910ELNS1_3gpuE8ELNS1_3repE0EEENS1_47radix_sort_onesweep_sort_config_static_selectorELNS0_4arch9wavefront6targetE0EEEvSK_
	.globl	_ZN7rocprim17ROCPRIM_400000_NS6detail17trampoline_kernelINS0_14default_configENS1_35radix_sort_onesweep_config_selectorIiNS0_10empty_typeEEEZZNS1_29radix_sort_onesweep_iterationIS3_Lb0EN6thrust23THRUST_200600_302600_NS6detail15normal_iteratorINS9_10device_ptrIiEEEESE_PS5_SF_jNS0_19identity_decomposerENS1_16block_id_wrapperIjLb0EEEEE10hipError_tT1_PNSt15iterator_traitsISK_E10value_typeET2_T3_PNSL_ISQ_E10value_typeET4_T5_PSV_SW_PNS1_23onesweep_lookback_stateEbbT6_jjT7_P12ihipStream_tbENKUlT_T0_SK_SP_E_clIPiSE_SF_SF_EEDaS13_S14_SK_SP_EUlS13_E_NS1_11comp_targetILNS1_3genE4ELNS1_11target_archE910ELNS1_3gpuE8ELNS1_3repE0EEENS1_47radix_sort_onesweep_sort_config_static_selectorELNS0_4arch9wavefront6targetE0EEEvSK_
	.p2align	8
	.type	_ZN7rocprim17ROCPRIM_400000_NS6detail17trampoline_kernelINS0_14default_configENS1_35radix_sort_onesweep_config_selectorIiNS0_10empty_typeEEEZZNS1_29radix_sort_onesweep_iterationIS3_Lb0EN6thrust23THRUST_200600_302600_NS6detail15normal_iteratorINS9_10device_ptrIiEEEESE_PS5_SF_jNS0_19identity_decomposerENS1_16block_id_wrapperIjLb0EEEEE10hipError_tT1_PNSt15iterator_traitsISK_E10value_typeET2_T3_PNSL_ISQ_E10value_typeET4_T5_PSV_SW_PNS1_23onesweep_lookback_stateEbbT6_jjT7_P12ihipStream_tbENKUlT_T0_SK_SP_E_clIPiSE_SF_SF_EEDaS13_S14_SK_SP_EUlS13_E_NS1_11comp_targetILNS1_3genE4ELNS1_11target_archE910ELNS1_3gpuE8ELNS1_3repE0EEENS1_47radix_sort_onesweep_sort_config_static_selectorELNS0_4arch9wavefront6targetE0EEEvSK_,@function
_ZN7rocprim17ROCPRIM_400000_NS6detail17trampoline_kernelINS0_14default_configENS1_35radix_sort_onesweep_config_selectorIiNS0_10empty_typeEEEZZNS1_29radix_sort_onesweep_iterationIS3_Lb0EN6thrust23THRUST_200600_302600_NS6detail15normal_iteratorINS9_10device_ptrIiEEEESE_PS5_SF_jNS0_19identity_decomposerENS1_16block_id_wrapperIjLb0EEEEE10hipError_tT1_PNSt15iterator_traitsISK_E10value_typeET2_T3_PNSL_ISQ_E10value_typeET4_T5_PSV_SW_PNS1_23onesweep_lookback_stateEbbT6_jjT7_P12ihipStream_tbENKUlT_T0_SK_SP_E_clIPiSE_SF_SF_EEDaS13_S14_SK_SP_EUlS13_E_NS1_11comp_targetILNS1_3genE4ELNS1_11target_archE910ELNS1_3gpuE8ELNS1_3repE0EEENS1_47radix_sort_onesweep_sort_config_static_selectorELNS0_4arch9wavefront6targetE0EEEvSK_: ; @_ZN7rocprim17ROCPRIM_400000_NS6detail17trampoline_kernelINS0_14default_configENS1_35radix_sort_onesweep_config_selectorIiNS0_10empty_typeEEEZZNS1_29radix_sort_onesweep_iterationIS3_Lb0EN6thrust23THRUST_200600_302600_NS6detail15normal_iteratorINS9_10device_ptrIiEEEESE_PS5_SF_jNS0_19identity_decomposerENS1_16block_id_wrapperIjLb0EEEEE10hipError_tT1_PNSt15iterator_traitsISK_E10value_typeET2_T3_PNSL_ISQ_E10value_typeET4_T5_PSV_SW_PNS1_23onesweep_lookback_stateEbbT6_jjT7_P12ihipStream_tbENKUlT_T0_SK_SP_E_clIPiSE_SF_SF_EEDaS13_S14_SK_SP_EUlS13_E_NS1_11comp_targetILNS1_3genE4ELNS1_11target_archE910ELNS1_3gpuE8ELNS1_3repE0EEENS1_47radix_sort_onesweep_sort_config_static_selectorELNS0_4arch9wavefront6targetE0EEEvSK_
; %bb.0:
	.section	.rodata,"a",@progbits
	.p2align	6, 0x0
	.amdhsa_kernel _ZN7rocprim17ROCPRIM_400000_NS6detail17trampoline_kernelINS0_14default_configENS1_35radix_sort_onesweep_config_selectorIiNS0_10empty_typeEEEZZNS1_29radix_sort_onesweep_iterationIS3_Lb0EN6thrust23THRUST_200600_302600_NS6detail15normal_iteratorINS9_10device_ptrIiEEEESE_PS5_SF_jNS0_19identity_decomposerENS1_16block_id_wrapperIjLb0EEEEE10hipError_tT1_PNSt15iterator_traitsISK_E10value_typeET2_T3_PNSL_ISQ_E10value_typeET4_T5_PSV_SW_PNS1_23onesweep_lookback_stateEbbT6_jjT7_P12ihipStream_tbENKUlT_T0_SK_SP_E_clIPiSE_SF_SF_EEDaS13_S14_SK_SP_EUlS13_E_NS1_11comp_targetILNS1_3genE4ELNS1_11target_archE910ELNS1_3gpuE8ELNS1_3repE0EEENS1_47radix_sort_onesweep_sort_config_static_selectorELNS0_4arch9wavefront6targetE0EEEvSK_
		.amdhsa_group_segment_fixed_size 0
		.amdhsa_private_segment_fixed_size 0
		.amdhsa_kernarg_size 88
		.amdhsa_user_sgpr_count 6
		.amdhsa_user_sgpr_private_segment_buffer 1
		.amdhsa_user_sgpr_dispatch_ptr 0
		.amdhsa_user_sgpr_queue_ptr 0
		.amdhsa_user_sgpr_kernarg_segment_ptr 1
		.amdhsa_user_sgpr_dispatch_id 0
		.amdhsa_user_sgpr_flat_scratch_init 0
		.amdhsa_user_sgpr_private_segment_size 0
		.amdhsa_wavefront_size32 1
		.amdhsa_uses_dynamic_stack 0
		.amdhsa_system_sgpr_private_segment_wavefront_offset 0
		.amdhsa_system_sgpr_workgroup_id_x 1
		.amdhsa_system_sgpr_workgroup_id_y 0
		.amdhsa_system_sgpr_workgroup_id_z 0
		.amdhsa_system_sgpr_workgroup_info 0
		.amdhsa_system_vgpr_workitem_id 0
		.amdhsa_next_free_vgpr 1
		.amdhsa_next_free_sgpr 1
		.amdhsa_reserve_vcc 0
		.amdhsa_reserve_flat_scratch 0
		.amdhsa_float_round_mode_32 0
		.amdhsa_float_round_mode_16_64 0
		.amdhsa_float_denorm_mode_32 3
		.amdhsa_float_denorm_mode_16_64 3
		.amdhsa_dx10_clamp 1
		.amdhsa_ieee_mode 1
		.amdhsa_fp16_overflow 0
		.amdhsa_workgroup_processor_mode 1
		.amdhsa_memory_ordered 1
		.amdhsa_forward_progress 1
		.amdhsa_shared_vgpr_count 0
		.amdhsa_exception_fp_ieee_invalid_op 0
		.amdhsa_exception_fp_denorm_src 0
		.amdhsa_exception_fp_ieee_div_zero 0
		.amdhsa_exception_fp_ieee_overflow 0
		.amdhsa_exception_fp_ieee_underflow 0
		.amdhsa_exception_fp_ieee_inexact 0
		.amdhsa_exception_int_div_zero 0
	.end_amdhsa_kernel
	.section	.text._ZN7rocprim17ROCPRIM_400000_NS6detail17trampoline_kernelINS0_14default_configENS1_35radix_sort_onesweep_config_selectorIiNS0_10empty_typeEEEZZNS1_29radix_sort_onesweep_iterationIS3_Lb0EN6thrust23THRUST_200600_302600_NS6detail15normal_iteratorINS9_10device_ptrIiEEEESE_PS5_SF_jNS0_19identity_decomposerENS1_16block_id_wrapperIjLb0EEEEE10hipError_tT1_PNSt15iterator_traitsISK_E10value_typeET2_T3_PNSL_ISQ_E10value_typeET4_T5_PSV_SW_PNS1_23onesweep_lookback_stateEbbT6_jjT7_P12ihipStream_tbENKUlT_T0_SK_SP_E_clIPiSE_SF_SF_EEDaS13_S14_SK_SP_EUlS13_E_NS1_11comp_targetILNS1_3genE4ELNS1_11target_archE910ELNS1_3gpuE8ELNS1_3repE0EEENS1_47radix_sort_onesweep_sort_config_static_selectorELNS0_4arch9wavefront6targetE0EEEvSK_,"axG",@progbits,_ZN7rocprim17ROCPRIM_400000_NS6detail17trampoline_kernelINS0_14default_configENS1_35radix_sort_onesweep_config_selectorIiNS0_10empty_typeEEEZZNS1_29radix_sort_onesweep_iterationIS3_Lb0EN6thrust23THRUST_200600_302600_NS6detail15normal_iteratorINS9_10device_ptrIiEEEESE_PS5_SF_jNS0_19identity_decomposerENS1_16block_id_wrapperIjLb0EEEEE10hipError_tT1_PNSt15iterator_traitsISK_E10value_typeET2_T3_PNSL_ISQ_E10value_typeET4_T5_PSV_SW_PNS1_23onesweep_lookback_stateEbbT6_jjT7_P12ihipStream_tbENKUlT_T0_SK_SP_E_clIPiSE_SF_SF_EEDaS13_S14_SK_SP_EUlS13_E_NS1_11comp_targetILNS1_3genE4ELNS1_11target_archE910ELNS1_3gpuE8ELNS1_3repE0EEENS1_47radix_sort_onesweep_sort_config_static_selectorELNS0_4arch9wavefront6targetE0EEEvSK_,comdat
.Lfunc_end208:
	.size	_ZN7rocprim17ROCPRIM_400000_NS6detail17trampoline_kernelINS0_14default_configENS1_35radix_sort_onesweep_config_selectorIiNS0_10empty_typeEEEZZNS1_29radix_sort_onesweep_iterationIS3_Lb0EN6thrust23THRUST_200600_302600_NS6detail15normal_iteratorINS9_10device_ptrIiEEEESE_PS5_SF_jNS0_19identity_decomposerENS1_16block_id_wrapperIjLb0EEEEE10hipError_tT1_PNSt15iterator_traitsISK_E10value_typeET2_T3_PNSL_ISQ_E10value_typeET4_T5_PSV_SW_PNS1_23onesweep_lookback_stateEbbT6_jjT7_P12ihipStream_tbENKUlT_T0_SK_SP_E_clIPiSE_SF_SF_EEDaS13_S14_SK_SP_EUlS13_E_NS1_11comp_targetILNS1_3genE4ELNS1_11target_archE910ELNS1_3gpuE8ELNS1_3repE0EEENS1_47radix_sort_onesweep_sort_config_static_selectorELNS0_4arch9wavefront6targetE0EEEvSK_, .Lfunc_end208-_ZN7rocprim17ROCPRIM_400000_NS6detail17trampoline_kernelINS0_14default_configENS1_35radix_sort_onesweep_config_selectorIiNS0_10empty_typeEEEZZNS1_29radix_sort_onesweep_iterationIS3_Lb0EN6thrust23THRUST_200600_302600_NS6detail15normal_iteratorINS9_10device_ptrIiEEEESE_PS5_SF_jNS0_19identity_decomposerENS1_16block_id_wrapperIjLb0EEEEE10hipError_tT1_PNSt15iterator_traitsISK_E10value_typeET2_T3_PNSL_ISQ_E10value_typeET4_T5_PSV_SW_PNS1_23onesweep_lookback_stateEbbT6_jjT7_P12ihipStream_tbENKUlT_T0_SK_SP_E_clIPiSE_SF_SF_EEDaS13_S14_SK_SP_EUlS13_E_NS1_11comp_targetILNS1_3genE4ELNS1_11target_archE910ELNS1_3gpuE8ELNS1_3repE0EEENS1_47radix_sort_onesweep_sort_config_static_selectorELNS0_4arch9wavefront6targetE0EEEvSK_
                                        ; -- End function
	.set _ZN7rocprim17ROCPRIM_400000_NS6detail17trampoline_kernelINS0_14default_configENS1_35radix_sort_onesweep_config_selectorIiNS0_10empty_typeEEEZZNS1_29radix_sort_onesweep_iterationIS3_Lb0EN6thrust23THRUST_200600_302600_NS6detail15normal_iteratorINS9_10device_ptrIiEEEESE_PS5_SF_jNS0_19identity_decomposerENS1_16block_id_wrapperIjLb0EEEEE10hipError_tT1_PNSt15iterator_traitsISK_E10value_typeET2_T3_PNSL_ISQ_E10value_typeET4_T5_PSV_SW_PNS1_23onesweep_lookback_stateEbbT6_jjT7_P12ihipStream_tbENKUlT_T0_SK_SP_E_clIPiSE_SF_SF_EEDaS13_S14_SK_SP_EUlS13_E_NS1_11comp_targetILNS1_3genE4ELNS1_11target_archE910ELNS1_3gpuE8ELNS1_3repE0EEENS1_47radix_sort_onesweep_sort_config_static_selectorELNS0_4arch9wavefront6targetE0EEEvSK_.num_vgpr, 0
	.set _ZN7rocprim17ROCPRIM_400000_NS6detail17trampoline_kernelINS0_14default_configENS1_35radix_sort_onesweep_config_selectorIiNS0_10empty_typeEEEZZNS1_29radix_sort_onesweep_iterationIS3_Lb0EN6thrust23THRUST_200600_302600_NS6detail15normal_iteratorINS9_10device_ptrIiEEEESE_PS5_SF_jNS0_19identity_decomposerENS1_16block_id_wrapperIjLb0EEEEE10hipError_tT1_PNSt15iterator_traitsISK_E10value_typeET2_T3_PNSL_ISQ_E10value_typeET4_T5_PSV_SW_PNS1_23onesweep_lookback_stateEbbT6_jjT7_P12ihipStream_tbENKUlT_T0_SK_SP_E_clIPiSE_SF_SF_EEDaS13_S14_SK_SP_EUlS13_E_NS1_11comp_targetILNS1_3genE4ELNS1_11target_archE910ELNS1_3gpuE8ELNS1_3repE0EEENS1_47radix_sort_onesweep_sort_config_static_selectorELNS0_4arch9wavefront6targetE0EEEvSK_.num_agpr, 0
	.set _ZN7rocprim17ROCPRIM_400000_NS6detail17trampoline_kernelINS0_14default_configENS1_35radix_sort_onesweep_config_selectorIiNS0_10empty_typeEEEZZNS1_29radix_sort_onesweep_iterationIS3_Lb0EN6thrust23THRUST_200600_302600_NS6detail15normal_iteratorINS9_10device_ptrIiEEEESE_PS5_SF_jNS0_19identity_decomposerENS1_16block_id_wrapperIjLb0EEEEE10hipError_tT1_PNSt15iterator_traitsISK_E10value_typeET2_T3_PNSL_ISQ_E10value_typeET4_T5_PSV_SW_PNS1_23onesweep_lookback_stateEbbT6_jjT7_P12ihipStream_tbENKUlT_T0_SK_SP_E_clIPiSE_SF_SF_EEDaS13_S14_SK_SP_EUlS13_E_NS1_11comp_targetILNS1_3genE4ELNS1_11target_archE910ELNS1_3gpuE8ELNS1_3repE0EEENS1_47radix_sort_onesweep_sort_config_static_selectorELNS0_4arch9wavefront6targetE0EEEvSK_.numbered_sgpr, 0
	.set _ZN7rocprim17ROCPRIM_400000_NS6detail17trampoline_kernelINS0_14default_configENS1_35radix_sort_onesweep_config_selectorIiNS0_10empty_typeEEEZZNS1_29radix_sort_onesweep_iterationIS3_Lb0EN6thrust23THRUST_200600_302600_NS6detail15normal_iteratorINS9_10device_ptrIiEEEESE_PS5_SF_jNS0_19identity_decomposerENS1_16block_id_wrapperIjLb0EEEEE10hipError_tT1_PNSt15iterator_traitsISK_E10value_typeET2_T3_PNSL_ISQ_E10value_typeET4_T5_PSV_SW_PNS1_23onesweep_lookback_stateEbbT6_jjT7_P12ihipStream_tbENKUlT_T0_SK_SP_E_clIPiSE_SF_SF_EEDaS13_S14_SK_SP_EUlS13_E_NS1_11comp_targetILNS1_3genE4ELNS1_11target_archE910ELNS1_3gpuE8ELNS1_3repE0EEENS1_47radix_sort_onesweep_sort_config_static_selectorELNS0_4arch9wavefront6targetE0EEEvSK_.num_named_barrier, 0
	.set _ZN7rocprim17ROCPRIM_400000_NS6detail17trampoline_kernelINS0_14default_configENS1_35radix_sort_onesweep_config_selectorIiNS0_10empty_typeEEEZZNS1_29radix_sort_onesweep_iterationIS3_Lb0EN6thrust23THRUST_200600_302600_NS6detail15normal_iteratorINS9_10device_ptrIiEEEESE_PS5_SF_jNS0_19identity_decomposerENS1_16block_id_wrapperIjLb0EEEEE10hipError_tT1_PNSt15iterator_traitsISK_E10value_typeET2_T3_PNSL_ISQ_E10value_typeET4_T5_PSV_SW_PNS1_23onesweep_lookback_stateEbbT6_jjT7_P12ihipStream_tbENKUlT_T0_SK_SP_E_clIPiSE_SF_SF_EEDaS13_S14_SK_SP_EUlS13_E_NS1_11comp_targetILNS1_3genE4ELNS1_11target_archE910ELNS1_3gpuE8ELNS1_3repE0EEENS1_47radix_sort_onesweep_sort_config_static_selectorELNS0_4arch9wavefront6targetE0EEEvSK_.private_seg_size, 0
	.set _ZN7rocprim17ROCPRIM_400000_NS6detail17trampoline_kernelINS0_14default_configENS1_35radix_sort_onesweep_config_selectorIiNS0_10empty_typeEEEZZNS1_29radix_sort_onesweep_iterationIS3_Lb0EN6thrust23THRUST_200600_302600_NS6detail15normal_iteratorINS9_10device_ptrIiEEEESE_PS5_SF_jNS0_19identity_decomposerENS1_16block_id_wrapperIjLb0EEEEE10hipError_tT1_PNSt15iterator_traitsISK_E10value_typeET2_T3_PNSL_ISQ_E10value_typeET4_T5_PSV_SW_PNS1_23onesweep_lookback_stateEbbT6_jjT7_P12ihipStream_tbENKUlT_T0_SK_SP_E_clIPiSE_SF_SF_EEDaS13_S14_SK_SP_EUlS13_E_NS1_11comp_targetILNS1_3genE4ELNS1_11target_archE910ELNS1_3gpuE8ELNS1_3repE0EEENS1_47radix_sort_onesweep_sort_config_static_selectorELNS0_4arch9wavefront6targetE0EEEvSK_.uses_vcc, 0
	.set _ZN7rocprim17ROCPRIM_400000_NS6detail17trampoline_kernelINS0_14default_configENS1_35radix_sort_onesweep_config_selectorIiNS0_10empty_typeEEEZZNS1_29radix_sort_onesweep_iterationIS3_Lb0EN6thrust23THRUST_200600_302600_NS6detail15normal_iteratorINS9_10device_ptrIiEEEESE_PS5_SF_jNS0_19identity_decomposerENS1_16block_id_wrapperIjLb0EEEEE10hipError_tT1_PNSt15iterator_traitsISK_E10value_typeET2_T3_PNSL_ISQ_E10value_typeET4_T5_PSV_SW_PNS1_23onesweep_lookback_stateEbbT6_jjT7_P12ihipStream_tbENKUlT_T0_SK_SP_E_clIPiSE_SF_SF_EEDaS13_S14_SK_SP_EUlS13_E_NS1_11comp_targetILNS1_3genE4ELNS1_11target_archE910ELNS1_3gpuE8ELNS1_3repE0EEENS1_47radix_sort_onesweep_sort_config_static_selectorELNS0_4arch9wavefront6targetE0EEEvSK_.uses_flat_scratch, 0
	.set _ZN7rocprim17ROCPRIM_400000_NS6detail17trampoline_kernelINS0_14default_configENS1_35radix_sort_onesweep_config_selectorIiNS0_10empty_typeEEEZZNS1_29radix_sort_onesweep_iterationIS3_Lb0EN6thrust23THRUST_200600_302600_NS6detail15normal_iteratorINS9_10device_ptrIiEEEESE_PS5_SF_jNS0_19identity_decomposerENS1_16block_id_wrapperIjLb0EEEEE10hipError_tT1_PNSt15iterator_traitsISK_E10value_typeET2_T3_PNSL_ISQ_E10value_typeET4_T5_PSV_SW_PNS1_23onesweep_lookback_stateEbbT6_jjT7_P12ihipStream_tbENKUlT_T0_SK_SP_E_clIPiSE_SF_SF_EEDaS13_S14_SK_SP_EUlS13_E_NS1_11comp_targetILNS1_3genE4ELNS1_11target_archE910ELNS1_3gpuE8ELNS1_3repE0EEENS1_47radix_sort_onesweep_sort_config_static_selectorELNS0_4arch9wavefront6targetE0EEEvSK_.has_dyn_sized_stack, 0
	.set _ZN7rocprim17ROCPRIM_400000_NS6detail17trampoline_kernelINS0_14default_configENS1_35radix_sort_onesweep_config_selectorIiNS0_10empty_typeEEEZZNS1_29radix_sort_onesweep_iterationIS3_Lb0EN6thrust23THRUST_200600_302600_NS6detail15normal_iteratorINS9_10device_ptrIiEEEESE_PS5_SF_jNS0_19identity_decomposerENS1_16block_id_wrapperIjLb0EEEEE10hipError_tT1_PNSt15iterator_traitsISK_E10value_typeET2_T3_PNSL_ISQ_E10value_typeET4_T5_PSV_SW_PNS1_23onesweep_lookback_stateEbbT6_jjT7_P12ihipStream_tbENKUlT_T0_SK_SP_E_clIPiSE_SF_SF_EEDaS13_S14_SK_SP_EUlS13_E_NS1_11comp_targetILNS1_3genE4ELNS1_11target_archE910ELNS1_3gpuE8ELNS1_3repE0EEENS1_47radix_sort_onesweep_sort_config_static_selectorELNS0_4arch9wavefront6targetE0EEEvSK_.has_recursion, 0
	.set _ZN7rocprim17ROCPRIM_400000_NS6detail17trampoline_kernelINS0_14default_configENS1_35radix_sort_onesweep_config_selectorIiNS0_10empty_typeEEEZZNS1_29radix_sort_onesweep_iterationIS3_Lb0EN6thrust23THRUST_200600_302600_NS6detail15normal_iteratorINS9_10device_ptrIiEEEESE_PS5_SF_jNS0_19identity_decomposerENS1_16block_id_wrapperIjLb0EEEEE10hipError_tT1_PNSt15iterator_traitsISK_E10value_typeET2_T3_PNSL_ISQ_E10value_typeET4_T5_PSV_SW_PNS1_23onesweep_lookback_stateEbbT6_jjT7_P12ihipStream_tbENKUlT_T0_SK_SP_E_clIPiSE_SF_SF_EEDaS13_S14_SK_SP_EUlS13_E_NS1_11comp_targetILNS1_3genE4ELNS1_11target_archE910ELNS1_3gpuE8ELNS1_3repE0EEENS1_47radix_sort_onesweep_sort_config_static_selectorELNS0_4arch9wavefront6targetE0EEEvSK_.has_indirect_call, 0
	.section	.AMDGPU.csdata,"",@progbits
; Kernel info:
; codeLenInByte = 0
; TotalNumSgprs: 0
; NumVgprs: 0
; ScratchSize: 0
; MemoryBound: 0
; FloatMode: 240
; IeeeMode: 1
; LDSByteSize: 0 bytes/workgroup (compile time only)
; SGPRBlocks: 0
; VGPRBlocks: 0
; NumSGPRsForWavesPerEU: 1
; NumVGPRsForWavesPerEU: 1
; Occupancy: 16
; WaveLimiterHint : 0
; COMPUTE_PGM_RSRC2:SCRATCH_EN: 0
; COMPUTE_PGM_RSRC2:USER_SGPR: 6
; COMPUTE_PGM_RSRC2:TRAP_HANDLER: 0
; COMPUTE_PGM_RSRC2:TGID_X_EN: 1
; COMPUTE_PGM_RSRC2:TGID_Y_EN: 0
; COMPUTE_PGM_RSRC2:TGID_Z_EN: 0
; COMPUTE_PGM_RSRC2:TIDIG_COMP_CNT: 0
	.section	.text._ZN7rocprim17ROCPRIM_400000_NS6detail17trampoline_kernelINS0_14default_configENS1_35radix_sort_onesweep_config_selectorIiNS0_10empty_typeEEEZZNS1_29radix_sort_onesweep_iterationIS3_Lb0EN6thrust23THRUST_200600_302600_NS6detail15normal_iteratorINS9_10device_ptrIiEEEESE_PS5_SF_jNS0_19identity_decomposerENS1_16block_id_wrapperIjLb0EEEEE10hipError_tT1_PNSt15iterator_traitsISK_E10value_typeET2_T3_PNSL_ISQ_E10value_typeET4_T5_PSV_SW_PNS1_23onesweep_lookback_stateEbbT6_jjT7_P12ihipStream_tbENKUlT_T0_SK_SP_E_clIPiSE_SF_SF_EEDaS13_S14_SK_SP_EUlS13_E_NS1_11comp_targetILNS1_3genE3ELNS1_11target_archE908ELNS1_3gpuE7ELNS1_3repE0EEENS1_47radix_sort_onesweep_sort_config_static_selectorELNS0_4arch9wavefront6targetE0EEEvSK_,"axG",@progbits,_ZN7rocprim17ROCPRIM_400000_NS6detail17trampoline_kernelINS0_14default_configENS1_35radix_sort_onesweep_config_selectorIiNS0_10empty_typeEEEZZNS1_29radix_sort_onesweep_iterationIS3_Lb0EN6thrust23THRUST_200600_302600_NS6detail15normal_iteratorINS9_10device_ptrIiEEEESE_PS5_SF_jNS0_19identity_decomposerENS1_16block_id_wrapperIjLb0EEEEE10hipError_tT1_PNSt15iterator_traitsISK_E10value_typeET2_T3_PNSL_ISQ_E10value_typeET4_T5_PSV_SW_PNS1_23onesweep_lookback_stateEbbT6_jjT7_P12ihipStream_tbENKUlT_T0_SK_SP_E_clIPiSE_SF_SF_EEDaS13_S14_SK_SP_EUlS13_E_NS1_11comp_targetILNS1_3genE3ELNS1_11target_archE908ELNS1_3gpuE7ELNS1_3repE0EEENS1_47radix_sort_onesweep_sort_config_static_selectorELNS0_4arch9wavefront6targetE0EEEvSK_,comdat
	.protected	_ZN7rocprim17ROCPRIM_400000_NS6detail17trampoline_kernelINS0_14default_configENS1_35radix_sort_onesweep_config_selectorIiNS0_10empty_typeEEEZZNS1_29radix_sort_onesweep_iterationIS3_Lb0EN6thrust23THRUST_200600_302600_NS6detail15normal_iteratorINS9_10device_ptrIiEEEESE_PS5_SF_jNS0_19identity_decomposerENS1_16block_id_wrapperIjLb0EEEEE10hipError_tT1_PNSt15iterator_traitsISK_E10value_typeET2_T3_PNSL_ISQ_E10value_typeET4_T5_PSV_SW_PNS1_23onesweep_lookback_stateEbbT6_jjT7_P12ihipStream_tbENKUlT_T0_SK_SP_E_clIPiSE_SF_SF_EEDaS13_S14_SK_SP_EUlS13_E_NS1_11comp_targetILNS1_3genE3ELNS1_11target_archE908ELNS1_3gpuE7ELNS1_3repE0EEENS1_47radix_sort_onesweep_sort_config_static_selectorELNS0_4arch9wavefront6targetE0EEEvSK_ ; -- Begin function _ZN7rocprim17ROCPRIM_400000_NS6detail17trampoline_kernelINS0_14default_configENS1_35radix_sort_onesweep_config_selectorIiNS0_10empty_typeEEEZZNS1_29radix_sort_onesweep_iterationIS3_Lb0EN6thrust23THRUST_200600_302600_NS6detail15normal_iteratorINS9_10device_ptrIiEEEESE_PS5_SF_jNS0_19identity_decomposerENS1_16block_id_wrapperIjLb0EEEEE10hipError_tT1_PNSt15iterator_traitsISK_E10value_typeET2_T3_PNSL_ISQ_E10value_typeET4_T5_PSV_SW_PNS1_23onesweep_lookback_stateEbbT6_jjT7_P12ihipStream_tbENKUlT_T0_SK_SP_E_clIPiSE_SF_SF_EEDaS13_S14_SK_SP_EUlS13_E_NS1_11comp_targetILNS1_3genE3ELNS1_11target_archE908ELNS1_3gpuE7ELNS1_3repE0EEENS1_47radix_sort_onesweep_sort_config_static_selectorELNS0_4arch9wavefront6targetE0EEEvSK_
	.globl	_ZN7rocprim17ROCPRIM_400000_NS6detail17trampoline_kernelINS0_14default_configENS1_35radix_sort_onesweep_config_selectorIiNS0_10empty_typeEEEZZNS1_29radix_sort_onesweep_iterationIS3_Lb0EN6thrust23THRUST_200600_302600_NS6detail15normal_iteratorINS9_10device_ptrIiEEEESE_PS5_SF_jNS0_19identity_decomposerENS1_16block_id_wrapperIjLb0EEEEE10hipError_tT1_PNSt15iterator_traitsISK_E10value_typeET2_T3_PNSL_ISQ_E10value_typeET4_T5_PSV_SW_PNS1_23onesweep_lookback_stateEbbT6_jjT7_P12ihipStream_tbENKUlT_T0_SK_SP_E_clIPiSE_SF_SF_EEDaS13_S14_SK_SP_EUlS13_E_NS1_11comp_targetILNS1_3genE3ELNS1_11target_archE908ELNS1_3gpuE7ELNS1_3repE0EEENS1_47radix_sort_onesweep_sort_config_static_selectorELNS0_4arch9wavefront6targetE0EEEvSK_
	.p2align	8
	.type	_ZN7rocprim17ROCPRIM_400000_NS6detail17trampoline_kernelINS0_14default_configENS1_35radix_sort_onesweep_config_selectorIiNS0_10empty_typeEEEZZNS1_29radix_sort_onesweep_iterationIS3_Lb0EN6thrust23THRUST_200600_302600_NS6detail15normal_iteratorINS9_10device_ptrIiEEEESE_PS5_SF_jNS0_19identity_decomposerENS1_16block_id_wrapperIjLb0EEEEE10hipError_tT1_PNSt15iterator_traitsISK_E10value_typeET2_T3_PNSL_ISQ_E10value_typeET4_T5_PSV_SW_PNS1_23onesweep_lookback_stateEbbT6_jjT7_P12ihipStream_tbENKUlT_T0_SK_SP_E_clIPiSE_SF_SF_EEDaS13_S14_SK_SP_EUlS13_E_NS1_11comp_targetILNS1_3genE3ELNS1_11target_archE908ELNS1_3gpuE7ELNS1_3repE0EEENS1_47radix_sort_onesweep_sort_config_static_selectorELNS0_4arch9wavefront6targetE0EEEvSK_,@function
_ZN7rocprim17ROCPRIM_400000_NS6detail17trampoline_kernelINS0_14default_configENS1_35radix_sort_onesweep_config_selectorIiNS0_10empty_typeEEEZZNS1_29radix_sort_onesweep_iterationIS3_Lb0EN6thrust23THRUST_200600_302600_NS6detail15normal_iteratorINS9_10device_ptrIiEEEESE_PS5_SF_jNS0_19identity_decomposerENS1_16block_id_wrapperIjLb0EEEEE10hipError_tT1_PNSt15iterator_traitsISK_E10value_typeET2_T3_PNSL_ISQ_E10value_typeET4_T5_PSV_SW_PNS1_23onesweep_lookback_stateEbbT6_jjT7_P12ihipStream_tbENKUlT_T0_SK_SP_E_clIPiSE_SF_SF_EEDaS13_S14_SK_SP_EUlS13_E_NS1_11comp_targetILNS1_3genE3ELNS1_11target_archE908ELNS1_3gpuE7ELNS1_3repE0EEENS1_47radix_sort_onesweep_sort_config_static_selectorELNS0_4arch9wavefront6targetE0EEEvSK_: ; @_ZN7rocprim17ROCPRIM_400000_NS6detail17trampoline_kernelINS0_14default_configENS1_35radix_sort_onesweep_config_selectorIiNS0_10empty_typeEEEZZNS1_29radix_sort_onesweep_iterationIS3_Lb0EN6thrust23THRUST_200600_302600_NS6detail15normal_iteratorINS9_10device_ptrIiEEEESE_PS5_SF_jNS0_19identity_decomposerENS1_16block_id_wrapperIjLb0EEEEE10hipError_tT1_PNSt15iterator_traitsISK_E10value_typeET2_T3_PNSL_ISQ_E10value_typeET4_T5_PSV_SW_PNS1_23onesweep_lookback_stateEbbT6_jjT7_P12ihipStream_tbENKUlT_T0_SK_SP_E_clIPiSE_SF_SF_EEDaS13_S14_SK_SP_EUlS13_E_NS1_11comp_targetILNS1_3genE3ELNS1_11target_archE908ELNS1_3gpuE7ELNS1_3repE0EEENS1_47radix_sort_onesweep_sort_config_static_selectorELNS0_4arch9wavefront6targetE0EEEvSK_
; %bb.0:
	.section	.rodata,"a",@progbits
	.p2align	6, 0x0
	.amdhsa_kernel _ZN7rocprim17ROCPRIM_400000_NS6detail17trampoline_kernelINS0_14default_configENS1_35radix_sort_onesweep_config_selectorIiNS0_10empty_typeEEEZZNS1_29radix_sort_onesweep_iterationIS3_Lb0EN6thrust23THRUST_200600_302600_NS6detail15normal_iteratorINS9_10device_ptrIiEEEESE_PS5_SF_jNS0_19identity_decomposerENS1_16block_id_wrapperIjLb0EEEEE10hipError_tT1_PNSt15iterator_traitsISK_E10value_typeET2_T3_PNSL_ISQ_E10value_typeET4_T5_PSV_SW_PNS1_23onesweep_lookback_stateEbbT6_jjT7_P12ihipStream_tbENKUlT_T0_SK_SP_E_clIPiSE_SF_SF_EEDaS13_S14_SK_SP_EUlS13_E_NS1_11comp_targetILNS1_3genE3ELNS1_11target_archE908ELNS1_3gpuE7ELNS1_3repE0EEENS1_47radix_sort_onesweep_sort_config_static_selectorELNS0_4arch9wavefront6targetE0EEEvSK_
		.amdhsa_group_segment_fixed_size 0
		.amdhsa_private_segment_fixed_size 0
		.amdhsa_kernarg_size 88
		.amdhsa_user_sgpr_count 6
		.amdhsa_user_sgpr_private_segment_buffer 1
		.amdhsa_user_sgpr_dispatch_ptr 0
		.amdhsa_user_sgpr_queue_ptr 0
		.amdhsa_user_sgpr_kernarg_segment_ptr 1
		.amdhsa_user_sgpr_dispatch_id 0
		.amdhsa_user_sgpr_flat_scratch_init 0
		.amdhsa_user_sgpr_private_segment_size 0
		.amdhsa_wavefront_size32 1
		.amdhsa_uses_dynamic_stack 0
		.amdhsa_system_sgpr_private_segment_wavefront_offset 0
		.amdhsa_system_sgpr_workgroup_id_x 1
		.amdhsa_system_sgpr_workgroup_id_y 0
		.amdhsa_system_sgpr_workgroup_id_z 0
		.amdhsa_system_sgpr_workgroup_info 0
		.amdhsa_system_vgpr_workitem_id 0
		.amdhsa_next_free_vgpr 1
		.amdhsa_next_free_sgpr 1
		.amdhsa_reserve_vcc 0
		.amdhsa_reserve_flat_scratch 0
		.amdhsa_float_round_mode_32 0
		.amdhsa_float_round_mode_16_64 0
		.amdhsa_float_denorm_mode_32 3
		.amdhsa_float_denorm_mode_16_64 3
		.amdhsa_dx10_clamp 1
		.amdhsa_ieee_mode 1
		.amdhsa_fp16_overflow 0
		.amdhsa_workgroup_processor_mode 1
		.amdhsa_memory_ordered 1
		.amdhsa_forward_progress 1
		.amdhsa_shared_vgpr_count 0
		.amdhsa_exception_fp_ieee_invalid_op 0
		.amdhsa_exception_fp_denorm_src 0
		.amdhsa_exception_fp_ieee_div_zero 0
		.amdhsa_exception_fp_ieee_overflow 0
		.amdhsa_exception_fp_ieee_underflow 0
		.amdhsa_exception_fp_ieee_inexact 0
		.amdhsa_exception_int_div_zero 0
	.end_amdhsa_kernel
	.section	.text._ZN7rocprim17ROCPRIM_400000_NS6detail17trampoline_kernelINS0_14default_configENS1_35radix_sort_onesweep_config_selectorIiNS0_10empty_typeEEEZZNS1_29radix_sort_onesweep_iterationIS3_Lb0EN6thrust23THRUST_200600_302600_NS6detail15normal_iteratorINS9_10device_ptrIiEEEESE_PS5_SF_jNS0_19identity_decomposerENS1_16block_id_wrapperIjLb0EEEEE10hipError_tT1_PNSt15iterator_traitsISK_E10value_typeET2_T3_PNSL_ISQ_E10value_typeET4_T5_PSV_SW_PNS1_23onesweep_lookback_stateEbbT6_jjT7_P12ihipStream_tbENKUlT_T0_SK_SP_E_clIPiSE_SF_SF_EEDaS13_S14_SK_SP_EUlS13_E_NS1_11comp_targetILNS1_3genE3ELNS1_11target_archE908ELNS1_3gpuE7ELNS1_3repE0EEENS1_47radix_sort_onesweep_sort_config_static_selectorELNS0_4arch9wavefront6targetE0EEEvSK_,"axG",@progbits,_ZN7rocprim17ROCPRIM_400000_NS6detail17trampoline_kernelINS0_14default_configENS1_35radix_sort_onesweep_config_selectorIiNS0_10empty_typeEEEZZNS1_29radix_sort_onesweep_iterationIS3_Lb0EN6thrust23THRUST_200600_302600_NS6detail15normal_iteratorINS9_10device_ptrIiEEEESE_PS5_SF_jNS0_19identity_decomposerENS1_16block_id_wrapperIjLb0EEEEE10hipError_tT1_PNSt15iterator_traitsISK_E10value_typeET2_T3_PNSL_ISQ_E10value_typeET4_T5_PSV_SW_PNS1_23onesweep_lookback_stateEbbT6_jjT7_P12ihipStream_tbENKUlT_T0_SK_SP_E_clIPiSE_SF_SF_EEDaS13_S14_SK_SP_EUlS13_E_NS1_11comp_targetILNS1_3genE3ELNS1_11target_archE908ELNS1_3gpuE7ELNS1_3repE0EEENS1_47radix_sort_onesweep_sort_config_static_selectorELNS0_4arch9wavefront6targetE0EEEvSK_,comdat
.Lfunc_end209:
	.size	_ZN7rocprim17ROCPRIM_400000_NS6detail17trampoline_kernelINS0_14default_configENS1_35radix_sort_onesweep_config_selectorIiNS0_10empty_typeEEEZZNS1_29radix_sort_onesweep_iterationIS3_Lb0EN6thrust23THRUST_200600_302600_NS6detail15normal_iteratorINS9_10device_ptrIiEEEESE_PS5_SF_jNS0_19identity_decomposerENS1_16block_id_wrapperIjLb0EEEEE10hipError_tT1_PNSt15iterator_traitsISK_E10value_typeET2_T3_PNSL_ISQ_E10value_typeET4_T5_PSV_SW_PNS1_23onesweep_lookback_stateEbbT6_jjT7_P12ihipStream_tbENKUlT_T0_SK_SP_E_clIPiSE_SF_SF_EEDaS13_S14_SK_SP_EUlS13_E_NS1_11comp_targetILNS1_3genE3ELNS1_11target_archE908ELNS1_3gpuE7ELNS1_3repE0EEENS1_47radix_sort_onesweep_sort_config_static_selectorELNS0_4arch9wavefront6targetE0EEEvSK_, .Lfunc_end209-_ZN7rocprim17ROCPRIM_400000_NS6detail17trampoline_kernelINS0_14default_configENS1_35radix_sort_onesweep_config_selectorIiNS0_10empty_typeEEEZZNS1_29radix_sort_onesweep_iterationIS3_Lb0EN6thrust23THRUST_200600_302600_NS6detail15normal_iteratorINS9_10device_ptrIiEEEESE_PS5_SF_jNS0_19identity_decomposerENS1_16block_id_wrapperIjLb0EEEEE10hipError_tT1_PNSt15iterator_traitsISK_E10value_typeET2_T3_PNSL_ISQ_E10value_typeET4_T5_PSV_SW_PNS1_23onesweep_lookback_stateEbbT6_jjT7_P12ihipStream_tbENKUlT_T0_SK_SP_E_clIPiSE_SF_SF_EEDaS13_S14_SK_SP_EUlS13_E_NS1_11comp_targetILNS1_3genE3ELNS1_11target_archE908ELNS1_3gpuE7ELNS1_3repE0EEENS1_47radix_sort_onesweep_sort_config_static_selectorELNS0_4arch9wavefront6targetE0EEEvSK_
                                        ; -- End function
	.set _ZN7rocprim17ROCPRIM_400000_NS6detail17trampoline_kernelINS0_14default_configENS1_35radix_sort_onesweep_config_selectorIiNS0_10empty_typeEEEZZNS1_29radix_sort_onesweep_iterationIS3_Lb0EN6thrust23THRUST_200600_302600_NS6detail15normal_iteratorINS9_10device_ptrIiEEEESE_PS5_SF_jNS0_19identity_decomposerENS1_16block_id_wrapperIjLb0EEEEE10hipError_tT1_PNSt15iterator_traitsISK_E10value_typeET2_T3_PNSL_ISQ_E10value_typeET4_T5_PSV_SW_PNS1_23onesweep_lookback_stateEbbT6_jjT7_P12ihipStream_tbENKUlT_T0_SK_SP_E_clIPiSE_SF_SF_EEDaS13_S14_SK_SP_EUlS13_E_NS1_11comp_targetILNS1_3genE3ELNS1_11target_archE908ELNS1_3gpuE7ELNS1_3repE0EEENS1_47radix_sort_onesweep_sort_config_static_selectorELNS0_4arch9wavefront6targetE0EEEvSK_.num_vgpr, 0
	.set _ZN7rocprim17ROCPRIM_400000_NS6detail17trampoline_kernelINS0_14default_configENS1_35radix_sort_onesweep_config_selectorIiNS0_10empty_typeEEEZZNS1_29radix_sort_onesweep_iterationIS3_Lb0EN6thrust23THRUST_200600_302600_NS6detail15normal_iteratorINS9_10device_ptrIiEEEESE_PS5_SF_jNS0_19identity_decomposerENS1_16block_id_wrapperIjLb0EEEEE10hipError_tT1_PNSt15iterator_traitsISK_E10value_typeET2_T3_PNSL_ISQ_E10value_typeET4_T5_PSV_SW_PNS1_23onesweep_lookback_stateEbbT6_jjT7_P12ihipStream_tbENKUlT_T0_SK_SP_E_clIPiSE_SF_SF_EEDaS13_S14_SK_SP_EUlS13_E_NS1_11comp_targetILNS1_3genE3ELNS1_11target_archE908ELNS1_3gpuE7ELNS1_3repE0EEENS1_47radix_sort_onesweep_sort_config_static_selectorELNS0_4arch9wavefront6targetE0EEEvSK_.num_agpr, 0
	.set _ZN7rocprim17ROCPRIM_400000_NS6detail17trampoline_kernelINS0_14default_configENS1_35radix_sort_onesweep_config_selectorIiNS0_10empty_typeEEEZZNS1_29radix_sort_onesweep_iterationIS3_Lb0EN6thrust23THRUST_200600_302600_NS6detail15normal_iteratorINS9_10device_ptrIiEEEESE_PS5_SF_jNS0_19identity_decomposerENS1_16block_id_wrapperIjLb0EEEEE10hipError_tT1_PNSt15iterator_traitsISK_E10value_typeET2_T3_PNSL_ISQ_E10value_typeET4_T5_PSV_SW_PNS1_23onesweep_lookback_stateEbbT6_jjT7_P12ihipStream_tbENKUlT_T0_SK_SP_E_clIPiSE_SF_SF_EEDaS13_S14_SK_SP_EUlS13_E_NS1_11comp_targetILNS1_3genE3ELNS1_11target_archE908ELNS1_3gpuE7ELNS1_3repE0EEENS1_47radix_sort_onesweep_sort_config_static_selectorELNS0_4arch9wavefront6targetE0EEEvSK_.numbered_sgpr, 0
	.set _ZN7rocprim17ROCPRIM_400000_NS6detail17trampoline_kernelINS0_14default_configENS1_35radix_sort_onesweep_config_selectorIiNS0_10empty_typeEEEZZNS1_29radix_sort_onesweep_iterationIS3_Lb0EN6thrust23THRUST_200600_302600_NS6detail15normal_iteratorINS9_10device_ptrIiEEEESE_PS5_SF_jNS0_19identity_decomposerENS1_16block_id_wrapperIjLb0EEEEE10hipError_tT1_PNSt15iterator_traitsISK_E10value_typeET2_T3_PNSL_ISQ_E10value_typeET4_T5_PSV_SW_PNS1_23onesweep_lookback_stateEbbT6_jjT7_P12ihipStream_tbENKUlT_T0_SK_SP_E_clIPiSE_SF_SF_EEDaS13_S14_SK_SP_EUlS13_E_NS1_11comp_targetILNS1_3genE3ELNS1_11target_archE908ELNS1_3gpuE7ELNS1_3repE0EEENS1_47radix_sort_onesweep_sort_config_static_selectorELNS0_4arch9wavefront6targetE0EEEvSK_.num_named_barrier, 0
	.set _ZN7rocprim17ROCPRIM_400000_NS6detail17trampoline_kernelINS0_14default_configENS1_35radix_sort_onesweep_config_selectorIiNS0_10empty_typeEEEZZNS1_29radix_sort_onesweep_iterationIS3_Lb0EN6thrust23THRUST_200600_302600_NS6detail15normal_iteratorINS9_10device_ptrIiEEEESE_PS5_SF_jNS0_19identity_decomposerENS1_16block_id_wrapperIjLb0EEEEE10hipError_tT1_PNSt15iterator_traitsISK_E10value_typeET2_T3_PNSL_ISQ_E10value_typeET4_T5_PSV_SW_PNS1_23onesweep_lookback_stateEbbT6_jjT7_P12ihipStream_tbENKUlT_T0_SK_SP_E_clIPiSE_SF_SF_EEDaS13_S14_SK_SP_EUlS13_E_NS1_11comp_targetILNS1_3genE3ELNS1_11target_archE908ELNS1_3gpuE7ELNS1_3repE0EEENS1_47radix_sort_onesweep_sort_config_static_selectorELNS0_4arch9wavefront6targetE0EEEvSK_.private_seg_size, 0
	.set _ZN7rocprim17ROCPRIM_400000_NS6detail17trampoline_kernelINS0_14default_configENS1_35radix_sort_onesweep_config_selectorIiNS0_10empty_typeEEEZZNS1_29radix_sort_onesweep_iterationIS3_Lb0EN6thrust23THRUST_200600_302600_NS6detail15normal_iteratorINS9_10device_ptrIiEEEESE_PS5_SF_jNS0_19identity_decomposerENS1_16block_id_wrapperIjLb0EEEEE10hipError_tT1_PNSt15iterator_traitsISK_E10value_typeET2_T3_PNSL_ISQ_E10value_typeET4_T5_PSV_SW_PNS1_23onesweep_lookback_stateEbbT6_jjT7_P12ihipStream_tbENKUlT_T0_SK_SP_E_clIPiSE_SF_SF_EEDaS13_S14_SK_SP_EUlS13_E_NS1_11comp_targetILNS1_3genE3ELNS1_11target_archE908ELNS1_3gpuE7ELNS1_3repE0EEENS1_47radix_sort_onesweep_sort_config_static_selectorELNS0_4arch9wavefront6targetE0EEEvSK_.uses_vcc, 0
	.set _ZN7rocprim17ROCPRIM_400000_NS6detail17trampoline_kernelINS0_14default_configENS1_35radix_sort_onesweep_config_selectorIiNS0_10empty_typeEEEZZNS1_29radix_sort_onesweep_iterationIS3_Lb0EN6thrust23THRUST_200600_302600_NS6detail15normal_iteratorINS9_10device_ptrIiEEEESE_PS5_SF_jNS0_19identity_decomposerENS1_16block_id_wrapperIjLb0EEEEE10hipError_tT1_PNSt15iterator_traitsISK_E10value_typeET2_T3_PNSL_ISQ_E10value_typeET4_T5_PSV_SW_PNS1_23onesweep_lookback_stateEbbT6_jjT7_P12ihipStream_tbENKUlT_T0_SK_SP_E_clIPiSE_SF_SF_EEDaS13_S14_SK_SP_EUlS13_E_NS1_11comp_targetILNS1_3genE3ELNS1_11target_archE908ELNS1_3gpuE7ELNS1_3repE0EEENS1_47radix_sort_onesweep_sort_config_static_selectorELNS0_4arch9wavefront6targetE0EEEvSK_.uses_flat_scratch, 0
	.set _ZN7rocprim17ROCPRIM_400000_NS6detail17trampoline_kernelINS0_14default_configENS1_35radix_sort_onesweep_config_selectorIiNS0_10empty_typeEEEZZNS1_29radix_sort_onesweep_iterationIS3_Lb0EN6thrust23THRUST_200600_302600_NS6detail15normal_iteratorINS9_10device_ptrIiEEEESE_PS5_SF_jNS0_19identity_decomposerENS1_16block_id_wrapperIjLb0EEEEE10hipError_tT1_PNSt15iterator_traitsISK_E10value_typeET2_T3_PNSL_ISQ_E10value_typeET4_T5_PSV_SW_PNS1_23onesweep_lookback_stateEbbT6_jjT7_P12ihipStream_tbENKUlT_T0_SK_SP_E_clIPiSE_SF_SF_EEDaS13_S14_SK_SP_EUlS13_E_NS1_11comp_targetILNS1_3genE3ELNS1_11target_archE908ELNS1_3gpuE7ELNS1_3repE0EEENS1_47radix_sort_onesweep_sort_config_static_selectorELNS0_4arch9wavefront6targetE0EEEvSK_.has_dyn_sized_stack, 0
	.set _ZN7rocprim17ROCPRIM_400000_NS6detail17trampoline_kernelINS0_14default_configENS1_35radix_sort_onesweep_config_selectorIiNS0_10empty_typeEEEZZNS1_29radix_sort_onesweep_iterationIS3_Lb0EN6thrust23THRUST_200600_302600_NS6detail15normal_iteratorINS9_10device_ptrIiEEEESE_PS5_SF_jNS0_19identity_decomposerENS1_16block_id_wrapperIjLb0EEEEE10hipError_tT1_PNSt15iterator_traitsISK_E10value_typeET2_T3_PNSL_ISQ_E10value_typeET4_T5_PSV_SW_PNS1_23onesweep_lookback_stateEbbT6_jjT7_P12ihipStream_tbENKUlT_T0_SK_SP_E_clIPiSE_SF_SF_EEDaS13_S14_SK_SP_EUlS13_E_NS1_11comp_targetILNS1_3genE3ELNS1_11target_archE908ELNS1_3gpuE7ELNS1_3repE0EEENS1_47radix_sort_onesweep_sort_config_static_selectorELNS0_4arch9wavefront6targetE0EEEvSK_.has_recursion, 0
	.set _ZN7rocprim17ROCPRIM_400000_NS6detail17trampoline_kernelINS0_14default_configENS1_35radix_sort_onesweep_config_selectorIiNS0_10empty_typeEEEZZNS1_29radix_sort_onesweep_iterationIS3_Lb0EN6thrust23THRUST_200600_302600_NS6detail15normal_iteratorINS9_10device_ptrIiEEEESE_PS5_SF_jNS0_19identity_decomposerENS1_16block_id_wrapperIjLb0EEEEE10hipError_tT1_PNSt15iterator_traitsISK_E10value_typeET2_T3_PNSL_ISQ_E10value_typeET4_T5_PSV_SW_PNS1_23onesweep_lookback_stateEbbT6_jjT7_P12ihipStream_tbENKUlT_T0_SK_SP_E_clIPiSE_SF_SF_EEDaS13_S14_SK_SP_EUlS13_E_NS1_11comp_targetILNS1_3genE3ELNS1_11target_archE908ELNS1_3gpuE7ELNS1_3repE0EEENS1_47radix_sort_onesweep_sort_config_static_selectorELNS0_4arch9wavefront6targetE0EEEvSK_.has_indirect_call, 0
	.section	.AMDGPU.csdata,"",@progbits
; Kernel info:
; codeLenInByte = 0
; TotalNumSgprs: 0
; NumVgprs: 0
; ScratchSize: 0
; MemoryBound: 0
; FloatMode: 240
; IeeeMode: 1
; LDSByteSize: 0 bytes/workgroup (compile time only)
; SGPRBlocks: 0
; VGPRBlocks: 0
; NumSGPRsForWavesPerEU: 1
; NumVGPRsForWavesPerEU: 1
; Occupancy: 16
; WaveLimiterHint : 0
; COMPUTE_PGM_RSRC2:SCRATCH_EN: 0
; COMPUTE_PGM_RSRC2:USER_SGPR: 6
; COMPUTE_PGM_RSRC2:TRAP_HANDLER: 0
; COMPUTE_PGM_RSRC2:TGID_X_EN: 1
; COMPUTE_PGM_RSRC2:TGID_Y_EN: 0
; COMPUTE_PGM_RSRC2:TGID_Z_EN: 0
; COMPUTE_PGM_RSRC2:TIDIG_COMP_CNT: 0
	.section	.text._ZN7rocprim17ROCPRIM_400000_NS6detail17trampoline_kernelINS0_14default_configENS1_35radix_sort_onesweep_config_selectorIiNS0_10empty_typeEEEZZNS1_29radix_sort_onesweep_iterationIS3_Lb0EN6thrust23THRUST_200600_302600_NS6detail15normal_iteratorINS9_10device_ptrIiEEEESE_PS5_SF_jNS0_19identity_decomposerENS1_16block_id_wrapperIjLb0EEEEE10hipError_tT1_PNSt15iterator_traitsISK_E10value_typeET2_T3_PNSL_ISQ_E10value_typeET4_T5_PSV_SW_PNS1_23onesweep_lookback_stateEbbT6_jjT7_P12ihipStream_tbENKUlT_T0_SK_SP_E_clIPiSE_SF_SF_EEDaS13_S14_SK_SP_EUlS13_E_NS1_11comp_targetILNS1_3genE10ELNS1_11target_archE1201ELNS1_3gpuE5ELNS1_3repE0EEENS1_47radix_sort_onesweep_sort_config_static_selectorELNS0_4arch9wavefront6targetE0EEEvSK_,"axG",@progbits,_ZN7rocprim17ROCPRIM_400000_NS6detail17trampoline_kernelINS0_14default_configENS1_35radix_sort_onesweep_config_selectorIiNS0_10empty_typeEEEZZNS1_29radix_sort_onesweep_iterationIS3_Lb0EN6thrust23THRUST_200600_302600_NS6detail15normal_iteratorINS9_10device_ptrIiEEEESE_PS5_SF_jNS0_19identity_decomposerENS1_16block_id_wrapperIjLb0EEEEE10hipError_tT1_PNSt15iterator_traitsISK_E10value_typeET2_T3_PNSL_ISQ_E10value_typeET4_T5_PSV_SW_PNS1_23onesweep_lookback_stateEbbT6_jjT7_P12ihipStream_tbENKUlT_T0_SK_SP_E_clIPiSE_SF_SF_EEDaS13_S14_SK_SP_EUlS13_E_NS1_11comp_targetILNS1_3genE10ELNS1_11target_archE1201ELNS1_3gpuE5ELNS1_3repE0EEENS1_47radix_sort_onesweep_sort_config_static_selectorELNS0_4arch9wavefront6targetE0EEEvSK_,comdat
	.protected	_ZN7rocprim17ROCPRIM_400000_NS6detail17trampoline_kernelINS0_14default_configENS1_35radix_sort_onesweep_config_selectorIiNS0_10empty_typeEEEZZNS1_29radix_sort_onesweep_iterationIS3_Lb0EN6thrust23THRUST_200600_302600_NS6detail15normal_iteratorINS9_10device_ptrIiEEEESE_PS5_SF_jNS0_19identity_decomposerENS1_16block_id_wrapperIjLb0EEEEE10hipError_tT1_PNSt15iterator_traitsISK_E10value_typeET2_T3_PNSL_ISQ_E10value_typeET4_T5_PSV_SW_PNS1_23onesweep_lookback_stateEbbT6_jjT7_P12ihipStream_tbENKUlT_T0_SK_SP_E_clIPiSE_SF_SF_EEDaS13_S14_SK_SP_EUlS13_E_NS1_11comp_targetILNS1_3genE10ELNS1_11target_archE1201ELNS1_3gpuE5ELNS1_3repE0EEENS1_47radix_sort_onesweep_sort_config_static_selectorELNS0_4arch9wavefront6targetE0EEEvSK_ ; -- Begin function _ZN7rocprim17ROCPRIM_400000_NS6detail17trampoline_kernelINS0_14default_configENS1_35radix_sort_onesweep_config_selectorIiNS0_10empty_typeEEEZZNS1_29radix_sort_onesweep_iterationIS3_Lb0EN6thrust23THRUST_200600_302600_NS6detail15normal_iteratorINS9_10device_ptrIiEEEESE_PS5_SF_jNS0_19identity_decomposerENS1_16block_id_wrapperIjLb0EEEEE10hipError_tT1_PNSt15iterator_traitsISK_E10value_typeET2_T3_PNSL_ISQ_E10value_typeET4_T5_PSV_SW_PNS1_23onesweep_lookback_stateEbbT6_jjT7_P12ihipStream_tbENKUlT_T0_SK_SP_E_clIPiSE_SF_SF_EEDaS13_S14_SK_SP_EUlS13_E_NS1_11comp_targetILNS1_3genE10ELNS1_11target_archE1201ELNS1_3gpuE5ELNS1_3repE0EEENS1_47radix_sort_onesweep_sort_config_static_selectorELNS0_4arch9wavefront6targetE0EEEvSK_
	.globl	_ZN7rocprim17ROCPRIM_400000_NS6detail17trampoline_kernelINS0_14default_configENS1_35radix_sort_onesweep_config_selectorIiNS0_10empty_typeEEEZZNS1_29radix_sort_onesweep_iterationIS3_Lb0EN6thrust23THRUST_200600_302600_NS6detail15normal_iteratorINS9_10device_ptrIiEEEESE_PS5_SF_jNS0_19identity_decomposerENS1_16block_id_wrapperIjLb0EEEEE10hipError_tT1_PNSt15iterator_traitsISK_E10value_typeET2_T3_PNSL_ISQ_E10value_typeET4_T5_PSV_SW_PNS1_23onesweep_lookback_stateEbbT6_jjT7_P12ihipStream_tbENKUlT_T0_SK_SP_E_clIPiSE_SF_SF_EEDaS13_S14_SK_SP_EUlS13_E_NS1_11comp_targetILNS1_3genE10ELNS1_11target_archE1201ELNS1_3gpuE5ELNS1_3repE0EEENS1_47radix_sort_onesweep_sort_config_static_selectorELNS0_4arch9wavefront6targetE0EEEvSK_
	.p2align	8
	.type	_ZN7rocprim17ROCPRIM_400000_NS6detail17trampoline_kernelINS0_14default_configENS1_35radix_sort_onesweep_config_selectorIiNS0_10empty_typeEEEZZNS1_29radix_sort_onesweep_iterationIS3_Lb0EN6thrust23THRUST_200600_302600_NS6detail15normal_iteratorINS9_10device_ptrIiEEEESE_PS5_SF_jNS0_19identity_decomposerENS1_16block_id_wrapperIjLb0EEEEE10hipError_tT1_PNSt15iterator_traitsISK_E10value_typeET2_T3_PNSL_ISQ_E10value_typeET4_T5_PSV_SW_PNS1_23onesweep_lookback_stateEbbT6_jjT7_P12ihipStream_tbENKUlT_T0_SK_SP_E_clIPiSE_SF_SF_EEDaS13_S14_SK_SP_EUlS13_E_NS1_11comp_targetILNS1_3genE10ELNS1_11target_archE1201ELNS1_3gpuE5ELNS1_3repE0EEENS1_47radix_sort_onesweep_sort_config_static_selectorELNS0_4arch9wavefront6targetE0EEEvSK_,@function
_ZN7rocprim17ROCPRIM_400000_NS6detail17trampoline_kernelINS0_14default_configENS1_35radix_sort_onesweep_config_selectorIiNS0_10empty_typeEEEZZNS1_29radix_sort_onesweep_iterationIS3_Lb0EN6thrust23THRUST_200600_302600_NS6detail15normal_iteratorINS9_10device_ptrIiEEEESE_PS5_SF_jNS0_19identity_decomposerENS1_16block_id_wrapperIjLb0EEEEE10hipError_tT1_PNSt15iterator_traitsISK_E10value_typeET2_T3_PNSL_ISQ_E10value_typeET4_T5_PSV_SW_PNS1_23onesweep_lookback_stateEbbT6_jjT7_P12ihipStream_tbENKUlT_T0_SK_SP_E_clIPiSE_SF_SF_EEDaS13_S14_SK_SP_EUlS13_E_NS1_11comp_targetILNS1_3genE10ELNS1_11target_archE1201ELNS1_3gpuE5ELNS1_3repE0EEENS1_47radix_sort_onesweep_sort_config_static_selectorELNS0_4arch9wavefront6targetE0EEEvSK_: ; @_ZN7rocprim17ROCPRIM_400000_NS6detail17trampoline_kernelINS0_14default_configENS1_35radix_sort_onesweep_config_selectorIiNS0_10empty_typeEEEZZNS1_29radix_sort_onesweep_iterationIS3_Lb0EN6thrust23THRUST_200600_302600_NS6detail15normal_iteratorINS9_10device_ptrIiEEEESE_PS5_SF_jNS0_19identity_decomposerENS1_16block_id_wrapperIjLb0EEEEE10hipError_tT1_PNSt15iterator_traitsISK_E10value_typeET2_T3_PNSL_ISQ_E10value_typeET4_T5_PSV_SW_PNS1_23onesweep_lookback_stateEbbT6_jjT7_P12ihipStream_tbENKUlT_T0_SK_SP_E_clIPiSE_SF_SF_EEDaS13_S14_SK_SP_EUlS13_E_NS1_11comp_targetILNS1_3genE10ELNS1_11target_archE1201ELNS1_3gpuE5ELNS1_3repE0EEENS1_47radix_sort_onesweep_sort_config_static_selectorELNS0_4arch9wavefront6targetE0EEEvSK_
; %bb.0:
	.section	.rodata,"a",@progbits
	.p2align	6, 0x0
	.amdhsa_kernel _ZN7rocprim17ROCPRIM_400000_NS6detail17trampoline_kernelINS0_14default_configENS1_35radix_sort_onesweep_config_selectorIiNS0_10empty_typeEEEZZNS1_29radix_sort_onesweep_iterationIS3_Lb0EN6thrust23THRUST_200600_302600_NS6detail15normal_iteratorINS9_10device_ptrIiEEEESE_PS5_SF_jNS0_19identity_decomposerENS1_16block_id_wrapperIjLb0EEEEE10hipError_tT1_PNSt15iterator_traitsISK_E10value_typeET2_T3_PNSL_ISQ_E10value_typeET4_T5_PSV_SW_PNS1_23onesweep_lookback_stateEbbT6_jjT7_P12ihipStream_tbENKUlT_T0_SK_SP_E_clIPiSE_SF_SF_EEDaS13_S14_SK_SP_EUlS13_E_NS1_11comp_targetILNS1_3genE10ELNS1_11target_archE1201ELNS1_3gpuE5ELNS1_3repE0EEENS1_47radix_sort_onesweep_sort_config_static_selectorELNS0_4arch9wavefront6targetE0EEEvSK_
		.amdhsa_group_segment_fixed_size 0
		.amdhsa_private_segment_fixed_size 0
		.amdhsa_kernarg_size 88
		.amdhsa_user_sgpr_count 6
		.amdhsa_user_sgpr_private_segment_buffer 1
		.amdhsa_user_sgpr_dispatch_ptr 0
		.amdhsa_user_sgpr_queue_ptr 0
		.amdhsa_user_sgpr_kernarg_segment_ptr 1
		.amdhsa_user_sgpr_dispatch_id 0
		.amdhsa_user_sgpr_flat_scratch_init 0
		.amdhsa_user_sgpr_private_segment_size 0
		.amdhsa_wavefront_size32 1
		.amdhsa_uses_dynamic_stack 0
		.amdhsa_system_sgpr_private_segment_wavefront_offset 0
		.amdhsa_system_sgpr_workgroup_id_x 1
		.amdhsa_system_sgpr_workgroup_id_y 0
		.amdhsa_system_sgpr_workgroup_id_z 0
		.amdhsa_system_sgpr_workgroup_info 0
		.amdhsa_system_vgpr_workitem_id 0
		.amdhsa_next_free_vgpr 1
		.amdhsa_next_free_sgpr 1
		.amdhsa_reserve_vcc 0
		.amdhsa_reserve_flat_scratch 0
		.amdhsa_float_round_mode_32 0
		.amdhsa_float_round_mode_16_64 0
		.amdhsa_float_denorm_mode_32 3
		.amdhsa_float_denorm_mode_16_64 3
		.amdhsa_dx10_clamp 1
		.amdhsa_ieee_mode 1
		.amdhsa_fp16_overflow 0
		.amdhsa_workgroup_processor_mode 1
		.amdhsa_memory_ordered 1
		.amdhsa_forward_progress 1
		.amdhsa_shared_vgpr_count 0
		.amdhsa_exception_fp_ieee_invalid_op 0
		.amdhsa_exception_fp_denorm_src 0
		.amdhsa_exception_fp_ieee_div_zero 0
		.amdhsa_exception_fp_ieee_overflow 0
		.amdhsa_exception_fp_ieee_underflow 0
		.amdhsa_exception_fp_ieee_inexact 0
		.amdhsa_exception_int_div_zero 0
	.end_amdhsa_kernel
	.section	.text._ZN7rocprim17ROCPRIM_400000_NS6detail17trampoline_kernelINS0_14default_configENS1_35radix_sort_onesweep_config_selectorIiNS0_10empty_typeEEEZZNS1_29radix_sort_onesweep_iterationIS3_Lb0EN6thrust23THRUST_200600_302600_NS6detail15normal_iteratorINS9_10device_ptrIiEEEESE_PS5_SF_jNS0_19identity_decomposerENS1_16block_id_wrapperIjLb0EEEEE10hipError_tT1_PNSt15iterator_traitsISK_E10value_typeET2_T3_PNSL_ISQ_E10value_typeET4_T5_PSV_SW_PNS1_23onesweep_lookback_stateEbbT6_jjT7_P12ihipStream_tbENKUlT_T0_SK_SP_E_clIPiSE_SF_SF_EEDaS13_S14_SK_SP_EUlS13_E_NS1_11comp_targetILNS1_3genE10ELNS1_11target_archE1201ELNS1_3gpuE5ELNS1_3repE0EEENS1_47radix_sort_onesweep_sort_config_static_selectorELNS0_4arch9wavefront6targetE0EEEvSK_,"axG",@progbits,_ZN7rocprim17ROCPRIM_400000_NS6detail17trampoline_kernelINS0_14default_configENS1_35radix_sort_onesweep_config_selectorIiNS0_10empty_typeEEEZZNS1_29radix_sort_onesweep_iterationIS3_Lb0EN6thrust23THRUST_200600_302600_NS6detail15normal_iteratorINS9_10device_ptrIiEEEESE_PS5_SF_jNS0_19identity_decomposerENS1_16block_id_wrapperIjLb0EEEEE10hipError_tT1_PNSt15iterator_traitsISK_E10value_typeET2_T3_PNSL_ISQ_E10value_typeET4_T5_PSV_SW_PNS1_23onesweep_lookback_stateEbbT6_jjT7_P12ihipStream_tbENKUlT_T0_SK_SP_E_clIPiSE_SF_SF_EEDaS13_S14_SK_SP_EUlS13_E_NS1_11comp_targetILNS1_3genE10ELNS1_11target_archE1201ELNS1_3gpuE5ELNS1_3repE0EEENS1_47radix_sort_onesweep_sort_config_static_selectorELNS0_4arch9wavefront6targetE0EEEvSK_,comdat
.Lfunc_end210:
	.size	_ZN7rocprim17ROCPRIM_400000_NS6detail17trampoline_kernelINS0_14default_configENS1_35radix_sort_onesweep_config_selectorIiNS0_10empty_typeEEEZZNS1_29radix_sort_onesweep_iterationIS3_Lb0EN6thrust23THRUST_200600_302600_NS6detail15normal_iteratorINS9_10device_ptrIiEEEESE_PS5_SF_jNS0_19identity_decomposerENS1_16block_id_wrapperIjLb0EEEEE10hipError_tT1_PNSt15iterator_traitsISK_E10value_typeET2_T3_PNSL_ISQ_E10value_typeET4_T5_PSV_SW_PNS1_23onesweep_lookback_stateEbbT6_jjT7_P12ihipStream_tbENKUlT_T0_SK_SP_E_clIPiSE_SF_SF_EEDaS13_S14_SK_SP_EUlS13_E_NS1_11comp_targetILNS1_3genE10ELNS1_11target_archE1201ELNS1_3gpuE5ELNS1_3repE0EEENS1_47radix_sort_onesweep_sort_config_static_selectorELNS0_4arch9wavefront6targetE0EEEvSK_, .Lfunc_end210-_ZN7rocprim17ROCPRIM_400000_NS6detail17trampoline_kernelINS0_14default_configENS1_35radix_sort_onesweep_config_selectorIiNS0_10empty_typeEEEZZNS1_29radix_sort_onesweep_iterationIS3_Lb0EN6thrust23THRUST_200600_302600_NS6detail15normal_iteratorINS9_10device_ptrIiEEEESE_PS5_SF_jNS0_19identity_decomposerENS1_16block_id_wrapperIjLb0EEEEE10hipError_tT1_PNSt15iterator_traitsISK_E10value_typeET2_T3_PNSL_ISQ_E10value_typeET4_T5_PSV_SW_PNS1_23onesweep_lookback_stateEbbT6_jjT7_P12ihipStream_tbENKUlT_T0_SK_SP_E_clIPiSE_SF_SF_EEDaS13_S14_SK_SP_EUlS13_E_NS1_11comp_targetILNS1_3genE10ELNS1_11target_archE1201ELNS1_3gpuE5ELNS1_3repE0EEENS1_47radix_sort_onesweep_sort_config_static_selectorELNS0_4arch9wavefront6targetE0EEEvSK_
                                        ; -- End function
	.set _ZN7rocprim17ROCPRIM_400000_NS6detail17trampoline_kernelINS0_14default_configENS1_35radix_sort_onesweep_config_selectorIiNS0_10empty_typeEEEZZNS1_29radix_sort_onesweep_iterationIS3_Lb0EN6thrust23THRUST_200600_302600_NS6detail15normal_iteratorINS9_10device_ptrIiEEEESE_PS5_SF_jNS0_19identity_decomposerENS1_16block_id_wrapperIjLb0EEEEE10hipError_tT1_PNSt15iterator_traitsISK_E10value_typeET2_T3_PNSL_ISQ_E10value_typeET4_T5_PSV_SW_PNS1_23onesweep_lookback_stateEbbT6_jjT7_P12ihipStream_tbENKUlT_T0_SK_SP_E_clIPiSE_SF_SF_EEDaS13_S14_SK_SP_EUlS13_E_NS1_11comp_targetILNS1_3genE10ELNS1_11target_archE1201ELNS1_3gpuE5ELNS1_3repE0EEENS1_47radix_sort_onesweep_sort_config_static_selectorELNS0_4arch9wavefront6targetE0EEEvSK_.num_vgpr, 0
	.set _ZN7rocprim17ROCPRIM_400000_NS6detail17trampoline_kernelINS0_14default_configENS1_35radix_sort_onesweep_config_selectorIiNS0_10empty_typeEEEZZNS1_29radix_sort_onesweep_iterationIS3_Lb0EN6thrust23THRUST_200600_302600_NS6detail15normal_iteratorINS9_10device_ptrIiEEEESE_PS5_SF_jNS0_19identity_decomposerENS1_16block_id_wrapperIjLb0EEEEE10hipError_tT1_PNSt15iterator_traitsISK_E10value_typeET2_T3_PNSL_ISQ_E10value_typeET4_T5_PSV_SW_PNS1_23onesweep_lookback_stateEbbT6_jjT7_P12ihipStream_tbENKUlT_T0_SK_SP_E_clIPiSE_SF_SF_EEDaS13_S14_SK_SP_EUlS13_E_NS1_11comp_targetILNS1_3genE10ELNS1_11target_archE1201ELNS1_3gpuE5ELNS1_3repE0EEENS1_47radix_sort_onesweep_sort_config_static_selectorELNS0_4arch9wavefront6targetE0EEEvSK_.num_agpr, 0
	.set _ZN7rocprim17ROCPRIM_400000_NS6detail17trampoline_kernelINS0_14default_configENS1_35radix_sort_onesweep_config_selectorIiNS0_10empty_typeEEEZZNS1_29radix_sort_onesweep_iterationIS3_Lb0EN6thrust23THRUST_200600_302600_NS6detail15normal_iteratorINS9_10device_ptrIiEEEESE_PS5_SF_jNS0_19identity_decomposerENS1_16block_id_wrapperIjLb0EEEEE10hipError_tT1_PNSt15iterator_traitsISK_E10value_typeET2_T3_PNSL_ISQ_E10value_typeET4_T5_PSV_SW_PNS1_23onesweep_lookback_stateEbbT6_jjT7_P12ihipStream_tbENKUlT_T0_SK_SP_E_clIPiSE_SF_SF_EEDaS13_S14_SK_SP_EUlS13_E_NS1_11comp_targetILNS1_3genE10ELNS1_11target_archE1201ELNS1_3gpuE5ELNS1_3repE0EEENS1_47radix_sort_onesweep_sort_config_static_selectorELNS0_4arch9wavefront6targetE0EEEvSK_.numbered_sgpr, 0
	.set _ZN7rocprim17ROCPRIM_400000_NS6detail17trampoline_kernelINS0_14default_configENS1_35radix_sort_onesweep_config_selectorIiNS0_10empty_typeEEEZZNS1_29radix_sort_onesweep_iterationIS3_Lb0EN6thrust23THRUST_200600_302600_NS6detail15normal_iteratorINS9_10device_ptrIiEEEESE_PS5_SF_jNS0_19identity_decomposerENS1_16block_id_wrapperIjLb0EEEEE10hipError_tT1_PNSt15iterator_traitsISK_E10value_typeET2_T3_PNSL_ISQ_E10value_typeET4_T5_PSV_SW_PNS1_23onesweep_lookback_stateEbbT6_jjT7_P12ihipStream_tbENKUlT_T0_SK_SP_E_clIPiSE_SF_SF_EEDaS13_S14_SK_SP_EUlS13_E_NS1_11comp_targetILNS1_3genE10ELNS1_11target_archE1201ELNS1_3gpuE5ELNS1_3repE0EEENS1_47radix_sort_onesweep_sort_config_static_selectorELNS0_4arch9wavefront6targetE0EEEvSK_.num_named_barrier, 0
	.set _ZN7rocprim17ROCPRIM_400000_NS6detail17trampoline_kernelINS0_14default_configENS1_35radix_sort_onesweep_config_selectorIiNS0_10empty_typeEEEZZNS1_29radix_sort_onesweep_iterationIS3_Lb0EN6thrust23THRUST_200600_302600_NS6detail15normal_iteratorINS9_10device_ptrIiEEEESE_PS5_SF_jNS0_19identity_decomposerENS1_16block_id_wrapperIjLb0EEEEE10hipError_tT1_PNSt15iterator_traitsISK_E10value_typeET2_T3_PNSL_ISQ_E10value_typeET4_T5_PSV_SW_PNS1_23onesweep_lookback_stateEbbT6_jjT7_P12ihipStream_tbENKUlT_T0_SK_SP_E_clIPiSE_SF_SF_EEDaS13_S14_SK_SP_EUlS13_E_NS1_11comp_targetILNS1_3genE10ELNS1_11target_archE1201ELNS1_3gpuE5ELNS1_3repE0EEENS1_47radix_sort_onesweep_sort_config_static_selectorELNS0_4arch9wavefront6targetE0EEEvSK_.private_seg_size, 0
	.set _ZN7rocprim17ROCPRIM_400000_NS6detail17trampoline_kernelINS0_14default_configENS1_35radix_sort_onesweep_config_selectorIiNS0_10empty_typeEEEZZNS1_29radix_sort_onesweep_iterationIS3_Lb0EN6thrust23THRUST_200600_302600_NS6detail15normal_iteratorINS9_10device_ptrIiEEEESE_PS5_SF_jNS0_19identity_decomposerENS1_16block_id_wrapperIjLb0EEEEE10hipError_tT1_PNSt15iterator_traitsISK_E10value_typeET2_T3_PNSL_ISQ_E10value_typeET4_T5_PSV_SW_PNS1_23onesweep_lookback_stateEbbT6_jjT7_P12ihipStream_tbENKUlT_T0_SK_SP_E_clIPiSE_SF_SF_EEDaS13_S14_SK_SP_EUlS13_E_NS1_11comp_targetILNS1_3genE10ELNS1_11target_archE1201ELNS1_3gpuE5ELNS1_3repE0EEENS1_47radix_sort_onesweep_sort_config_static_selectorELNS0_4arch9wavefront6targetE0EEEvSK_.uses_vcc, 0
	.set _ZN7rocprim17ROCPRIM_400000_NS6detail17trampoline_kernelINS0_14default_configENS1_35radix_sort_onesweep_config_selectorIiNS0_10empty_typeEEEZZNS1_29radix_sort_onesweep_iterationIS3_Lb0EN6thrust23THRUST_200600_302600_NS6detail15normal_iteratorINS9_10device_ptrIiEEEESE_PS5_SF_jNS0_19identity_decomposerENS1_16block_id_wrapperIjLb0EEEEE10hipError_tT1_PNSt15iterator_traitsISK_E10value_typeET2_T3_PNSL_ISQ_E10value_typeET4_T5_PSV_SW_PNS1_23onesweep_lookback_stateEbbT6_jjT7_P12ihipStream_tbENKUlT_T0_SK_SP_E_clIPiSE_SF_SF_EEDaS13_S14_SK_SP_EUlS13_E_NS1_11comp_targetILNS1_3genE10ELNS1_11target_archE1201ELNS1_3gpuE5ELNS1_3repE0EEENS1_47radix_sort_onesweep_sort_config_static_selectorELNS0_4arch9wavefront6targetE0EEEvSK_.uses_flat_scratch, 0
	.set _ZN7rocprim17ROCPRIM_400000_NS6detail17trampoline_kernelINS0_14default_configENS1_35radix_sort_onesweep_config_selectorIiNS0_10empty_typeEEEZZNS1_29radix_sort_onesweep_iterationIS3_Lb0EN6thrust23THRUST_200600_302600_NS6detail15normal_iteratorINS9_10device_ptrIiEEEESE_PS5_SF_jNS0_19identity_decomposerENS1_16block_id_wrapperIjLb0EEEEE10hipError_tT1_PNSt15iterator_traitsISK_E10value_typeET2_T3_PNSL_ISQ_E10value_typeET4_T5_PSV_SW_PNS1_23onesweep_lookback_stateEbbT6_jjT7_P12ihipStream_tbENKUlT_T0_SK_SP_E_clIPiSE_SF_SF_EEDaS13_S14_SK_SP_EUlS13_E_NS1_11comp_targetILNS1_3genE10ELNS1_11target_archE1201ELNS1_3gpuE5ELNS1_3repE0EEENS1_47radix_sort_onesweep_sort_config_static_selectorELNS0_4arch9wavefront6targetE0EEEvSK_.has_dyn_sized_stack, 0
	.set _ZN7rocprim17ROCPRIM_400000_NS6detail17trampoline_kernelINS0_14default_configENS1_35radix_sort_onesweep_config_selectorIiNS0_10empty_typeEEEZZNS1_29radix_sort_onesweep_iterationIS3_Lb0EN6thrust23THRUST_200600_302600_NS6detail15normal_iteratorINS9_10device_ptrIiEEEESE_PS5_SF_jNS0_19identity_decomposerENS1_16block_id_wrapperIjLb0EEEEE10hipError_tT1_PNSt15iterator_traitsISK_E10value_typeET2_T3_PNSL_ISQ_E10value_typeET4_T5_PSV_SW_PNS1_23onesweep_lookback_stateEbbT6_jjT7_P12ihipStream_tbENKUlT_T0_SK_SP_E_clIPiSE_SF_SF_EEDaS13_S14_SK_SP_EUlS13_E_NS1_11comp_targetILNS1_3genE10ELNS1_11target_archE1201ELNS1_3gpuE5ELNS1_3repE0EEENS1_47radix_sort_onesweep_sort_config_static_selectorELNS0_4arch9wavefront6targetE0EEEvSK_.has_recursion, 0
	.set _ZN7rocprim17ROCPRIM_400000_NS6detail17trampoline_kernelINS0_14default_configENS1_35radix_sort_onesweep_config_selectorIiNS0_10empty_typeEEEZZNS1_29radix_sort_onesweep_iterationIS3_Lb0EN6thrust23THRUST_200600_302600_NS6detail15normal_iteratorINS9_10device_ptrIiEEEESE_PS5_SF_jNS0_19identity_decomposerENS1_16block_id_wrapperIjLb0EEEEE10hipError_tT1_PNSt15iterator_traitsISK_E10value_typeET2_T3_PNSL_ISQ_E10value_typeET4_T5_PSV_SW_PNS1_23onesweep_lookback_stateEbbT6_jjT7_P12ihipStream_tbENKUlT_T0_SK_SP_E_clIPiSE_SF_SF_EEDaS13_S14_SK_SP_EUlS13_E_NS1_11comp_targetILNS1_3genE10ELNS1_11target_archE1201ELNS1_3gpuE5ELNS1_3repE0EEENS1_47radix_sort_onesweep_sort_config_static_selectorELNS0_4arch9wavefront6targetE0EEEvSK_.has_indirect_call, 0
	.section	.AMDGPU.csdata,"",@progbits
; Kernel info:
; codeLenInByte = 0
; TotalNumSgprs: 0
; NumVgprs: 0
; ScratchSize: 0
; MemoryBound: 0
; FloatMode: 240
; IeeeMode: 1
; LDSByteSize: 0 bytes/workgroup (compile time only)
; SGPRBlocks: 0
; VGPRBlocks: 0
; NumSGPRsForWavesPerEU: 1
; NumVGPRsForWavesPerEU: 1
; Occupancy: 16
; WaveLimiterHint : 0
; COMPUTE_PGM_RSRC2:SCRATCH_EN: 0
; COMPUTE_PGM_RSRC2:USER_SGPR: 6
; COMPUTE_PGM_RSRC2:TRAP_HANDLER: 0
; COMPUTE_PGM_RSRC2:TGID_X_EN: 1
; COMPUTE_PGM_RSRC2:TGID_Y_EN: 0
; COMPUTE_PGM_RSRC2:TGID_Z_EN: 0
; COMPUTE_PGM_RSRC2:TIDIG_COMP_CNT: 0
	.section	.text._ZN7rocprim17ROCPRIM_400000_NS6detail17trampoline_kernelINS0_14default_configENS1_35radix_sort_onesweep_config_selectorIiNS0_10empty_typeEEEZZNS1_29radix_sort_onesweep_iterationIS3_Lb0EN6thrust23THRUST_200600_302600_NS6detail15normal_iteratorINS9_10device_ptrIiEEEESE_PS5_SF_jNS0_19identity_decomposerENS1_16block_id_wrapperIjLb0EEEEE10hipError_tT1_PNSt15iterator_traitsISK_E10value_typeET2_T3_PNSL_ISQ_E10value_typeET4_T5_PSV_SW_PNS1_23onesweep_lookback_stateEbbT6_jjT7_P12ihipStream_tbENKUlT_T0_SK_SP_E_clIPiSE_SF_SF_EEDaS13_S14_SK_SP_EUlS13_E_NS1_11comp_targetILNS1_3genE9ELNS1_11target_archE1100ELNS1_3gpuE3ELNS1_3repE0EEENS1_47radix_sort_onesweep_sort_config_static_selectorELNS0_4arch9wavefront6targetE0EEEvSK_,"axG",@progbits,_ZN7rocprim17ROCPRIM_400000_NS6detail17trampoline_kernelINS0_14default_configENS1_35radix_sort_onesweep_config_selectorIiNS0_10empty_typeEEEZZNS1_29radix_sort_onesweep_iterationIS3_Lb0EN6thrust23THRUST_200600_302600_NS6detail15normal_iteratorINS9_10device_ptrIiEEEESE_PS5_SF_jNS0_19identity_decomposerENS1_16block_id_wrapperIjLb0EEEEE10hipError_tT1_PNSt15iterator_traitsISK_E10value_typeET2_T3_PNSL_ISQ_E10value_typeET4_T5_PSV_SW_PNS1_23onesweep_lookback_stateEbbT6_jjT7_P12ihipStream_tbENKUlT_T0_SK_SP_E_clIPiSE_SF_SF_EEDaS13_S14_SK_SP_EUlS13_E_NS1_11comp_targetILNS1_3genE9ELNS1_11target_archE1100ELNS1_3gpuE3ELNS1_3repE0EEENS1_47radix_sort_onesweep_sort_config_static_selectorELNS0_4arch9wavefront6targetE0EEEvSK_,comdat
	.protected	_ZN7rocprim17ROCPRIM_400000_NS6detail17trampoline_kernelINS0_14default_configENS1_35radix_sort_onesweep_config_selectorIiNS0_10empty_typeEEEZZNS1_29radix_sort_onesweep_iterationIS3_Lb0EN6thrust23THRUST_200600_302600_NS6detail15normal_iteratorINS9_10device_ptrIiEEEESE_PS5_SF_jNS0_19identity_decomposerENS1_16block_id_wrapperIjLb0EEEEE10hipError_tT1_PNSt15iterator_traitsISK_E10value_typeET2_T3_PNSL_ISQ_E10value_typeET4_T5_PSV_SW_PNS1_23onesweep_lookback_stateEbbT6_jjT7_P12ihipStream_tbENKUlT_T0_SK_SP_E_clIPiSE_SF_SF_EEDaS13_S14_SK_SP_EUlS13_E_NS1_11comp_targetILNS1_3genE9ELNS1_11target_archE1100ELNS1_3gpuE3ELNS1_3repE0EEENS1_47radix_sort_onesweep_sort_config_static_selectorELNS0_4arch9wavefront6targetE0EEEvSK_ ; -- Begin function _ZN7rocprim17ROCPRIM_400000_NS6detail17trampoline_kernelINS0_14default_configENS1_35radix_sort_onesweep_config_selectorIiNS0_10empty_typeEEEZZNS1_29radix_sort_onesweep_iterationIS3_Lb0EN6thrust23THRUST_200600_302600_NS6detail15normal_iteratorINS9_10device_ptrIiEEEESE_PS5_SF_jNS0_19identity_decomposerENS1_16block_id_wrapperIjLb0EEEEE10hipError_tT1_PNSt15iterator_traitsISK_E10value_typeET2_T3_PNSL_ISQ_E10value_typeET4_T5_PSV_SW_PNS1_23onesweep_lookback_stateEbbT6_jjT7_P12ihipStream_tbENKUlT_T0_SK_SP_E_clIPiSE_SF_SF_EEDaS13_S14_SK_SP_EUlS13_E_NS1_11comp_targetILNS1_3genE9ELNS1_11target_archE1100ELNS1_3gpuE3ELNS1_3repE0EEENS1_47radix_sort_onesweep_sort_config_static_selectorELNS0_4arch9wavefront6targetE0EEEvSK_
	.globl	_ZN7rocprim17ROCPRIM_400000_NS6detail17trampoline_kernelINS0_14default_configENS1_35radix_sort_onesweep_config_selectorIiNS0_10empty_typeEEEZZNS1_29radix_sort_onesweep_iterationIS3_Lb0EN6thrust23THRUST_200600_302600_NS6detail15normal_iteratorINS9_10device_ptrIiEEEESE_PS5_SF_jNS0_19identity_decomposerENS1_16block_id_wrapperIjLb0EEEEE10hipError_tT1_PNSt15iterator_traitsISK_E10value_typeET2_T3_PNSL_ISQ_E10value_typeET4_T5_PSV_SW_PNS1_23onesweep_lookback_stateEbbT6_jjT7_P12ihipStream_tbENKUlT_T0_SK_SP_E_clIPiSE_SF_SF_EEDaS13_S14_SK_SP_EUlS13_E_NS1_11comp_targetILNS1_3genE9ELNS1_11target_archE1100ELNS1_3gpuE3ELNS1_3repE0EEENS1_47radix_sort_onesweep_sort_config_static_selectorELNS0_4arch9wavefront6targetE0EEEvSK_
	.p2align	8
	.type	_ZN7rocprim17ROCPRIM_400000_NS6detail17trampoline_kernelINS0_14default_configENS1_35radix_sort_onesweep_config_selectorIiNS0_10empty_typeEEEZZNS1_29radix_sort_onesweep_iterationIS3_Lb0EN6thrust23THRUST_200600_302600_NS6detail15normal_iteratorINS9_10device_ptrIiEEEESE_PS5_SF_jNS0_19identity_decomposerENS1_16block_id_wrapperIjLb0EEEEE10hipError_tT1_PNSt15iterator_traitsISK_E10value_typeET2_T3_PNSL_ISQ_E10value_typeET4_T5_PSV_SW_PNS1_23onesweep_lookback_stateEbbT6_jjT7_P12ihipStream_tbENKUlT_T0_SK_SP_E_clIPiSE_SF_SF_EEDaS13_S14_SK_SP_EUlS13_E_NS1_11comp_targetILNS1_3genE9ELNS1_11target_archE1100ELNS1_3gpuE3ELNS1_3repE0EEENS1_47radix_sort_onesweep_sort_config_static_selectorELNS0_4arch9wavefront6targetE0EEEvSK_,@function
_ZN7rocprim17ROCPRIM_400000_NS6detail17trampoline_kernelINS0_14default_configENS1_35radix_sort_onesweep_config_selectorIiNS0_10empty_typeEEEZZNS1_29radix_sort_onesweep_iterationIS3_Lb0EN6thrust23THRUST_200600_302600_NS6detail15normal_iteratorINS9_10device_ptrIiEEEESE_PS5_SF_jNS0_19identity_decomposerENS1_16block_id_wrapperIjLb0EEEEE10hipError_tT1_PNSt15iterator_traitsISK_E10value_typeET2_T3_PNSL_ISQ_E10value_typeET4_T5_PSV_SW_PNS1_23onesweep_lookback_stateEbbT6_jjT7_P12ihipStream_tbENKUlT_T0_SK_SP_E_clIPiSE_SF_SF_EEDaS13_S14_SK_SP_EUlS13_E_NS1_11comp_targetILNS1_3genE9ELNS1_11target_archE1100ELNS1_3gpuE3ELNS1_3repE0EEENS1_47radix_sort_onesweep_sort_config_static_selectorELNS0_4arch9wavefront6targetE0EEEvSK_: ; @_ZN7rocprim17ROCPRIM_400000_NS6detail17trampoline_kernelINS0_14default_configENS1_35radix_sort_onesweep_config_selectorIiNS0_10empty_typeEEEZZNS1_29radix_sort_onesweep_iterationIS3_Lb0EN6thrust23THRUST_200600_302600_NS6detail15normal_iteratorINS9_10device_ptrIiEEEESE_PS5_SF_jNS0_19identity_decomposerENS1_16block_id_wrapperIjLb0EEEEE10hipError_tT1_PNSt15iterator_traitsISK_E10value_typeET2_T3_PNSL_ISQ_E10value_typeET4_T5_PSV_SW_PNS1_23onesweep_lookback_stateEbbT6_jjT7_P12ihipStream_tbENKUlT_T0_SK_SP_E_clIPiSE_SF_SF_EEDaS13_S14_SK_SP_EUlS13_E_NS1_11comp_targetILNS1_3genE9ELNS1_11target_archE1100ELNS1_3gpuE3ELNS1_3repE0EEENS1_47radix_sort_onesweep_sort_config_static_selectorELNS0_4arch9wavefront6targetE0EEEvSK_
; %bb.0:
	.section	.rodata,"a",@progbits
	.p2align	6, 0x0
	.amdhsa_kernel _ZN7rocprim17ROCPRIM_400000_NS6detail17trampoline_kernelINS0_14default_configENS1_35radix_sort_onesweep_config_selectorIiNS0_10empty_typeEEEZZNS1_29radix_sort_onesweep_iterationIS3_Lb0EN6thrust23THRUST_200600_302600_NS6detail15normal_iteratorINS9_10device_ptrIiEEEESE_PS5_SF_jNS0_19identity_decomposerENS1_16block_id_wrapperIjLb0EEEEE10hipError_tT1_PNSt15iterator_traitsISK_E10value_typeET2_T3_PNSL_ISQ_E10value_typeET4_T5_PSV_SW_PNS1_23onesweep_lookback_stateEbbT6_jjT7_P12ihipStream_tbENKUlT_T0_SK_SP_E_clIPiSE_SF_SF_EEDaS13_S14_SK_SP_EUlS13_E_NS1_11comp_targetILNS1_3genE9ELNS1_11target_archE1100ELNS1_3gpuE3ELNS1_3repE0EEENS1_47radix_sort_onesweep_sort_config_static_selectorELNS0_4arch9wavefront6targetE0EEEvSK_
		.amdhsa_group_segment_fixed_size 0
		.amdhsa_private_segment_fixed_size 0
		.amdhsa_kernarg_size 88
		.amdhsa_user_sgpr_count 6
		.amdhsa_user_sgpr_private_segment_buffer 1
		.amdhsa_user_sgpr_dispatch_ptr 0
		.amdhsa_user_sgpr_queue_ptr 0
		.amdhsa_user_sgpr_kernarg_segment_ptr 1
		.amdhsa_user_sgpr_dispatch_id 0
		.amdhsa_user_sgpr_flat_scratch_init 0
		.amdhsa_user_sgpr_private_segment_size 0
		.amdhsa_wavefront_size32 1
		.amdhsa_uses_dynamic_stack 0
		.amdhsa_system_sgpr_private_segment_wavefront_offset 0
		.amdhsa_system_sgpr_workgroup_id_x 1
		.amdhsa_system_sgpr_workgroup_id_y 0
		.amdhsa_system_sgpr_workgroup_id_z 0
		.amdhsa_system_sgpr_workgroup_info 0
		.amdhsa_system_vgpr_workitem_id 0
		.amdhsa_next_free_vgpr 1
		.amdhsa_next_free_sgpr 1
		.amdhsa_reserve_vcc 0
		.amdhsa_reserve_flat_scratch 0
		.amdhsa_float_round_mode_32 0
		.amdhsa_float_round_mode_16_64 0
		.amdhsa_float_denorm_mode_32 3
		.amdhsa_float_denorm_mode_16_64 3
		.amdhsa_dx10_clamp 1
		.amdhsa_ieee_mode 1
		.amdhsa_fp16_overflow 0
		.amdhsa_workgroup_processor_mode 1
		.amdhsa_memory_ordered 1
		.amdhsa_forward_progress 1
		.amdhsa_shared_vgpr_count 0
		.amdhsa_exception_fp_ieee_invalid_op 0
		.amdhsa_exception_fp_denorm_src 0
		.amdhsa_exception_fp_ieee_div_zero 0
		.amdhsa_exception_fp_ieee_overflow 0
		.amdhsa_exception_fp_ieee_underflow 0
		.amdhsa_exception_fp_ieee_inexact 0
		.amdhsa_exception_int_div_zero 0
	.end_amdhsa_kernel
	.section	.text._ZN7rocprim17ROCPRIM_400000_NS6detail17trampoline_kernelINS0_14default_configENS1_35radix_sort_onesweep_config_selectorIiNS0_10empty_typeEEEZZNS1_29radix_sort_onesweep_iterationIS3_Lb0EN6thrust23THRUST_200600_302600_NS6detail15normal_iteratorINS9_10device_ptrIiEEEESE_PS5_SF_jNS0_19identity_decomposerENS1_16block_id_wrapperIjLb0EEEEE10hipError_tT1_PNSt15iterator_traitsISK_E10value_typeET2_T3_PNSL_ISQ_E10value_typeET4_T5_PSV_SW_PNS1_23onesweep_lookback_stateEbbT6_jjT7_P12ihipStream_tbENKUlT_T0_SK_SP_E_clIPiSE_SF_SF_EEDaS13_S14_SK_SP_EUlS13_E_NS1_11comp_targetILNS1_3genE9ELNS1_11target_archE1100ELNS1_3gpuE3ELNS1_3repE0EEENS1_47radix_sort_onesweep_sort_config_static_selectorELNS0_4arch9wavefront6targetE0EEEvSK_,"axG",@progbits,_ZN7rocprim17ROCPRIM_400000_NS6detail17trampoline_kernelINS0_14default_configENS1_35radix_sort_onesweep_config_selectorIiNS0_10empty_typeEEEZZNS1_29radix_sort_onesweep_iterationIS3_Lb0EN6thrust23THRUST_200600_302600_NS6detail15normal_iteratorINS9_10device_ptrIiEEEESE_PS5_SF_jNS0_19identity_decomposerENS1_16block_id_wrapperIjLb0EEEEE10hipError_tT1_PNSt15iterator_traitsISK_E10value_typeET2_T3_PNSL_ISQ_E10value_typeET4_T5_PSV_SW_PNS1_23onesweep_lookback_stateEbbT6_jjT7_P12ihipStream_tbENKUlT_T0_SK_SP_E_clIPiSE_SF_SF_EEDaS13_S14_SK_SP_EUlS13_E_NS1_11comp_targetILNS1_3genE9ELNS1_11target_archE1100ELNS1_3gpuE3ELNS1_3repE0EEENS1_47radix_sort_onesweep_sort_config_static_selectorELNS0_4arch9wavefront6targetE0EEEvSK_,comdat
.Lfunc_end211:
	.size	_ZN7rocprim17ROCPRIM_400000_NS6detail17trampoline_kernelINS0_14default_configENS1_35radix_sort_onesweep_config_selectorIiNS0_10empty_typeEEEZZNS1_29radix_sort_onesweep_iterationIS3_Lb0EN6thrust23THRUST_200600_302600_NS6detail15normal_iteratorINS9_10device_ptrIiEEEESE_PS5_SF_jNS0_19identity_decomposerENS1_16block_id_wrapperIjLb0EEEEE10hipError_tT1_PNSt15iterator_traitsISK_E10value_typeET2_T3_PNSL_ISQ_E10value_typeET4_T5_PSV_SW_PNS1_23onesweep_lookback_stateEbbT6_jjT7_P12ihipStream_tbENKUlT_T0_SK_SP_E_clIPiSE_SF_SF_EEDaS13_S14_SK_SP_EUlS13_E_NS1_11comp_targetILNS1_3genE9ELNS1_11target_archE1100ELNS1_3gpuE3ELNS1_3repE0EEENS1_47radix_sort_onesweep_sort_config_static_selectorELNS0_4arch9wavefront6targetE0EEEvSK_, .Lfunc_end211-_ZN7rocprim17ROCPRIM_400000_NS6detail17trampoline_kernelINS0_14default_configENS1_35radix_sort_onesweep_config_selectorIiNS0_10empty_typeEEEZZNS1_29radix_sort_onesweep_iterationIS3_Lb0EN6thrust23THRUST_200600_302600_NS6detail15normal_iteratorINS9_10device_ptrIiEEEESE_PS5_SF_jNS0_19identity_decomposerENS1_16block_id_wrapperIjLb0EEEEE10hipError_tT1_PNSt15iterator_traitsISK_E10value_typeET2_T3_PNSL_ISQ_E10value_typeET4_T5_PSV_SW_PNS1_23onesweep_lookback_stateEbbT6_jjT7_P12ihipStream_tbENKUlT_T0_SK_SP_E_clIPiSE_SF_SF_EEDaS13_S14_SK_SP_EUlS13_E_NS1_11comp_targetILNS1_3genE9ELNS1_11target_archE1100ELNS1_3gpuE3ELNS1_3repE0EEENS1_47radix_sort_onesweep_sort_config_static_selectorELNS0_4arch9wavefront6targetE0EEEvSK_
                                        ; -- End function
	.set _ZN7rocprim17ROCPRIM_400000_NS6detail17trampoline_kernelINS0_14default_configENS1_35radix_sort_onesweep_config_selectorIiNS0_10empty_typeEEEZZNS1_29radix_sort_onesweep_iterationIS3_Lb0EN6thrust23THRUST_200600_302600_NS6detail15normal_iteratorINS9_10device_ptrIiEEEESE_PS5_SF_jNS0_19identity_decomposerENS1_16block_id_wrapperIjLb0EEEEE10hipError_tT1_PNSt15iterator_traitsISK_E10value_typeET2_T3_PNSL_ISQ_E10value_typeET4_T5_PSV_SW_PNS1_23onesweep_lookback_stateEbbT6_jjT7_P12ihipStream_tbENKUlT_T0_SK_SP_E_clIPiSE_SF_SF_EEDaS13_S14_SK_SP_EUlS13_E_NS1_11comp_targetILNS1_3genE9ELNS1_11target_archE1100ELNS1_3gpuE3ELNS1_3repE0EEENS1_47radix_sort_onesweep_sort_config_static_selectorELNS0_4arch9wavefront6targetE0EEEvSK_.num_vgpr, 0
	.set _ZN7rocprim17ROCPRIM_400000_NS6detail17trampoline_kernelINS0_14default_configENS1_35radix_sort_onesweep_config_selectorIiNS0_10empty_typeEEEZZNS1_29radix_sort_onesweep_iterationIS3_Lb0EN6thrust23THRUST_200600_302600_NS6detail15normal_iteratorINS9_10device_ptrIiEEEESE_PS5_SF_jNS0_19identity_decomposerENS1_16block_id_wrapperIjLb0EEEEE10hipError_tT1_PNSt15iterator_traitsISK_E10value_typeET2_T3_PNSL_ISQ_E10value_typeET4_T5_PSV_SW_PNS1_23onesweep_lookback_stateEbbT6_jjT7_P12ihipStream_tbENKUlT_T0_SK_SP_E_clIPiSE_SF_SF_EEDaS13_S14_SK_SP_EUlS13_E_NS1_11comp_targetILNS1_3genE9ELNS1_11target_archE1100ELNS1_3gpuE3ELNS1_3repE0EEENS1_47radix_sort_onesweep_sort_config_static_selectorELNS0_4arch9wavefront6targetE0EEEvSK_.num_agpr, 0
	.set _ZN7rocprim17ROCPRIM_400000_NS6detail17trampoline_kernelINS0_14default_configENS1_35radix_sort_onesweep_config_selectorIiNS0_10empty_typeEEEZZNS1_29radix_sort_onesweep_iterationIS3_Lb0EN6thrust23THRUST_200600_302600_NS6detail15normal_iteratorINS9_10device_ptrIiEEEESE_PS5_SF_jNS0_19identity_decomposerENS1_16block_id_wrapperIjLb0EEEEE10hipError_tT1_PNSt15iterator_traitsISK_E10value_typeET2_T3_PNSL_ISQ_E10value_typeET4_T5_PSV_SW_PNS1_23onesweep_lookback_stateEbbT6_jjT7_P12ihipStream_tbENKUlT_T0_SK_SP_E_clIPiSE_SF_SF_EEDaS13_S14_SK_SP_EUlS13_E_NS1_11comp_targetILNS1_3genE9ELNS1_11target_archE1100ELNS1_3gpuE3ELNS1_3repE0EEENS1_47radix_sort_onesweep_sort_config_static_selectorELNS0_4arch9wavefront6targetE0EEEvSK_.numbered_sgpr, 0
	.set _ZN7rocprim17ROCPRIM_400000_NS6detail17trampoline_kernelINS0_14default_configENS1_35radix_sort_onesweep_config_selectorIiNS0_10empty_typeEEEZZNS1_29radix_sort_onesweep_iterationIS3_Lb0EN6thrust23THRUST_200600_302600_NS6detail15normal_iteratorINS9_10device_ptrIiEEEESE_PS5_SF_jNS0_19identity_decomposerENS1_16block_id_wrapperIjLb0EEEEE10hipError_tT1_PNSt15iterator_traitsISK_E10value_typeET2_T3_PNSL_ISQ_E10value_typeET4_T5_PSV_SW_PNS1_23onesweep_lookback_stateEbbT6_jjT7_P12ihipStream_tbENKUlT_T0_SK_SP_E_clIPiSE_SF_SF_EEDaS13_S14_SK_SP_EUlS13_E_NS1_11comp_targetILNS1_3genE9ELNS1_11target_archE1100ELNS1_3gpuE3ELNS1_3repE0EEENS1_47radix_sort_onesweep_sort_config_static_selectorELNS0_4arch9wavefront6targetE0EEEvSK_.num_named_barrier, 0
	.set _ZN7rocprim17ROCPRIM_400000_NS6detail17trampoline_kernelINS0_14default_configENS1_35radix_sort_onesweep_config_selectorIiNS0_10empty_typeEEEZZNS1_29radix_sort_onesweep_iterationIS3_Lb0EN6thrust23THRUST_200600_302600_NS6detail15normal_iteratorINS9_10device_ptrIiEEEESE_PS5_SF_jNS0_19identity_decomposerENS1_16block_id_wrapperIjLb0EEEEE10hipError_tT1_PNSt15iterator_traitsISK_E10value_typeET2_T3_PNSL_ISQ_E10value_typeET4_T5_PSV_SW_PNS1_23onesweep_lookback_stateEbbT6_jjT7_P12ihipStream_tbENKUlT_T0_SK_SP_E_clIPiSE_SF_SF_EEDaS13_S14_SK_SP_EUlS13_E_NS1_11comp_targetILNS1_3genE9ELNS1_11target_archE1100ELNS1_3gpuE3ELNS1_3repE0EEENS1_47radix_sort_onesweep_sort_config_static_selectorELNS0_4arch9wavefront6targetE0EEEvSK_.private_seg_size, 0
	.set _ZN7rocprim17ROCPRIM_400000_NS6detail17trampoline_kernelINS0_14default_configENS1_35radix_sort_onesweep_config_selectorIiNS0_10empty_typeEEEZZNS1_29radix_sort_onesweep_iterationIS3_Lb0EN6thrust23THRUST_200600_302600_NS6detail15normal_iteratorINS9_10device_ptrIiEEEESE_PS5_SF_jNS0_19identity_decomposerENS1_16block_id_wrapperIjLb0EEEEE10hipError_tT1_PNSt15iterator_traitsISK_E10value_typeET2_T3_PNSL_ISQ_E10value_typeET4_T5_PSV_SW_PNS1_23onesweep_lookback_stateEbbT6_jjT7_P12ihipStream_tbENKUlT_T0_SK_SP_E_clIPiSE_SF_SF_EEDaS13_S14_SK_SP_EUlS13_E_NS1_11comp_targetILNS1_3genE9ELNS1_11target_archE1100ELNS1_3gpuE3ELNS1_3repE0EEENS1_47radix_sort_onesweep_sort_config_static_selectorELNS0_4arch9wavefront6targetE0EEEvSK_.uses_vcc, 0
	.set _ZN7rocprim17ROCPRIM_400000_NS6detail17trampoline_kernelINS0_14default_configENS1_35radix_sort_onesweep_config_selectorIiNS0_10empty_typeEEEZZNS1_29radix_sort_onesweep_iterationIS3_Lb0EN6thrust23THRUST_200600_302600_NS6detail15normal_iteratorINS9_10device_ptrIiEEEESE_PS5_SF_jNS0_19identity_decomposerENS1_16block_id_wrapperIjLb0EEEEE10hipError_tT1_PNSt15iterator_traitsISK_E10value_typeET2_T3_PNSL_ISQ_E10value_typeET4_T5_PSV_SW_PNS1_23onesweep_lookback_stateEbbT6_jjT7_P12ihipStream_tbENKUlT_T0_SK_SP_E_clIPiSE_SF_SF_EEDaS13_S14_SK_SP_EUlS13_E_NS1_11comp_targetILNS1_3genE9ELNS1_11target_archE1100ELNS1_3gpuE3ELNS1_3repE0EEENS1_47radix_sort_onesweep_sort_config_static_selectorELNS0_4arch9wavefront6targetE0EEEvSK_.uses_flat_scratch, 0
	.set _ZN7rocprim17ROCPRIM_400000_NS6detail17trampoline_kernelINS0_14default_configENS1_35radix_sort_onesweep_config_selectorIiNS0_10empty_typeEEEZZNS1_29radix_sort_onesweep_iterationIS3_Lb0EN6thrust23THRUST_200600_302600_NS6detail15normal_iteratorINS9_10device_ptrIiEEEESE_PS5_SF_jNS0_19identity_decomposerENS1_16block_id_wrapperIjLb0EEEEE10hipError_tT1_PNSt15iterator_traitsISK_E10value_typeET2_T3_PNSL_ISQ_E10value_typeET4_T5_PSV_SW_PNS1_23onesweep_lookback_stateEbbT6_jjT7_P12ihipStream_tbENKUlT_T0_SK_SP_E_clIPiSE_SF_SF_EEDaS13_S14_SK_SP_EUlS13_E_NS1_11comp_targetILNS1_3genE9ELNS1_11target_archE1100ELNS1_3gpuE3ELNS1_3repE0EEENS1_47radix_sort_onesweep_sort_config_static_selectorELNS0_4arch9wavefront6targetE0EEEvSK_.has_dyn_sized_stack, 0
	.set _ZN7rocprim17ROCPRIM_400000_NS6detail17trampoline_kernelINS0_14default_configENS1_35radix_sort_onesweep_config_selectorIiNS0_10empty_typeEEEZZNS1_29radix_sort_onesweep_iterationIS3_Lb0EN6thrust23THRUST_200600_302600_NS6detail15normal_iteratorINS9_10device_ptrIiEEEESE_PS5_SF_jNS0_19identity_decomposerENS1_16block_id_wrapperIjLb0EEEEE10hipError_tT1_PNSt15iterator_traitsISK_E10value_typeET2_T3_PNSL_ISQ_E10value_typeET4_T5_PSV_SW_PNS1_23onesweep_lookback_stateEbbT6_jjT7_P12ihipStream_tbENKUlT_T0_SK_SP_E_clIPiSE_SF_SF_EEDaS13_S14_SK_SP_EUlS13_E_NS1_11comp_targetILNS1_3genE9ELNS1_11target_archE1100ELNS1_3gpuE3ELNS1_3repE0EEENS1_47radix_sort_onesweep_sort_config_static_selectorELNS0_4arch9wavefront6targetE0EEEvSK_.has_recursion, 0
	.set _ZN7rocprim17ROCPRIM_400000_NS6detail17trampoline_kernelINS0_14default_configENS1_35radix_sort_onesweep_config_selectorIiNS0_10empty_typeEEEZZNS1_29radix_sort_onesweep_iterationIS3_Lb0EN6thrust23THRUST_200600_302600_NS6detail15normal_iteratorINS9_10device_ptrIiEEEESE_PS5_SF_jNS0_19identity_decomposerENS1_16block_id_wrapperIjLb0EEEEE10hipError_tT1_PNSt15iterator_traitsISK_E10value_typeET2_T3_PNSL_ISQ_E10value_typeET4_T5_PSV_SW_PNS1_23onesweep_lookback_stateEbbT6_jjT7_P12ihipStream_tbENKUlT_T0_SK_SP_E_clIPiSE_SF_SF_EEDaS13_S14_SK_SP_EUlS13_E_NS1_11comp_targetILNS1_3genE9ELNS1_11target_archE1100ELNS1_3gpuE3ELNS1_3repE0EEENS1_47radix_sort_onesweep_sort_config_static_selectorELNS0_4arch9wavefront6targetE0EEEvSK_.has_indirect_call, 0
	.section	.AMDGPU.csdata,"",@progbits
; Kernel info:
; codeLenInByte = 0
; TotalNumSgprs: 0
; NumVgprs: 0
; ScratchSize: 0
; MemoryBound: 0
; FloatMode: 240
; IeeeMode: 1
; LDSByteSize: 0 bytes/workgroup (compile time only)
; SGPRBlocks: 0
; VGPRBlocks: 0
; NumSGPRsForWavesPerEU: 1
; NumVGPRsForWavesPerEU: 1
; Occupancy: 16
; WaveLimiterHint : 0
; COMPUTE_PGM_RSRC2:SCRATCH_EN: 0
; COMPUTE_PGM_RSRC2:USER_SGPR: 6
; COMPUTE_PGM_RSRC2:TRAP_HANDLER: 0
; COMPUTE_PGM_RSRC2:TGID_X_EN: 1
; COMPUTE_PGM_RSRC2:TGID_Y_EN: 0
; COMPUTE_PGM_RSRC2:TGID_Z_EN: 0
; COMPUTE_PGM_RSRC2:TIDIG_COMP_CNT: 0
	.section	.text._ZN7rocprim17ROCPRIM_400000_NS6detail17trampoline_kernelINS0_14default_configENS1_35radix_sort_onesweep_config_selectorIiNS0_10empty_typeEEEZZNS1_29radix_sort_onesweep_iterationIS3_Lb0EN6thrust23THRUST_200600_302600_NS6detail15normal_iteratorINS9_10device_ptrIiEEEESE_PS5_SF_jNS0_19identity_decomposerENS1_16block_id_wrapperIjLb0EEEEE10hipError_tT1_PNSt15iterator_traitsISK_E10value_typeET2_T3_PNSL_ISQ_E10value_typeET4_T5_PSV_SW_PNS1_23onesweep_lookback_stateEbbT6_jjT7_P12ihipStream_tbENKUlT_T0_SK_SP_E_clIPiSE_SF_SF_EEDaS13_S14_SK_SP_EUlS13_E_NS1_11comp_targetILNS1_3genE8ELNS1_11target_archE1030ELNS1_3gpuE2ELNS1_3repE0EEENS1_47radix_sort_onesweep_sort_config_static_selectorELNS0_4arch9wavefront6targetE0EEEvSK_,"axG",@progbits,_ZN7rocprim17ROCPRIM_400000_NS6detail17trampoline_kernelINS0_14default_configENS1_35radix_sort_onesweep_config_selectorIiNS0_10empty_typeEEEZZNS1_29radix_sort_onesweep_iterationIS3_Lb0EN6thrust23THRUST_200600_302600_NS6detail15normal_iteratorINS9_10device_ptrIiEEEESE_PS5_SF_jNS0_19identity_decomposerENS1_16block_id_wrapperIjLb0EEEEE10hipError_tT1_PNSt15iterator_traitsISK_E10value_typeET2_T3_PNSL_ISQ_E10value_typeET4_T5_PSV_SW_PNS1_23onesweep_lookback_stateEbbT6_jjT7_P12ihipStream_tbENKUlT_T0_SK_SP_E_clIPiSE_SF_SF_EEDaS13_S14_SK_SP_EUlS13_E_NS1_11comp_targetILNS1_3genE8ELNS1_11target_archE1030ELNS1_3gpuE2ELNS1_3repE0EEENS1_47radix_sort_onesweep_sort_config_static_selectorELNS0_4arch9wavefront6targetE0EEEvSK_,comdat
	.protected	_ZN7rocprim17ROCPRIM_400000_NS6detail17trampoline_kernelINS0_14default_configENS1_35radix_sort_onesweep_config_selectorIiNS0_10empty_typeEEEZZNS1_29radix_sort_onesweep_iterationIS3_Lb0EN6thrust23THRUST_200600_302600_NS6detail15normal_iteratorINS9_10device_ptrIiEEEESE_PS5_SF_jNS0_19identity_decomposerENS1_16block_id_wrapperIjLb0EEEEE10hipError_tT1_PNSt15iterator_traitsISK_E10value_typeET2_T3_PNSL_ISQ_E10value_typeET4_T5_PSV_SW_PNS1_23onesweep_lookback_stateEbbT6_jjT7_P12ihipStream_tbENKUlT_T0_SK_SP_E_clIPiSE_SF_SF_EEDaS13_S14_SK_SP_EUlS13_E_NS1_11comp_targetILNS1_3genE8ELNS1_11target_archE1030ELNS1_3gpuE2ELNS1_3repE0EEENS1_47radix_sort_onesweep_sort_config_static_selectorELNS0_4arch9wavefront6targetE0EEEvSK_ ; -- Begin function _ZN7rocprim17ROCPRIM_400000_NS6detail17trampoline_kernelINS0_14default_configENS1_35radix_sort_onesweep_config_selectorIiNS0_10empty_typeEEEZZNS1_29radix_sort_onesweep_iterationIS3_Lb0EN6thrust23THRUST_200600_302600_NS6detail15normal_iteratorINS9_10device_ptrIiEEEESE_PS5_SF_jNS0_19identity_decomposerENS1_16block_id_wrapperIjLb0EEEEE10hipError_tT1_PNSt15iterator_traitsISK_E10value_typeET2_T3_PNSL_ISQ_E10value_typeET4_T5_PSV_SW_PNS1_23onesweep_lookback_stateEbbT6_jjT7_P12ihipStream_tbENKUlT_T0_SK_SP_E_clIPiSE_SF_SF_EEDaS13_S14_SK_SP_EUlS13_E_NS1_11comp_targetILNS1_3genE8ELNS1_11target_archE1030ELNS1_3gpuE2ELNS1_3repE0EEENS1_47radix_sort_onesweep_sort_config_static_selectorELNS0_4arch9wavefront6targetE0EEEvSK_
	.globl	_ZN7rocprim17ROCPRIM_400000_NS6detail17trampoline_kernelINS0_14default_configENS1_35radix_sort_onesweep_config_selectorIiNS0_10empty_typeEEEZZNS1_29radix_sort_onesweep_iterationIS3_Lb0EN6thrust23THRUST_200600_302600_NS6detail15normal_iteratorINS9_10device_ptrIiEEEESE_PS5_SF_jNS0_19identity_decomposerENS1_16block_id_wrapperIjLb0EEEEE10hipError_tT1_PNSt15iterator_traitsISK_E10value_typeET2_T3_PNSL_ISQ_E10value_typeET4_T5_PSV_SW_PNS1_23onesweep_lookback_stateEbbT6_jjT7_P12ihipStream_tbENKUlT_T0_SK_SP_E_clIPiSE_SF_SF_EEDaS13_S14_SK_SP_EUlS13_E_NS1_11comp_targetILNS1_3genE8ELNS1_11target_archE1030ELNS1_3gpuE2ELNS1_3repE0EEENS1_47radix_sort_onesweep_sort_config_static_selectorELNS0_4arch9wavefront6targetE0EEEvSK_
	.p2align	8
	.type	_ZN7rocprim17ROCPRIM_400000_NS6detail17trampoline_kernelINS0_14default_configENS1_35radix_sort_onesweep_config_selectorIiNS0_10empty_typeEEEZZNS1_29radix_sort_onesweep_iterationIS3_Lb0EN6thrust23THRUST_200600_302600_NS6detail15normal_iteratorINS9_10device_ptrIiEEEESE_PS5_SF_jNS0_19identity_decomposerENS1_16block_id_wrapperIjLb0EEEEE10hipError_tT1_PNSt15iterator_traitsISK_E10value_typeET2_T3_PNSL_ISQ_E10value_typeET4_T5_PSV_SW_PNS1_23onesweep_lookback_stateEbbT6_jjT7_P12ihipStream_tbENKUlT_T0_SK_SP_E_clIPiSE_SF_SF_EEDaS13_S14_SK_SP_EUlS13_E_NS1_11comp_targetILNS1_3genE8ELNS1_11target_archE1030ELNS1_3gpuE2ELNS1_3repE0EEENS1_47radix_sort_onesweep_sort_config_static_selectorELNS0_4arch9wavefront6targetE0EEEvSK_,@function
_ZN7rocprim17ROCPRIM_400000_NS6detail17trampoline_kernelINS0_14default_configENS1_35radix_sort_onesweep_config_selectorIiNS0_10empty_typeEEEZZNS1_29radix_sort_onesweep_iterationIS3_Lb0EN6thrust23THRUST_200600_302600_NS6detail15normal_iteratorINS9_10device_ptrIiEEEESE_PS5_SF_jNS0_19identity_decomposerENS1_16block_id_wrapperIjLb0EEEEE10hipError_tT1_PNSt15iterator_traitsISK_E10value_typeET2_T3_PNSL_ISQ_E10value_typeET4_T5_PSV_SW_PNS1_23onesweep_lookback_stateEbbT6_jjT7_P12ihipStream_tbENKUlT_T0_SK_SP_E_clIPiSE_SF_SF_EEDaS13_S14_SK_SP_EUlS13_E_NS1_11comp_targetILNS1_3genE8ELNS1_11target_archE1030ELNS1_3gpuE2ELNS1_3repE0EEENS1_47radix_sort_onesweep_sort_config_static_selectorELNS0_4arch9wavefront6targetE0EEEvSK_: ; @_ZN7rocprim17ROCPRIM_400000_NS6detail17trampoline_kernelINS0_14default_configENS1_35radix_sort_onesweep_config_selectorIiNS0_10empty_typeEEEZZNS1_29radix_sort_onesweep_iterationIS3_Lb0EN6thrust23THRUST_200600_302600_NS6detail15normal_iteratorINS9_10device_ptrIiEEEESE_PS5_SF_jNS0_19identity_decomposerENS1_16block_id_wrapperIjLb0EEEEE10hipError_tT1_PNSt15iterator_traitsISK_E10value_typeET2_T3_PNSL_ISQ_E10value_typeET4_T5_PSV_SW_PNS1_23onesweep_lookback_stateEbbT6_jjT7_P12ihipStream_tbENKUlT_T0_SK_SP_E_clIPiSE_SF_SF_EEDaS13_S14_SK_SP_EUlS13_E_NS1_11comp_targetILNS1_3genE8ELNS1_11target_archE1030ELNS1_3gpuE2ELNS1_3repE0EEENS1_47radix_sort_onesweep_sort_config_static_selectorELNS0_4arch9wavefront6targetE0EEEvSK_
; %bb.0:
	s_clause 0x3
	s_load_dwordx4 s[20:23], s[4:5], 0x44
	s_load_dwordx2 s[10:11], s[4:5], 0x38
	s_load_dwordx4 s[16:19], s[4:5], 0x0
	s_load_dwordx4 s[12:15], s[4:5], 0x28
	v_mbcnt_lo_u32_b32 v12, -1, 0
	v_lshlrev_b32_e32 v11, 2, v0
	s_mov_b32 s0, -1
	s_waitcnt lgkmcnt(0)
	s_cmp_ge_u32 s6, s22
	s_cbranch_scc0 .LBB212_48
; %bb.1:
	s_load_dword s2, s[4:5], 0x20
	s_lshl_b32 s0, s6, 12
	s_mov_b32 s1, 0
	s_lshl_b32 s3, s22, 12
	v_and_b32_e32 v4, 0xf80, v11
	v_lshlrev_b32_e32 v6, 2, v12
	s_lshl_b64 s[0:1], s[0:1], 2
	v_bfrev_b32_e32 v3, -2
	v_lshlrev_b32_e32 v7, 2, v4
	v_or_b32_e32 v9, v12, v4
	v_mov_b32_e32 v4, v3
	v_mov_b32_e32 v5, v3
	s_waitcnt lgkmcnt(0)
	s_sub_i32 s9, s2, s3
	s_add_u32 s0, s16, s0
	s_addc_u32 s1, s17, s1
	v_add_co_u32 v6, s0, s0, v6
	v_add_co_ci_u32_e64 v8, null, s1, 0, s0
	v_add_co_u32 v7, s0, v6, v7
	v_add_co_ci_u32_e64 v8, null, 0, v8, s0
	v_mov_b32_e32 v6, v3
	s_mov_b32 s0, exec_lo
	v_cmpx_gt_u32_e64 s9, v9
	s_cbranch_execz .LBB212_3
; %bb.2:
	global_load_dword v13, v[7:8], off
	v_mov_b32_e32 v14, v3
	v_mov_b32_e32 v15, v3
	;; [unrolled: 1-line block ×3, first 2 shown]
	s_waitcnt vmcnt(0)
	v_mov_b32_e32 v3, v13
	v_mov_b32_e32 v4, v14
	;; [unrolled: 1-line block ×4, first 2 shown]
.LBB212_3:
	s_or_b32 exec_lo, exec_lo, s0
	v_or_b32_e32 v10, 32, v9
	s_mov_b32 s0, exec_lo
	v_cmpx_gt_u32_e64 s9, v10
	s_cbranch_execz .LBB212_5
; %bb.4:
	global_load_dword v4, v[7:8], off offset:128
.LBB212_5:
	s_or_b32 exec_lo, exec_lo, s0
	v_or_b32_e32 v10, 64, v9
	s_mov_b32 s0, exec_lo
	v_cmpx_gt_u32_e64 s9, v10
	s_cbranch_execz .LBB212_7
; %bb.6:
	global_load_dword v5, v[7:8], off offset:256
.LBB212_7:
	;; [unrolled: 8-line block ×3, first 2 shown]
	s_or_b32 exec_lo, exec_lo, s0
	s_clause 0x1
	s_load_dword s0, s[4:5], 0x64
	s_load_dword s22, s[4:5], 0x58
	s_add_u32 s1, s4, 0x58
	s_addc_u32 s2, s5, 0
	v_mov_b32_e32 v10, 0
	v_xor_b32_e32 v13, 0x80000000, v3
	v_lshrrev_b32_e32 v3, s20, v13
	s_waitcnt lgkmcnt(0)
	s_lshr_b32 s3, s0, 16
	s_cmp_lt_u32 s6, s22
	s_cselect_b32 s0, 12, 18
	s_add_u32 s0, s1, s0
	s_addc_u32 s1, s2, 0
	global_load_ushort v7, v10, s[0:1]
	s_lshl_b32 s0, -1, s21
	s_not_b32 s23, s0
	v_and_b32_e32 v3, s23, v3
	v_and_b32_e32 v8, 1, v3
	v_lshlrev_b32_e32 v9, 30, v3
	v_lshlrev_b32_e32 v14, 29, v3
	;; [unrolled: 1-line block ×4, first 2 shown]
	v_add_co_u32 v8, s0, v8, -1
	v_cndmask_b32_e64 v15, 0, 1, s0
	v_not_b32_e32 v19, v9
	v_cmp_gt_i32_e64 s0, 0, v9
	v_not_b32_e32 v9, v14
	v_lshlrev_b32_e32 v18, 26, v3
	v_cmp_ne_u32_e32 vcc_lo, 0, v15
	v_ashrrev_i32_e32 v19, 31, v19
	v_lshlrev_b32_e32 v15, 25, v3
	v_ashrrev_i32_e32 v9, 31, v9
	v_xor_b32_e32 v8, vcc_lo, v8
	v_cmp_gt_i32_e32 vcc_lo, 0, v14
	v_not_b32_e32 v14, v16
	v_xor_b32_e32 v19, s0, v19
	v_cmp_gt_i32_e64 s0, 0, v16
	v_and_b32_e32 v8, exec_lo, v8
	v_not_b32_e32 v16, v17
	v_ashrrev_i32_e32 v14, 31, v14
	v_xor_b32_e32 v9, vcc_lo, v9
	v_cmp_gt_i32_e32 vcc_lo, 0, v17
	v_and_b32_e32 v8, v8, v19
	v_not_b32_e32 v17, v18
	v_ashrrev_i32_e32 v16, 31, v16
	v_xor_b32_e32 v14, s0, v14
	v_cmp_gt_i32_e64 s0, 0, v18
	v_and_b32_e32 v8, v8, v9
	v_not_b32_e32 v9, v15
	v_ashrrev_i32_e32 v17, 31, v17
	v_xor_b32_e32 v16, vcc_lo, v16
	v_cmp_gt_i32_e32 vcc_lo, 0, v15
	v_and_b32_e32 v8, v8, v14
	v_lshlrev_b32_e32 v14, 24, v3
	v_ashrrev_i32_e32 v9, 31, v9
	v_xor_b32_e32 v15, s0, v17
	v_and_b32_e32 v8, v8, v16
	v_not_b32_e32 v16, v14
	v_xor_b32_e32 v9, vcc_lo, v9
	v_cmp_gt_i32_e32 vcc_lo, 0, v14
	v_and_b32_e32 v8, v8, v15
	v_mad_u32_u24 v15, v2, s3, v1
	v_ashrrev_i32_e32 v14, 31, v16
	v_mul_u32_u24_e32 v16, 36, v0
	v_and_b32_e32 v17, v8, v9
	ds_write2_b32 v16, v10, v10 offset0:32 offset1:33
	ds_write2_b32 v16, v10, v10 offset0:34 offset1:35
	;; [unrolled: 1-line block ×4, first 2 shown]
	ds_write_b32 v16, v10 offset:160
	s_waitcnt vmcnt(0) lgkmcnt(0)
	s_barrier
	buffer_gl0_inv
	; wave barrier
	v_mad_u64_u32 v[8:9], null, v15, v7, v[0:1]
	v_xor_b32_e32 v7, vcc_lo, v14
	v_mul_lo_u32 v9, 0x84, v3
	v_and_b32_e32 v7, v17, v7
	v_lshrrev_b32_e32 v8, 3, v8
	v_mbcnt_lo_u32_b32 v14, v7, 0
	v_and_b32_e32 v3, 0x1ffffffc, v8
	v_cmp_ne_u32_e64 s0, 0, v7
	v_cmp_eq_u32_e32 vcc_lo, 0, v14
	v_add_nc_u32_e32 v17, v3, v9
	s_and_b32 s1, s0, vcc_lo
	s_and_saveexec_b32 s0, s1
; %bb.10:
	v_bcnt_u32_b32 v7, v7, 0
	ds_write_b32 v17, v7 offset:128
; %bb.11:
	s_or_b32 exec_lo, exec_lo, s0
	v_xor_b32_e32 v15, 0x80000000, v4
	; wave barrier
	v_lshrrev_b32_e32 v4, s20, v15
	v_and_b32_e32 v4, s23, v4
	v_and_b32_e32 v8, 1, v4
	v_lshlrev_b32_e32 v9, 30, v4
	v_lshlrev_b32_e32 v10, 29, v4
	;; [unrolled: 1-line block ×4, first 2 shown]
	v_add_co_u32 v8, s0, v8, -1
	v_cndmask_b32_e64 v19, 0, 1, s0
	v_not_b32_e32 v23, v9
	v_cmp_gt_i32_e64 s0, 0, v9
	v_not_b32_e32 v9, v10
	v_lshlrev_b32_e32 v21, 26, v4
	v_cmp_ne_u32_e32 vcc_lo, 0, v19
	v_ashrrev_i32_e32 v19, 31, v23
	v_lshlrev_b32_e32 v22, 25, v4
	v_ashrrev_i32_e32 v9, 31, v9
	v_mul_lo_u32 v7, 0x84, v4
	v_xor_b32_e32 v8, vcc_lo, v8
	v_cmp_gt_i32_e32 vcc_lo, 0, v10
	v_not_b32_e32 v10, v18
	v_xor_b32_e32 v19, s0, v19
	v_cmp_gt_i32_e64 s0, 0, v18
	v_and_b32_e32 v8, exec_lo, v8
	v_not_b32_e32 v18, v20
	v_ashrrev_i32_e32 v10, 31, v10
	v_xor_b32_e32 v9, vcc_lo, v9
	v_cmp_gt_i32_e32 vcc_lo, 0, v20
	v_and_b32_e32 v8, v8, v19
	v_not_b32_e32 v19, v21
	v_ashrrev_i32_e32 v18, 31, v18
	v_xor_b32_e32 v10, s0, v10
	v_lshlrev_b32_e32 v4, 24, v4
	v_and_b32_e32 v8, v8, v9
	v_cmp_gt_i32_e64 s0, 0, v21
	v_not_b32_e32 v9, v22
	v_ashrrev_i32_e32 v19, 31, v19
	v_xor_b32_e32 v18, vcc_lo, v18
	v_and_b32_e32 v8, v8, v10
	v_cmp_gt_i32_e32 vcc_lo, 0, v22
	v_not_b32_e32 v10, v4
	v_ashrrev_i32_e32 v9, 31, v9
	v_xor_b32_e32 v19, s0, v19
	v_and_b32_e32 v8, v8, v18
	v_cmp_gt_i32_e64 s0, 0, v4
	v_ashrrev_i32_e32 v4, 31, v10
	v_xor_b32_e32 v9, vcc_lo, v9
	v_add_nc_u32_e32 v21, v3, v7
	v_and_b32_e32 v8, v8, v19
	v_xor_b32_e32 v4, s0, v4
	ds_read_b32 v18, v21 offset:128
	v_and_b32_e32 v7, v8, v9
	; wave barrier
	v_and_b32_e32 v4, v7, v4
	v_mbcnt_lo_u32_b32 v20, v4, 0
	v_cmp_ne_u32_e64 s0, 0, v4
	v_cmp_eq_u32_e32 vcc_lo, 0, v20
	s_and_b32 s1, s0, vcc_lo
	s_and_saveexec_b32 s0, s1
	s_cbranch_execz .LBB212_13
; %bb.12:
	s_waitcnt lgkmcnt(0)
	v_bcnt_u32_b32 v4, v4, v18
	ds_write_b32 v21, v4 offset:128
.LBB212_13:
	s_or_b32 exec_lo, exec_lo, s0
	v_xor_b32_e32 v19, 0x80000000, v5
	; wave barrier
	v_lshrrev_b32_e32 v4, s20, v19
	v_and_b32_e32 v4, s23, v4
	v_and_b32_e32 v7, 1, v4
	v_lshlrev_b32_e32 v8, 30, v4
	v_lshlrev_b32_e32 v9, 29, v4
	;; [unrolled: 1-line block ×4, first 2 shown]
	v_add_co_u32 v7, s0, v7, -1
	v_cndmask_b32_e64 v22, 0, 1, s0
	v_not_b32_e32 v26, v8
	v_cmp_gt_i32_e64 s0, 0, v8
	v_not_b32_e32 v8, v9
	v_lshlrev_b32_e32 v24, 26, v4
	v_cmp_ne_u32_e32 vcc_lo, 0, v22
	v_ashrrev_i32_e32 v22, 31, v26
	v_lshlrev_b32_e32 v25, 25, v4
	v_ashrrev_i32_e32 v8, 31, v8
	v_mul_lo_u32 v5, 0x84, v4
	v_xor_b32_e32 v7, vcc_lo, v7
	v_cmp_gt_i32_e32 vcc_lo, 0, v9
	v_not_b32_e32 v9, v10
	v_xor_b32_e32 v22, s0, v22
	v_cmp_gt_i32_e64 s0, 0, v10
	v_and_b32_e32 v7, exec_lo, v7
	v_not_b32_e32 v10, v23
	v_ashrrev_i32_e32 v9, 31, v9
	v_xor_b32_e32 v8, vcc_lo, v8
	v_cmp_gt_i32_e32 vcc_lo, 0, v23
	v_and_b32_e32 v7, v7, v22
	v_not_b32_e32 v22, v24
	v_ashrrev_i32_e32 v10, 31, v10
	v_xor_b32_e32 v9, s0, v9
	v_lshlrev_b32_e32 v4, 24, v4
	v_and_b32_e32 v7, v7, v8
	v_cmp_gt_i32_e64 s0, 0, v24
	v_not_b32_e32 v8, v25
	v_ashrrev_i32_e32 v22, 31, v22
	v_xor_b32_e32 v10, vcc_lo, v10
	v_and_b32_e32 v7, v7, v9
	v_cmp_gt_i32_e32 vcc_lo, 0, v25
	v_not_b32_e32 v9, v4
	v_ashrrev_i32_e32 v8, 31, v8
	v_xor_b32_e32 v22, s0, v22
	v_and_b32_e32 v7, v7, v10
	v_cmp_gt_i32_e64 s0, 0, v4
	v_ashrrev_i32_e32 v4, 31, v9
	v_xor_b32_e32 v8, vcc_lo, v8
	v_add_nc_u32_e32 v25, v3, v5
	v_and_b32_e32 v7, v7, v22
	v_xor_b32_e32 v4, s0, v4
	ds_read_b32 v22, v25 offset:128
	v_and_b32_e32 v5, v7, v8
	; wave barrier
	v_and_b32_e32 v4, v5, v4
	v_mbcnt_lo_u32_b32 v24, v4, 0
	v_cmp_ne_u32_e64 s0, 0, v4
	v_cmp_eq_u32_e32 vcc_lo, 0, v24
	s_and_b32 s1, s0, vcc_lo
	s_and_saveexec_b32 s0, s1
	s_cbranch_execz .LBB212_15
; %bb.14:
	s_waitcnt lgkmcnt(0)
	v_bcnt_u32_b32 v4, v4, v22
	ds_write_b32 v25, v4 offset:128
.LBB212_15:
	s_or_b32 exec_lo, exec_lo, s0
	v_xor_b32_e32 v23, 0x80000000, v6
	; wave barrier
	v_lshrrev_b32_e32 v4, s20, v23
	v_and_b32_e32 v4, s23, v4
	v_and_b32_e32 v6, 1, v4
	v_lshlrev_b32_e32 v7, 30, v4
	v_lshlrev_b32_e32 v8, 29, v4
	;; [unrolled: 1-line block ×4, first 2 shown]
	v_add_co_u32 v6, s0, v6, -1
	v_cndmask_b32_e64 v10, 0, 1, s0
	v_not_b32_e32 v29, v7
	v_cmp_gt_i32_e64 s0, 0, v7
	v_not_b32_e32 v7, v8
	v_lshlrev_b32_e32 v27, 26, v4
	v_cmp_ne_u32_e32 vcc_lo, 0, v10
	v_ashrrev_i32_e32 v10, 31, v29
	v_lshlrev_b32_e32 v28, 25, v4
	v_ashrrev_i32_e32 v7, 31, v7
	v_mul_lo_u32 v5, 0x84, v4
	v_xor_b32_e32 v6, vcc_lo, v6
	v_cmp_gt_i32_e32 vcc_lo, 0, v8
	v_not_b32_e32 v8, v9
	v_xor_b32_e32 v10, s0, v10
	v_cmp_gt_i32_e64 s0, 0, v9
	v_and_b32_e32 v6, exec_lo, v6
	v_not_b32_e32 v9, v26
	v_ashrrev_i32_e32 v8, 31, v8
	v_xor_b32_e32 v7, vcc_lo, v7
	v_cmp_gt_i32_e32 vcc_lo, 0, v26
	v_and_b32_e32 v6, v6, v10
	v_not_b32_e32 v10, v27
	v_ashrrev_i32_e32 v9, 31, v9
	v_xor_b32_e32 v8, s0, v8
	v_lshlrev_b32_e32 v4, 24, v4
	v_and_b32_e32 v6, v6, v7
	v_cmp_gt_i32_e64 s0, 0, v27
	v_not_b32_e32 v7, v28
	v_ashrrev_i32_e32 v10, 31, v10
	v_xor_b32_e32 v9, vcc_lo, v9
	v_and_b32_e32 v6, v6, v8
	v_cmp_gt_i32_e32 vcc_lo, 0, v28
	v_not_b32_e32 v8, v4
	v_ashrrev_i32_e32 v7, 31, v7
	v_xor_b32_e32 v10, s0, v10
	v_and_b32_e32 v6, v6, v9
	v_cmp_gt_i32_e64 s0, 0, v4
	v_ashrrev_i32_e32 v4, 31, v8
	v_xor_b32_e32 v7, vcc_lo, v7
	v_add_nc_u32_e32 v28, v3, v5
	v_and_b32_e32 v6, v6, v10
	v_xor_b32_e32 v3, s0, v4
	ds_read_b32 v26, v28 offset:128
	v_and_b32_e32 v4, v6, v7
	; wave barrier
	v_and_b32_e32 v3, v4, v3
	v_mbcnt_lo_u32_b32 v27, v3, 0
	v_cmp_ne_u32_e64 s0, 0, v3
	v_cmp_eq_u32_e32 vcc_lo, 0, v27
	s_and_b32 s1, s0, vcc_lo
	s_and_saveexec_b32 s0, s1
	s_cbranch_execz .LBB212_17
; %bb.16:
	s_waitcnt lgkmcnt(0)
	v_bcnt_u32_b32 v3, v3, v26
	ds_write_b32 v28, v3 offset:128
.LBB212_17:
	s_or_b32 exec_lo, exec_lo, s0
	; wave barrier
	s_waitcnt lgkmcnt(0)
	s_barrier
	buffer_gl0_inv
	ds_read2_b32 v[9:10], v16 offset0:32 offset1:33
	ds_read2_b32 v[7:8], v16 offset0:34 offset1:35
	;; [unrolled: 1-line block ×4, first 2 shown]
	ds_read_b32 v29, v16 offset:160
	v_and_b32_e32 v32, 16, v12
	v_and_b32_e32 v33, 31, v0
	s_mov_b32 s8, exec_lo
	v_cmp_eq_u32_e64 s3, 0, v32
	s_waitcnt lgkmcnt(3)
	v_add3_u32 v30, v10, v9, v7
	s_waitcnt lgkmcnt(2)
	v_add3_u32 v30, v30, v8, v5
	;; [unrolled: 2-line block ×4, first 2 shown]
	v_and_b32_e32 v30, 15, v12
	v_mov_b32_dpp v31, v29 row_shr:1 row_mask:0xf bank_mask:0xf
	v_cmp_eq_u32_e32 vcc_lo, 0, v30
	v_cmp_lt_u32_e64 s0, 1, v30
	v_cmp_lt_u32_e64 s1, 3, v30
	;; [unrolled: 1-line block ×3, first 2 shown]
	v_cndmask_b32_e64 v31, v31, 0, vcc_lo
	v_add_nc_u32_e32 v29, v31, v29
	v_mov_b32_dpp v31, v29 row_shr:2 row_mask:0xf bank_mask:0xf
	v_cndmask_b32_e64 v31, 0, v31, s0
	v_add_nc_u32_e32 v29, v29, v31
	v_mov_b32_dpp v31, v29 row_shr:4 row_mask:0xf bank_mask:0xf
	v_cndmask_b32_e64 v31, 0, v31, s1
	;; [unrolled: 3-line block ×3, first 2 shown]
	v_bfe_i32 v31, v12, 4, 1
	v_add_nc_u32_e32 v29, v29, v30
	ds_swizzle_b32 v30, v29 offset:swizzle(BROADCAST,32,15)
	s_waitcnt lgkmcnt(0)
	v_and_b32_e32 v31, v31, v30
	v_lshrrev_b32_e32 v30, 5, v0
	v_add_nc_u32_e32 v29, v29, v31
	v_cmpx_eq_u32_e32 31, v33
; %bb.18:
	v_lshlrev_b32_e32 v31, 2, v30
	ds_write_b32 v31, v29
; %bb.19:
	s_or_b32 exec_lo, exec_lo, s8
	v_cmp_lt_u32_e64 s7, 31, v0
	s_mov_b32 s24, exec_lo
	s_waitcnt lgkmcnt(0)
	s_barrier
	buffer_gl0_inv
	v_cmpx_gt_u32_e32 32, v0
	s_cbranch_execz .LBB212_21
; %bb.20:
	ds_read_b32 v31, v11
	s_waitcnt lgkmcnt(0)
	v_mov_b32_dpp v32, v31 row_shr:1 row_mask:0xf bank_mask:0xf
	v_cndmask_b32_e64 v32, v32, 0, vcc_lo
	v_add_nc_u32_e32 v31, v32, v31
	v_mov_b32_dpp v32, v31 row_shr:2 row_mask:0xf bank_mask:0xf
	v_cndmask_b32_e64 v32, 0, v32, s0
	v_add_nc_u32_e32 v31, v31, v32
	v_mov_b32_dpp v32, v31 row_shr:4 row_mask:0xf bank_mask:0xf
	v_cndmask_b32_e64 v32, 0, v32, s1
	;; [unrolled: 3-line block ×3, first 2 shown]
	v_add_nc_u32_e32 v31, v31, v32
	ds_swizzle_b32 v32, v31 offset:swizzle(BROADCAST,32,15)
	s_waitcnt lgkmcnt(0)
	v_cndmask_b32_e64 v32, v32, 0, s3
	v_add_nc_u32_e32 v31, v31, v32
	ds_write_b32 v11, v31
.LBB212_21:
	s_or_b32 exec_lo, exec_lo, s24
	v_mov_b32_e32 v31, 0
	s_waitcnt lgkmcnt(0)
	s_barrier
	buffer_gl0_inv
	s_and_saveexec_b32 s0, s7
; %bb.22:
	v_lshl_add_u32 v30, v30, 2, -4
	ds_read_b32 v31, v30
; %bb.23:
	s_or_b32 exec_lo, exec_lo, s0
	v_sub_co_u32 v30, vcc_lo, v12, 1
	s_waitcnt lgkmcnt(0)
	v_add_nc_u32_e32 v29, v31, v29
	v_cmp_gt_i32_e64 s0, 0, v30
	v_cndmask_b32_e64 v30, v30, v12, s0
	v_cmp_gt_u32_e64 s0, 0x100, v0
	v_lshlrev_b32_e32 v30, 2, v30
	ds_bpermute_b32 v29, v30, v29
	s_waitcnt lgkmcnt(0)
	v_cndmask_b32_e32 v29, v29, v31, vcc_lo
	v_cmp_ne_u32_e32 vcc_lo, 0, v0
	v_cndmask_b32_e32 v29, 0, v29, vcc_lo
	v_cmp_lt_u32_e32 vcc_lo, 0xff, v0
	v_add_nc_u32_e32 v9, v29, v9
	v_add_nc_u32_e32 v10, v9, v10
	v_add_nc_u32_e32 v7, v10, v7
	v_add_nc_u32_e32 v8, v7, v8
	v_add_nc_u32_e32 v5, v8, v5
	v_add_nc_u32_e32 v6, v5, v6
	v_add_nc_u32_e32 v3, v6, v3
	v_add_nc_u32_e32 v4, v3, v4
	ds_write2_b32 v16, v29, v9 offset0:32 offset1:33
	ds_write2_b32 v16, v10, v7 offset0:34 offset1:35
	;; [unrolled: 1-line block ×4, first 2 shown]
	ds_write_b32 v16, v4 offset:160
	s_waitcnt lgkmcnt(0)
	s_barrier
	buffer_gl0_inv
	ds_read_b32 v3, v17 offset:128
	ds_read_b32 v6, v21 offset:128
	;; [unrolled: 1-line block ×4, first 2 shown]
                                        ; implicit-def: $vgpr9
                                        ; implicit-def: $vgpr10
	s_and_saveexec_b32 s2, s0
	s_cbranch_execz .LBB212_27
; %bb.24:
	v_mul_u32_u24_e32 v7, 0x84, v0
	v_add_nc_u32_e32 v8, 1, v0
	s_mov_b32 s3, exec_lo
	ds_read_b32 v9, v7 offset:128
	v_mov_b32_e32 v7, 0x1000
	v_cmpx_ne_u32_e32 0x100, v8
; %bb.25:
	v_mul_u32_u24_e32 v7, 0x84, v8
	ds_read_b32 v7, v7 offset:128
; %bb.26:
	s_or_b32 exec_lo, exec_lo, s3
	s_waitcnt lgkmcnt(0)
	v_sub_nc_u32_e32 v10, v7, v9
.LBB212_27:
	s_or_b32 exec_lo, exec_lo, s2
	v_lshlrev_b32_e32 v7, 2, v14
	v_lshlrev_b32_e32 v8, 2, v20
	;; [unrolled: 1-line block ×5, first 2 shown]
	s_waitcnt lgkmcnt(0)
	v_lshlrev_b32_e32 v4, 2, v4
	v_lshlrev_b32_e32 v6, 2, v6
	;; [unrolled: 1-line block ×5, first 2 shown]
	v_lshl_add_u32 v3, v3, 2, v7
	v_add3_u32 v7, v18, v20, v4
	v_mov_b32_e32 v4, 0
	v_add3_u32 v6, v8, v14, v6
	v_add3_u32 v5, v16, v17, v5
	s_barrier
	buffer_gl0_inv
	ds_write_b32 v3, v13 offset:1024
	ds_write_b32 v6, v15 offset:1024
	;; [unrolled: 1-line block ×4, first 2 shown]
	s_and_saveexec_b32 s1, s0
	s_cbranch_execz .LBB212_37
; %bb.28:
	v_lshl_add_u32 v3, s6, 8, v0
	v_mov_b32_e32 v13, 0
	s_mov_b32 s2, 0
	s_mov_b32 s3, s6
	v_lshlrev_b64 v[5:6], 2, v[3:4]
	v_or_b32_e32 v3, 2.0, v10
	v_add_co_u32 v5, s0, s10, v5
	v_add_co_ci_u32_e64 v6, null, s11, v6, s0
                                        ; implicit-def: $sgpr0
	global_store_dword v[5:6], v3, off
	s_branch .LBB212_31
	.p2align	6
.LBB212_29:                             ;   in Loop: Header=BB212_31 Depth=1
	s_or_b32 exec_lo, exec_lo, s8
.LBB212_30:                             ;   in Loop: Header=BB212_31 Depth=1
	s_or_b32 exec_lo, exec_lo, s7
	v_and_b32_e32 v7, 0x3fffffff, v3
	v_cmp_gt_i32_e64 s0, -2.0, v3
	v_add_nc_u32_e32 v13, v7, v13
	s_and_b32 s7, exec_lo, s0
	s_or_b32 s2, s7, s2
	s_andn2_b32 exec_lo, exec_lo, s2
	s_cbranch_execz .LBB212_36
.LBB212_31:                             ; =>This Loop Header: Depth=1
                                        ;     Child Loop BB212_34 Depth 2
	s_or_b32 s0, s0, exec_lo
	s_cmp_eq_u32 s3, 0
	s_cbranch_scc1 .LBB212_35
; %bb.32:                               ;   in Loop: Header=BB212_31 Depth=1
	s_add_i32 s3, s3, -1
	s_mov_b32 s7, exec_lo
	v_lshl_or_b32 v3, s3, 8, v0
	v_lshlrev_b64 v[7:8], 2, v[3:4]
	v_add_co_u32 v7, s0, s10, v7
	v_add_co_ci_u32_e64 v8, null, s11, v8, s0
	global_load_dword v3, v[7:8], off glc dlc
	s_waitcnt vmcnt(0)
	v_cmpx_gt_u32_e32 2.0, v3
	s_cbranch_execz .LBB212_30
; %bb.33:                               ;   in Loop: Header=BB212_31 Depth=1
	s_mov_b32 s8, 0
.LBB212_34:                             ;   Parent Loop BB212_31 Depth=1
                                        ; =>  This Inner Loop Header: Depth=2
	global_load_dword v3, v[7:8], off glc dlc
	s_waitcnt vmcnt(0)
	v_cmp_lt_u32_e64 s0, 0x3fffffff, v3
	s_or_b32 s8, s0, s8
	s_andn2_b32 exec_lo, exec_lo, s8
	s_cbranch_execnz .LBB212_34
	s_branch .LBB212_29
.LBB212_35:                             ;   in Loop: Header=BB212_31 Depth=1
                                        ; implicit-def: $sgpr3
	s_and_b32 s7, exec_lo, s0
	s_or_b32 s2, s7, s2
	s_andn2_b32 exec_lo, exec_lo, s2
	s_cbranch_execnz .LBB212_31
.LBB212_36:
	s_or_b32 exec_lo, exec_lo, s2
	v_add_nc_u32_e32 v3, v13, v10
	v_sub_nc_u32_e32 v4, v13, v9
	v_or_b32_e32 v3, 0x80000000, v3
	global_store_dword v[5:6], v3, off
	global_load_dword v3, v11, s[12:13]
	s_waitcnt vmcnt(0)
	v_add_nc_u32_e32 v3, v4, v3
	ds_write_b32 v11, v3
.LBB212_37:
	s_or_b32 exec_lo, exec_lo, s1
	s_mov_b32 s1, exec_lo
	s_waitcnt lgkmcnt(0)
	s_waitcnt_vscnt null, 0x0
	s_barrier
	buffer_gl0_inv
	v_cmpx_gt_u32_e64 s9, v0
	s_cbranch_execz .LBB212_39
; %bb.38:
	ds_read_b32 v5, v11 offset:1024
	v_mov_b32_e32 v4, 0
	s_waitcnt lgkmcnt(0)
	v_lshrrev_b32_e32 v3, s20, v5
	v_xor_b32_e32 v5, 0x80000000, v5
	v_and_b32_e32 v3, s23, v3
	v_lshlrev_b32_e32 v3, 2, v3
	ds_read_b32 v3, v3
	s_waitcnt lgkmcnt(0)
	v_add_nc_u32_e32 v3, v3, v0
	v_lshlrev_b64 v[3:4], 2, v[3:4]
	v_add_co_u32 v3, s0, s18, v3
	v_add_co_ci_u32_e64 v4, null, s19, v4, s0
	global_store_dword v[3:4], v5, off
.LBB212_39:
	s_or_b32 exec_lo, exec_lo, s1
	v_or_b32_e32 v3, 0x400, v0
	s_mov_b32 s1, exec_lo
	v_cmpx_gt_u32_e64 s9, v3
	s_cbranch_execz .LBB212_41
; %bb.40:
	ds_read_b32 v5, v11 offset:5120
	s_waitcnt lgkmcnt(0)
	v_lshrrev_b32_e32 v4, s20, v5
	v_xor_b32_e32 v5, 0x80000000, v5
	v_and_b32_e32 v4, s23, v4
	v_lshlrev_b32_e32 v4, 2, v4
	ds_read_b32 v6, v4
	v_mov_b32_e32 v4, 0
	s_waitcnt lgkmcnt(0)
	v_add_nc_u32_e32 v3, v6, v3
	v_lshlrev_b64 v[3:4], 2, v[3:4]
	v_add_co_u32 v3, s0, s18, v3
	v_add_co_ci_u32_e64 v4, null, s19, v4, s0
	global_store_dword v[3:4], v5, off
.LBB212_41:
	s_or_b32 exec_lo, exec_lo, s1
	v_or_b32_e32 v3, 0x800, v0
	s_mov_b32 s1, exec_lo
	v_cmpx_gt_u32_e64 s9, v3
	s_cbranch_execz .LBB212_43
; %bb.42:
	ds_read_b32 v5, v11 offset:9216
	s_waitcnt lgkmcnt(0)
	v_lshrrev_b32_e32 v4, s20, v5
	v_xor_b32_e32 v5, 0x80000000, v5
	v_and_b32_e32 v4, s23, v4
	v_lshlrev_b32_e32 v4, 2, v4
	ds_read_b32 v6, v4
	v_mov_b32_e32 v4, 0
	s_waitcnt lgkmcnt(0)
	v_add_nc_u32_e32 v3, v6, v3
	v_lshlrev_b64 v[3:4], 2, v[3:4]
	v_add_co_u32 v3, s0, s18, v3
	v_add_co_ci_u32_e64 v4, null, s19, v4, s0
	global_store_dword v[3:4], v5, off
.LBB212_43:
	;; [unrolled: 21-line block ×3, first 2 shown]
	s_or_b32 exec_lo, exec_lo, s1
	s_add_i32 s22, s22, -1
	s_cmp_eq_u32 s6, s22
	s_cselect_b32 s0, -1, 0
	s_xor_b32 s1, vcc_lo, -1
	s_and_b32 s1, s1, s0
	s_and_saveexec_b32 s0, s1
	s_cbranch_execz .LBB212_47
; %bb.46:
	ds_read_b32 v3, v11
	s_waitcnt lgkmcnt(0)
	v_add3_u32 v3, v9, v10, v3
	global_store_dword v11, v3, s[14:15]
.LBB212_47:
	s_or_b32 exec_lo, exec_lo, s0
	s_mov_b32 s0, 0
.LBB212_48:
	s_and_b32 vcc_lo, exec_lo, s0
	s_cbranch_vccz .LBB212_79
; %bb.49:
	s_lshl_b32 s0, s6, 12
	s_mov_b32 s1, 0
	v_lshlrev_b32_e32 v3, 4, v0
	v_lshlrev_b32_e32 v4, 2, v12
	s_lshl_b64 s[0:1], s[0:1], 2
	v_mov_b32_e32 v13, 0
	s_add_u32 s0, s16, s0
	s_addc_u32 s1, s17, s1
	v_and_b32_e32 v3, 0x3e00, v3
	v_add_co_u32 v4, s0, s0, v4
	v_add_co_ci_u32_e64 v5, null, s1, 0, s0
	s_add_u32 s1, s4, 0x58
	v_add_co_u32 v6, vcc_lo, v4, v3
	v_add_co_ci_u32_e64 v7, null, 0, v5, vcc_lo
	s_addc_u32 s2, s5, 0
	global_load_dword v8, v[6:7], off
	s_clause 0x1
	s_load_dword s0, s[4:5], 0x64
	s_load_dword s7, s[4:5], 0x58
	s_waitcnt lgkmcnt(0)
	s_lshr_b32 s3, s0, 16
	s_cmp_lt_u32 s6, s7
	v_mad_u32_u24 v1, v2, s3, v1
	s_cselect_b32 s0, 12, 18
	s_add_u32 s0, s1, s0
	s_addc_u32 s1, s2, 0
	global_load_ushort v10, v13, s[0:1]
	s_clause 0x2
	global_load_dword v5, v[6:7], off offset:128
	global_load_dword v4, v[6:7], off offset:256
	global_load_dword v3, v[6:7], off offset:384
	s_lshl_b32 s0, -1, s21
	s_not_b32 s8, s0
	s_waitcnt vmcnt(4)
	v_xor_b32_e32 v9, 0x80000000, v8
	v_lshrrev_b32_e32 v6, s20, v9
	v_and_b32_e32 v6, s8, v6
	v_and_b32_e32 v7, 1, v6
	v_lshlrev_b32_e32 v8, 30, v6
	v_lshlrev_b32_e32 v14, 29, v6
	;; [unrolled: 1-line block ×4, first 2 shown]
	v_add_co_u32 v7, s0, v7, -1
	v_cndmask_b32_e64 v16, 0, 1, s0
	v_not_b32_e32 v20, v8
	v_cmp_gt_i32_e64 s0, 0, v8
	v_not_b32_e32 v8, v14
	v_lshlrev_b32_e32 v18, 26, v6
	v_cmp_ne_u32_e32 vcc_lo, 0, v16
	v_ashrrev_i32_e32 v20, 31, v20
	v_lshlrev_b32_e32 v19, 25, v6
	v_ashrrev_i32_e32 v8, 31, v8
	v_lshlrev_b32_e32 v16, 24, v6
	v_xor_b32_e32 v7, vcc_lo, v7
	v_cmp_gt_i32_e32 vcc_lo, 0, v14
	v_not_b32_e32 v14, v15
	v_xor_b32_e32 v20, s0, v20
	v_cmp_gt_i32_e64 s0, 0, v15
	v_and_b32_e32 v7, exec_lo, v7
	v_not_b32_e32 v15, v17
	v_ashrrev_i32_e32 v14, 31, v14
	v_xor_b32_e32 v8, vcc_lo, v8
	v_cmp_gt_i32_e32 vcc_lo, 0, v17
	v_and_b32_e32 v7, v7, v20
	v_not_b32_e32 v17, v18
	v_ashrrev_i32_e32 v15, 31, v15
	v_xor_b32_e32 v14, s0, v14
	v_cmp_gt_i32_e64 s0, 0, v18
	v_and_b32_e32 v7, v7, v8
	v_not_b32_e32 v8, v19
	v_ashrrev_i32_e32 v17, 31, v17
	v_xor_b32_e32 v15, vcc_lo, v15
	v_cmp_gt_i32_e32 vcc_lo, 0, v19
	v_and_b32_e32 v7, v7, v14
	v_not_b32_e32 v14, v16
	v_ashrrev_i32_e32 v8, 31, v8
	v_xor_b32_e32 v17, s0, v17
	v_cmp_gt_i32_e64 s0, 0, v16
	v_and_b32_e32 v7, v7, v15
	v_ashrrev_i32_e32 v15, 31, v14
	v_xor_b32_e32 v8, vcc_lo, v8
	s_waitcnt vmcnt(3)
	v_mad_u64_u32 v[1:2], null, v1, v10, v[0:1]
	v_and_b32_e32 v7, v7, v17
	v_xor_b32_e32 v2, s0, v15
	v_mul_lo_u32 v6, 0x84, v6
	v_mul_u32_u24_e32 v14, 36, v0
	v_and_b32_e32 v7, v7, v8
	v_lshrrev_b32_e32 v1, 3, v1
	ds_write2_b32 v14, v13, v13 offset0:32 offset1:33
	ds_write2_b32 v14, v13, v13 offset0:34 offset1:35
	ds_write2_b32 v14, v13, v13 offset0:36 offset1:37
	v_and_b32_e32 v2, v7, v2
	v_and_b32_e32 v1, 0x1ffffffc, v1
	ds_write2_b32 v14, v13, v13 offset0:38 offset1:39
	ds_write_b32 v14, v13 offset:160
	s_waitcnt vmcnt(0) lgkmcnt(0)
	s_waitcnt_vscnt null, 0x0
	s_barrier
	v_mbcnt_lo_u32_b32 v10, v2, 0
	v_cmp_ne_u32_e64 s0, 0, v2
	v_add_nc_u32_e32 v15, v1, v6
	buffer_gl0_inv
	v_cmp_eq_u32_e32 vcc_lo, 0, v10
	; wave barrier
	s_and_b32 s1, s0, vcc_lo
	s_and_saveexec_b32 s0, s1
; %bb.50:
	v_bcnt_u32_b32 v2, v2, 0
	ds_write_b32 v15, v2 offset:128
; %bb.51:
	s_or_b32 exec_lo, exec_lo, s0
	v_xor_b32_e32 v13, 0x80000000, v5
	; wave barrier
	v_lshrrev_b32_e32 v2, s20, v13
	v_and_b32_e32 v2, s8, v2
	v_and_b32_e32 v6, 1, v2
	v_lshlrev_b32_e32 v7, 30, v2
	v_lshlrev_b32_e32 v8, 29, v2
	;; [unrolled: 1-line block ×4, first 2 shown]
	v_add_co_u32 v6, s0, v6, -1
	v_cndmask_b32_e64 v17, 0, 1, s0
	v_not_b32_e32 v21, v7
	v_cmp_gt_i32_e64 s0, 0, v7
	v_not_b32_e32 v7, v8
	v_lshlrev_b32_e32 v19, 26, v2
	v_cmp_ne_u32_e32 vcc_lo, 0, v17
	v_ashrrev_i32_e32 v17, 31, v21
	v_lshlrev_b32_e32 v20, 25, v2
	v_ashrrev_i32_e32 v7, 31, v7
	v_mul_lo_u32 v5, 0x84, v2
	v_xor_b32_e32 v6, vcc_lo, v6
	v_cmp_gt_i32_e32 vcc_lo, 0, v8
	v_not_b32_e32 v8, v16
	v_xor_b32_e32 v17, s0, v17
	v_cmp_gt_i32_e64 s0, 0, v16
	v_and_b32_e32 v6, exec_lo, v6
	v_not_b32_e32 v16, v18
	v_ashrrev_i32_e32 v8, 31, v8
	v_xor_b32_e32 v7, vcc_lo, v7
	v_cmp_gt_i32_e32 vcc_lo, 0, v18
	v_and_b32_e32 v6, v6, v17
	v_not_b32_e32 v17, v19
	v_ashrrev_i32_e32 v16, 31, v16
	v_xor_b32_e32 v8, s0, v8
	v_lshlrev_b32_e32 v2, 24, v2
	v_and_b32_e32 v6, v6, v7
	v_cmp_gt_i32_e64 s0, 0, v19
	v_not_b32_e32 v7, v20
	v_ashrrev_i32_e32 v17, 31, v17
	v_xor_b32_e32 v16, vcc_lo, v16
	v_and_b32_e32 v6, v6, v8
	v_cmp_gt_i32_e32 vcc_lo, 0, v20
	v_not_b32_e32 v8, v2
	v_ashrrev_i32_e32 v7, 31, v7
	v_xor_b32_e32 v17, s0, v17
	v_and_b32_e32 v6, v6, v16
	v_cmp_gt_i32_e64 s0, 0, v2
	v_ashrrev_i32_e32 v2, 31, v8
	v_xor_b32_e32 v7, vcc_lo, v7
	v_add_nc_u32_e32 v19, v1, v5
	v_and_b32_e32 v6, v6, v17
	v_xor_b32_e32 v2, s0, v2
	ds_read_b32 v16, v19 offset:128
	v_and_b32_e32 v5, v6, v7
	; wave barrier
	v_and_b32_e32 v2, v5, v2
	v_mbcnt_lo_u32_b32 v18, v2, 0
	v_cmp_ne_u32_e64 s0, 0, v2
	v_cmp_eq_u32_e32 vcc_lo, 0, v18
	s_and_b32 s1, s0, vcc_lo
	s_and_saveexec_b32 s0, s1
	s_cbranch_execz .LBB212_53
; %bb.52:
	s_waitcnt lgkmcnt(0)
	v_bcnt_u32_b32 v2, v2, v16
	ds_write_b32 v19, v2 offset:128
.LBB212_53:
	s_or_b32 exec_lo, exec_lo, s0
	v_xor_b32_e32 v17, 0x80000000, v4
	; wave barrier
	v_lshrrev_b32_e32 v2, s20, v17
	v_and_b32_e32 v2, s8, v2
	v_and_b32_e32 v5, 1, v2
	v_lshlrev_b32_e32 v6, 30, v2
	v_lshlrev_b32_e32 v7, 29, v2
	;; [unrolled: 1-line block ×4, first 2 shown]
	v_add_co_u32 v5, s0, v5, -1
	v_cndmask_b32_e64 v20, 0, 1, s0
	v_not_b32_e32 v24, v6
	v_cmp_gt_i32_e64 s0, 0, v6
	v_not_b32_e32 v6, v7
	v_lshlrev_b32_e32 v22, 26, v2
	v_cmp_ne_u32_e32 vcc_lo, 0, v20
	v_ashrrev_i32_e32 v20, 31, v24
	v_lshlrev_b32_e32 v23, 25, v2
	v_ashrrev_i32_e32 v6, 31, v6
	v_mul_lo_u32 v4, 0x84, v2
	v_xor_b32_e32 v5, vcc_lo, v5
	v_cmp_gt_i32_e32 vcc_lo, 0, v7
	v_not_b32_e32 v7, v8
	v_xor_b32_e32 v20, s0, v20
	v_cmp_gt_i32_e64 s0, 0, v8
	v_and_b32_e32 v5, exec_lo, v5
	v_not_b32_e32 v8, v21
	v_ashrrev_i32_e32 v7, 31, v7
	v_xor_b32_e32 v6, vcc_lo, v6
	v_cmp_gt_i32_e32 vcc_lo, 0, v21
	v_and_b32_e32 v5, v5, v20
	v_not_b32_e32 v20, v22
	v_ashrrev_i32_e32 v8, 31, v8
	v_xor_b32_e32 v7, s0, v7
	v_lshlrev_b32_e32 v2, 24, v2
	v_and_b32_e32 v5, v5, v6
	v_cmp_gt_i32_e64 s0, 0, v22
	v_not_b32_e32 v6, v23
	v_ashrrev_i32_e32 v20, 31, v20
	v_xor_b32_e32 v8, vcc_lo, v8
	v_and_b32_e32 v5, v5, v7
	v_cmp_gt_i32_e32 vcc_lo, 0, v23
	v_not_b32_e32 v7, v2
	v_ashrrev_i32_e32 v6, 31, v6
	v_xor_b32_e32 v20, s0, v20
	v_and_b32_e32 v5, v5, v8
	v_cmp_gt_i32_e64 s0, 0, v2
	v_ashrrev_i32_e32 v2, 31, v7
	v_xor_b32_e32 v6, vcc_lo, v6
	v_add_nc_u32_e32 v23, v1, v4
	v_and_b32_e32 v5, v5, v20
	v_xor_b32_e32 v2, s0, v2
	ds_read_b32 v20, v23 offset:128
	v_and_b32_e32 v4, v5, v6
	; wave barrier
	v_and_b32_e32 v2, v4, v2
	v_mbcnt_lo_u32_b32 v22, v2, 0
	v_cmp_ne_u32_e64 s0, 0, v2
	v_cmp_eq_u32_e32 vcc_lo, 0, v22
	s_and_b32 s1, s0, vcc_lo
	s_and_saveexec_b32 s0, s1
	s_cbranch_execz .LBB212_55
; %bb.54:
	s_waitcnt lgkmcnt(0)
	v_bcnt_u32_b32 v2, v2, v20
	ds_write_b32 v23, v2 offset:128
.LBB212_55:
	s_or_b32 exec_lo, exec_lo, s0
	v_xor_b32_e32 v21, 0x80000000, v3
	; wave barrier
	v_lshrrev_b32_e32 v2, s20, v21
	v_and_b32_e32 v2, s8, v2
	v_and_b32_e32 v4, 1, v2
	v_lshlrev_b32_e32 v5, 30, v2
	v_lshlrev_b32_e32 v6, 29, v2
	;; [unrolled: 1-line block ×4, first 2 shown]
	v_add_co_u32 v4, s0, v4, -1
	v_cndmask_b32_e64 v8, 0, 1, s0
	v_not_b32_e32 v27, v5
	v_cmp_gt_i32_e64 s0, 0, v5
	v_not_b32_e32 v5, v6
	v_lshlrev_b32_e32 v25, 26, v2
	v_cmp_ne_u32_e32 vcc_lo, 0, v8
	v_ashrrev_i32_e32 v8, 31, v27
	v_lshlrev_b32_e32 v26, 25, v2
	v_ashrrev_i32_e32 v5, 31, v5
	v_mul_lo_u32 v3, 0x84, v2
	v_xor_b32_e32 v4, vcc_lo, v4
	v_cmp_gt_i32_e32 vcc_lo, 0, v6
	v_not_b32_e32 v6, v7
	v_xor_b32_e32 v8, s0, v8
	v_cmp_gt_i32_e64 s0, 0, v7
	v_and_b32_e32 v4, exec_lo, v4
	v_not_b32_e32 v7, v24
	v_ashrrev_i32_e32 v6, 31, v6
	v_xor_b32_e32 v5, vcc_lo, v5
	v_cmp_gt_i32_e32 vcc_lo, 0, v24
	v_and_b32_e32 v4, v4, v8
	v_not_b32_e32 v8, v25
	v_ashrrev_i32_e32 v7, 31, v7
	v_xor_b32_e32 v6, s0, v6
	v_lshlrev_b32_e32 v2, 24, v2
	v_and_b32_e32 v4, v4, v5
	v_cmp_gt_i32_e64 s0, 0, v25
	v_not_b32_e32 v5, v26
	v_ashrrev_i32_e32 v8, 31, v8
	v_xor_b32_e32 v7, vcc_lo, v7
	v_and_b32_e32 v4, v4, v6
	v_cmp_gt_i32_e32 vcc_lo, 0, v26
	v_not_b32_e32 v6, v2
	v_ashrrev_i32_e32 v5, 31, v5
	v_xor_b32_e32 v8, s0, v8
	v_and_b32_e32 v4, v4, v7
	v_cmp_gt_i32_e64 s0, 0, v2
	v_ashrrev_i32_e32 v2, 31, v6
	v_xor_b32_e32 v5, vcc_lo, v5
	v_add_nc_u32_e32 v26, v1, v3
	v_and_b32_e32 v4, v4, v8
	v_xor_b32_e32 v1, s0, v2
	ds_read_b32 v24, v26 offset:128
	v_and_b32_e32 v2, v4, v5
	; wave barrier
	v_and_b32_e32 v1, v2, v1
	v_mbcnt_lo_u32_b32 v25, v1, 0
	v_cmp_ne_u32_e64 s0, 0, v1
	v_cmp_eq_u32_e32 vcc_lo, 0, v25
	s_and_b32 s1, s0, vcc_lo
	s_and_saveexec_b32 s0, s1
	s_cbranch_execz .LBB212_57
; %bb.56:
	s_waitcnt lgkmcnt(0)
	v_bcnt_u32_b32 v1, v1, v24
	ds_write_b32 v26, v1 offset:128
.LBB212_57:
	s_or_b32 exec_lo, exec_lo, s0
	; wave barrier
	s_waitcnt lgkmcnt(0)
	s_barrier
	buffer_gl0_inv
	ds_read2_b32 v[7:8], v14 offset0:32 offset1:33
	ds_read2_b32 v[5:6], v14 offset0:34 offset1:35
	;; [unrolled: 1-line block ×4, first 2 shown]
	ds_read_b32 v27, v14 offset:160
	v_and_b32_e32 v30, 16, v12
	v_and_b32_e32 v31, 31, v0
	s_mov_b32 s5, exec_lo
	v_cmp_eq_u32_e64 s3, 0, v30
	s_waitcnt lgkmcnt(3)
	v_add3_u32 v28, v8, v7, v5
	s_waitcnt lgkmcnt(2)
	v_add3_u32 v28, v28, v6, v3
	;; [unrolled: 2-line block ×4, first 2 shown]
	v_and_b32_e32 v28, 15, v12
	v_mov_b32_dpp v29, v27 row_shr:1 row_mask:0xf bank_mask:0xf
	v_cmp_eq_u32_e32 vcc_lo, 0, v28
	v_cmp_lt_u32_e64 s0, 1, v28
	v_cmp_lt_u32_e64 s1, 3, v28
	v_cmp_lt_u32_e64 s2, 7, v28
	v_cndmask_b32_e64 v29, v29, 0, vcc_lo
	v_add_nc_u32_e32 v27, v29, v27
	v_mov_b32_dpp v29, v27 row_shr:2 row_mask:0xf bank_mask:0xf
	v_cndmask_b32_e64 v29, 0, v29, s0
	v_add_nc_u32_e32 v27, v27, v29
	v_mov_b32_dpp v29, v27 row_shr:4 row_mask:0xf bank_mask:0xf
	v_cndmask_b32_e64 v29, 0, v29, s1
	;; [unrolled: 3-line block ×3, first 2 shown]
	v_bfe_i32 v29, v12, 4, 1
	v_add_nc_u32_e32 v27, v27, v28
	ds_swizzle_b32 v28, v27 offset:swizzle(BROADCAST,32,15)
	s_waitcnt lgkmcnt(0)
	v_and_b32_e32 v29, v29, v28
	v_lshrrev_b32_e32 v28, 5, v0
	v_add_nc_u32_e32 v27, v27, v29
	v_cmpx_eq_u32_e32 31, v31
; %bb.58:
	v_lshlrev_b32_e32 v29, 2, v28
	ds_write_b32 v29, v27
; %bb.59:
	s_or_b32 exec_lo, exec_lo, s5
	v_cmp_lt_u32_e64 s4, 31, v0
	s_mov_b32 s9, exec_lo
	s_waitcnt lgkmcnt(0)
	s_barrier
	buffer_gl0_inv
	v_cmpx_gt_u32_e32 32, v0
	s_cbranch_execz .LBB212_61
; %bb.60:
	ds_read_b32 v29, v11
	s_waitcnt lgkmcnt(0)
	v_mov_b32_dpp v30, v29 row_shr:1 row_mask:0xf bank_mask:0xf
	v_cndmask_b32_e64 v30, v30, 0, vcc_lo
	v_add_nc_u32_e32 v29, v30, v29
	v_mov_b32_dpp v30, v29 row_shr:2 row_mask:0xf bank_mask:0xf
	v_cndmask_b32_e64 v30, 0, v30, s0
	v_add_nc_u32_e32 v29, v29, v30
	v_mov_b32_dpp v30, v29 row_shr:4 row_mask:0xf bank_mask:0xf
	v_cndmask_b32_e64 v30, 0, v30, s1
	;; [unrolled: 3-line block ×3, first 2 shown]
	v_add_nc_u32_e32 v29, v29, v30
	ds_swizzle_b32 v30, v29 offset:swizzle(BROADCAST,32,15)
	s_waitcnt lgkmcnt(0)
	v_cndmask_b32_e64 v30, v30, 0, s3
	v_add_nc_u32_e32 v29, v29, v30
	ds_write_b32 v11, v29
.LBB212_61:
	s_or_b32 exec_lo, exec_lo, s9
	v_mov_b32_e32 v29, 0
	s_waitcnt lgkmcnt(0)
	s_barrier
	buffer_gl0_inv
	s_and_saveexec_b32 s0, s4
; %bb.62:
	v_lshl_add_u32 v28, v28, 2, -4
	ds_read_b32 v29, v28
; %bb.63:
	s_or_b32 exec_lo, exec_lo, s0
	v_sub_co_u32 v28, vcc_lo, v12, 1
	s_waitcnt lgkmcnt(0)
	v_add_nc_u32_e32 v27, v29, v27
	v_cmp_gt_i32_e64 s0, 0, v28
	v_cndmask_b32_e64 v12, v28, v12, s0
	v_cmp_gt_u32_e64 s0, 0x100, v0
	v_lshlrev_b32_e32 v12, 2, v12
	ds_bpermute_b32 v12, v12, v27
	s_waitcnt lgkmcnt(0)
	v_cndmask_b32_e32 v12, v12, v29, vcc_lo
	v_cmp_ne_u32_e32 vcc_lo, 0, v0
	v_cndmask_b32_e32 v12, 0, v12, vcc_lo
	v_cmp_lt_u32_e32 vcc_lo, 0xff, v0
	v_add_nc_u32_e32 v7, v12, v7
	v_add_nc_u32_e32 v8, v7, v8
	;; [unrolled: 1-line block ×8, first 2 shown]
	ds_write2_b32 v14, v12, v7 offset0:32 offset1:33
	ds_write2_b32 v14, v8, v5 offset0:34 offset1:35
	;; [unrolled: 1-line block ×4, first 2 shown]
	ds_write_b32 v14, v2 offset:160
	s_waitcnt lgkmcnt(0)
	s_barrier
	buffer_gl0_inv
	ds_read_b32 v1, v15 offset:128
	ds_read_b32 v4, v19 offset:128
	ds_read_b32 v3, v23 offset:128
	ds_read_b32 v2, v26 offset:128
                                        ; implicit-def: $vgpr7
                                        ; implicit-def: $vgpr8
	s_and_saveexec_b32 s2, s0
	s_cbranch_execz .LBB212_67
; %bb.64:
	v_mul_u32_u24_e32 v5, 0x84, v0
	v_add_nc_u32_e32 v6, 1, v0
	s_mov_b32 s3, exec_lo
	ds_read_b32 v7, v5 offset:128
	v_mov_b32_e32 v5, 0x1000
	v_cmpx_ne_u32_e32 0x100, v6
; %bb.65:
	v_mul_u32_u24_e32 v5, 0x84, v6
	ds_read_b32 v5, v5 offset:128
; %bb.66:
	s_or_b32 exec_lo, exec_lo, s3
	s_waitcnt lgkmcnt(0)
	v_sub_nc_u32_e32 v8, v5, v7
.LBB212_67:
	s_or_b32 exec_lo, exec_lo, s2
	v_lshlrev_b32_e32 v5, 2, v10
	v_lshlrev_b32_e32 v10, 2, v16
	;; [unrolled: 1-line block ×4, first 2 shown]
	s_waitcnt lgkmcnt(0)
	v_lshlrev_b32_e32 v2, 2, v2
	v_lshlrev_b32_e32 v6, 2, v18
	;; [unrolled: 1-line block ×6, first 2 shown]
	v_lshl_add_u32 v1, v1, 2, v5
	v_add3_u32 v5, v15, v16, v2
	v_mov_b32_e32 v2, 0
	v_add3_u32 v4, v6, v10, v4
	v_add3_u32 v3, v12, v14, v3
	s_barrier
	buffer_gl0_inv
	ds_write_b32 v1, v9 offset:1024
	ds_write_b32 v4, v13 offset:1024
	;; [unrolled: 1-line block ×4, first 2 shown]
	s_and_saveexec_b32 s1, s0
	s_cbranch_execz .LBB212_77
; %bb.68:
	v_lshl_add_u32 v1, s6, 8, v0
	v_mov_b32_e32 v9, 0
	s_mov_b32 s2, 0
	s_mov_b32 s3, s6
	v_lshlrev_b64 v[3:4], 2, v[1:2]
	v_or_b32_e32 v1, 2.0, v8
	v_add_co_u32 v3, s0, s10, v3
	v_add_co_ci_u32_e64 v4, null, s11, v4, s0
                                        ; implicit-def: $sgpr0
	global_store_dword v[3:4], v1, off
	s_branch .LBB212_71
	.p2align	6
.LBB212_69:                             ;   in Loop: Header=BB212_71 Depth=1
	s_or_b32 exec_lo, exec_lo, s5
.LBB212_70:                             ;   in Loop: Header=BB212_71 Depth=1
	s_or_b32 exec_lo, exec_lo, s4
	v_and_b32_e32 v5, 0x3fffffff, v1
	v_cmp_gt_i32_e64 s0, -2.0, v1
	v_add_nc_u32_e32 v9, v5, v9
	s_and_b32 s4, exec_lo, s0
	s_or_b32 s2, s4, s2
	s_andn2_b32 exec_lo, exec_lo, s2
	s_cbranch_execz .LBB212_76
.LBB212_71:                             ; =>This Loop Header: Depth=1
                                        ;     Child Loop BB212_74 Depth 2
	s_or_b32 s0, s0, exec_lo
	s_cmp_eq_u32 s3, 0
	s_cbranch_scc1 .LBB212_75
; %bb.72:                               ;   in Loop: Header=BB212_71 Depth=1
	s_add_i32 s3, s3, -1
	s_mov_b32 s4, exec_lo
	v_lshl_or_b32 v1, s3, 8, v0
	v_lshlrev_b64 v[5:6], 2, v[1:2]
	v_add_co_u32 v5, s0, s10, v5
	v_add_co_ci_u32_e64 v6, null, s11, v6, s0
	global_load_dword v1, v[5:6], off glc dlc
	s_waitcnt vmcnt(0)
	v_cmpx_gt_u32_e32 2.0, v1
	s_cbranch_execz .LBB212_70
; %bb.73:                               ;   in Loop: Header=BB212_71 Depth=1
	s_mov_b32 s5, 0
.LBB212_74:                             ;   Parent Loop BB212_71 Depth=1
                                        ; =>  This Inner Loop Header: Depth=2
	global_load_dword v1, v[5:6], off glc dlc
	s_waitcnt vmcnt(0)
	v_cmp_lt_u32_e64 s0, 0x3fffffff, v1
	s_or_b32 s5, s0, s5
	s_andn2_b32 exec_lo, exec_lo, s5
	s_cbranch_execnz .LBB212_74
	s_branch .LBB212_69
.LBB212_75:                             ;   in Loop: Header=BB212_71 Depth=1
                                        ; implicit-def: $sgpr3
	s_and_b32 s4, exec_lo, s0
	s_or_b32 s2, s4, s2
	s_andn2_b32 exec_lo, exec_lo, s2
	s_cbranch_execnz .LBB212_71
.LBB212_76:
	s_or_b32 exec_lo, exec_lo, s2
	v_add_nc_u32_e32 v1, v9, v8
	v_sub_nc_u32_e32 v2, v9, v7
	v_or_b32_e32 v1, 0x80000000, v1
	global_store_dword v[3:4], v1, off
	global_load_dword v1, v11, s[12:13]
	s_waitcnt vmcnt(0)
	v_add_nc_u32_e32 v1, v2, v1
	ds_write_b32 v11, v1
.LBB212_77:
	s_or_b32 exec_lo, exec_lo, s1
	s_waitcnt lgkmcnt(0)
	s_waitcnt_vscnt null, 0x0
	s_barrier
	buffer_gl0_inv
	ds_read2st64_b32 v[1:2], v11 offset0:4 offset1:20
	ds_read2st64_b32 v[3:4], v11 offset0:36 offset1:52
	s_add_i32 s7, s7, -1
	s_cmp_eq_u32 s6, s7
	s_waitcnt lgkmcnt(1)
	v_lshrrev_b32_e32 v5, s20, v1
	v_lshrrev_b32_e32 v6, s20, v2
	s_waitcnt lgkmcnt(0)
	v_lshrrev_b32_e32 v9, s20, v3
	v_lshrrev_b32_e32 v10, s20, v4
	v_xor_b32_e32 v15, 0x80000000, v1
	v_and_b32_e32 v5, s8, v5
	v_and_b32_e32 v6, s8, v6
	;; [unrolled: 1-line block ×3, first 2 shown]
	v_xor_b32_e32 v16, 0x80000000, v2
	v_xor_b32_e32 v4, 0x80000000, v4
	v_lshlrev_b32_e32 v5, 2, v5
	v_lshlrev_b32_e32 v6, 2, v6
	ds_read_b32 v5, v5
	ds_read_b32 v12, v6
	v_lshlrev_b32_e32 v6, 2, v9
	v_and_b32_e32 v9, s8, v10
	ds_read_b32 v13, v6
	v_lshlrev_b32_e32 v6, 2, v9
	ds_read_b32 v14, v6
	v_mov_b32_e32 v6, 0
	s_waitcnt lgkmcnt(3)
	v_add_nc_u32_e32 v5, v5, v0
	v_lshlrev_b64 v[9:10], 2, v[5:6]
	s_waitcnt lgkmcnt(2)
	v_add3_u32 v5, v12, v0, 0x400
	v_lshlrev_b64 v[1:2], 2, v[5:6]
	s_waitcnt lgkmcnt(1)
	v_add3_u32 v5, v13, v0, 0x800
	v_add_co_u32 v9, s0, s18, v9
	v_add_co_ci_u32_e64 v10, null, s19, v10, s0
	v_lshlrev_b64 v[12:13], 2, v[5:6]
	s_waitcnt lgkmcnt(0)
	v_add3_u32 v5, v14, v0, 0xc00
	v_add_co_u32 v0, s0, s18, v1
	v_add_co_ci_u32_e64 v1, null, s19, v2, s0
	v_xor_b32_e32 v14, 0x80000000, v3
	v_lshlrev_b64 v[2:3], 2, v[5:6]
	global_store_dword v[9:10], v15, off
	global_store_dword v[0:1], v16, off
	v_add_co_u32 v0, s0, s18, v12
	v_add_co_ci_u32_e64 v1, null, s19, v13, s0
	v_add_co_u32 v2, s0, s18, v2
	v_add_co_ci_u32_e64 v3, null, s19, v3, s0
	s_cselect_b32 s0, -1, 0
	s_xor_b32 s1, vcc_lo, -1
	global_store_dword v[0:1], v14, off
	s_and_b32 s0, s1, s0
	global_store_dword v[2:3], v4, off
	s_and_saveexec_b32 s1, s0
	s_cbranch_execz .LBB212_79
; %bb.78:
	ds_read_b32 v0, v11
	s_waitcnt lgkmcnt(0)
	v_add3_u32 v0, v7, v8, v0
	global_store_dword v11, v0, s[14:15]
.LBB212_79:
	s_endpgm
	.section	.rodata,"a",@progbits
	.p2align	6, 0x0
	.amdhsa_kernel _ZN7rocprim17ROCPRIM_400000_NS6detail17trampoline_kernelINS0_14default_configENS1_35radix_sort_onesweep_config_selectorIiNS0_10empty_typeEEEZZNS1_29radix_sort_onesweep_iterationIS3_Lb0EN6thrust23THRUST_200600_302600_NS6detail15normal_iteratorINS9_10device_ptrIiEEEESE_PS5_SF_jNS0_19identity_decomposerENS1_16block_id_wrapperIjLb0EEEEE10hipError_tT1_PNSt15iterator_traitsISK_E10value_typeET2_T3_PNSL_ISQ_E10value_typeET4_T5_PSV_SW_PNS1_23onesweep_lookback_stateEbbT6_jjT7_P12ihipStream_tbENKUlT_T0_SK_SP_E_clIPiSE_SF_SF_EEDaS13_S14_SK_SP_EUlS13_E_NS1_11comp_targetILNS1_3genE8ELNS1_11target_archE1030ELNS1_3gpuE2ELNS1_3repE0EEENS1_47radix_sort_onesweep_sort_config_static_selectorELNS0_4arch9wavefront6targetE0EEEvSK_
		.amdhsa_group_segment_fixed_size 37000
		.amdhsa_private_segment_fixed_size 0
		.amdhsa_kernarg_size 344
		.amdhsa_user_sgpr_count 6
		.amdhsa_user_sgpr_private_segment_buffer 1
		.amdhsa_user_sgpr_dispatch_ptr 0
		.amdhsa_user_sgpr_queue_ptr 0
		.amdhsa_user_sgpr_kernarg_segment_ptr 1
		.amdhsa_user_sgpr_dispatch_id 0
		.amdhsa_user_sgpr_flat_scratch_init 0
		.amdhsa_user_sgpr_private_segment_size 0
		.amdhsa_wavefront_size32 1
		.amdhsa_uses_dynamic_stack 0
		.amdhsa_system_sgpr_private_segment_wavefront_offset 0
		.amdhsa_system_sgpr_workgroup_id_x 1
		.amdhsa_system_sgpr_workgroup_id_y 0
		.amdhsa_system_sgpr_workgroup_id_z 0
		.amdhsa_system_sgpr_workgroup_info 0
		.amdhsa_system_vgpr_workitem_id 2
		.amdhsa_next_free_vgpr 34
		.amdhsa_next_free_sgpr 25
		.amdhsa_reserve_vcc 1
		.amdhsa_reserve_flat_scratch 0
		.amdhsa_float_round_mode_32 0
		.amdhsa_float_round_mode_16_64 0
		.amdhsa_float_denorm_mode_32 3
		.amdhsa_float_denorm_mode_16_64 3
		.amdhsa_dx10_clamp 1
		.amdhsa_ieee_mode 1
		.amdhsa_fp16_overflow 0
		.amdhsa_workgroup_processor_mode 1
		.amdhsa_memory_ordered 1
		.amdhsa_forward_progress 1
		.amdhsa_shared_vgpr_count 0
		.amdhsa_exception_fp_ieee_invalid_op 0
		.amdhsa_exception_fp_denorm_src 0
		.amdhsa_exception_fp_ieee_div_zero 0
		.amdhsa_exception_fp_ieee_overflow 0
		.amdhsa_exception_fp_ieee_underflow 0
		.amdhsa_exception_fp_ieee_inexact 0
		.amdhsa_exception_int_div_zero 0
	.end_amdhsa_kernel
	.section	.text._ZN7rocprim17ROCPRIM_400000_NS6detail17trampoline_kernelINS0_14default_configENS1_35radix_sort_onesweep_config_selectorIiNS0_10empty_typeEEEZZNS1_29radix_sort_onesweep_iterationIS3_Lb0EN6thrust23THRUST_200600_302600_NS6detail15normal_iteratorINS9_10device_ptrIiEEEESE_PS5_SF_jNS0_19identity_decomposerENS1_16block_id_wrapperIjLb0EEEEE10hipError_tT1_PNSt15iterator_traitsISK_E10value_typeET2_T3_PNSL_ISQ_E10value_typeET4_T5_PSV_SW_PNS1_23onesweep_lookback_stateEbbT6_jjT7_P12ihipStream_tbENKUlT_T0_SK_SP_E_clIPiSE_SF_SF_EEDaS13_S14_SK_SP_EUlS13_E_NS1_11comp_targetILNS1_3genE8ELNS1_11target_archE1030ELNS1_3gpuE2ELNS1_3repE0EEENS1_47radix_sort_onesweep_sort_config_static_selectorELNS0_4arch9wavefront6targetE0EEEvSK_,"axG",@progbits,_ZN7rocprim17ROCPRIM_400000_NS6detail17trampoline_kernelINS0_14default_configENS1_35radix_sort_onesweep_config_selectorIiNS0_10empty_typeEEEZZNS1_29radix_sort_onesweep_iterationIS3_Lb0EN6thrust23THRUST_200600_302600_NS6detail15normal_iteratorINS9_10device_ptrIiEEEESE_PS5_SF_jNS0_19identity_decomposerENS1_16block_id_wrapperIjLb0EEEEE10hipError_tT1_PNSt15iterator_traitsISK_E10value_typeET2_T3_PNSL_ISQ_E10value_typeET4_T5_PSV_SW_PNS1_23onesweep_lookback_stateEbbT6_jjT7_P12ihipStream_tbENKUlT_T0_SK_SP_E_clIPiSE_SF_SF_EEDaS13_S14_SK_SP_EUlS13_E_NS1_11comp_targetILNS1_3genE8ELNS1_11target_archE1030ELNS1_3gpuE2ELNS1_3repE0EEENS1_47radix_sort_onesweep_sort_config_static_selectorELNS0_4arch9wavefront6targetE0EEEvSK_,comdat
.Lfunc_end212:
	.size	_ZN7rocprim17ROCPRIM_400000_NS6detail17trampoline_kernelINS0_14default_configENS1_35radix_sort_onesweep_config_selectorIiNS0_10empty_typeEEEZZNS1_29radix_sort_onesweep_iterationIS3_Lb0EN6thrust23THRUST_200600_302600_NS6detail15normal_iteratorINS9_10device_ptrIiEEEESE_PS5_SF_jNS0_19identity_decomposerENS1_16block_id_wrapperIjLb0EEEEE10hipError_tT1_PNSt15iterator_traitsISK_E10value_typeET2_T3_PNSL_ISQ_E10value_typeET4_T5_PSV_SW_PNS1_23onesweep_lookback_stateEbbT6_jjT7_P12ihipStream_tbENKUlT_T0_SK_SP_E_clIPiSE_SF_SF_EEDaS13_S14_SK_SP_EUlS13_E_NS1_11comp_targetILNS1_3genE8ELNS1_11target_archE1030ELNS1_3gpuE2ELNS1_3repE0EEENS1_47radix_sort_onesweep_sort_config_static_selectorELNS0_4arch9wavefront6targetE0EEEvSK_, .Lfunc_end212-_ZN7rocprim17ROCPRIM_400000_NS6detail17trampoline_kernelINS0_14default_configENS1_35radix_sort_onesweep_config_selectorIiNS0_10empty_typeEEEZZNS1_29radix_sort_onesweep_iterationIS3_Lb0EN6thrust23THRUST_200600_302600_NS6detail15normal_iteratorINS9_10device_ptrIiEEEESE_PS5_SF_jNS0_19identity_decomposerENS1_16block_id_wrapperIjLb0EEEEE10hipError_tT1_PNSt15iterator_traitsISK_E10value_typeET2_T3_PNSL_ISQ_E10value_typeET4_T5_PSV_SW_PNS1_23onesweep_lookback_stateEbbT6_jjT7_P12ihipStream_tbENKUlT_T0_SK_SP_E_clIPiSE_SF_SF_EEDaS13_S14_SK_SP_EUlS13_E_NS1_11comp_targetILNS1_3genE8ELNS1_11target_archE1030ELNS1_3gpuE2ELNS1_3repE0EEENS1_47radix_sort_onesweep_sort_config_static_selectorELNS0_4arch9wavefront6targetE0EEEvSK_
                                        ; -- End function
	.set _ZN7rocprim17ROCPRIM_400000_NS6detail17trampoline_kernelINS0_14default_configENS1_35radix_sort_onesweep_config_selectorIiNS0_10empty_typeEEEZZNS1_29radix_sort_onesweep_iterationIS3_Lb0EN6thrust23THRUST_200600_302600_NS6detail15normal_iteratorINS9_10device_ptrIiEEEESE_PS5_SF_jNS0_19identity_decomposerENS1_16block_id_wrapperIjLb0EEEEE10hipError_tT1_PNSt15iterator_traitsISK_E10value_typeET2_T3_PNSL_ISQ_E10value_typeET4_T5_PSV_SW_PNS1_23onesweep_lookback_stateEbbT6_jjT7_P12ihipStream_tbENKUlT_T0_SK_SP_E_clIPiSE_SF_SF_EEDaS13_S14_SK_SP_EUlS13_E_NS1_11comp_targetILNS1_3genE8ELNS1_11target_archE1030ELNS1_3gpuE2ELNS1_3repE0EEENS1_47radix_sort_onesweep_sort_config_static_selectorELNS0_4arch9wavefront6targetE0EEEvSK_.num_vgpr, 34
	.set _ZN7rocprim17ROCPRIM_400000_NS6detail17trampoline_kernelINS0_14default_configENS1_35radix_sort_onesweep_config_selectorIiNS0_10empty_typeEEEZZNS1_29radix_sort_onesweep_iterationIS3_Lb0EN6thrust23THRUST_200600_302600_NS6detail15normal_iteratorINS9_10device_ptrIiEEEESE_PS5_SF_jNS0_19identity_decomposerENS1_16block_id_wrapperIjLb0EEEEE10hipError_tT1_PNSt15iterator_traitsISK_E10value_typeET2_T3_PNSL_ISQ_E10value_typeET4_T5_PSV_SW_PNS1_23onesweep_lookback_stateEbbT6_jjT7_P12ihipStream_tbENKUlT_T0_SK_SP_E_clIPiSE_SF_SF_EEDaS13_S14_SK_SP_EUlS13_E_NS1_11comp_targetILNS1_3genE8ELNS1_11target_archE1030ELNS1_3gpuE2ELNS1_3repE0EEENS1_47radix_sort_onesweep_sort_config_static_selectorELNS0_4arch9wavefront6targetE0EEEvSK_.num_agpr, 0
	.set _ZN7rocprim17ROCPRIM_400000_NS6detail17trampoline_kernelINS0_14default_configENS1_35radix_sort_onesweep_config_selectorIiNS0_10empty_typeEEEZZNS1_29radix_sort_onesweep_iterationIS3_Lb0EN6thrust23THRUST_200600_302600_NS6detail15normal_iteratorINS9_10device_ptrIiEEEESE_PS5_SF_jNS0_19identity_decomposerENS1_16block_id_wrapperIjLb0EEEEE10hipError_tT1_PNSt15iterator_traitsISK_E10value_typeET2_T3_PNSL_ISQ_E10value_typeET4_T5_PSV_SW_PNS1_23onesweep_lookback_stateEbbT6_jjT7_P12ihipStream_tbENKUlT_T0_SK_SP_E_clIPiSE_SF_SF_EEDaS13_S14_SK_SP_EUlS13_E_NS1_11comp_targetILNS1_3genE8ELNS1_11target_archE1030ELNS1_3gpuE2ELNS1_3repE0EEENS1_47radix_sort_onesweep_sort_config_static_selectorELNS0_4arch9wavefront6targetE0EEEvSK_.numbered_sgpr, 25
	.set _ZN7rocprim17ROCPRIM_400000_NS6detail17trampoline_kernelINS0_14default_configENS1_35radix_sort_onesweep_config_selectorIiNS0_10empty_typeEEEZZNS1_29radix_sort_onesweep_iterationIS3_Lb0EN6thrust23THRUST_200600_302600_NS6detail15normal_iteratorINS9_10device_ptrIiEEEESE_PS5_SF_jNS0_19identity_decomposerENS1_16block_id_wrapperIjLb0EEEEE10hipError_tT1_PNSt15iterator_traitsISK_E10value_typeET2_T3_PNSL_ISQ_E10value_typeET4_T5_PSV_SW_PNS1_23onesweep_lookback_stateEbbT6_jjT7_P12ihipStream_tbENKUlT_T0_SK_SP_E_clIPiSE_SF_SF_EEDaS13_S14_SK_SP_EUlS13_E_NS1_11comp_targetILNS1_3genE8ELNS1_11target_archE1030ELNS1_3gpuE2ELNS1_3repE0EEENS1_47radix_sort_onesweep_sort_config_static_selectorELNS0_4arch9wavefront6targetE0EEEvSK_.num_named_barrier, 0
	.set _ZN7rocprim17ROCPRIM_400000_NS6detail17trampoline_kernelINS0_14default_configENS1_35radix_sort_onesweep_config_selectorIiNS0_10empty_typeEEEZZNS1_29radix_sort_onesweep_iterationIS3_Lb0EN6thrust23THRUST_200600_302600_NS6detail15normal_iteratorINS9_10device_ptrIiEEEESE_PS5_SF_jNS0_19identity_decomposerENS1_16block_id_wrapperIjLb0EEEEE10hipError_tT1_PNSt15iterator_traitsISK_E10value_typeET2_T3_PNSL_ISQ_E10value_typeET4_T5_PSV_SW_PNS1_23onesweep_lookback_stateEbbT6_jjT7_P12ihipStream_tbENKUlT_T0_SK_SP_E_clIPiSE_SF_SF_EEDaS13_S14_SK_SP_EUlS13_E_NS1_11comp_targetILNS1_3genE8ELNS1_11target_archE1030ELNS1_3gpuE2ELNS1_3repE0EEENS1_47radix_sort_onesweep_sort_config_static_selectorELNS0_4arch9wavefront6targetE0EEEvSK_.private_seg_size, 0
	.set _ZN7rocprim17ROCPRIM_400000_NS6detail17trampoline_kernelINS0_14default_configENS1_35radix_sort_onesweep_config_selectorIiNS0_10empty_typeEEEZZNS1_29radix_sort_onesweep_iterationIS3_Lb0EN6thrust23THRUST_200600_302600_NS6detail15normal_iteratorINS9_10device_ptrIiEEEESE_PS5_SF_jNS0_19identity_decomposerENS1_16block_id_wrapperIjLb0EEEEE10hipError_tT1_PNSt15iterator_traitsISK_E10value_typeET2_T3_PNSL_ISQ_E10value_typeET4_T5_PSV_SW_PNS1_23onesweep_lookback_stateEbbT6_jjT7_P12ihipStream_tbENKUlT_T0_SK_SP_E_clIPiSE_SF_SF_EEDaS13_S14_SK_SP_EUlS13_E_NS1_11comp_targetILNS1_3genE8ELNS1_11target_archE1030ELNS1_3gpuE2ELNS1_3repE0EEENS1_47radix_sort_onesweep_sort_config_static_selectorELNS0_4arch9wavefront6targetE0EEEvSK_.uses_vcc, 1
	.set _ZN7rocprim17ROCPRIM_400000_NS6detail17trampoline_kernelINS0_14default_configENS1_35radix_sort_onesweep_config_selectorIiNS0_10empty_typeEEEZZNS1_29radix_sort_onesweep_iterationIS3_Lb0EN6thrust23THRUST_200600_302600_NS6detail15normal_iteratorINS9_10device_ptrIiEEEESE_PS5_SF_jNS0_19identity_decomposerENS1_16block_id_wrapperIjLb0EEEEE10hipError_tT1_PNSt15iterator_traitsISK_E10value_typeET2_T3_PNSL_ISQ_E10value_typeET4_T5_PSV_SW_PNS1_23onesweep_lookback_stateEbbT6_jjT7_P12ihipStream_tbENKUlT_T0_SK_SP_E_clIPiSE_SF_SF_EEDaS13_S14_SK_SP_EUlS13_E_NS1_11comp_targetILNS1_3genE8ELNS1_11target_archE1030ELNS1_3gpuE2ELNS1_3repE0EEENS1_47radix_sort_onesweep_sort_config_static_selectorELNS0_4arch9wavefront6targetE0EEEvSK_.uses_flat_scratch, 0
	.set _ZN7rocprim17ROCPRIM_400000_NS6detail17trampoline_kernelINS0_14default_configENS1_35radix_sort_onesweep_config_selectorIiNS0_10empty_typeEEEZZNS1_29radix_sort_onesweep_iterationIS3_Lb0EN6thrust23THRUST_200600_302600_NS6detail15normal_iteratorINS9_10device_ptrIiEEEESE_PS5_SF_jNS0_19identity_decomposerENS1_16block_id_wrapperIjLb0EEEEE10hipError_tT1_PNSt15iterator_traitsISK_E10value_typeET2_T3_PNSL_ISQ_E10value_typeET4_T5_PSV_SW_PNS1_23onesweep_lookback_stateEbbT6_jjT7_P12ihipStream_tbENKUlT_T0_SK_SP_E_clIPiSE_SF_SF_EEDaS13_S14_SK_SP_EUlS13_E_NS1_11comp_targetILNS1_3genE8ELNS1_11target_archE1030ELNS1_3gpuE2ELNS1_3repE0EEENS1_47radix_sort_onesweep_sort_config_static_selectorELNS0_4arch9wavefront6targetE0EEEvSK_.has_dyn_sized_stack, 0
	.set _ZN7rocprim17ROCPRIM_400000_NS6detail17trampoline_kernelINS0_14default_configENS1_35radix_sort_onesweep_config_selectorIiNS0_10empty_typeEEEZZNS1_29radix_sort_onesweep_iterationIS3_Lb0EN6thrust23THRUST_200600_302600_NS6detail15normal_iteratorINS9_10device_ptrIiEEEESE_PS5_SF_jNS0_19identity_decomposerENS1_16block_id_wrapperIjLb0EEEEE10hipError_tT1_PNSt15iterator_traitsISK_E10value_typeET2_T3_PNSL_ISQ_E10value_typeET4_T5_PSV_SW_PNS1_23onesweep_lookback_stateEbbT6_jjT7_P12ihipStream_tbENKUlT_T0_SK_SP_E_clIPiSE_SF_SF_EEDaS13_S14_SK_SP_EUlS13_E_NS1_11comp_targetILNS1_3genE8ELNS1_11target_archE1030ELNS1_3gpuE2ELNS1_3repE0EEENS1_47radix_sort_onesweep_sort_config_static_selectorELNS0_4arch9wavefront6targetE0EEEvSK_.has_recursion, 0
	.set _ZN7rocprim17ROCPRIM_400000_NS6detail17trampoline_kernelINS0_14default_configENS1_35radix_sort_onesweep_config_selectorIiNS0_10empty_typeEEEZZNS1_29radix_sort_onesweep_iterationIS3_Lb0EN6thrust23THRUST_200600_302600_NS6detail15normal_iteratorINS9_10device_ptrIiEEEESE_PS5_SF_jNS0_19identity_decomposerENS1_16block_id_wrapperIjLb0EEEEE10hipError_tT1_PNSt15iterator_traitsISK_E10value_typeET2_T3_PNSL_ISQ_E10value_typeET4_T5_PSV_SW_PNS1_23onesweep_lookback_stateEbbT6_jjT7_P12ihipStream_tbENKUlT_T0_SK_SP_E_clIPiSE_SF_SF_EEDaS13_S14_SK_SP_EUlS13_E_NS1_11comp_targetILNS1_3genE8ELNS1_11target_archE1030ELNS1_3gpuE2ELNS1_3repE0EEENS1_47radix_sort_onesweep_sort_config_static_selectorELNS0_4arch9wavefront6targetE0EEEvSK_.has_indirect_call, 0
	.section	.AMDGPU.csdata,"",@progbits
; Kernel info:
; codeLenInByte = 6652
; TotalNumSgprs: 27
; NumVgprs: 34
; ScratchSize: 0
; MemoryBound: 0
; FloatMode: 240
; IeeeMode: 1
; LDSByteSize: 37000 bytes/workgroup (compile time only)
; SGPRBlocks: 0
; VGPRBlocks: 4
; NumSGPRsForWavesPerEU: 27
; NumVGPRsForWavesPerEU: 34
; Occupancy: 16
; WaveLimiterHint : 1
; COMPUTE_PGM_RSRC2:SCRATCH_EN: 0
; COMPUTE_PGM_RSRC2:USER_SGPR: 6
; COMPUTE_PGM_RSRC2:TRAP_HANDLER: 0
; COMPUTE_PGM_RSRC2:TGID_X_EN: 1
; COMPUTE_PGM_RSRC2:TGID_Y_EN: 0
; COMPUTE_PGM_RSRC2:TGID_Z_EN: 0
; COMPUTE_PGM_RSRC2:TIDIG_COMP_CNT: 2
	.section	.text._ZN7rocprim17ROCPRIM_400000_NS6detail17trampoline_kernelINS0_13kernel_configILj256ELj4ELj4294967295EEENS1_37radix_sort_block_sort_config_selectorIiNS0_10empty_typeEEEZNS1_21radix_sort_block_sortIS4_Lb1EN6thrust23THRUST_200600_302600_NS6detail15normal_iteratorINSA_10device_ptrIiEEEESF_PS6_SG_NS0_19identity_decomposerEEE10hipError_tT1_T2_T3_T4_jRjT5_jjP12ihipStream_tbEUlT_E_NS1_11comp_targetILNS1_3genE0ELNS1_11target_archE4294967295ELNS1_3gpuE0ELNS1_3repE0EEENS1_44radix_sort_block_sort_config_static_selectorELNS0_4arch9wavefront6targetE0EEEvSJ_,"axG",@progbits,_ZN7rocprim17ROCPRIM_400000_NS6detail17trampoline_kernelINS0_13kernel_configILj256ELj4ELj4294967295EEENS1_37radix_sort_block_sort_config_selectorIiNS0_10empty_typeEEEZNS1_21radix_sort_block_sortIS4_Lb1EN6thrust23THRUST_200600_302600_NS6detail15normal_iteratorINSA_10device_ptrIiEEEESF_PS6_SG_NS0_19identity_decomposerEEE10hipError_tT1_T2_T3_T4_jRjT5_jjP12ihipStream_tbEUlT_E_NS1_11comp_targetILNS1_3genE0ELNS1_11target_archE4294967295ELNS1_3gpuE0ELNS1_3repE0EEENS1_44radix_sort_block_sort_config_static_selectorELNS0_4arch9wavefront6targetE0EEEvSJ_,comdat
	.protected	_ZN7rocprim17ROCPRIM_400000_NS6detail17trampoline_kernelINS0_13kernel_configILj256ELj4ELj4294967295EEENS1_37radix_sort_block_sort_config_selectorIiNS0_10empty_typeEEEZNS1_21radix_sort_block_sortIS4_Lb1EN6thrust23THRUST_200600_302600_NS6detail15normal_iteratorINSA_10device_ptrIiEEEESF_PS6_SG_NS0_19identity_decomposerEEE10hipError_tT1_T2_T3_T4_jRjT5_jjP12ihipStream_tbEUlT_E_NS1_11comp_targetILNS1_3genE0ELNS1_11target_archE4294967295ELNS1_3gpuE0ELNS1_3repE0EEENS1_44radix_sort_block_sort_config_static_selectorELNS0_4arch9wavefront6targetE0EEEvSJ_ ; -- Begin function _ZN7rocprim17ROCPRIM_400000_NS6detail17trampoline_kernelINS0_13kernel_configILj256ELj4ELj4294967295EEENS1_37radix_sort_block_sort_config_selectorIiNS0_10empty_typeEEEZNS1_21radix_sort_block_sortIS4_Lb1EN6thrust23THRUST_200600_302600_NS6detail15normal_iteratorINSA_10device_ptrIiEEEESF_PS6_SG_NS0_19identity_decomposerEEE10hipError_tT1_T2_T3_T4_jRjT5_jjP12ihipStream_tbEUlT_E_NS1_11comp_targetILNS1_3genE0ELNS1_11target_archE4294967295ELNS1_3gpuE0ELNS1_3repE0EEENS1_44radix_sort_block_sort_config_static_selectorELNS0_4arch9wavefront6targetE0EEEvSJ_
	.globl	_ZN7rocprim17ROCPRIM_400000_NS6detail17trampoline_kernelINS0_13kernel_configILj256ELj4ELj4294967295EEENS1_37radix_sort_block_sort_config_selectorIiNS0_10empty_typeEEEZNS1_21radix_sort_block_sortIS4_Lb1EN6thrust23THRUST_200600_302600_NS6detail15normal_iteratorINSA_10device_ptrIiEEEESF_PS6_SG_NS0_19identity_decomposerEEE10hipError_tT1_T2_T3_T4_jRjT5_jjP12ihipStream_tbEUlT_E_NS1_11comp_targetILNS1_3genE0ELNS1_11target_archE4294967295ELNS1_3gpuE0ELNS1_3repE0EEENS1_44radix_sort_block_sort_config_static_selectorELNS0_4arch9wavefront6targetE0EEEvSJ_
	.p2align	8
	.type	_ZN7rocprim17ROCPRIM_400000_NS6detail17trampoline_kernelINS0_13kernel_configILj256ELj4ELj4294967295EEENS1_37radix_sort_block_sort_config_selectorIiNS0_10empty_typeEEEZNS1_21radix_sort_block_sortIS4_Lb1EN6thrust23THRUST_200600_302600_NS6detail15normal_iteratorINSA_10device_ptrIiEEEESF_PS6_SG_NS0_19identity_decomposerEEE10hipError_tT1_T2_T3_T4_jRjT5_jjP12ihipStream_tbEUlT_E_NS1_11comp_targetILNS1_3genE0ELNS1_11target_archE4294967295ELNS1_3gpuE0ELNS1_3repE0EEENS1_44radix_sort_block_sort_config_static_selectorELNS0_4arch9wavefront6targetE0EEEvSJ_,@function
_ZN7rocprim17ROCPRIM_400000_NS6detail17trampoline_kernelINS0_13kernel_configILj256ELj4ELj4294967295EEENS1_37radix_sort_block_sort_config_selectorIiNS0_10empty_typeEEEZNS1_21radix_sort_block_sortIS4_Lb1EN6thrust23THRUST_200600_302600_NS6detail15normal_iteratorINSA_10device_ptrIiEEEESF_PS6_SG_NS0_19identity_decomposerEEE10hipError_tT1_T2_T3_T4_jRjT5_jjP12ihipStream_tbEUlT_E_NS1_11comp_targetILNS1_3genE0ELNS1_11target_archE4294967295ELNS1_3gpuE0ELNS1_3repE0EEENS1_44radix_sort_block_sort_config_static_selectorELNS0_4arch9wavefront6targetE0EEEvSJ_: ; @_ZN7rocprim17ROCPRIM_400000_NS6detail17trampoline_kernelINS0_13kernel_configILj256ELj4ELj4294967295EEENS1_37radix_sort_block_sort_config_selectorIiNS0_10empty_typeEEEZNS1_21radix_sort_block_sortIS4_Lb1EN6thrust23THRUST_200600_302600_NS6detail15normal_iteratorINSA_10device_ptrIiEEEESF_PS6_SG_NS0_19identity_decomposerEEE10hipError_tT1_T2_T3_T4_jRjT5_jjP12ihipStream_tbEUlT_E_NS1_11comp_targetILNS1_3genE0ELNS1_11target_archE4294967295ELNS1_3gpuE0ELNS1_3repE0EEENS1_44radix_sort_block_sort_config_static_selectorELNS0_4arch9wavefront6targetE0EEEvSJ_
; %bb.0:
	.section	.rodata,"a",@progbits
	.p2align	6, 0x0
	.amdhsa_kernel _ZN7rocprim17ROCPRIM_400000_NS6detail17trampoline_kernelINS0_13kernel_configILj256ELj4ELj4294967295EEENS1_37radix_sort_block_sort_config_selectorIiNS0_10empty_typeEEEZNS1_21radix_sort_block_sortIS4_Lb1EN6thrust23THRUST_200600_302600_NS6detail15normal_iteratorINSA_10device_ptrIiEEEESF_PS6_SG_NS0_19identity_decomposerEEE10hipError_tT1_T2_T3_T4_jRjT5_jjP12ihipStream_tbEUlT_E_NS1_11comp_targetILNS1_3genE0ELNS1_11target_archE4294967295ELNS1_3gpuE0ELNS1_3repE0EEENS1_44radix_sort_block_sort_config_static_selectorELNS0_4arch9wavefront6targetE0EEEvSJ_
		.amdhsa_group_segment_fixed_size 0
		.amdhsa_private_segment_fixed_size 0
		.amdhsa_kernarg_size 48
		.amdhsa_user_sgpr_count 6
		.amdhsa_user_sgpr_private_segment_buffer 1
		.amdhsa_user_sgpr_dispatch_ptr 0
		.amdhsa_user_sgpr_queue_ptr 0
		.amdhsa_user_sgpr_kernarg_segment_ptr 1
		.amdhsa_user_sgpr_dispatch_id 0
		.amdhsa_user_sgpr_flat_scratch_init 0
		.amdhsa_user_sgpr_private_segment_size 0
		.amdhsa_wavefront_size32 1
		.amdhsa_uses_dynamic_stack 0
		.amdhsa_system_sgpr_private_segment_wavefront_offset 0
		.amdhsa_system_sgpr_workgroup_id_x 1
		.amdhsa_system_sgpr_workgroup_id_y 0
		.amdhsa_system_sgpr_workgroup_id_z 0
		.amdhsa_system_sgpr_workgroup_info 0
		.amdhsa_system_vgpr_workitem_id 0
		.amdhsa_next_free_vgpr 1
		.amdhsa_next_free_sgpr 1
		.amdhsa_reserve_vcc 0
		.amdhsa_reserve_flat_scratch 0
		.amdhsa_float_round_mode_32 0
		.amdhsa_float_round_mode_16_64 0
		.amdhsa_float_denorm_mode_32 3
		.amdhsa_float_denorm_mode_16_64 3
		.amdhsa_dx10_clamp 1
		.amdhsa_ieee_mode 1
		.amdhsa_fp16_overflow 0
		.amdhsa_workgroup_processor_mode 1
		.amdhsa_memory_ordered 1
		.amdhsa_forward_progress 1
		.amdhsa_shared_vgpr_count 0
		.amdhsa_exception_fp_ieee_invalid_op 0
		.amdhsa_exception_fp_denorm_src 0
		.amdhsa_exception_fp_ieee_div_zero 0
		.amdhsa_exception_fp_ieee_overflow 0
		.amdhsa_exception_fp_ieee_underflow 0
		.amdhsa_exception_fp_ieee_inexact 0
		.amdhsa_exception_int_div_zero 0
	.end_amdhsa_kernel
	.section	.text._ZN7rocprim17ROCPRIM_400000_NS6detail17trampoline_kernelINS0_13kernel_configILj256ELj4ELj4294967295EEENS1_37radix_sort_block_sort_config_selectorIiNS0_10empty_typeEEEZNS1_21radix_sort_block_sortIS4_Lb1EN6thrust23THRUST_200600_302600_NS6detail15normal_iteratorINSA_10device_ptrIiEEEESF_PS6_SG_NS0_19identity_decomposerEEE10hipError_tT1_T2_T3_T4_jRjT5_jjP12ihipStream_tbEUlT_E_NS1_11comp_targetILNS1_3genE0ELNS1_11target_archE4294967295ELNS1_3gpuE0ELNS1_3repE0EEENS1_44radix_sort_block_sort_config_static_selectorELNS0_4arch9wavefront6targetE0EEEvSJ_,"axG",@progbits,_ZN7rocprim17ROCPRIM_400000_NS6detail17trampoline_kernelINS0_13kernel_configILj256ELj4ELj4294967295EEENS1_37radix_sort_block_sort_config_selectorIiNS0_10empty_typeEEEZNS1_21radix_sort_block_sortIS4_Lb1EN6thrust23THRUST_200600_302600_NS6detail15normal_iteratorINSA_10device_ptrIiEEEESF_PS6_SG_NS0_19identity_decomposerEEE10hipError_tT1_T2_T3_T4_jRjT5_jjP12ihipStream_tbEUlT_E_NS1_11comp_targetILNS1_3genE0ELNS1_11target_archE4294967295ELNS1_3gpuE0ELNS1_3repE0EEENS1_44radix_sort_block_sort_config_static_selectorELNS0_4arch9wavefront6targetE0EEEvSJ_,comdat
.Lfunc_end213:
	.size	_ZN7rocprim17ROCPRIM_400000_NS6detail17trampoline_kernelINS0_13kernel_configILj256ELj4ELj4294967295EEENS1_37radix_sort_block_sort_config_selectorIiNS0_10empty_typeEEEZNS1_21radix_sort_block_sortIS4_Lb1EN6thrust23THRUST_200600_302600_NS6detail15normal_iteratorINSA_10device_ptrIiEEEESF_PS6_SG_NS0_19identity_decomposerEEE10hipError_tT1_T2_T3_T4_jRjT5_jjP12ihipStream_tbEUlT_E_NS1_11comp_targetILNS1_3genE0ELNS1_11target_archE4294967295ELNS1_3gpuE0ELNS1_3repE0EEENS1_44radix_sort_block_sort_config_static_selectorELNS0_4arch9wavefront6targetE0EEEvSJ_, .Lfunc_end213-_ZN7rocprim17ROCPRIM_400000_NS6detail17trampoline_kernelINS0_13kernel_configILj256ELj4ELj4294967295EEENS1_37radix_sort_block_sort_config_selectorIiNS0_10empty_typeEEEZNS1_21radix_sort_block_sortIS4_Lb1EN6thrust23THRUST_200600_302600_NS6detail15normal_iteratorINSA_10device_ptrIiEEEESF_PS6_SG_NS0_19identity_decomposerEEE10hipError_tT1_T2_T3_T4_jRjT5_jjP12ihipStream_tbEUlT_E_NS1_11comp_targetILNS1_3genE0ELNS1_11target_archE4294967295ELNS1_3gpuE0ELNS1_3repE0EEENS1_44radix_sort_block_sort_config_static_selectorELNS0_4arch9wavefront6targetE0EEEvSJ_
                                        ; -- End function
	.set _ZN7rocprim17ROCPRIM_400000_NS6detail17trampoline_kernelINS0_13kernel_configILj256ELj4ELj4294967295EEENS1_37radix_sort_block_sort_config_selectorIiNS0_10empty_typeEEEZNS1_21radix_sort_block_sortIS4_Lb1EN6thrust23THRUST_200600_302600_NS6detail15normal_iteratorINSA_10device_ptrIiEEEESF_PS6_SG_NS0_19identity_decomposerEEE10hipError_tT1_T2_T3_T4_jRjT5_jjP12ihipStream_tbEUlT_E_NS1_11comp_targetILNS1_3genE0ELNS1_11target_archE4294967295ELNS1_3gpuE0ELNS1_3repE0EEENS1_44radix_sort_block_sort_config_static_selectorELNS0_4arch9wavefront6targetE0EEEvSJ_.num_vgpr, 0
	.set _ZN7rocprim17ROCPRIM_400000_NS6detail17trampoline_kernelINS0_13kernel_configILj256ELj4ELj4294967295EEENS1_37radix_sort_block_sort_config_selectorIiNS0_10empty_typeEEEZNS1_21radix_sort_block_sortIS4_Lb1EN6thrust23THRUST_200600_302600_NS6detail15normal_iteratorINSA_10device_ptrIiEEEESF_PS6_SG_NS0_19identity_decomposerEEE10hipError_tT1_T2_T3_T4_jRjT5_jjP12ihipStream_tbEUlT_E_NS1_11comp_targetILNS1_3genE0ELNS1_11target_archE4294967295ELNS1_3gpuE0ELNS1_3repE0EEENS1_44radix_sort_block_sort_config_static_selectorELNS0_4arch9wavefront6targetE0EEEvSJ_.num_agpr, 0
	.set _ZN7rocprim17ROCPRIM_400000_NS6detail17trampoline_kernelINS0_13kernel_configILj256ELj4ELj4294967295EEENS1_37radix_sort_block_sort_config_selectorIiNS0_10empty_typeEEEZNS1_21radix_sort_block_sortIS4_Lb1EN6thrust23THRUST_200600_302600_NS6detail15normal_iteratorINSA_10device_ptrIiEEEESF_PS6_SG_NS0_19identity_decomposerEEE10hipError_tT1_T2_T3_T4_jRjT5_jjP12ihipStream_tbEUlT_E_NS1_11comp_targetILNS1_3genE0ELNS1_11target_archE4294967295ELNS1_3gpuE0ELNS1_3repE0EEENS1_44radix_sort_block_sort_config_static_selectorELNS0_4arch9wavefront6targetE0EEEvSJ_.numbered_sgpr, 0
	.set _ZN7rocprim17ROCPRIM_400000_NS6detail17trampoline_kernelINS0_13kernel_configILj256ELj4ELj4294967295EEENS1_37radix_sort_block_sort_config_selectorIiNS0_10empty_typeEEEZNS1_21radix_sort_block_sortIS4_Lb1EN6thrust23THRUST_200600_302600_NS6detail15normal_iteratorINSA_10device_ptrIiEEEESF_PS6_SG_NS0_19identity_decomposerEEE10hipError_tT1_T2_T3_T4_jRjT5_jjP12ihipStream_tbEUlT_E_NS1_11comp_targetILNS1_3genE0ELNS1_11target_archE4294967295ELNS1_3gpuE0ELNS1_3repE0EEENS1_44radix_sort_block_sort_config_static_selectorELNS0_4arch9wavefront6targetE0EEEvSJ_.num_named_barrier, 0
	.set _ZN7rocprim17ROCPRIM_400000_NS6detail17trampoline_kernelINS0_13kernel_configILj256ELj4ELj4294967295EEENS1_37radix_sort_block_sort_config_selectorIiNS0_10empty_typeEEEZNS1_21radix_sort_block_sortIS4_Lb1EN6thrust23THRUST_200600_302600_NS6detail15normal_iteratorINSA_10device_ptrIiEEEESF_PS6_SG_NS0_19identity_decomposerEEE10hipError_tT1_T2_T3_T4_jRjT5_jjP12ihipStream_tbEUlT_E_NS1_11comp_targetILNS1_3genE0ELNS1_11target_archE4294967295ELNS1_3gpuE0ELNS1_3repE0EEENS1_44radix_sort_block_sort_config_static_selectorELNS0_4arch9wavefront6targetE0EEEvSJ_.private_seg_size, 0
	.set _ZN7rocprim17ROCPRIM_400000_NS6detail17trampoline_kernelINS0_13kernel_configILj256ELj4ELj4294967295EEENS1_37radix_sort_block_sort_config_selectorIiNS0_10empty_typeEEEZNS1_21radix_sort_block_sortIS4_Lb1EN6thrust23THRUST_200600_302600_NS6detail15normal_iteratorINSA_10device_ptrIiEEEESF_PS6_SG_NS0_19identity_decomposerEEE10hipError_tT1_T2_T3_T4_jRjT5_jjP12ihipStream_tbEUlT_E_NS1_11comp_targetILNS1_3genE0ELNS1_11target_archE4294967295ELNS1_3gpuE0ELNS1_3repE0EEENS1_44radix_sort_block_sort_config_static_selectorELNS0_4arch9wavefront6targetE0EEEvSJ_.uses_vcc, 0
	.set _ZN7rocprim17ROCPRIM_400000_NS6detail17trampoline_kernelINS0_13kernel_configILj256ELj4ELj4294967295EEENS1_37radix_sort_block_sort_config_selectorIiNS0_10empty_typeEEEZNS1_21radix_sort_block_sortIS4_Lb1EN6thrust23THRUST_200600_302600_NS6detail15normal_iteratorINSA_10device_ptrIiEEEESF_PS6_SG_NS0_19identity_decomposerEEE10hipError_tT1_T2_T3_T4_jRjT5_jjP12ihipStream_tbEUlT_E_NS1_11comp_targetILNS1_3genE0ELNS1_11target_archE4294967295ELNS1_3gpuE0ELNS1_3repE0EEENS1_44radix_sort_block_sort_config_static_selectorELNS0_4arch9wavefront6targetE0EEEvSJ_.uses_flat_scratch, 0
	.set _ZN7rocprim17ROCPRIM_400000_NS6detail17trampoline_kernelINS0_13kernel_configILj256ELj4ELj4294967295EEENS1_37radix_sort_block_sort_config_selectorIiNS0_10empty_typeEEEZNS1_21radix_sort_block_sortIS4_Lb1EN6thrust23THRUST_200600_302600_NS6detail15normal_iteratorINSA_10device_ptrIiEEEESF_PS6_SG_NS0_19identity_decomposerEEE10hipError_tT1_T2_T3_T4_jRjT5_jjP12ihipStream_tbEUlT_E_NS1_11comp_targetILNS1_3genE0ELNS1_11target_archE4294967295ELNS1_3gpuE0ELNS1_3repE0EEENS1_44radix_sort_block_sort_config_static_selectorELNS0_4arch9wavefront6targetE0EEEvSJ_.has_dyn_sized_stack, 0
	.set _ZN7rocprim17ROCPRIM_400000_NS6detail17trampoline_kernelINS0_13kernel_configILj256ELj4ELj4294967295EEENS1_37radix_sort_block_sort_config_selectorIiNS0_10empty_typeEEEZNS1_21radix_sort_block_sortIS4_Lb1EN6thrust23THRUST_200600_302600_NS6detail15normal_iteratorINSA_10device_ptrIiEEEESF_PS6_SG_NS0_19identity_decomposerEEE10hipError_tT1_T2_T3_T4_jRjT5_jjP12ihipStream_tbEUlT_E_NS1_11comp_targetILNS1_3genE0ELNS1_11target_archE4294967295ELNS1_3gpuE0ELNS1_3repE0EEENS1_44radix_sort_block_sort_config_static_selectorELNS0_4arch9wavefront6targetE0EEEvSJ_.has_recursion, 0
	.set _ZN7rocprim17ROCPRIM_400000_NS6detail17trampoline_kernelINS0_13kernel_configILj256ELj4ELj4294967295EEENS1_37radix_sort_block_sort_config_selectorIiNS0_10empty_typeEEEZNS1_21radix_sort_block_sortIS4_Lb1EN6thrust23THRUST_200600_302600_NS6detail15normal_iteratorINSA_10device_ptrIiEEEESF_PS6_SG_NS0_19identity_decomposerEEE10hipError_tT1_T2_T3_T4_jRjT5_jjP12ihipStream_tbEUlT_E_NS1_11comp_targetILNS1_3genE0ELNS1_11target_archE4294967295ELNS1_3gpuE0ELNS1_3repE0EEENS1_44radix_sort_block_sort_config_static_selectorELNS0_4arch9wavefront6targetE0EEEvSJ_.has_indirect_call, 0
	.section	.AMDGPU.csdata,"",@progbits
; Kernel info:
; codeLenInByte = 0
; TotalNumSgprs: 0
; NumVgprs: 0
; ScratchSize: 0
; MemoryBound: 0
; FloatMode: 240
; IeeeMode: 1
; LDSByteSize: 0 bytes/workgroup (compile time only)
; SGPRBlocks: 0
; VGPRBlocks: 0
; NumSGPRsForWavesPerEU: 1
; NumVGPRsForWavesPerEU: 1
; Occupancy: 16
; WaveLimiterHint : 0
; COMPUTE_PGM_RSRC2:SCRATCH_EN: 0
; COMPUTE_PGM_RSRC2:USER_SGPR: 6
; COMPUTE_PGM_RSRC2:TRAP_HANDLER: 0
; COMPUTE_PGM_RSRC2:TGID_X_EN: 1
; COMPUTE_PGM_RSRC2:TGID_Y_EN: 0
; COMPUTE_PGM_RSRC2:TGID_Z_EN: 0
; COMPUTE_PGM_RSRC2:TIDIG_COMP_CNT: 0
	.section	.text._ZN7rocprim17ROCPRIM_400000_NS6detail17trampoline_kernelINS0_13kernel_configILj256ELj4ELj4294967295EEENS1_37radix_sort_block_sort_config_selectorIiNS0_10empty_typeEEEZNS1_21radix_sort_block_sortIS4_Lb1EN6thrust23THRUST_200600_302600_NS6detail15normal_iteratorINSA_10device_ptrIiEEEESF_PS6_SG_NS0_19identity_decomposerEEE10hipError_tT1_T2_T3_T4_jRjT5_jjP12ihipStream_tbEUlT_E_NS1_11comp_targetILNS1_3genE5ELNS1_11target_archE942ELNS1_3gpuE9ELNS1_3repE0EEENS1_44radix_sort_block_sort_config_static_selectorELNS0_4arch9wavefront6targetE0EEEvSJ_,"axG",@progbits,_ZN7rocprim17ROCPRIM_400000_NS6detail17trampoline_kernelINS0_13kernel_configILj256ELj4ELj4294967295EEENS1_37radix_sort_block_sort_config_selectorIiNS0_10empty_typeEEEZNS1_21radix_sort_block_sortIS4_Lb1EN6thrust23THRUST_200600_302600_NS6detail15normal_iteratorINSA_10device_ptrIiEEEESF_PS6_SG_NS0_19identity_decomposerEEE10hipError_tT1_T2_T3_T4_jRjT5_jjP12ihipStream_tbEUlT_E_NS1_11comp_targetILNS1_3genE5ELNS1_11target_archE942ELNS1_3gpuE9ELNS1_3repE0EEENS1_44radix_sort_block_sort_config_static_selectorELNS0_4arch9wavefront6targetE0EEEvSJ_,comdat
	.protected	_ZN7rocprim17ROCPRIM_400000_NS6detail17trampoline_kernelINS0_13kernel_configILj256ELj4ELj4294967295EEENS1_37radix_sort_block_sort_config_selectorIiNS0_10empty_typeEEEZNS1_21radix_sort_block_sortIS4_Lb1EN6thrust23THRUST_200600_302600_NS6detail15normal_iteratorINSA_10device_ptrIiEEEESF_PS6_SG_NS0_19identity_decomposerEEE10hipError_tT1_T2_T3_T4_jRjT5_jjP12ihipStream_tbEUlT_E_NS1_11comp_targetILNS1_3genE5ELNS1_11target_archE942ELNS1_3gpuE9ELNS1_3repE0EEENS1_44radix_sort_block_sort_config_static_selectorELNS0_4arch9wavefront6targetE0EEEvSJ_ ; -- Begin function _ZN7rocprim17ROCPRIM_400000_NS6detail17trampoline_kernelINS0_13kernel_configILj256ELj4ELj4294967295EEENS1_37radix_sort_block_sort_config_selectorIiNS0_10empty_typeEEEZNS1_21radix_sort_block_sortIS4_Lb1EN6thrust23THRUST_200600_302600_NS6detail15normal_iteratorINSA_10device_ptrIiEEEESF_PS6_SG_NS0_19identity_decomposerEEE10hipError_tT1_T2_T3_T4_jRjT5_jjP12ihipStream_tbEUlT_E_NS1_11comp_targetILNS1_3genE5ELNS1_11target_archE942ELNS1_3gpuE9ELNS1_3repE0EEENS1_44radix_sort_block_sort_config_static_selectorELNS0_4arch9wavefront6targetE0EEEvSJ_
	.globl	_ZN7rocprim17ROCPRIM_400000_NS6detail17trampoline_kernelINS0_13kernel_configILj256ELj4ELj4294967295EEENS1_37radix_sort_block_sort_config_selectorIiNS0_10empty_typeEEEZNS1_21radix_sort_block_sortIS4_Lb1EN6thrust23THRUST_200600_302600_NS6detail15normal_iteratorINSA_10device_ptrIiEEEESF_PS6_SG_NS0_19identity_decomposerEEE10hipError_tT1_T2_T3_T4_jRjT5_jjP12ihipStream_tbEUlT_E_NS1_11comp_targetILNS1_3genE5ELNS1_11target_archE942ELNS1_3gpuE9ELNS1_3repE0EEENS1_44radix_sort_block_sort_config_static_selectorELNS0_4arch9wavefront6targetE0EEEvSJ_
	.p2align	8
	.type	_ZN7rocprim17ROCPRIM_400000_NS6detail17trampoline_kernelINS0_13kernel_configILj256ELj4ELj4294967295EEENS1_37radix_sort_block_sort_config_selectorIiNS0_10empty_typeEEEZNS1_21radix_sort_block_sortIS4_Lb1EN6thrust23THRUST_200600_302600_NS6detail15normal_iteratorINSA_10device_ptrIiEEEESF_PS6_SG_NS0_19identity_decomposerEEE10hipError_tT1_T2_T3_T4_jRjT5_jjP12ihipStream_tbEUlT_E_NS1_11comp_targetILNS1_3genE5ELNS1_11target_archE942ELNS1_3gpuE9ELNS1_3repE0EEENS1_44radix_sort_block_sort_config_static_selectorELNS0_4arch9wavefront6targetE0EEEvSJ_,@function
_ZN7rocprim17ROCPRIM_400000_NS6detail17trampoline_kernelINS0_13kernel_configILj256ELj4ELj4294967295EEENS1_37radix_sort_block_sort_config_selectorIiNS0_10empty_typeEEEZNS1_21radix_sort_block_sortIS4_Lb1EN6thrust23THRUST_200600_302600_NS6detail15normal_iteratorINSA_10device_ptrIiEEEESF_PS6_SG_NS0_19identity_decomposerEEE10hipError_tT1_T2_T3_T4_jRjT5_jjP12ihipStream_tbEUlT_E_NS1_11comp_targetILNS1_3genE5ELNS1_11target_archE942ELNS1_3gpuE9ELNS1_3repE0EEENS1_44radix_sort_block_sort_config_static_selectorELNS0_4arch9wavefront6targetE0EEEvSJ_: ; @_ZN7rocprim17ROCPRIM_400000_NS6detail17trampoline_kernelINS0_13kernel_configILj256ELj4ELj4294967295EEENS1_37radix_sort_block_sort_config_selectorIiNS0_10empty_typeEEEZNS1_21radix_sort_block_sortIS4_Lb1EN6thrust23THRUST_200600_302600_NS6detail15normal_iteratorINSA_10device_ptrIiEEEESF_PS6_SG_NS0_19identity_decomposerEEE10hipError_tT1_T2_T3_T4_jRjT5_jjP12ihipStream_tbEUlT_E_NS1_11comp_targetILNS1_3genE5ELNS1_11target_archE942ELNS1_3gpuE9ELNS1_3repE0EEENS1_44radix_sort_block_sort_config_static_selectorELNS0_4arch9wavefront6targetE0EEEvSJ_
; %bb.0:
	.section	.rodata,"a",@progbits
	.p2align	6, 0x0
	.amdhsa_kernel _ZN7rocprim17ROCPRIM_400000_NS6detail17trampoline_kernelINS0_13kernel_configILj256ELj4ELj4294967295EEENS1_37radix_sort_block_sort_config_selectorIiNS0_10empty_typeEEEZNS1_21radix_sort_block_sortIS4_Lb1EN6thrust23THRUST_200600_302600_NS6detail15normal_iteratorINSA_10device_ptrIiEEEESF_PS6_SG_NS0_19identity_decomposerEEE10hipError_tT1_T2_T3_T4_jRjT5_jjP12ihipStream_tbEUlT_E_NS1_11comp_targetILNS1_3genE5ELNS1_11target_archE942ELNS1_3gpuE9ELNS1_3repE0EEENS1_44radix_sort_block_sort_config_static_selectorELNS0_4arch9wavefront6targetE0EEEvSJ_
		.amdhsa_group_segment_fixed_size 0
		.amdhsa_private_segment_fixed_size 0
		.amdhsa_kernarg_size 48
		.amdhsa_user_sgpr_count 6
		.amdhsa_user_sgpr_private_segment_buffer 1
		.amdhsa_user_sgpr_dispatch_ptr 0
		.amdhsa_user_sgpr_queue_ptr 0
		.amdhsa_user_sgpr_kernarg_segment_ptr 1
		.amdhsa_user_sgpr_dispatch_id 0
		.amdhsa_user_sgpr_flat_scratch_init 0
		.amdhsa_user_sgpr_private_segment_size 0
		.amdhsa_wavefront_size32 1
		.amdhsa_uses_dynamic_stack 0
		.amdhsa_system_sgpr_private_segment_wavefront_offset 0
		.amdhsa_system_sgpr_workgroup_id_x 1
		.amdhsa_system_sgpr_workgroup_id_y 0
		.amdhsa_system_sgpr_workgroup_id_z 0
		.amdhsa_system_sgpr_workgroup_info 0
		.amdhsa_system_vgpr_workitem_id 0
		.amdhsa_next_free_vgpr 1
		.amdhsa_next_free_sgpr 1
		.amdhsa_reserve_vcc 0
		.amdhsa_reserve_flat_scratch 0
		.amdhsa_float_round_mode_32 0
		.amdhsa_float_round_mode_16_64 0
		.amdhsa_float_denorm_mode_32 3
		.amdhsa_float_denorm_mode_16_64 3
		.amdhsa_dx10_clamp 1
		.amdhsa_ieee_mode 1
		.amdhsa_fp16_overflow 0
		.amdhsa_workgroup_processor_mode 1
		.amdhsa_memory_ordered 1
		.amdhsa_forward_progress 1
		.amdhsa_shared_vgpr_count 0
		.amdhsa_exception_fp_ieee_invalid_op 0
		.amdhsa_exception_fp_denorm_src 0
		.amdhsa_exception_fp_ieee_div_zero 0
		.amdhsa_exception_fp_ieee_overflow 0
		.amdhsa_exception_fp_ieee_underflow 0
		.amdhsa_exception_fp_ieee_inexact 0
		.amdhsa_exception_int_div_zero 0
	.end_amdhsa_kernel
	.section	.text._ZN7rocprim17ROCPRIM_400000_NS6detail17trampoline_kernelINS0_13kernel_configILj256ELj4ELj4294967295EEENS1_37radix_sort_block_sort_config_selectorIiNS0_10empty_typeEEEZNS1_21radix_sort_block_sortIS4_Lb1EN6thrust23THRUST_200600_302600_NS6detail15normal_iteratorINSA_10device_ptrIiEEEESF_PS6_SG_NS0_19identity_decomposerEEE10hipError_tT1_T2_T3_T4_jRjT5_jjP12ihipStream_tbEUlT_E_NS1_11comp_targetILNS1_3genE5ELNS1_11target_archE942ELNS1_3gpuE9ELNS1_3repE0EEENS1_44radix_sort_block_sort_config_static_selectorELNS0_4arch9wavefront6targetE0EEEvSJ_,"axG",@progbits,_ZN7rocprim17ROCPRIM_400000_NS6detail17trampoline_kernelINS0_13kernel_configILj256ELj4ELj4294967295EEENS1_37radix_sort_block_sort_config_selectorIiNS0_10empty_typeEEEZNS1_21radix_sort_block_sortIS4_Lb1EN6thrust23THRUST_200600_302600_NS6detail15normal_iteratorINSA_10device_ptrIiEEEESF_PS6_SG_NS0_19identity_decomposerEEE10hipError_tT1_T2_T3_T4_jRjT5_jjP12ihipStream_tbEUlT_E_NS1_11comp_targetILNS1_3genE5ELNS1_11target_archE942ELNS1_3gpuE9ELNS1_3repE0EEENS1_44radix_sort_block_sort_config_static_selectorELNS0_4arch9wavefront6targetE0EEEvSJ_,comdat
.Lfunc_end214:
	.size	_ZN7rocprim17ROCPRIM_400000_NS6detail17trampoline_kernelINS0_13kernel_configILj256ELj4ELj4294967295EEENS1_37radix_sort_block_sort_config_selectorIiNS0_10empty_typeEEEZNS1_21radix_sort_block_sortIS4_Lb1EN6thrust23THRUST_200600_302600_NS6detail15normal_iteratorINSA_10device_ptrIiEEEESF_PS6_SG_NS0_19identity_decomposerEEE10hipError_tT1_T2_T3_T4_jRjT5_jjP12ihipStream_tbEUlT_E_NS1_11comp_targetILNS1_3genE5ELNS1_11target_archE942ELNS1_3gpuE9ELNS1_3repE0EEENS1_44radix_sort_block_sort_config_static_selectorELNS0_4arch9wavefront6targetE0EEEvSJ_, .Lfunc_end214-_ZN7rocprim17ROCPRIM_400000_NS6detail17trampoline_kernelINS0_13kernel_configILj256ELj4ELj4294967295EEENS1_37radix_sort_block_sort_config_selectorIiNS0_10empty_typeEEEZNS1_21radix_sort_block_sortIS4_Lb1EN6thrust23THRUST_200600_302600_NS6detail15normal_iteratorINSA_10device_ptrIiEEEESF_PS6_SG_NS0_19identity_decomposerEEE10hipError_tT1_T2_T3_T4_jRjT5_jjP12ihipStream_tbEUlT_E_NS1_11comp_targetILNS1_3genE5ELNS1_11target_archE942ELNS1_3gpuE9ELNS1_3repE0EEENS1_44radix_sort_block_sort_config_static_selectorELNS0_4arch9wavefront6targetE0EEEvSJ_
                                        ; -- End function
	.set _ZN7rocprim17ROCPRIM_400000_NS6detail17trampoline_kernelINS0_13kernel_configILj256ELj4ELj4294967295EEENS1_37radix_sort_block_sort_config_selectorIiNS0_10empty_typeEEEZNS1_21radix_sort_block_sortIS4_Lb1EN6thrust23THRUST_200600_302600_NS6detail15normal_iteratorINSA_10device_ptrIiEEEESF_PS6_SG_NS0_19identity_decomposerEEE10hipError_tT1_T2_T3_T4_jRjT5_jjP12ihipStream_tbEUlT_E_NS1_11comp_targetILNS1_3genE5ELNS1_11target_archE942ELNS1_3gpuE9ELNS1_3repE0EEENS1_44radix_sort_block_sort_config_static_selectorELNS0_4arch9wavefront6targetE0EEEvSJ_.num_vgpr, 0
	.set _ZN7rocprim17ROCPRIM_400000_NS6detail17trampoline_kernelINS0_13kernel_configILj256ELj4ELj4294967295EEENS1_37radix_sort_block_sort_config_selectorIiNS0_10empty_typeEEEZNS1_21radix_sort_block_sortIS4_Lb1EN6thrust23THRUST_200600_302600_NS6detail15normal_iteratorINSA_10device_ptrIiEEEESF_PS6_SG_NS0_19identity_decomposerEEE10hipError_tT1_T2_T3_T4_jRjT5_jjP12ihipStream_tbEUlT_E_NS1_11comp_targetILNS1_3genE5ELNS1_11target_archE942ELNS1_3gpuE9ELNS1_3repE0EEENS1_44radix_sort_block_sort_config_static_selectorELNS0_4arch9wavefront6targetE0EEEvSJ_.num_agpr, 0
	.set _ZN7rocprim17ROCPRIM_400000_NS6detail17trampoline_kernelINS0_13kernel_configILj256ELj4ELj4294967295EEENS1_37radix_sort_block_sort_config_selectorIiNS0_10empty_typeEEEZNS1_21radix_sort_block_sortIS4_Lb1EN6thrust23THRUST_200600_302600_NS6detail15normal_iteratorINSA_10device_ptrIiEEEESF_PS6_SG_NS0_19identity_decomposerEEE10hipError_tT1_T2_T3_T4_jRjT5_jjP12ihipStream_tbEUlT_E_NS1_11comp_targetILNS1_3genE5ELNS1_11target_archE942ELNS1_3gpuE9ELNS1_3repE0EEENS1_44radix_sort_block_sort_config_static_selectorELNS0_4arch9wavefront6targetE0EEEvSJ_.numbered_sgpr, 0
	.set _ZN7rocprim17ROCPRIM_400000_NS6detail17trampoline_kernelINS0_13kernel_configILj256ELj4ELj4294967295EEENS1_37radix_sort_block_sort_config_selectorIiNS0_10empty_typeEEEZNS1_21radix_sort_block_sortIS4_Lb1EN6thrust23THRUST_200600_302600_NS6detail15normal_iteratorINSA_10device_ptrIiEEEESF_PS6_SG_NS0_19identity_decomposerEEE10hipError_tT1_T2_T3_T4_jRjT5_jjP12ihipStream_tbEUlT_E_NS1_11comp_targetILNS1_3genE5ELNS1_11target_archE942ELNS1_3gpuE9ELNS1_3repE0EEENS1_44radix_sort_block_sort_config_static_selectorELNS0_4arch9wavefront6targetE0EEEvSJ_.num_named_barrier, 0
	.set _ZN7rocprim17ROCPRIM_400000_NS6detail17trampoline_kernelINS0_13kernel_configILj256ELj4ELj4294967295EEENS1_37radix_sort_block_sort_config_selectorIiNS0_10empty_typeEEEZNS1_21radix_sort_block_sortIS4_Lb1EN6thrust23THRUST_200600_302600_NS6detail15normal_iteratorINSA_10device_ptrIiEEEESF_PS6_SG_NS0_19identity_decomposerEEE10hipError_tT1_T2_T3_T4_jRjT5_jjP12ihipStream_tbEUlT_E_NS1_11comp_targetILNS1_3genE5ELNS1_11target_archE942ELNS1_3gpuE9ELNS1_3repE0EEENS1_44radix_sort_block_sort_config_static_selectorELNS0_4arch9wavefront6targetE0EEEvSJ_.private_seg_size, 0
	.set _ZN7rocprim17ROCPRIM_400000_NS6detail17trampoline_kernelINS0_13kernel_configILj256ELj4ELj4294967295EEENS1_37radix_sort_block_sort_config_selectorIiNS0_10empty_typeEEEZNS1_21radix_sort_block_sortIS4_Lb1EN6thrust23THRUST_200600_302600_NS6detail15normal_iteratorINSA_10device_ptrIiEEEESF_PS6_SG_NS0_19identity_decomposerEEE10hipError_tT1_T2_T3_T4_jRjT5_jjP12ihipStream_tbEUlT_E_NS1_11comp_targetILNS1_3genE5ELNS1_11target_archE942ELNS1_3gpuE9ELNS1_3repE0EEENS1_44radix_sort_block_sort_config_static_selectorELNS0_4arch9wavefront6targetE0EEEvSJ_.uses_vcc, 0
	.set _ZN7rocprim17ROCPRIM_400000_NS6detail17trampoline_kernelINS0_13kernel_configILj256ELj4ELj4294967295EEENS1_37radix_sort_block_sort_config_selectorIiNS0_10empty_typeEEEZNS1_21radix_sort_block_sortIS4_Lb1EN6thrust23THRUST_200600_302600_NS6detail15normal_iteratorINSA_10device_ptrIiEEEESF_PS6_SG_NS0_19identity_decomposerEEE10hipError_tT1_T2_T3_T4_jRjT5_jjP12ihipStream_tbEUlT_E_NS1_11comp_targetILNS1_3genE5ELNS1_11target_archE942ELNS1_3gpuE9ELNS1_3repE0EEENS1_44radix_sort_block_sort_config_static_selectorELNS0_4arch9wavefront6targetE0EEEvSJ_.uses_flat_scratch, 0
	.set _ZN7rocprim17ROCPRIM_400000_NS6detail17trampoline_kernelINS0_13kernel_configILj256ELj4ELj4294967295EEENS1_37radix_sort_block_sort_config_selectorIiNS0_10empty_typeEEEZNS1_21radix_sort_block_sortIS4_Lb1EN6thrust23THRUST_200600_302600_NS6detail15normal_iteratorINSA_10device_ptrIiEEEESF_PS6_SG_NS0_19identity_decomposerEEE10hipError_tT1_T2_T3_T4_jRjT5_jjP12ihipStream_tbEUlT_E_NS1_11comp_targetILNS1_3genE5ELNS1_11target_archE942ELNS1_3gpuE9ELNS1_3repE0EEENS1_44radix_sort_block_sort_config_static_selectorELNS0_4arch9wavefront6targetE0EEEvSJ_.has_dyn_sized_stack, 0
	.set _ZN7rocprim17ROCPRIM_400000_NS6detail17trampoline_kernelINS0_13kernel_configILj256ELj4ELj4294967295EEENS1_37radix_sort_block_sort_config_selectorIiNS0_10empty_typeEEEZNS1_21radix_sort_block_sortIS4_Lb1EN6thrust23THRUST_200600_302600_NS6detail15normal_iteratorINSA_10device_ptrIiEEEESF_PS6_SG_NS0_19identity_decomposerEEE10hipError_tT1_T2_T3_T4_jRjT5_jjP12ihipStream_tbEUlT_E_NS1_11comp_targetILNS1_3genE5ELNS1_11target_archE942ELNS1_3gpuE9ELNS1_3repE0EEENS1_44radix_sort_block_sort_config_static_selectorELNS0_4arch9wavefront6targetE0EEEvSJ_.has_recursion, 0
	.set _ZN7rocprim17ROCPRIM_400000_NS6detail17trampoline_kernelINS0_13kernel_configILj256ELj4ELj4294967295EEENS1_37radix_sort_block_sort_config_selectorIiNS0_10empty_typeEEEZNS1_21radix_sort_block_sortIS4_Lb1EN6thrust23THRUST_200600_302600_NS6detail15normal_iteratorINSA_10device_ptrIiEEEESF_PS6_SG_NS0_19identity_decomposerEEE10hipError_tT1_T2_T3_T4_jRjT5_jjP12ihipStream_tbEUlT_E_NS1_11comp_targetILNS1_3genE5ELNS1_11target_archE942ELNS1_3gpuE9ELNS1_3repE0EEENS1_44radix_sort_block_sort_config_static_selectorELNS0_4arch9wavefront6targetE0EEEvSJ_.has_indirect_call, 0
	.section	.AMDGPU.csdata,"",@progbits
; Kernel info:
; codeLenInByte = 0
; TotalNumSgprs: 0
; NumVgprs: 0
; ScratchSize: 0
; MemoryBound: 0
; FloatMode: 240
; IeeeMode: 1
; LDSByteSize: 0 bytes/workgroup (compile time only)
; SGPRBlocks: 0
; VGPRBlocks: 0
; NumSGPRsForWavesPerEU: 1
; NumVGPRsForWavesPerEU: 1
; Occupancy: 16
; WaveLimiterHint : 0
; COMPUTE_PGM_RSRC2:SCRATCH_EN: 0
; COMPUTE_PGM_RSRC2:USER_SGPR: 6
; COMPUTE_PGM_RSRC2:TRAP_HANDLER: 0
; COMPUTE_PGM_RSRC2:TGID_X_EN: 1
; COMPUTE_PGM_RSRC2:TGID_Y_EN: 0
; COMPUTE_PGM_RSRC2:TGID_Z_EN: 0
; COMPUTE_PGM_RSRC2:TIDIG_COMP_CNT: 0
	.section	.text._ZN7rocprim17ROCPRIM_400000_NS6detail17trampoline_kernelINS0_13kernel_configILj256ELj4ELj4294967295EEENS1_37radix_sort_block_sort_config_selectorIiNS0_10empty_typeEEEZNS1_21radix_sort_block_sortIS4_Lb1EN6thrust23THRUST_200600_302600_NS6detail15normal_iteratorINSA_10device_ptrIiEEEESF_PS6_SG_NS0_19identity_decomposerEEE10hipError_tT1_T2_T3_T4_jRjT5_jjP12ihipStream_tbEUlT_E_NS1_11comp_targetILNS1_3genE4ELNS1_11target_archE910ELNS1_3gpuE8ELNS1_3repE0EEENS1_44radix_sort_block_sort_config_static_selectorELNS0_4arch9wavefront6targetE0EEEvSJ_,"axG",@progbits,_ZN7rocprim17ROCPRIM_400000_NS6detail17trampoline_kernelINS0_13kernel_configILj256ELj4ELj4294967295EEENS1_37radix_sort_block_sort_config_selectorIiNS0_10empty_typeEEEZNS1_21radix_sort_block_sortIS4_Lb1EN6thrust23THRUST_200600_302600_NS6detail15normal_iteratorINSA_10device_ptrIiEEEESF_PS6_SG_NS0_19identity_decomposerEEE10hipError_tT1_T2_T3_T4_jRjT5_jjP12ihipStream_tbEUlT_E_NS1_11comp_targetILNS1_3genE4ELNS1_11target_archE910ELNS1_3gpuE8ELNS1_3repE0EEENS1_44radix_sort_block_sort_config_static_selectorELNS0_4arch9wavefront6targetE0EEEvSJ_,comdat
	.protected	_ZN7rocprim17ROCPRIM_400000_NS6detail17trampoline_kernelINS0_13kernel_configILj256ELj4ELj4294967295EEENS1_37radix_sort_block_sort_config_selectorIiNS0_10empty_typeEEEZNS1_21radix_sort_block_sortIS4_Lb1EN6thrust23THRUST_200600_302600_NS6detail15normal_iteratorINSA_10device_ptrIiEEEESF_PS6_SG_NS0_19identity_decomposerEEE10hipError_tT1_T2_T3_T4_jRjT5_jjP12ihipStream_tbEUlT_E_NS1_11comp_targetILNS1_3genE4ELNS1_11target_archE910ELNS1_3gpuE8ELNS1_3repE0EEENS1_44radix_sort_block_sort_config_static_selectorELNS0_4arch9wavefront6targetE0EEEvSJ_ ; -- Begin function _ZN7rocprim17ROCPRIM_400000_NS6detail17trampoline_kernelINS0_13kernel_configILj256ELj4ELj4294967295EEENS1_37radix_sort_block_sort_config_selectorIiNS0_10empty_typeEEEZNS1_21radix_sort_block_sortIS4_Lb1EN6thrust23THRUST_200600_302600_NS6detail15normal_iteratorINSA_10device_ptrIiEEEESF_PS6_SG_NS0_19identity_decomposerEEE10hipError_tT1_T2_T3_T4_jRjT5_jjP12ihipStream_tbEUlT_E_NS1_11comp_targetILNS1_3genE4ELNS1_11target_archE910ELNS1_3gpuE8ELNS1_3repE0EEENS1_44radix_sort_block_sort_config_static_selectorELNS0_4arch9wavefront6targetE0EEEvSJ_
	.globl	_ZN7rocprim17ROCPRIM_400000_NS6detail17trampoline_kernelINS0_13kernel_configILj256ELj4ELj4294967295EEENS1_37radix_sort_block_sort_config_selectorIiNS0_10empty_typeEEEZNS1_21radix_sort_block_sortIS4_Lb1EN6thrust23THRUST_200600_302600_NS6detail15normal_iteratorINSA_10device_ptrIiEEEESF_PS6_SG_NS0_19identity_decomposerEEE10hipError_tT1_T2_T3_T4_jRjT5_jjP12ihipStream_tbEUlT_E_NS1_11comp_targetILNS1_3genE4ELNS1_11target_archE910ELNS1_3gpuE8ELNS1_3repE0EEENS1_44radix_sort_block_sort_config_static_selectorELNS0_4arch9wavefront6targetE0EEEvSJ_
	.p2align	8
	.type	_ZN7rocprim17ROCPRIM_400000_NS6detail17trampoline_kernelINS0_13kernel_configILj256ELj4ELj4294967295EEENS1_37radix_sort_block_sort_config_selectorIiNS0_10empty_typeEEEZNS1_21radix_sort_block_sortIS4_Lb1EN6thrust23THRUST_200600_302600_NS6detail15normal_iteratorINSA_10device_ptrIiEEEESF_PS6_SG_NS0_19identity_decomposerEEE10hipError_tT1_T2_T3_T4_jRjT5_jjP12ihipStream_tbEUlT_E_NS1_11comp_targetILNS1_3genE4ELNS1_11target_archE910ELNS1_3gpuE8ELNS1_3repE0EEENS1_44radix_sort_block_sort_config_static_selectorELNS0_4arch9wavefront6targetE0EEEvSJ_,@function
_ZN7rocprim17ROCPRIM_400000_NS6detail17trampoline_kernelINS0_13kernel_configILj256ELj4ELj4294967295EEENS1_37radix_sort_block_sort_config_selectorIiNS0_10empty_typeEEEZNS1_21radix_sort_block_sortIS4_Lb1EN6thrust23THRUST_200600_302600_NS6detail15normal_iteratorINSA_10device_ptrIiEEEESF_PS6_SG_NS0_19identity_decomposerEEE10hipError_tT1_T2_T3_T4_jRjT5_jjP12ihipStream_tbEUlT_E_NS1_11comp_targetILNS1_3genE4ELNS1_11target_archE910ELNS1_3gpuE8ELNS1_3repE0EEENS1_44radix_sort_block_sort_config_static_selectorELNS0_4arch9wavefront6targetE0EEEvSJ_: ; @_ZN7rocprim17ROCPRIM_400000_NS6detail17trampoline_kernelINS0_13kernel_configILj256ELj4ELj4294967295EEENS1_37radix_sort_block_sort_config_selectorIiNS0_10empty_typeEEEZNS1_21radix_sort_block_sortIS4_Lb1EN6thrust23THRUST_200600_302600_NS6detail15normal_iteratorINSA_10device_ptrIiEEEESF_PS6_SG_NS0_19identity_decomposerEEE10hipError_tT1_T2_T3_T4_jRjT5_jjP12ihipStream_tbEUlT_E_NS1_11comp_targetILNS1_3genE4ELNS1_11target_archE910ELNS1_3gpuE8ELNS1_3repE0EEENS1_44radix_sort_block_sort_config_static_selectorELNS0_4arch9wavefront6targetE0EEEvSJ_
; %bb.0:
	.section	.rodata,"a",@progbits
	.p2align	6, 0x0
	.amdhsa_kernel _ZN7rocprim17ROCPRIM_400000_NS6detail17trampoline_kernelINS0_13kernel_configILj256ELj4ELj4294967295EEENS1_37radix_sort_block_sort_config_selectorIiNS0_10empty_typeEEEZNS1_21radix_sort_block_sortIS4_Lb1EN6thrust23THRUST_200600_302600_NS6detail15normal_iteratorINSA_10device_ptrIiEEEESF_PS6_SG_NS0_19identity_decomposerEEE10hipError_tT1_T2_T3_T4_jRjT5_jjP12ihipStream_tbEUlT_E_NS1_11comp_targetILNS1_3genE4ELNS1_11target_archE910ELNS1_3gpuE8ELNS1_3repE0EEENS1_44radix_sort_block_sort_config_static_selectorELNS0_4arch9wavefront6targetE0EEEvSJ_
		.amdhsa_group_segment_fixed_size 0
		.amdhsa_private_segment_fixed_size 0
		.amdhsa_kernarg_size 48
		.amdhsa_user_sgpr_count 6
		.amdhsa_user_sgpr_private_segment_buffer 1
		.amdhsa_user_sgpr_dispatch_ptr 0
		.amdhsa_user_sgpr_queue_ptr 0
		.amdhsa_user_sgpr_kernarg_segment_ptr 1
		.amdhsa_user_sgpr_dispatch_id 0
		.amdhsa_user_sgpr_flat_scratch_init 0
		.amdhsa_user_sgpr_private_segment_size 0
		.amdhsa_wavefront_size32 1
		.amdhsa_uses_dynamic_stack 0
		.amdhsa_system_sgpr_private_segment_wavefront_offset 0
		.amdhsa_system_sgpr_workgroup_id_x 1
		.amdhsa_system_sgpr_workgroup_id_y 0
		.amdhsa_system_sgpr_workgroup_id_z 0
		.amdhsa_system_sgpr_workgroup_info 0
		.amdhsa_system_vgpr_workitem_id 0
		.amdhsa_next_free_vgpr 1
		.amdhsa_next_free_sgpr 1
		.amdhsa_reserve_vcc 0
		.amdhsa_reserve_flat_scratch 0
		.amdhsa_float_round_mode_32 0
		.amdhsa_float_round_mode_16_64 0
		.amdhsa_float_denorm_mode_32 3
		.amdhsa_float_denorm_mode_16_64 3
		.amdhsa_dx10_clamp 1
		.amdhsa_ieee_mode 1
		.amdhsa_fp16_overflow 0
		.amdhsa_workgroup_processor_mode 1
		.amdhsa_memory_ordered 1
		.amdhsa_forward_progress 1
		.amdhsa_shared_vgpr_count 0
		.amdhsa_exception_fp_ieee_invalid_op 0
		.amdhsa_exception_fp_denorm_src 0
		.amdhsa_exception_fp_ieee_div_zero 0
		.amdhsa_exception_fp_ieee_overflow 0
		.amdhsa_exception_fp_ieee_underflow 0
		.amdhsa_exception_fp_ieee_inexact 0
		.amdhsa_exception_int_div_zero 0
	.end_amdhsa_kernel
	.section	.text._ZN7rocprim17ROCPRIM_400000_NS6detail17trampoline_kernelINS0_13kernel_configILj256ELj4ELj4294967295EEENS1_37radix_sort_block_sort_config_selectorIiNS0_10empty_typeEEEZNS1_21radix_sort_block_sortIS4_Lb1EN6thrust23THRUST_200600_302600_NS6detail15normal_iteratorINSA_10device_ptrIiEEEESF_PS6_SG_NS0_19identity_decomposerEEE10hipError_tT1_T2_T3_T4_jRjT5_jjP12ihipStream_tbEUlT_E_NS1_11comp_targetILNS1_3genE4ELNS1_11target_archE910ELNS1_3gpuE8ELNS1_3repE0EEENS1_44radix_sort_block_sort_config_static_selectorELNS0_4arch9wavefront6targetE0EEEvSJ_,"axG",@progbits,_ZN7rocprim17ROCPRIM_400000_NS6detail17trampoline_kernelINS0_13kernel_configILj256ELj4ELj4294967295EEENS1_37radix_sort_block_sort_config_selectorIiNS0_10empty_typeEEEZNS1_21radix_sort_block_sortIS4_Lb1EN6thrust23THRUST_200600_302600_NS6detail15normal_iteratorINSA_10device_ptrIiEEEESF_PS6_SG_NS0_19identity_decomposerEEE10hipError_tT1_T2_T3_T4_jRjT5_jjP12ihipStream_tbEUlT_E_NS1_11comp_targetILNS1_3genE4ELNS1_11target_archE910ELNS1_3gpuE8ELNS1_3repE0EEENS1_44radix_sort_block_sort_config_static_selectorELNS0_4arch9wavefront6targetE0EEEvSJ_,comdat
.Lfunc_end215:
	.size	_ZN7rocprim17ROCPRIM_400000_NS6detail17trampoline_kernelINS0_13kernel_configILj256ELj4ELj4294967295EEENS1_37radix_sort_block_sort_config_selectorIiNS0_10empty_typeEEEZNS1_21radix_sort_block_sortIS4_Lb1EN6thrust23THRUST_200600_302600_NS6detail15normal_iteratorINSA_10device_ptrIiEEEESF_PS6_SG_NS0_19identity_decomposerEEE10hipError_tT1_T2_T3_T4_jRjT5_jjP12ihipStream_tbEUlT_E_NS1_11comp_targetILNS1_3genE4ELNS1_11target_archE910ELNS1_3gpuE8ELNS1_3repE0EEENS1_44radix_sort_block_sort_config_static_selectorELNS0_4arch9wavefront6targetE0EEEvSJ_, .Lfunc_end215-_ZN7rocprim17ROCPRIM_400000_NS6detail17trampoline_kernelINS0_13kernel_configILj256ELj4ELj4294967295EEENS1_37radix_sort_block_sort_config_selectorIiNS0_10empty_typeEEEZNS1_21radix_sort_block_sortIS4_Lb1EN6thrust23THRUST_200600_302600_NS6detail15normal_iteratorINSA_10device_ptrIiEEEESF_PS6_SG_NS0_19identity_decomposerEEE10hipError_tT1_T2_T3_T4_jRjT5_jjP12ihipStream_tbEUlT_E_NS1_11comp_targetILNS1_3genE4ELNS1_11target_archE910ELNS1_3gpuE8ELNS1_3repE0EEENS1_44radix_sort_block_sort_config_static_selectorELNS0_4arch9wavefront6targetE0EEEvSJ_
                                        ; -- End function
	.set _ZN7rocprim17ROCPRIM_400000_NS6detail17trampoline_kernelINS0_13kernel_configILj256ELj4ELj4294967295EEENS1_37radix_sort_block_sort_config_selectorIiNS0_10empty_typeEEEZNS1_21radix_sort_block_sortIS4_Lb1EN6thrust23THRUST_200600_302600_NS6detail15normal_iteratorINSA_10device_ptrIiEEEESF_PS6_SG_NS0_19identity_decomposerEEE10hipError_tT1_T2_T3_T4_jRjT5_jjP12ihipStream_tbEUlT_E_NS1_11comp_targetILNS1_3genE4ELNS1_11target_archE910ELNS1_3gpuE8ELNS1_3repE0EEENS1_44radix_sort_block_sort_config_static_selectorELNS0_4arch9wavefront6targetE0EEEvSJ_.num_vgpr, 0
	.set _ZN7rocprim17ROCPRIM_400000_NS6detail17trampoline_kernelINS0_13kernel_configILj256ELj4ELj4294967295EEENS1_37radix_sort_block_sort_config_selectorIiNS0_10empty_typeEEEZNS1_21radix_sort_block_sortIS4_Lb1EN6thrust23THRUST_200600_302600_NS6detail15normal_iteratorINSA_10device_ptrIiEEEESF_PS6_SG_NS0_19identity_decomposerEEE10hipError_tT1_T2_T3_T4_jRjT5_jjP12ihipStream_tbEUlT_E_NS1_11comp_targetILNS1_3genE4ELNS1_11target_archE910ELNS1_3gpuE8ELNS1_3repE0EEENS1_44radix_sort_block_sort_config_static_selectorELNS0_4arch9wavefront6targetE0EEEvSJ_.num_agpr, 0
	.set _ZN7rocprim17ROCPRIM_400000_NS6detail17trampoline_kernelINS0_13kernel_configILj256ELj4ELj4294967295EEENS1_37radix_sort_block_sort_config_selectorIiNS0_10empty_typeEEEZNS1_21radix_sort_block_sortIS4_Lb1EN6thrust23THRUST_200600_302600_NS6detail15normal_iteratorINSA_10device_ptrIiEEEESF_PS6_SG_NS0_19identity_decomposerEEE10hipError_tT1_T2_T3_T4_jRjT5_jjP12ihipStream_tbEUlT_E_NS1_11comp_targetILNS1_3genE4ELNS1_11target_archE910ELNS1_3gpuE8ELNS1_3repE0EEENS1_44radix_sort_block_sort_config_static_selectorELNS0_4arch9wavefront6targetE0EEEvSJ_.numbered_sgpr, 0
	.set _ZN7rocprim17ROCPRIM_400000_NS6detail17trampoline_kernelINS0_13kernel_configILj256ELj4ELj4294967295EEENS1_37radix_sort_block_sort_config_selectorIiNS0_10empty_typeEEEZNS1_21radix_sort_block_sortIS4_Lb1EN6thrust23THRUST_200600_302600_NS6detail15normal_iteratorINSA_10device_ptrIiEEEESF_PS6_SG_NS0_19identity_decomposerEEE10hipError_tT1_T2_T3_T4_jRjT5_jjP12ihipStream_tbEUlT_E_NS1_11comp_targetILNS1_3genE4ELNS1_11target_archE910ELNS1_3gpuE8ELNS1_3repE0EEENS1_44radix_sort_block_sort_config_static_selectorELNS0_4arch9wavefront6targetE0EEEvSJ_.num_named_barrier, 0
	.set _ZN7rocprim17ROCPRIM_400000_NS6detail17trampoline_kernelINS0_13kernel_configILj256ELj4ELj4294967295EEENS1_37radix_sort_block_sort_config_selectorIiNS0_10empty_typeEEEZNS1_21radix_sort_block_sortIS4_Lb1EN6thrust23THRUST_200600_302600_NS6detail15normal_iteratorINSA_10device_ptrIiEEEESF_PS6_SG_NS0_19identity_decomposerEEE10hipError_tT1_T2_T3_T4_jRjT5_jjP12ihipStream_tbEUlT_E_NS1_11comp_targetILNS1_3genE4ELNS1_11target_archE910ELNS1_3gpuE8ELNS1_3repE0EEENS1_44radix_sort_block_sort_config_static_selectorELNS0_4arch9wavefront6targetE0EEEvSJ_.private_seg_size, 0
	.set _ZN7rocprim17ROCPRIM_400000_NS6detail17trampoline_kernelINS0_13kernel_configILj256ELj4ELj4294967295EEENS1_37radix_sort_block_sort_config_selectorIiNS0_10empty_typeEEEZNS1_21radix_sort_block_sortIS4_Lb1EN6thrust23THRUST_200600_302600_NS6detail15normal_iteratorINSA_10device_ptrIiEEEESF_PS6_SG_NS0_19identity_decomposerEEE10hipError_tT1_T2_T3_T4_jRjT5_jjP12ihipStream_tbEUlT_E_NS1_11comp_targetILNS1_3genE4ELNS1_11target_archE910ELNS1_3gpuE8ELNS1_3repE0EEENS1_44radix_sort_block_sort_config_static_selectorELNS0_4arch9wavefront6targetE0EEEvSJ_.uses_vcc, 0
	.set _ZN7rocprim17ROCPRIM_400000_NS6detail17trampoline_kernelINS0_13kernel_configILj256ELj4ELj4294967295EEENS1_37radix_sort_block_sort_config_selectorIiNS0_10empty_typeEEEZNS1_21radix_sort_block_sortIS4_Lb1EN6thrust23THRUST_200600_302600_NS6detail15normal_iteratorINSA_10device_ptrIiEEEESF_PS6_SG_NS0_19identity_decomposerEEE10hipError_tT1_T2_T3_T4_jRjT5_jjP12ihipStream_tbEUlT_E_NS1_11comp_targetILNS1_3genE4ELNS1_11target_archE910ELNS1_3gpuE8ELNS1_3repE0EEENS1_44radix_sort_block_sort_config_static_selectorELNS0_4arch9wavefront6targetE0EEEvSJ_.uses_flat_scratch, 0
	.set _ZN7rocprim17ROCPRIM_400000_NS6detail17trampoline_kernelINS0_13kernel_configILj256ELj4ELj4294967295EEENS1_37radix_sort_block_sort_config_selectorIiNS0_10empty_typeEEEZNS1_21radix_sort_block_sortIS4_Lb1EN6thrust23THRUST_200600_302600_NS6detail15normal_iteratorINSA_10device_ptrIiEEEESF_PS6_SG_NS0_19identity_decomposerEEE10hipError_tT1_T2_T3_T4_jRjT5_jjP12ihipStream_tbEUlT_E_NS1_11comp_targetILNS1_3genE4ELNS1_11target_archE910ELNS1_3gpuE8ELNS1_3repE0EEENS1_44radix_sort_block_sort_config_static_selectorELNS0_4arch9wavefront6targetE0EEEvSJ_.has_dyn_sized_stack, 0
	.set _ZN7rocprim17ROCPRIM_400000_NS6detail17trampoline_kernelINS0_13kernel_configILj256ELj4ELj4294967295EEENS1_37radix_sort_block_sort_config_selectorIiNS0_10empty_typeEEEZNS1_21radix_sort_block_sortIS4_Lb1EN6thrust23THRUST_200600_302600_NS6detail15normal_iteratorINSA_10device_ptrIiEEEESF_PS6_SG_NS0_19identity_decomposerEEE10hipError_tT1_T2_T3_T4_jRjT5_jjP12ihipStream_tbEUlT_E_NS1_11comp_targetILNS1_3genE4ELNS1_11target_archE910ELNS1_3gpuE8ELNS1_3repE0EEENS1_44radix_sort_block_sort_config_static_selectorELNS0_4arch9wavefront6targetE0EEEvSJ_.has_recursion, 0
	.set _ZN7rocprim17ROCPRIM_400000_NS6detail17trampoline_kernelINS0_13kernel_configILj256ELj4ELj4294967295EEENS1_37radix_sort_block_sort_config_selectorIiNS0_10empty_typeEEEZNS1_21radix_sort_block_sortIS4_Lb1EN6thrust23THRUST_200600_302600_NS6detail15normal_iteratorINSA_10device_ptrIiEEEESF_PS6_SG_NS0_19identity_decomposerEEE10hipError_tT1_T2_T3_T4_jRjT5_jjP12ihipStream_tbEUlT_E_NS1_11comp_targetILNS1_3genE4ELNS1_11target_archE910ELNS1_3gpuE8ELNS1_3repE0EEENS1_44radix_sort_block_sort_config_static_selectorELNS0_4arch9wavefront6targetE0EEEvSJ_.has_indirect_call, 0
	.section	.AMDGPU.csdata,"",@progbits
; Kernel info:
; codeLenInByte = 0
; TotalNumSgprs: 0
; NumVgprs: 0
; ScratchSize: 0
; MemoryBound: 0
; FloatMode: 240
; IeeeMode: 1
; LDSByteSize: 0 bytes/workgroup (compile time only)
; SGPRBlocks: 0
; VGPRBlocks: 0
; NumSGPRsForWavesPerEU: 1
; NumVGPRsForWavesPerEU: 1
; Occupancy: 16
; WaveLimiterHint : 0
; COMPUTE_PGM_RSRC2:SCRATCH_EN: 0
; COMPUTE_PGM_RSRC2:USER_SGPR: 6
; COMPUTE_PGM_RSRC2:TRAP_HANDLER: 0
; COMPUTE_PGM_RSRC2:TGID_X_EN: 1
; COMPUTE_PGM_RSRC2:TGID_Y_EN: 0
; COMPUTE_PGM_RSRC2:TGID_Z_EN: 0
; COMPUTE_PGM_RSRC2:TIDIG_COMP_CNT: 0
	.section	.text._ZN7rocprim17ROCPRIM_400000_NS6detail17trampoline_kernelINS0_13kernel_configILj256ELj4ELj4294967295EEENS1_37radix_sort_block_sort_config_selectorIiNS0_10empty_typeEEEZNS1_21radix_sort_block_sortIS4_Lb1EN6thrust23THRUST_200600_302600_NS6detail15normal_iteratorINSA_10device_ptrIiEEEESF_PS6_SG_NS0_19identity_decomposerEEE10hipError_tT1_T2_T3_T4_jRjT5_jjP12ihipStream_tbEUlT_E_NS1_11comp_targetILNS1_3genE3ELNS1_11target_archE908ELNS1_3gpuE7ELNS1_3repE0EEENS1_44radix_sort_block_sort_config_static_selectorELNS0_4arch9wavefront6targetE0EEEvSJ_,"axG",@progbits,_ZN7rocprim17ROCPRIM_400000_NS6detail17trampoline_kernelINS0_13kernel_configILj256ELj4ELj4294967295EEENS1_37radix_sort_block_sort_config_selectorIiNS0_10empty_typeEEEZNS1_21radix_sort_block_sortIS4_Lb1EN6thrust23THRUST_200600_302600_NS6detail15normal_iteratorINSA_10device_ptrIiEEEESF_PS6_SG_NS0_19identity_decomposerEEE10hipError_tT1_T2_T3_T4_jRjT5_jjP12ihipStream_tbEUlT_E_NS1_11comp_targetILNS1_3genE3ELNS1_11target_archE908ELNS1_3gpuE7ELNS1_3repE0EEENS1_44radix_sort_block_sort_config_static_selectorELNS0_4arch9wavefront6targetE0EEEvSJ_,comdat
	.protected	_ZN7rocprim17ROCPRIM_400000_NS6detail17trampoline_kernelINS0_13kernel_configILj256ELj4ELj4294967295EEENS1_37radix_sort_block_sort_config_selectorIiNS0_10empty_typeEEEZNS1_21radix_sort_block_sortIS4_Lb1EN6thrust23THRUST_200600_302600_NS6detail15normal_iteratorINSA_10device_ptrIiEEEESF_PS6_SG_NS0_19identity_decomposerEEE10hipError_tT1_T2_T3_T4_jRjT5_jjP12ihipStream_tbEUlT_E_NS1_11comp_targetILNS1_3genE3ELNS1_11target_archE908ELNS1_3gpuE7ELNS1_3repE0EEENS1_44radix_sort_block_sort_config_static_selectorELNS0_4arch9wavefront6targetE0EEEvSJ_ ; -- Begin function _ZN7rocprim17ROCPRIM_400000_NS6detail17trampoline_kernelINS0_13kernel_configILj256ELj4ELj4294967295EEENS1_37radix_sort_block_sort_config_selectorIiNS0_10empty_typeEEEZNS1_21radix_sort_block_sortIS4_Lb1EN6thrust23THRUST_200600_302600_NS6detail15normal_iteratorINSA_10device_ptrIiEEEESF_PS6_SG_NS0_19identity_decomposerEEE10hipError_tT1_T2_T3_T4_jRjT5_jjP12ihipStream_tbEUlT_E_NS1_11comp_targetILNS1_3genE3ELNS1_11target_archE908ELNS1_3gpuE7ELNS1_3repE0EEENS1_44radix_sort_block_sort_config_static_selectorELNS0_4arch9wavefront6targetE0EEEvSJ_
	.globl	_ZN7rocprim17ROCPRIM_400000_NS6detail17trampoline_kernelINS0_13kernel_configILj256ELj4ELj4294967295EEENS1_37radix_sort_block_sort_config_selectorIiNS0_10empty_typeEEEZNS1_21radix_sort_block_sortIS4_Lb1EN6thrust23THRUST_200600_302600_NS6detail15normal_iteratorINSA_10device_ptrIiEEEESF_PS6_SG_NS0_19identity_decomposerEEE10hipError_tT1_T2_T3_T4_jRjT5_jjP12ihipStream_tbEUlT_E_NS1_11comp_targetILNS1_3genE3ELNS1_11target_archE908ELNS1_3gpuE7ELNS1_3repE0EEENS1_44radix_sort_block_sort_config_static_selectorELNS0_4arch9wavefront6targetE0EEEvSJ_
	.p2align	8
	.type	_ZN7rocprim17ROCPRIM_400000_NS6detail17trampoline_kernelINS0_13kernel_configILj256ELj4ELj4294967295EEENS1_37radix_sort_block_sort_config_selectorIiNS0_10empty_typeEEEZNS1_21radix_sort_block_sortIS4_Lb1EN6thrust23THRUST_200600_302600_NS6detail15normal_iteratorINSA_10device_ptrIiEEEESF_PS6_SG_NS0_19identity_decomposerEEE10hipError_tT1_T2_T3_T4_jRjT5_jjP12ihipStream_tbEUlT_E_NS1_11comp_targetILNS1_3genE3ELNS1_11target_archE908ELNS1_3gpuE7ELNS1_3repE0EEENS1_44radix_sort_block_sort_config_static_selectorELNS0_4arch9wavefront6targetE0EEEvSJ_,@function
_ZN7rocprim17ROCPRIM_400000_NS6detail17trampoline_kernelINS0_13kernel_configILj256ELj4ELj4294967295EEENS1_37radix_sort_block_sort_config_selectorIiNS0_10empty_typeEEEZNS1_21radix_sort_block_sortIS4_Lb1EN6thrust23THRUST_200600_302600_NS6detail15normal_iteratorINSA_10device_ptrIiEEEESF_PS6_SG_NS0_19identity_decomposerEEE10hipError_tT1_T2_T3_T4_jRjT5_jjP12ihipStream_tbEUlT_E_NS1_11comp_targetILNS1_3genE3ELNS1_11target_archE908ELNS1_3gpuE7ELNS1_3repE0EEENS1_44radix_sort_block_sort_config_static_selectorELNS0_4arch9wavefront6targetE0EEEvSJ_: ; @_ZN7rocprim17ROCPRIM_400000_NS6detail17trampoline_kernelINS0_13kernel_configILj256ELj4ELj4294967295EEENS1_37radix_sort_block_sort_config_selectorIiNS0_10empty_typeEEEZNS1_21radix_sort_block_sortIS4_Lb1EN6thrust23THRUST_200600_302600_NS6detail15normal_iteratorINSA_10device_ptrIiEEEESF_PS6_SG_NS0_19identity_decomposerEEE10hipError_tT1_T2_T3_T4_jRjT5_jjP12ihipStream_tbEUlT_E_NS1_11comp_targetILNS1_3genE3ELNS1_11target_archE908ELNS1_3gpuE7ELNS1_3repE0EEENS1_44radix_sort_block_sort_config_static_selectorELNS0_4arch9wavefront6targetE0EEEvSJ_
; %bb.0:
	.section	.rodata,"a",@progbits
	.p2align	6, 0x0
	.amdhsa_kernel _ZN7rocprim17ROCPRIM_400000_NS6detail17trampoline_kernelINS0_13kernel_configILj256ELj4ELj4294967295EEENS1_37radix_sort_block_sort_config_selectorIiNS0_10empty_typeEEEZNS1_21radix_sort_block_sortIS4_Lb1EN6thrust23THRUST_200600_302600_NS6detail15normal_iteratorINSA_10device_ptrIiEEEESF_PS6_SG_NS0_19identity_decomposerEEE10hipError_tT1_T2_T3_T4_jRjT5_jjP12ihipStream_tbEUlT_E_NS1_11comp_targetILNS1_3genE3ELNS1_11target_archE908ELNS1_3gpuE7ELNS1_3repE0EEENS1_44radix_sort_block_sort_config_static_selectorELNS0_4arch9wavefront6targetE0EEEvSJ_
		.amdhsa_group_segment_fixed_size 0
		.amdhsa_private_segment_fixed_size 0
		.amdhsa_kernarg_size 48
		.amdhsa_user_sgpr_count 6
		.amdhsa_user_sgpr_private_segment_buffer 1
		.amdhsa_user_sgpr_dispatch_ptr 0
		.amdhsa_user_sgpr_queue_ptr 0
		.amdhsa_user_sgpr_kernarg_segment_ptr 1
		.amdhsa_user_sgpr_dispatch_id 0
		.amdhsa_user_sgpr_flat_scratch_init 0
		.amdhsa_user_sgpr_private_segment_size 0
		.amdhsa_wavefront_size32 1
		.amdhsa_uses_dynamic_stack 0
		.amdhsa_system_sgpr_private_segment_wavefront_offset 0
		.amdhsa_system_sgpr_workgroup_id_x 1
		.amdhsa_system_sgpr_workgroup_id_y 0
		.amdhsa_system_sgpr_workgroup_id_z 0
		.amdhsa_system_sgpr_workgroup_info 0
		.amdhsa_system_vgpr_workitem_id 0
		.amdhsa_next_free_vgpr 1
		.amdhsa_next_free_sgpr 1
		.amdhsa_reserve_vcc 0
		.amdhsa_reserve_flat_scratch 0
		.amdhsa_float_round_mode_32 0
		.amdhsa_float_round_mode_16_64 0
		.amdhsa_float_denorm_mode_32 3
		.amdhsa_float_denorm_mode_16_64 3
		.amdhsa_dx10_clamp 1
		.amdhsa_ieee_mode 1
		.amdhsa_fp16_overflow 0
		.amdhsa_workgroup_processor_mode 1
		.amdhsa_memory_ordered 1
		.amdhsa_forward_progress 1
		.amdhsa_shared_vgpr_count 0
		.amdhsa_exception_fp_ieee_invalid_op 0
		.amdhsa_exception_fp_denorm_src 0
		.amdhsa_exception_fp_ieee_div_zero 0
		.amdhsa_exception_fp_ieee_overflow 0
		.amdhsa_exception_fp_ieee_underflow 0
		.amdhsa_exception_fp_ieee_inexact 0
		.amdhsa_exception_int_div_zero 0
	.end_amdhsa_kernel
	.section	.text._ZN7rocprim17ROCPRIM_400000_NS6detail17trampoline_kernelINS0_13kernel_configILj256ELj4ELj4294967295EEENS1_37radix_sort_block_sort_config_selectorIiNS0_10empty_typeEEEZNS1_21radix_sort_block_sortIS4_Lb1EN6thrust23THRUST_200600_302600_NS6detail15normal_iteratorINSA_10device_ptrIiEEEESF_PS6_SG_NS0_19identity_decomposerEEE10hipError_tT1_T2_T3_T4_jRjT5_jjP12ihipStream_tbEUlT_E_NS1_11comp_targetILNS1_3genE3ELNS1_11target_archE908ELNS1_3gpuE7ELNS1_3repE0EEENS1_44radix_sort_block_sort_config_static_selectorELNS0_4arch9wavefront6targetE0EEEvSJ_,"axG",@progbits,_ZN7rocprim17ROCPRIM_400000_NS6detail17trampoline_kernelINS0_13kernel_configILj256ELj4ELj4294967295EEENS1_37radix_sort_block_sort_config_selectorIiNS0_10empty_typeEEEZNS1_21radix_sort_block_sortIS4_Lb1EN6thrust23THRUST_200600_302600_NS6detail15normal_iteratorINSA_10device_ptrIiEEEESF_PS6_SG_NS0_19identity_decomposerEEE10hipError_tT1_T2_T3_T4_jRjT5_jjP12ihipStream_tbEUlT_E_NS1_11comp_targetILNS1_3genE3ELNS1_11target_archE908ELNS1_3gpuE7ELNS1_3repE0EEENS1_44radix_sort_block_sort_config_static_selectorELNS0_4arch9wavefront6targetE0EEEvSJ_,comdat
.Lfunc_end216:
	.size	_ZN7rocprim17ROCPRIM_400000_NS6detail17trampoline_kernelINS0_13kernel_configILj256ELj4ELj4294967295EEENS1_37radix_sort_block_sort_config_selectorIiNS0_10empty_typeEEEZNS1_21radix_sort_block_sortIS4_Lb1EN6thrust23THRUST_200600_302600_NS6detail15normal_iteratorINSA_10device_ptrIiEEEESF_PS6_SG_NS0_19identity_decomposerEEE10hipError_tT1_T2_T3_T4_jRjT5_jjP12ihipStream_tbEUlT_E_NS1_11comp_targetILNS1_3genE3ELNS1_11target_archE908ELNS1_3gpuE7ELNS1_3repE0EEENS1_44radix_sort_block_sort_config_static_selectorELNS0_4arch9wavefront6targetE0EEEvSJ_, .Lfunc_end216-_ZN7rocprim17ROCPRIM_400000_NS6detail17trampoline_kernelINS0_13kernel_configILj256ELj4ELj4294967295EEENS1_37radix_sort_block_sort_config_selectorIiNS0_10empty_typeEEEZNS1_21radix_sort_block_sortIS4_Lb1EN6thrust23THRUST_200600_302600_NS6detail15normal_iteratorINSA_10device_ptrIiEEEESF_PS6_SG_NS0_19identity_decomposerEEE10hipError_tT1_T2_T3_T4_jRjT5_jjP12ihipStream_tbEUlT_E_NS1_11comp_targetILNS1_3genE3ELNS1_11target_archE908ELNS1_3gpuE7ELNS1_3repE0EEENS1_44radix_sort_block_sort_config_static_selectorELNS0_4arch9wavefront6targetE0EEEvSJ_
                                        ; -- End function
	.set _ZN7rocprim17ROCPRIM_400000_NS6detail17trampoline_kernelINS0_13kernel_configILj256ELj4ELj4294967295EEENS1_37radix_sort_block_sort_config_selectorIiNS0_10empty_typeEEEZNS1_21radix_sort_block_sortIS4_Lb1EN6thrust23THRUST_200600_302600_NS6detail15normal_iteratorINSA_10device_ptrIiEEEESF_PS6_SG_NS0_19identity_decomposerEEE10hipError_tT1_T2_T3_T4_jRjT5_jjP12ihipStream_tbEUlT_E_NS1_11comp_targetILNS1_3genE3ELNS1_11target_archE908ELNS1_3gpuE7ELNS1_3repE0EEENS1_44radix_sort_block_sort_config_static_selectorELNS0_4arch9wavefront6targetE0EEEvSJ_.num_vgpr, 0
	.set _ZN7rocprim17ROCPRIM_400000_NS6detail17trampoline_kernelINS0_13kernel_configILj256ELj4ELj4294967295EEENS1_37radix_sort_block_sort_config_selectorIiNS0_10empty_typeEEEZNS1_21radix_sort_block_sortIS4_Lb1EN6thrust23THRUST_200600_302600_NS6detail15normal_iteratorINSA_10device_ptrIiEEEESF_PS6_SG_NS0_19identity_decomposerEEE10hipError_tT1_T2_T3_T4_jRjT5_jjP12ihipStream_tbEUlT_E_NS1_11comp_targetILNS1_3genE3ELNS1_11target_archE908ELNS1_3gpuE7ELNS1_3repE0EEENS1_44radix_sort_block_sort_config_static_selectorELNS0_4arch9wavefront6targetE0EEEvSJ_.num_agpr, 0
	.set _ZN7rocprim17ROCPRIM_400000_NS6detail17trampoline_kernelINS0_13kernel_configILj256ELj4ELj4294967295EEENS1_37radix_sort_block_sort_config_selectorIiNS0_10empty_typeEEEZNS1_21radix_sort_block_sortIS4_Lb1EN6thrust23THRUST_200600_302600_NS6detail15normal_iteratorINSA_10device_ptrIiEEEESF_PS6_SG_NS0_19identity_decomposerEEE10hipError_tT1_T2_T3_T4_jRjT5_jjP12ihipStream_tbEUlT_E_NS1_11comp_targetILNS1_3genE3ELNS1_11target_archE908ELNS1_3gpuE7ELNS1_3repE0EEENS1_44radix_sort_block_sort_config_static_selectorELNS0_4arch9wavefront6targetE0EEEvSJ_.numbered_sgpr, 0
	.set _ZN7rocprim17ROCPRIM_400000_NS6detail17trampoline_kernelINS0_13kernel_configILj256ELj4ELj4294967295EEENS1_37radix_sort_block_sort_config_selectorIiNS0_10empty_typeEEEZNS1_21radix_sort_block_sortIS4_Lb1EN6thrust23THRUST_200600_302600_NS6detail15normal_iteratorINSA_10device_ptrIiEEEESF_PS6_SG_NS0_19identity_decomposerEEE10hipError_tT1_T2_T3_T4_jRjT5_jjP12ihipStream_tbEUlT_E_NS1_11comp_targetILNS1_3genE3ELNS1_11target_archE908ELNS1_3gpuE7ELNS1_3repE0EEENS1_44radix_sort_block_sort_config_static_selectorELNS0_4arch9wavefront6targetE0EEEvSJ_.num_named_barrier, 0
	.set _ZN7rocprim17ROCPRIM_400000_NS6detail17trampoline_kernelINS0_13kernel_configILj256ELj4ELj4294967295EEENS1_37radix_sort_block_sort_config_selectorIiNS0_10empty_typeEEEZNS1_21radix_sort_block_sortIS4_Lb1EN6thrust23THRUST_200600_302600_NS6detail15normal_iteratorINSA_10device_ptrIiEEEESF_PS6_SG_NS0_19identity_decomposerEEE10hipError_tT1_T2_T3_T4_jRjT5_jjP12ihipStream_tbEUlT_E_NS1_11comp_targetILNS1_3genE3ELNS1_11target_archE908ELNS1_3gpuE7ELNS1_3repE0EEENS1_44radix_sort_block_sort_config_static_selectorELNS0_4arch9wavefront6targetE0EEEvSJ_.private_seg_size, 0
	.set _ZN7rocprim17ROCPRIM_400000_NS6detail17trampoline_kernelINS0_13kernel_configILj256ELj4ELj4294967295EEENS1_37radix_sort_block_sort_config_selectorIiNS0_10empty_typeEEEZNS1_21radix_sort_block_sortIS4_Lb1EN6thrust23THRUST_200600_302600_NS6detail15normal_iteratorINSA_10device_ptrIiEEEESF_PS6_SG_NS0_19identity_decomposerEEE10hipError_tT1_T2_T3_T4_jRjT5_jjP12ihipStream_tbEUlT_E_NS1_11comp_targetILNS1_3genE3ELNS1_11target_archE908ELNS1_3gpuE7ELNS1_3repE0EEENS1_44radix_sort_block_sort_config_static_selectorELNS0_4arch9wavefront6targetE0EEEvSJ_.uses_vcc, 0
	.set _ZN7rocprim17ROCPRIM_400000_NS6detail17trampoline_kernelINS0_13kernel_configILj256ELj4ELj4294967295EEENS1_37radix_sort_block_sort_config_selectorIiNS0_10empty_typeEEEZNS1_21radix_sort_block_sortIS4_Lb1EN6thrust23THRUST_200600_302600_NS6detail15normal_iteratorINSA_10device_ptrIiEEEESF_PS6_SG_NS0_19identity_decomposerEEE10hipError_tT1_T2_T3_T4_jRjT5_jjP12ihipStream_tbEUlT_E_NS1_11comp_targetILNS1_3genE3ELNS1_11target_archE908ELNS1_3gpuE7ELNS1_3repE0EEENS1_44radix_sort_block_sort_config_static_selectorELNS0_4arch9wavefront6targetE0EEEvSJ_.uses_flat_scratch, 0
	.set _ZN7rocprim17ROCPRIM_400000_NS6detail17trampoline_kernelINS0_13kernel_configILj256ELj4ELj4294967295EEENS1_37radix_sort_block_sort_config_selectorIiNS0_10empty_typeEEEZNS1_21radix_sort_block_sortIS4_Lb1EN6thrust23THRUST_200600_302600_NS6detail15normal_iteratorINSA_10device_ptrIiEEEESF_PS6_SG_NS0_19identity_decomposerEEE10hipError_tT1_T2_T3_T4_jRjT5_jjP12ihipStream_tbEUlT_E_NS1_11comp_targetILNS1_3genE3ELNS1_11target_archE908ELNS1_3gpuE7ELNS1_3repE0EEENS1_44radix_sort_block_sort_config_static_selectorELNS0_4arch9wavefront6targetE0EEEvSJ_.has_dyn_sized_stack, 0
	.set _ZN7rocprim17ROCPRIM_400000_NS6detail17trampoline_kernelINS0_13kernel_configILj256ELj4ELj4294967295EEENS1_37radix_sort_block_sort_config_selectorIiNS0_10empty_typeEEEZNS1_21radix_sort_block_sortIS4_Lb1EN6thrust23THRUST_200600_302600_NS6detail15normal_iteratorINSA_10device_ptrIiEEEESF_PS6_SG_NS0_19identity_decomposerEEE10hipError_tT1_T2_T3_T4_jRjT5_jjP12ihipStream_tbEUlT_E_NS1_11comp_targetILNS1_3genE3ELNS1_11target_archE908ELNS1_3gpuE7ELNS1_3repE0EEENS1_44radix_sort_block_sort_config_static_selectorELNS0_4arch9wavefront6targetE0EEEvSJ_.has_recursion, 0
	.set _ZN7rocprim17ROCPRIM_400000_NS6detail17trampoline_kernelINS0_13kernel_configILj256ELj4ELj4294967295EEENS1_37radix_sort_block_sort_config_selectorIiNS0_10empty_typeEEEZNS1_21radix_sort_block_sortIS4_Lb1EN6thrust23THRUST_200600_302600_NS6detail15normal_iteratorINSA_10device_ptrIiEEEESF_PS6_SG_NS0_19identity_decomposerEEE10hipError_tT1_T2_T3_T4_jRjT5_jjP12ihipStream_tbEUlT_E_NS1_11comp_targetILNS1_3genE3ELNS1_11target_archE908ELNS1_3gpuE7ELNS1_3repE0EEENS1_44radix_sort_block_sort_config_static_selectorELNS0_4arch9wavefront6targetE0EEEvSJ_.has_indirect_call, 0
	.section	.AMDGPU.csdata,"",@progbits
; Kernel info:
; codeLenInByte = 0
; TotalNumSgprs: 0
; NumVgprs: 0
; ScratchSize: 0
; MemoryBound: 0
; FloatMode: 240
; IeeeMode: 1
; LDSByteSize: 0 bytes/workgroup (compile time only)
; SGPRBlocks: 0
; VGPRBlocks: 0
; NumSGPRsForWavesPerEU: 1
; NumVGPRsForWavesPerEU: 1
; Occupancy: 16
; WaveLimiterHint : 0
; COMPUTE_PGM_RSRC2:SCRATCH_EN: 0
; COMPUTE_PGM_RSRC2:USER_SGPR: 6
; COMPUTE_PGM_RSRC2:TRAP_HANDLER: 0
; COMPUTE_PGM_RSRC2:TGID_X_EN: 1
; COMPUTE_PGM_RSRC2:TGID_Y_EN: 0
; COMPUTE_PGM_RSRC2:TGID_Z_EN: 0
; COMPUTE_PGM_RSRC2:TIDIG_COMP_CNT: 0
	.section	.text._ZN7rocprim17ROCPRIM_400000_NS6detail17trampoline_kernelINS0_13kernel_configILj256ELj4ELj4294967295EEENS1_37radix_sort_block_sort_config_selectorIiNS0_10empty_typeEEEZNS1_21radix_sort_block_sortIS4_Lb1EN6thrust23THRUST_200600_302600_NS6detail15normal_iteratorINSA_10device_ptrIiEEEESF_PS6_SG_NS0_19identity_decomposerEEE10hipError_tT1_T2_T3_T4_jRjT5_jjP12ihipStream_tbEUlT_E_NS1_11comp_targetILNS1_3genE2ELNS1_11target_archE906ELNS1_3gpuE6ELNS1_3repE0EEENS1_44radix_sort_block_sort_config_static_selectorELNS0_4arch9wavefront6targetE0EEEvSJ_,"axG",@progbits,_ZN7rocprim17ROCPRIM_400000_NS6detail17trampoline_kernelINS0_13kernel_configILj256ELj4ELj4294967295EEENS1_37radix_sort_block_sort_config_selectorIiNS0_10empty_typeEEEZNS1_21radix_sort_block_sortIS4_Lb1EN6thrust23THRUST_200600_302600_NS6detail15normal_iteratorINSA_10device_ptrIiEEEESF_PS6_SG_NS0_19identity_decomposerEEE10hipError_tT1_T2_T3_T4_jRjT5_jjP12ihipStream_tbEUlT_E_NS1_11comp_targetILNS1_3genE2ELNS1_11target_archE906ELNS1_3gpuE6ELNS1_3repE0EEENS1_44radix_sort_block_sort_config_static_selectorELNS0_4arch9wavefront6targetE0EEEvSJ_,comdat
	.protected	_ZN7rocprim17ROCPRIM_400000_NS6detail17trampoline_kernelINS0_13kernel_configILj256ELj4ELj4294967295EEENS1_37radix_sort_block_sort_config_selectorIiNS0_10empty_typeEEEZNS1_21radix_sort_block_sortIS4_Lb1EN6thrust23THRUST_200600_302600_NS6detail15normal_iteratorINSA_10device_ptrIiEEEESF_PS6_SG_NS0_19identity_decomposerEEE10hipError_tT1_T2_T3_T4_jRjT5_jjP12ihipStream_tbEUlT_E_NS1_11comp_targetILNS1_3genE2ELNS1_11target_archE906ELNS1_3gpuE6ELNS1_3repE0EEENS1_44radix_sort_block_sort_config_static_selectorELNS0_4arch9wavefront6targetE0EEEvSJ_ ; -- Begin function _ZN7rocprim17ROCPRIM_400000_NS6detail17trampoline_kernelINS0_13kernel_configILj256ELj4ELj4294967295EEENS1_37radix_sort_block_sort_config_selectorIiNS0_10empty_typeEEEZNS1_21radix_sort_block_sortIS4_Lb1EN6thrust23THRUST_200600_302600_NS6detail15normal_iteratorINSA_10device_ptrIiEEEESF_PS6_SG_NS0_19identity_decomposerEEE10hipError_tT1_T2_T3_T4_jRjT5_jjP12ihipStream_tbEUlT_E_NS1_11comp_targetILNS1_3genE2ELNS1_11target_archE906ELNS1_3gpuE6ELNS1_3repE0EEENS1_44radix_sort_block_sort_config_static_selectorELNS0_4arch9wavefront6targetE0EEEvSJ_
	.globl	_ZN7rocprim17ROCPRIM_400000_NS6detail17trampoline_kernelINS0_13kernel_configILj256ELj4ELj4294967295EEENS1_37radix_sort_block_sort_config_selectorIiNS0_10empty_typeEEEZNS1_21radix_sort_block_sortIS4_Lb1EN6thrust23THRUST_200600_302600_NS6detail15normal_iteratorINSA_10device_ptrIiEEEESF_PS6_SG_NS0_19identity_decomposerEEE10hipError_tT1_T2_T3_T4_jRjT5_jjP12ihipStream_tbEUlT_E_NS1_11comp_targetILNS1_3genE2ELNS1_11target_archE906ELNS1_3gpuE6ELNS1_3repE0EEENS1_44radix_sort_block_sort_config_static_selectorELNS0_4arch9wavefront6targetE0EEEvSJ_
	.p2align	8
	.type	_ZN7rocprim17ROCPRIM_400000_NS6detail17trampoline_kernelINS0_13kernel_configILj256ELj4ELj4294967295EEENS1_37radix_sort_block_sort_config_selectorIiNS0_10empty_typeEEEZNS1_21radix_sort_block_sortIS4_Lb1EN6thrust23THRUST_200600_302600_NS6detail15normal_iteratorINSA_10device_ptrIiEEEESF_PS6_SG_NS0_19identity_decomposerEEE10hipError_tT1_T2_T3_T4_jRjT5_jjP12ihipStream_tbEUlT_E_NS1_11comp_targetILNS1_3genE2ELNS1_11target_archE906ELNS1_3gpuE6ELNS1_3repE0EEENS1_44radix_sort_block_sort_config_static_selectorELNS0_4arch9wavefront6targetE0EEEvSJ_,@function
_ZN7rocprim17ROCPRIM_400000_NS6detail17trampoline_kernelINS0_13kernel_configILj256ELj4ELj4294967295EEENS1_37radix_sort_block_sort_config_selectorIiNS0_10empty_typeEEEZNS1_21radix_sort_block_sortIS4_Lb1EN6thrust23THRUST_200600_302600_NS6detail15normal_iteratorINSA_10device_ptrIiEEEESF_PS6_SG_NS0_19identity_decomposerEEE10hipError_tT1_T2_T3_T4_jRjT5_jjP12ihipStream_tbEUlT_E_NS1_11comp_targetILNS1_3genE2ELNS1_11target_archE906ELNS1_3gpuE6ELNS1_3repE0EEENS1_44radix_sort_block_sort_config_static_selectorELNS0_4arch9wavefront6targetE0EEEvSJ_: ; @_ZN7rocprim17ROCPRIM_400000_NS6detail17trampoline_kernelINS0_13kernel_configILj256ELj4ELj4294967295EEENS1_37radix_sort_block_sort_config_selectorIiNS0_10empty_typeEEEZNS1_21radix_sort_block_sortIS4_Lb1EN6thrust23THRUST_200600_302600_NS6detail15normal_iteratorINSA_10device_ptrIiEEEESF_PS6_SG_NS0_19identity_decomposerEEE10hipError_tT1_T2_T3_T4_jRjT5_jjP12ihipStream_tbEUlT_E_NS1_11comp_targetILNS1_3genE2ELNS1_11target_archE906ELNS1_3gpuE6ELNS1_3repE0EEENS1_44radix_sort_block_sort_config_static_selectorELNS0_4arch9wavefront6targetE0EEEvSJ_
; %bb.0:
	.section	.rodata,"a",@progbits
	.p2align	6, 0x0
	.amdhsa_kernel _ZN7rocprim17ROCPRIM_400000_NS6detail17trampoline_kernelINS0_13kernel_configILj256ELj4ELj4294967295EEENS1_37radix_sort_block_sort_config_selectorIiNS0_10empty_typeEEEZNS1_21radix_sort_block_sortIS4_Lb1EN6thrust23THRUST_200600_302600_NS6detail15normal_iteratorINSA_10device_ptrIiEEEESF_PS6_SG_NS0_19identity_decomposerEEE10hipError_tT1_T2_T3_T4_jRjT5_jjP12ihipStream_tbEUlT_E_NS1_11comp_targetILNS1_3genE2ELNS1_11target_archE906ELNS1_3gpuE6ELNS1_3repE0EEENS1_44radix_sort_block_sort_config_static_selectorELNS0_4arch9wavefront6targetE0EEEvSJ_
		.amdhsa_group_segment_fixed_size 0
		.amdhsa_private_segment_fixed_size 0
		.amdhsa_kernarg_size 48
		.amdhsa_user_sgpr_count 6
		.amdhsa_user_sgpr_private_segment_buffer 1
		.amdhsa_user_sgpr_dispatch_ptr 0
		.amdhsa_user_sgpr_queue_ptr 0
		.amdhsa_user_sgpr_kernarg_segment_ptr 1
		.amdhsa_user_sgpr_dispatch_id 0
		.amdhsa_user_sgpr_flat_scratch_init 0
		.amdhsa_user_sgpr_private_segment_size 0
		.amdhsa_wavefront_size32 1
		.amdhsa_uses_dynamic_stack 0
		.amdhsa_system_sgpr_private_segment_wavefront_offset 0
		.amdhsa_system_sgpr_workgroup_id_x 1
		.amdhsa_system_sgpr_workgroup_id_y 0
		.amdhsa_system_sgpr_workgroup_id_z 0
		.amdhsa_system_sgpr_workgroup_info 0
		.amdhsa_system_vgpr_workitem_id 0
		.amdhsa_next_free_vgpr 1
		.amdhsa_next_free_sgpr 1
		.amdhsa_reserve_vcc 0
		.amdhsa_reserve_flat_scratch 0
		.amdhsa_float_round_mode_32 0
		.amdhsa_float_round_mode_16_64 0
		.amdhsa_float_denorm_mode_32 3
		.amdhsa_float_denorm_mode_16_64 3
		.amdhsa_dx10_clamp 1
		.amdhsa_ieee_mode 1
		.amdhsa_fp16_overflow 0
		.amdhsa_workgroup_processor_mode 1
		.amdhsa_memory_ordered 1
		.amdhsa_forward_progress 1
		.amdhsa_shared_vgpr_count 0
		.amdhsa_exception_fp_ieee_invalid_op 0
		.amdhsa_exception_fp_denorm_src 0
		.amdhsa_exception_fp_ieee_div_zero 0
		.amdhsa_exception_fp_ieee_overflow 0
		.amdhsa_exception_fp_ieee_underflow 0
		.amdhsa_exception_fp_ieee_inexact 0
		.amdhsa_exception_int_div_zero 0
	.end_amdhsa_kernel
	.section	.text._ZN7rocprim17ROCPRIM_400000_NS6detail17trampoline_kernelINS0_13kernel_configILj256ELj4ELj4294967295EEENS1_37radix_sort_block_sort_config_selectorIiNS0_10empty_typeEEEZNS1_21radix_sort_block_sortIS4_Lb1EN6thrust23THRUST_200600_302600_NS6detail15normal_iteratorINSA_10device_ptrIiEEEESF_PS6_SG_NS0_19identity_decomposerEEE10hipError_tT1_T2_T3_T4_jRjT5_jjP12ihipStream_tbEUlT_E_NS1_11comp_targetILNS1_3genE2ELNS1_11target_archE906ELNS1_3gpuE6ELNS1_3repE0EEENS1_44radix_sort_block_sort_config_static_selectorELNS0_4arch9wavefront6targetE0EEEvSJ_,"axG",@progbits,_ZN7rocprim17ROCPRIM_400000_NS6detail17trampoline_kernelINS0_13kernel_configILj256ELj4ELj4294967295EEENS1_37radix_sort_block_sort_config_selectorIiNS0_10empty_typeEEEZNS1_21radix_sort_block_sortIS4_Lb1EN6thrust23THRUST_200600_302600_NS6detail15normal_iteratorINSA_10device_ptrIiEEEESF_PS6_SG_NS0_19identity_decomposerEEE10hipError_tT1_T2_T3_T4_jRjT5_jjP12ihipStream_tbEUlT_E_NS1_11comp_targetILNS1_3genE2ELNS1_11target_archE906ELNS1_3gpuE6ELNS1_3repE0EEENS1_44radix_sort_block_sort_config_static_selectorELNS0_4arch9wavefront6targetE0EEEvSJ_,comdat
.Lfunc_end217:
	.size	_ZN7rocprim17ROCPRIM_400000_NS6detail17trampoline_kernelINS0_13kernel_configILj256ELj4ELj4294967295EEENS1_37radix_sort_block_sort_config_selectorIiNS0_10empty_typeEEEZNS1_21radix_sort_block_sortIS4_Lb1EN6thrust23THRUST_200600_302600_NS6detail15normal_iteratorINSA_10device_ptrIiEEEESF_PS6_SG_NS0_19identity_decomposerEEE10hipError_tT1_T2_T3_T4_jRjT5_jjP12ihipStream_tbEUlT_E_NS1_11comp_targetILNS1_3genE2ELNS1_11target_archE906ELNS1_3gpuE6ELNS1_3repE0EEENS1_44radix_sort_block_sort_config_static_selectorELNS0_4arch9wavefront6targetE0EEEvSJ_, .Lfunc_end217-_ZN7rocprim17ROCPRIM_400000_NS6detail17trampoline_kernelINS0_13kernel_configILj256ELj4ELj4294967295EEENS1_37radix_sort_block_sort_config_selectorIiNS0_10empty_typeEEEZNS1_21radix_sort_block_sortIS4_Lb1EN6thrust23THRUST_200600_302600_NS6detail15normal_iteratorINSA_10device_ptrIiEEEESF_PS6_SG_NS0_19identity_decomposerEEE10hipError_tT1_T2_T3_T4_jRjT5_jjP12ihipStream_tbEUlT_E_NS1_11comp_targetILNS1_3genE2ELNS1_11target_archE906ELNS1_3gpuE6ELNS1_3repE0EEENS1_44radix_sort_block_sort_config_static_selectorELNS0_4arch9wavefront6targetE0EEEvSJ_
                                        ; -- End function
	.set _ZN7rocprim17ROCPRIM_400000_NS6detail17trampoline_kernelINS0_13kernel_configILj256ELj4ELj4294967295EEENS1_37radix_sort_block_sort_config_selectorIiNS0_10empty_typeEEEZNS1_21radix_sort_block_sortIS4_Lb1EN6thrust23THRUST_200600_302600_NS6detail15normal_iteratorINSA_10device_ptrIiEEEESF_PS6_SG_NS0_19identity_decomposerEEE10hipError_tT1_T2_T3_T4_jRjT5_jjP12ihipStream_tbEUlT_E_NS1_11comp_targetILNS1_3genE2ELNS1_11target_archE906ELNS1_3gpuE6ELNS1_3repE0EEENS1_44radix_sort_block_sort_config_static_selectorELNS0_4arch9wavefront6targetE0EEEvSJ_.num_vgpr, 0
	.set _ZN7rocprim17ROCPRIM_400000_NS6detail17trampoline_kernelINS0_13kernel_configILj256ELj4ELj4294967295EEENS1_37radix_sort_block_sort_config_selectorIiNS0_10empty_typeEEEZNS1_21radix_sort_block_sortIS4_Lb1EN6thrust23THRUST_200600_302600_NS6detail15normal_iteratorINSA_10device_ptrIiEEEESF_PS6_SG_NS0_19identity_decomposerEEE10hipError_tT1_T2_T3_T4_jRjT5_jjP12ihipStream_tbEUlT_E_NS1_11comp_targetILNS1_3genE2ELNS1_11target_archE906ELNS1_3gpuE6ELNS1_3repE0EEENS1_44radix_sort_block_sort_config_static_selectorELNS0_4arch9wavefront6targetE0EEEvSJ_.num_agpr, 0
	.set _ZN7rocprim17ROCPRIM_400000_NS6detail17trampoline_kernelINS0_13kernel_configILj256ELj4ELj4294967295EEENS1_37radix_sort_block_sort_config_selectorIiNS0_10empty_typeEEEZNS1_21radix_sort_block_sortIS4_Lb1EN6thrust23THRUST_200600_302600_NS6detail15normal_iteratorINSA_10device_ptrIiEEEESF_PS6_SG_NS0_19identity_decomposerEEE10hipError_tT1_T2_T3_T4_jRjT5_jjP12ihipStream_tbEUlT_E_NS1_11comp_targetILNS1_3genE2ELNS1_11target_archE906ELNS1_3gpuE6ELNS1_3repE0EEENS1_44radix_sort_block_sort_config_static_selectorELNS0_4arch9wavefront6targetE0EEEvSJ_.numbered_sgpr, 0
	.set _ZN7rocprim17ROCPRIM_400000_NS6detail17trampoline_kernelINS0_13kernel_configILj256ELj4ELj4294967295EEENS1_37radix_sort_block_sort_config_selectorIiNS0_10empty_typeEEEZNS1_21radix_sort_block_sortIS4_Lb1EN6thrust23THRUST_200600_302600_NS6detail15normal_iteratorINSA_10device_ptrIiEEEESF_PS6_SG_NS0_19identity_decomposerEEE10hipError_tT1_T2_T3_T4_jRjT5_jjP12ihipStream_tbEUlT_E_NS1_11comp_targetILNS1_3genE2ELNS1_11target_archE906ELNS1_3gpuE6ELNS1_3repE0EEENS1_44radix_sort_block_sort_config_static_selectorELNS0_4arch9wavefront6targetE0EEEvSJ_.num_named_barrier, 0
	.set _ZN7rocprim17ROCPRIM_400000_NS6detail17trampoline_kernelINS0_13kernel_configILj256ELj4ELj4294967295EEENS1_37radix_sort_block_sort_config_selectorIiNS0_10empty_typeEEEZNS1_21radix_sort_block_sortIS4_Lb1EN6thrust23THRUST_200600_302600_NS6detail15normal_iteratorINSA_10device_ptrIiEEEESF_PS6_SG_NS0_19identity_decomposerEEE10hipError_tT1_T2_T3_T4_jRjT5_jjP12ihipStream_tbEUlT_E_NS1_11comp_targetILNS1_3genE2ELNS1_11target_archE906ELNS1_3gpuE6ELNS1_3repE0EEENS1_44radix_sort_block_sort_config_static_selectorELNS0_4arch9wavefront6targetE0EEEvSJ_.private_seg_size, 0
	.set _ZN7rocprim17ROCPRIM_400000_NS6detail17trampoline_kernelINS0_13kernel_configILj256ELj4ELj4294967295EEENS1_37radix_sort_block_sort_config_selectorIiNS0_10empty_typeEEEZNS1_21radix_sort_block_sortIS4_Lb1EN6thrust23THRUST_200600_302600_NS6detail15normal_iteratorINSA_10device_ptrIiEEEESF_PS6_SG_NS0_19identity_decomposerEEE10hipError_tT1_T2_T3_T4_jRjT5_jjP12ihipStream_tbEUlT_E_NS1_11comp_targetILNS1_3genE2ELNS1_11target_archE906ELNS1_3gpuE6ELNS1_3repE0EEENS1_44radix_sort_block_sort_config_static_selectorELNS0_4arch9wavefront6targetE0EEEvSJ_.uses_vcc, 0
	.set _ZN7rocprim17ROCPRIM_400000_NS6detail17trampoline_kernelINS0_13kernel_configILj256ELj4ELj4294967295EEENS1_37radix_sort_block_sort_config_selectorIiNS0_10empty_typeEEEZNS1_21radix_sort_block_sortIS4_Lb1EN6thrust23THRUST_200600_302600_NS6detail15normal_iteratorINSA_10device_ptrIiEEEESF_PS6_SG_NS0_19identity_decomposerEEE10hipError_tT1_T2_T3_T4_jRjT5_jjP12ihipStream_tbEUlT_E_NS1_11comp_targetILNS1_3genE2ELNS1_11target_archE906ELNS1_3gpuE6ELNS1_3repE0EEENS1_44radix_sort_block_sort_config_static_selectorELNS0_4arch9wavefront6targetE0EEEvSJ_.uses_flat_scratch, 0
	.set _ZN7rocprim17ROCPRIM_400000_NS6detail17trampoline_kernelINS0_13kernel_configILj256ELj4ELj4294967295EEENS1_37radix_sort_block_sort_config_selectorIiNS0_10empty_typeEEEZNS1_21radix_sort_block_sortIS4_Lb1EN6thrust23THRUST_200600_302600_NS6detail15normal_iteratorINSA_10device_ptrIiEEEESF_PS6_SG_NS0_19identity_decomposerEEE10hipError_tT1_T2_T3_T4_jRjT5_jjP12ihipStream_tbEUlT_E_NS1_11comp_targetILNS1_3genE2ELNS1_11target_archE906ELNS1_3gpuE6ELNS1_3repE0EEENS1_44radix_sort_block_sort_config_static_selectorELNS0_4arch9wavefront6targetE0EEEvSJ_.has_dyn_sized_stack, 0
	.set _ZN7rocprim17ROCPRIM_400000_NS6detail17trampoline_kernelINS0_13kernel_configILj256ELj4ELj4294967295EEENS1_37radix_sort_block_sort_config_selectorIiNS0_10empty_typeEEEZNS1_21radix_sort_block_sortIS4_Lb1EN6thrust23THRUST_200600_302600_NS6detail15normal_iteratorINSA_10device_ptrIiEEEESF_PS6_SG_NS0_19identity_decomposerEEE10hipError_tT1_T2_T3_T4_jRjT5_jjP12ihipStream_tbEUlT_E_NS1_11comp_targetILNS1_3genE2ELNS1_11target_archE906ELNS1_3gpuE6ELNS1_3repE0EEENS1_44radix_sort_block_sort_config_static_selectorELNS0_4arch9wavefront6targetE0EEEvSJ_.has_recursion, 0
	.set _ZN7rocprim17ROCPRIM_400000_NS6detail17trampoline_kernelINS0_13kernel_configILj256ELj4ELj4294967295EEENS1_37radix_sort_block_sort_config_selectorIiNS0_10empty_typeEEEZNS1_21radix_sort_block_sortIS4_Lb1EN6thrust23THRUST_200600_302600_NS6detail15normal_iteratorINSA_10device_ptrIiEEEESF_PS6_SG_NS0_19identity_decomposerEEE10hipError_tT1_T2_T3_T4_jRjT5_jjP12ihipStream_tbEUlT_E_NS1_11comp_targetILNS1_3genE2ELNS1_11target_archE906ELNS1_3gpuE6ELNS1_3repE0EEENS1_44radix_sort_block_sort_config_static_selectorELNS0_4arch9wavefront6targetE0EEEvSJ_.has_indirect_call, 0
	.section	.AMDGPU.csdata,"",@progbits
; Kernel info:
; codeLenInByte = 0
; TotalNumSgprs: 0
; NumVgprs: 0
; ScratchSize: 0
; MemoryBound: 0
; FloatMode: 240
; IeeeMode: 1
; LDSByteSize: 0 bytes/workgroup (compile time only)
; SGPRBlocks: 0
; VGPRBlocks: 0
; NumSGPRsForWavesPerEU: 1
; NumVGPRsForWavesPerEU: 1
; Occupancy: 16
; WaveLimiterHint : 0
; COMPUTE_PGM_RSRC2:SCRATCH_EN: 0
; COMPUTE_PGM_RSRC2:USER_SGPR: 6
; COMPUTE_PGM_RSRC2:TRAP_HANDLER: 0
; COMPUTE_PGM_RSRC2:TGID_X_EN: 1
; COMPUTE_PGM_RSRC2:TGID_Y_EN: 0
; COMPUTE_PGM_RSRC2:TGID_Z_EN: 0
; COMPUTE_PGM_RSRC2:TIDIG_COMP_CNT: 0
	.section	.text._ZN7rocprim17ROCPRIM_400000_NS6detail17trampoline_kernelINS0_13kernel_configILj256ELj4ELj4294967295EEENS1_37radix_sort_block_sort_config_selectorIiNS0_10empty_typeEEEZNS1_21radix_sort_block_sortIS4_Lb1EN6thrust23THRUST_200600_302600_NS6detail15normal_iteratorINSA_10device_ptrIiEEEESF_PS6_SG_NS0_19identity_decomposerEEE10hipError_tT1_T2_T3_T4_jRjT5_jjP12ihipStream_tbEUlT_E_NS1_11comp_targetILNS1_3genE10ELNS1_11target_archE1201ELNS1_3gpuE5ELNS1_3repE0EEENS1_44radix_sort_block_sort_config_static_selectorELNS0_4arch9wavefront6targetE0EEEvSJ_,"axG",@progbits,_ZN7rocprim17ROCPRIM_400000_NS6detail17trampoline_kernelINS0_13kernel_configILj256ELj4ELj4294967295EEENS1_37radix_sort_block_sort_config_selectorIiNS0_10empty_typeEEEZNS1_21radix_sort_block_sortIS4_Lb1EN6thrust23THRUST_200600_302600_NS6detail15normal_iteratorINSA_10device_ptrIiEEEESF_PS6_SG_NS0_19identity_decomposerEEE10hipError_tT1_T2_T3_T4_jRjT5_jjP12ihipStream_tbEUlT_E_NS1_11comp_targetILNS1_3genE10ELNS1_11target_archE1201ELNS1_3gpuE5ELNS1_3repE0EEENS1_44radix_sort_block_sort_config_static_selectorELNS0_4arch9wavefront6targetE0EEEvSJ_,comdat
	.protected	_ZN7rocprim17ROCPRIM_400000_NS6detail17trampoline_kernelINS0_13kernel_configILj256ELj4ELj4294967295EEENS1_37radix_sort_block_sort_config_selectorIiNS0_10empty_typeEEEZNS1_21radix_sort_block_sortIS4_Lb1EN6thrust23THRUST_200600_302600_NS6detail15normal_iteratorINSA_10device_ptrIiEEEESF_PS6_SG_NS0_19identity_decomposerEEE10hipError_tT1_T2_T3_T4_jRjT5_jjP12ihipStream_tbEUlT_E_NS1_11comp_targetILNS1_3genE10ELNS1_11target_archE1201ELNS1_3gpuE5ELNS1_3repE0EEENS1_44radix_sort_block_sort_config_static_selectorELNS0_4arch9wavefront6targetE0EEEvSJ_ ; -- Begin function _ZN7rocprim17ROCPRIM_400000_NS6detail17trampoline_kernelINS0_13kernel_configILj256ELj4ELj4294967295EEENS1_37radix_sort_block_sort_config_selectorIiNS0_10empty_typeEEEZNS1_21radix_sort_block_sortIS4_Lb1EN6thrust23THRUST_200600_302600_NS6detail15normal_iteratorINSA_10device_ptrIiEEEESF_PS6_SG_NS0_19identity_decomposerEEE10hipError_tT1_T2_T3_T4_jRjT5_jjP12ihipStream_tbEUlT_E_NS1_11comp_targetILNS1_3genE10ELNS1_11target_archE1201ELNS1_3gpuE5ELNS1_3repE0EEENS1_44radix_sort_block_sort_config_static_selectorELNS0_4arch9wavefront6targetE0EEEvSJ_
	.globl	_ZN7rocprim17ROCPRIM_400000_NS6detail17trampoline_kernelINS0_13kernel_configILj256ELj4ELj4294967295EEENS1_37radix_sort_block_sort_config_selectorIiNS0_10empty_typeEEEZNS1_21radix_sort_block_sortIS4_Lb1EN6thrust23THRUST_200600_302600_NS6detail15normal_iteratorINSA_10device_ptrIiEEEESF_PS6_SG_NS0_19identity_decomposerEEE10hipError_tT1_T2_T3_T4_jRjT5_jjP12ihipStream_tbEUlT_E_NS1_11comp_targetILNS1_3genE10ELNS1_11target_archE1201ELNS1_3gpuE5ELNS1_3repE0EEENS1_44radix_sort_block_sort_config_static_selectorELNS0_4arch9wavefront6targetE0EEEvSJ_
	.p2align	8
	.type	_ZN7rocprim17ROCPRIM_400000_NS6detail17trampoline_kernelINS0_13kernel_configILj256ELj4ELj4294967295EEENS1_37radix_sort_block_sort_config_selectorIiNS0_10empty_typeEEEZNS1_21radix_sort_block_sortIS4_Lb1EN6thrust23THRUST_200600_302600_NS6detail15normal_iteratorINSA_10device_ptrIiEEEESF_PS6_SG_NS0_19identity_decomposerEEE10hipError_tT1_T2_T3_T4_jRjT5_jjP12ihipStream_tbEUlT_E_NS1_11comp_targetILNS1_3genE10ELNS1_11target_archE1201ELNS1_3gpuE5ELNS1_3repE0EEENS1_44radix_sort_block_sort_config_static_selectorELNS0_4arch9wavefront6targetE0EEEvSJ_,@function
_ZN7rocprim17ROCPRIM_400000_NS6detail17trampoline_kernelINS0_13kernel_configILj256ELj4ELj4294967295EEENS1_37radix_sort_block_sort_config_selectorIiNS0_10empty_typeEEEZNS1_21radix_sort_block_sortIS4_Lb1EN6thrust23THRUST_200600_302600_NS6detail15normal_iteratorINSA_10device_ptrIiEEEESF_PS6_SG_NS0_19identity_decomposerEEE10hipError_tT1_T2_T3_T4_jRjT5_jjP12ihipStream_tbEUlT_E_NS1_11comp_targetILNS1_3genE10ELNS1_11target_archE1201ELNS1_3gpuE5ELNS1_3repE0EEENS1_44radix_sort_block_sort_config_static_selectorELNS0_4arch9wavefront6targetE0EEEvSJ_: ; @_ZN7rocprim17ROCPRIM_400000_NS6detail17trampoline_kernelINS0_13kernel_configILj256ELj4ELj4294967295EEENS1_37radix_sort_block_sort_config_selectorIiNS0_10empty_typeEEEZNS1_21radix_sort_block_sortIS4_Lb1EN6thrust23THRUST_200600_302600_NS6detail15normal_iteratorINSA_10device_ptrIiEEEESF_PS6_SG_NS0_19identity_decomposerEEE10hipError_tT1_T2_T3_T4_jRjT5_jjP12ihipStream_tbEUlT_E_NS1_11comp_targetILNS1_3genE10ELNS1_11target_archE1201ELNS1_3gpuE5ELNS1_3repE0EEENS1_44radix_sort_block_sort_config_static_selectorELNS0_4arch9wavefront6targetE0EEEvSJ_
; %bb.0:
	.section	.rodata,"a",@progbits
	.p2align	6, 0x0
	.amdhsa_kernel _ZN7rocprim17ROCPRIM_400000_NS6detail17trampoline_kernelINS0_13kernel_configILj256ELj4ELj4294967295EEENS1_37radix_sort_block_sort_config_selectorIiNS0_10empty_typeEEEZNS1_21radix_sort_block_sortIS4_Lb1EN6thrust23THRUST_200600_302600_NS6detail15normal_iteratorINSA_10device_ptrIiEEEESF_PS6_SG_NS0_19identity_decomposerEEE10hipError_tT1_T2_T3_T4_jRjT5_jjP12ihipStream_tbEUlT_E_NS1_11comp_targetILNS1_3genE10ELNS1_11target_archE1201ELNS1_3gpuE5ELNS1_3repE0EEENS1_44radix_sort_block_sort_config_static_selectorELNS0_4arch9wavefront6targetE0EEEvSJ_
		.amdhsa_group_segment_fixed_size 0
		.amdhsa_private_segment_fixed_size 0
		.amdhsa_kernarg_size 48
		.amdhsa_user_sgpr_count 6
		.amdhsa_user_sgpr_private_segment_buffer 1
		.amdhsa_user_sgpr_dispatch_ptr 0
		.amdhsa_user_sgpr_queue_ptr 0
		.amdhsa_user_sgpr_kernarg_segment_ptr 1
		.amdhsa_user_sgpr_dispatch_id 0
		.amdhsa_user_sgpr_flat_scratch_init 0
		.amdhsa_user_sgpr_private_segment_size 0
		.amdhsa_wavefront_size32 1
		.amdhsa_uses_dynamic_stack 0
		.amdhsa_system_sgpr_private_segment_wavefront_offset 0
		.amdhsa_system_sgpr_workgroup_id_x 1
		.amdhsa_system_sgpr_workgroup_id_y 0
		.amdhsa_system_sgpr_workgroup_id_z 0
		.amdhsa_system_sgpr_workgroup_info 0
		.amdhsa_system_vgpr_workitem_id 0
		.amdhsa_next_free_vgpr 1
		.amdhsa_next_free_sgpr 1
		.amdhsa_reserve_vcc 0
		.amdhsa_reserve_flat_scratch 0
		.amdhsa_float_round_mode_32 0
		.amdhsa_float_round_mode_16_64 0
		.amdhsa_float_denorm_mode_32 3
		.amdhsa_float_denorm_mode_16_64 3
		.amdhsa_dx10_clamp 1
		.amdhsa_ieee_mode 1
		.amdhsa_fp16_overflow 0
		.amdhsa_workgroup_processor_mode 1
		.amdhsa_memory_ordered 1
		.amdhsa_forward_progress 1
		.amdhsa_shared_vgpr_count 0
		.amdhsa_exception_fp_ieee_invalid_op 0
		.amdhsa_exception_fp_denorm_src 0
		.amdhsa_exception_fp_ieee_div_zero 0
		.amdhsa_exception_fp_ieee_overflow 0
		.amdhsa_exception_fp_ieee_underflow 0
		.amdhsa_exception_fp_ieee_inexact 0
		.amdhsa_exception_int_div_zero 0
	.end_amdhsa_kernel
	.section	.text._ZN7rocprim17ROCPRIM_400000_NS6detail17trampoline_kernelINS0_13kernel_configILj256ELj4ELj4294967295EEENS1_37radix_sort_block_sort_config_selectorIiNS0_10empty_typeEEEZNS1_21radix_sort_block_sortIS4_Lb1EN6thrust23THRUST_200600_302600_NS6detail15normal_iteratorINSA_10device_ptrIiEEEESF_PS6_SG_NS0_19identity_decomposerEEE10hipError_tT1_T2_T3_T4_jRjT5_jjP12ihipStream_tbEUlT_E_NS1_11comp_targetILNS1_3genE10ELNS1_11target_archE1201ELNS1_3gpuE5ELNS1_3repE0EEENS1_44radix_sort_block_sort_config_static_selectorELNS0_4arch9wavefront6targetE0EEEvSJ_,"axG",@progbits,_ZN7rocprim17ROCPRIM_400000_NS6detail17trampoline_kernelINS0_13kernel_configILj256ELj4ELj4294967295EEENS1_37radix_sort_block_sort_config_selectorIiNS0_10empty_typeEEEZNS1_21radix_sort_block_sortIS4_Lb1EN6thrust23THRUST_200600_302600_NS6detail15normal_iteratorINSA_10device_ptrIiEEEESF_PS6_SG_NS0_19identity_decomposerEEE10hipError_tT1_T2_T3_T4_jRjT5_jjP12ihipStream_tbEUlT_E_NS1_11comp_targetILNS1_3genE10ELNS1_11target_archE1201ELNS1_3gpuE5ELNS1_3repE0EEENS1_44radix_sort_block_sort_config_static_selectorELNS0_4arch9wavefront6targetE0EEEvSJ_,comdat
.Lfunc_end218:
	.size	_ZN7rocprim17ROCPRIM_400000_NS6detail17trampoline_kernelINS0_13kernel_configILj256ELj4ELj4294967295EEENS1_37radix_sort_block_sort_config_selectorIiNS0_10empty_typeEEEZNS1_21radix_sort_block_sortIS4_Lb1EN6thrust23THRUST_200600_302600_NS6detail15normal_iteratorINSA_10device_ptrIiEEEESF_PS6_SG_NS0_19identity_decomposerEEE10hipError_tT1_T2_T3_T4_jRjT5_jjP12ihipStream_tbEUlT_E_NS1_11comp_targetILNS1_3genE10ELNS1_11target_archE1201ELNS1_3gpuE5ELNS1_3repE0EEENS1_44radix_sort_block_sort_config_static_selectorELNS0_4arch9wavefront6targetE0EEEvSJ_, .Lfunc_end218-_ZN7rocprim17ROCPRIM_400000_NS6detail17trampoline_kernelINS0_13kernel_configILj256ELj4ELj4294967295EEENS1_37radix_sort_block_sort_config_selectorIiNS0_10empty_typeEEEZNS1_21radix_sort_block_sortIS4_Lb1EN6thrust23THRUST_200600_302600_NS6detail15normal_iteratorINSA_10device_ptrIiEEEESF_PS6_SG_NS0_19identity_decomposerEEE10hipError_tT1_T2_T3_T4_jRjT5_jjP12ihipStream_tbEUlT_E_NS1_11comp_targetILNS1_3genE10ELNS1_11target_archE1201ELNS1_3gpuE5ELNS1_3repE0EEENS1_44radix_sort_block_sort_config_static_selectorELNS0_4arch9wavefront6targetE0EEEvSJ_
                                        ; -- End function
	.set _ZN7rocprim17ROCPRIM_400000_NS6detail17trampoline_kernelINS0_13kernel_configILj256ELj4ELj4294967295EEENS1_37radix_sort_block_sort_config_selectorIiNS0_10empty_typeEEEZNS1_21radix_sort_block_sortIS4_Lb1EN6thrust23THRUST_200600_302600_NS6detail15normal_iteratorINSA_10device_ptrIiEEEESF_PS6_SG_NS0_19identity_decomposerEEE10hipError_tT1_T2_T3_T4_jRjT5_jjP12ihipStream_tbEUlT_E_NS1_11comp_targetILNS1_3genE10ELNS1_11target_archE1201ELNS1_3gpuE5ELNS1_3repE0EEENS1_44radix_sort_block_sort_config_static_selectorELNS0_4arch9wavefront6targetE0EEEvSJ_.num_vgpr, 0
	.set _ZN7rocprim17ROCPRIM_400000_NS6detail17trampoline_kernelINS0_13kernel_configILj256ELj4ELj4294967295EEENS1_37radix_sort_block_sort_config_selectorIiNS0_10empty_typeEEEZNS1_21radix_sort_block_sortIS4_Lb1EN6thrust23THRUST_200600_302600_NS6detail15normal_iteratorINSA_10device_ptrIiEEEESF_PS6_SG_NS0_19identity_decomposerEEE10hipError_tT1_T2_T3_T4_jRjT5_jjP12ihipStream_tbEUlT_E_NS1_11comp_targetILNS1_3genE10ELNS1_11target_archE1201ELNS1_3gpuE5ELNS1_3repE0EEENS1_44radix_sort_block_sort_config_static_selectorELNS0_4arch9wavefront6targetE0EEEvSJ_.num_agpr, 0
	.set _ZN7rocprim17ROCPRIM_400000_NS6detail17trampoline_kernelINS0_13kernel_configILj256ELj4ELj4294967295EEENS1_37radix_sort_block_sort_config_selectorIiNS0_10empty_typeEEEZNS1_21radix_sort_block_sortIS4_Lb1EN6thrust23THRUST_200600_302600_NS6detail15normal_iteratorINSA_10device_ptrIiEEEESF_PS6_SG_NS0_19identity_decomposerEEE10hipError_tT1_T2_T3_T4_jRjT5_jjP12ihipStream_tbEUlT_E_NS1_11comp_targetILNS1_3genE10ELNS1_11target_archE1201ELNS1_3gpuE5ELNS1_3repE0EEENS1_44radix_sort_block_sort_config_static_selectorELNS0_4arch9wavefront6targetE0EEEvSJ_.numbered_sgpr, 0
	.set _ZN7rocprim17ROCPRIM_400000_NS6detail17trampoline_kernelINS0_13kernel_configILj256ELj4ELj4294967295EEENS1_37radix_sort_block_sort_config_selectorIiNS0_10empty_typeEEEZNS1_21radix_sort_block_sortIS4_Lb1EN6thrust23THRUST_200600_302600_NS6detail15normal_iteratorINSA_10device_ptrIiEEEESF_PS6_SG_NS0_19identity_decomposerEEE10hipError_tT1_T2_T3_T4_jRjT5_jjP12ihipStream_tbEUlT_E_NS1_11comp_targetILNS1_3genE10ELNS1_11target_archE1201ELNS1_3gpuE5ELNS1_3repE0EEENS1_44radix_sort_block_sort_config_static_selectorELNS0_4arch9wavefront6targetE0EEEvSJ_.num_named_barrier, 0
	.set _ZN7rocprim17ROCPRIM_400000_NS6detail17trampoline_kernelINS0_13kernel_configILj256ELj4ELj4294967295EEENS1_37radix_sort_block_sort_config_selectorIiNS0_10empty_typeEEEZNS1_21radix_sort_block_sortIS4_Lb1EN6thrust23THRUST_200600_302600_NS6detail15normal_iteratorINSA_10device_ptrIiEEEESF_PS6_SG_NS0_19identity_decomposerEEE10hipError_tT1_T2_T3_T4_jRjT5_jjP12ihipStream_tbEUlT_E_NS1_11comp_targetILNS1_3genE10ELNS1_11target_archE1201ELNS1_3gpuE5ELNS1_3repE0EEENS1_44radix_sort_block_sort_config_static_selectorELNS0_4arch9wavefront6targetE0EEEvSJ_.private_seg_size, 0
	.set _ZN7rocprim17ROCPRIM_400000_NS6detail17trampoline_kernelINS0_13kernel_configILj256ELj4ELj4294967295EEENS1_37radix_sort_block_sort_config_selectorIiNS0_10empty_typeEEEZNS1_21radix_sort_block_sortIS4_Lb1EN6thrust23THRUST_200600_302600_NS6detail15normal_iteratorINSA_10device_ptrIiEEEESF_PS6_SG_NS0_19identity_decomposerEEE10hipError_tT1_T2_T3_T4_jRjT5_jjP12ihipStream_tbEUlT_E_NS1_11comp_targetILNS1_3genE10ELNS1_11target_archE1201ELNS1_3gpuE5ELNS1_3repE0EEENS1_44radix_sort_block_sort_config_static_selectorELNS0_4arch9wavefront6targetE0EEEvSJ_.uses_vcc, 0
	.set _ZN7rocprim17ROCPRIM_400000_NS6detail17trampoline_kernelINS0_13kernel_configILj256ELj4ELj4294967295EEENS1_37radix_sort_block_sort_config_selectorIiNS0_10empty_typeEEEZNS1_21radix_sort_block_sortIS4_Lb1EN6thrust23THRUST_200600_302600_NS6detail15normal_iteratorINSA_10device_ptrIiEEEESF_PS6_SG_NS0_19identity_decomposerEEE10hipError_tT1_T2_T3_T4_jRjT5_jjP12ihipStream_tbEUlT_E_NS1_11comp_targetILNS1_3genE10ELNS1_11target_archE1201ELNS1_3gpuE5ELNS1_3repE0EEENS1_44radix_sort_block_sort_config_static_selectorELNS0_4arch9wavefront6targetE0EEEvSJ_.uses_flat_scratch, 0
	.set _ZN7rocprim17ROCPRIM_400000_NS6detail17trampoline_kernelINS0_13kernel_configILj256ELj4ELj4294967295EEENS1_37radix_sort_block_sort_config_selectorIiNS0_10empty_typeEEEZNS1_21radix_sort_block_sortIS4_Lb1EN6thrust23THRUST_200600_302600_NS6detail15normal_iteratorINSA_10device_ptrIiEEEESF_PS6_SG_NS0_19identity_decomposerEEE10hipError_tT1_T2_T3_T4_jRjT5_jjP12ihipStream_tbEUlT_E_NS1_11comp_targetILNS1_3genE10ELNS1_11target_archE1201ELNS1_3gpuE5ELNS1_3repE0EEENS1_44radix_sort_block_sort_config_static_selectorELNS0_4arch9wavefront6targetE0EEEvSJ_.has_dyn_sized_stack, 0
	.set _ZN7rocprim17ROCPRIM_400000_NS6detail17trampoline_kernelINS0_13kernel_configILj256ELj4ELj4294967295EEENS1_37radix_sort_block_sort_config_selectorIiNS0_10empty_typeEEEZNS1_21radix_sort_block_sortIS4_Lb1EN6thrust23THRUST_200600_302600_NS6detail15normal_iteratorINSA_10device_ptrIiEEEESF_PS6_SG_NS0_19identity_decomposerEEE10hipError_tT1_T2_T3_T4_jRjT5_jjP12ihipStream_tbEUlT_E_NS1_11comp_targetILNS1_3genE10ELNS1_11target_archE1201ELNS1_3gpuE5ELNS1_3repE0EEENS1_44radix_sort_block_sort_config_static_selectorELNS0_4arch9wavefront6targetE0EEEvSJ_.has_recursion, 0
	.set _ZN7rocprim17ROCPRIM_400000_NS6detail17trampoline_kernelINS0_13kernel_configILj256ELj4ELj4294967295EEENS1_37radix_sort_block_sort_config_selectorIiNS0_10empty_typeEEEZNS1_21radix_sort_block_sortIS4_Lb1EN6thrust23THRUST_200600_302600_NS6detail15normal_iteratorINSA_10device_ptrIiEEEESF_PS6_SG_NS0_19identity_decomposerEEE10hipError_tT1_T2_T3_T4_jRjT5_jjP12ihipStream_tbEUlT_E_NS1_11comp_targetILNS1_3genE10ELNS1_11target_archE1201ELNS1_3gpuE5ELNS1_3repE0EEENS1_44radix_sort_block_sort_config_static_selectorELNS0_4arch9wavefront6targetE0EEEvSJ_.has_indirect_call, 0
	.section	.AMDGPU.csdata,"",@progbits
; Kernel info:
; codeLenInByte = 0
; TotalNumSgprs: 0
; NumVgprs: 0
; ScratchSize: 0
; MemoryBound: 0
; FloatMode: 240
; IeeeMode: 1
; LDSByteSize: 0 bytes/workgroup (compile time only)
; SGPRBlocks: 0
; VGPRBlocks: 0
; NumSGPRsForWavesPerEU: 1
; NumVGPRsForWavesPerEU: 1
; Occupancy: 16
; WaveLimiterHint : 0
; COMPUTE_PGM_RSRC2:SCRATCH_EN: 0
; COMPUTE_PGM_RSRC2:USER_SGPR: 6
; COMPUTE_PGM_RSRC2:TRAP_HANDLER: 0
; COMPUTE_PGM_RSRC2:TGID_X_EN: 1
; COMPUTE_PGM_RSRC2:TGID_Y_EN: 0
; COMPUTE_PGM_RSRC2:TGID_Z_EN: 0
; COMPUTE_PGM_RSRC2:TIDIG_COMP_CNT: 0
	.section	.text._ZN7rocprim17ROCPRIM_400000_NS6detail17trampoline_kernelINS0_13kernel_configILj256ELj4ELj4294967295EEENS1_37radix_sort_block_sort_config_selectorIiNS0_10empty_typeEEEZNS1_21radix_sort_block_sortIS4_Lb1EN6thrust23THRUST_200600_302600_NS6detail15normal_iteratorINSA_10device_ptrIiEEEESF_PS6_SG_NS0_19identity_decomposerEEE10hipError_tT1_T2_T3_T4_jRjT5_jjP12ihipStream_tbEUlT_E_NS1_11comp_targetILNS1_3genE10ELNS1_11target_archE1200ELNS1_3gpuE4ELNS1_3repE0EEENS1_44radix_sort_block_sort_config_static_selectorELNS0_4arch9wavefront6targetE0EEEvSJ_,"axG",@progbits,_ZN7rocprim17ROCPRIM_400000_NS6detail17trampoline_kernelINS0_13kernel_configILj256ELj4ELj4294967295EEENS1_37radix_sort_block_sort_config_selectorIiNS0_10empty_typeEEEZNS1_21radix_sort_block_sortIS4_Lb1EN6thrust23THRUST_200600_302600_NS6detail15normal_iteratorINSA_10device_ptrIiEEEESF_PS6_SG_NS0_19identity_decomposerEEE10hipError_tT1_T2_T3_T4_jRjT5_jjP12ihipStream_tbEUlT_E_NS1_11comp_targetILNS1_3genE10ELNS1_11target_archE1200ELNS1_3gpuE4ELNS1_3repE0EEENS1_44radix_sort_block_sort_config_static_selectorELNS0_4arch9wavefront6targetE0EEEvSJ_,comdat
	.protected	_ZN7rocprim17ROCPRIM_400000_NS6detail17trampoline_kernelINS0_13kernel_configILj256ELj4ELj4294967295EEENS1_37radix_sort_block_sort_config_selectorIiNS0_10empty_typeEEEZNS1_21radix_sort_block_sortIS4_Lb1EN6thrust23THRUST_200600_302600_NS6detail15normal_iteratorINSA_10device_ptrIiEEEESF_PS6_SG_NS0_19identity_decomposerEEE10hipError_tT1_T2_T3_T4_jRjT5_jjP12ihipStream_tbEUlT_E_NS1_11comp_targetILNS1_3genE10ELNS1_11target_archE1200ELNS1_3gpuE4ELNS1_3repE0EEENS1_44radix_sort_block_sort_config_static_selectorELNS0_4arch9wavefront6targetE0EEEvSJ_ ; -- Begin function _ZN7rocprim17ROCPRIM_400000_NS6detail17trampoline_kernelINS0_13kernel_configILj256ELj4ELj4294967295EEENS1_37radix_sort_block_sort_config_selectorIiNS0_10empty_typeEEEZNS1_21radix_sort_block_sortIS4_Lb1EN6thrust23THRUST_200600_302600_NS6detail15normal_iteratorINSA_10device_ptrIiEEEESF_PS6_SG_NS0_19identity_decomposerEEE10hipError_tT1_T2_T3_T4_jRjT5_jjP12ihipStream_tbEUlT_E_NS1_11comp_targetILNS1_3genE10ELNS1_11target_archE1200ELNS1_3gpuE4ELNS1_3repE0EEENS1_44radix_sort_block_sort_config_static_selectorELNS0_4arch9wavefront6targetE0EEEvSJ_
	.globl	_ZN7rocprim17ROCPRIM_400000_NS6detail17trampoline_kernelINS0_13kernel_configILj256ELj4ELj4294967295EEENS1_37radix_sort_block_sort_config_selectorIiNS0_10empty_typeEEEZNS1_21radix_sort_block_sortIS4_Lb1EN6thrust23THRUST_200600_302600_NS6detail15normal_iteratorINSA_10device_ptrIiEEEESF_PS6_SG_NS0_19identity_decomposerEEE10hipError_tT1_T2_T3_T4_jRjT5_jjP12ihipStream_tbEUlT_E_NS1_11comp_targetILNS1_3genE10ELNS1_11target_archE1200ELNS1_3gpuE4ELNS1_3repE0EEENS1_44radix_sort_block_sort_config_static_selectorELNS0_4arch9wavefront6targetE0EEEvSJ_
	.p2align	8
	.type	_ZN7rocprim17ROCPRIM_400000_NS6detail17trampoline_kernelINS0_13kernel_configILj256ELj4ELj4294967295EEENS1_37radix_sort_block_sort_config_selectorIiNS0_10empty_typeEEEZNS1_21radix_sort_block_sortIS4_Lb1EN6thrust23THRUST_200600_302600_NS6detail15normal_iteratorINSA_10device_ptrIiEEEESF_PS6_SG_NS0_19identity_decomposerEEE10hipError_tT1_T2_T3_T4_jRjT5_jjP12ihipStream_tbEUlT_E_NS1_11comp_targetILNS1_3genE10ELNS1_11target_archE1200ELNS1_3gpuE4ELNS1_3repE0EEENS1_44radix_sort_block_sort_config_static_selectorELNS0_4arch9wavefront6targetE0EEEvSJ_,@function
_ZN7rocprim17ROCPRIM_400000_NS6detail17trampoline_kernelINS0_13kernel_configILj256ELj4ELj4294967295EEENS1_37radix_sort_block_sort_config_selectorIiNS0_10empty_typeEEEZNS1_21radix_sort_block_sortIS4_Lb1EN6thrust23THRUST_200600_302600_NS6detail15normal_iteratorINSA_10device_ptrIiEEEESF_PS6_SG_NS0_19identity_decomposerEEE10hipError_tT1_T2_T3_T4_jRjT5_jjP12ihipStream_tbEUlT_E_NS1_11comp_targetILNS1_3genE10ELNS1_11target_archE1200ELNS1_3gpuE4ELNS1_3repE0EEENS1_44radix_sort_block_sort_config_static_selectorELNS0_4arch9wavefront6targetE0EEEvSJ_: ; @_ZN7rocprim17ROCPRIM_400000_NS6detail17trampoline_kernelINS0_13kernel_configILj256ELj4ELj4294967295EEENS1_37radix_sort_block_sort_config_selectorIiNS0_10empty_typeEEEZNS1_21radix_sort_block_sortIS4_Lb1EN6thrust23THRUST_200600_302600_NS6detail15normal_iteratorINSA_10device_ptrIiEEEESF_PS6_SG_NS0_19identity_decomposerEEE10hipError_tT1_T2_T3_T4_jRjT5_jjP12ihipStream_tbEUlT_E_NS1_11comp_targetILNS1_3genE10ELNS1_11target_archE1200ELNS1_3gpuE4ELNS1_3repE0EEENS1_44radix_sort_block_sort_config_static_selectorELNS0_4arch9wavefront6targetE0EEEvSJ_
; %bb.0:
	.section	.rodata,"a",@progbits
	.p2align	6, 0x0
	.amdhsa_kernel _ZN7rocprim17ROCPRIM_400000_NS6detail17trampoline_kernelINS0_13kernel_configILj256ELj4ELj4294967295EEENS1_37radix_sort_block_sort_config_selectorIiNS0_10empty_typeEEEZNS1_21radix_sort_block_sortIS4_Lb1EN6thrust23THRUST_200600_302600_NS6detail15normal_iteratorINSA_10device_ptrIiEEEESF_PS6_SG_NS0_19identity_decomposerEEE10hipError_tT1_T2_T3_T4_jRjT5_jjP12ihipStream_tbEUlT_E_NS1_11comp_targetILNS1_3genE10ELNS1_11target_archE1200ELNS1_3gpuE4ELNS1_3repE0EEENS1_44radix_sort_block_sort_config_static_selectorELNS0_4arch9wavefront6targetE0EEEvSJ_
		.amdhsa_group_segment_fixed_size 0
		.amdhsa_private_segment_fixed_size 0
		.amdhsa_kernarg_size 48
		.amdhsa_user_sgpr_count 6
		.amdhsa_user_sgpr_private_segment_buffer 1
		.amdhsa_user_sgpr_dispatch_ptr 0
		.amdhsa_user_sgpr_queue_ptr 0
		.amdhsa_user_sgpr_kernarg_segment_ptr 1
		.amdhsa_user_sgpr_dispatch_id 0
		.amdhsa_user_sgpr_flat_scratch_init 0
		.amdhsa_user_sgpr_private_segment_size 0
		.amdhsa_wavefront_size32 1
		.amdhsa_uses_dynamic_stack 0
		.amdhsa_system_sgpr_private_segment_wavefront_offset 0
		.amdhsa_system_sgpr_workgroup_id_x 1
		.amdhsa_system_sgpr_workgroup_id_y 0
		.amdhsa_system_sgpr_workgroup_id_z 0
		.amdhsa_system_sgpr_workgroup_info 0
		.amdhsa_system_vgpr_workitem_id 0
		.amdhsa_next_free_vgpr 1
		.amdhsa_next_free_sgpr 1
		.amdhsa_reserve_vcc 0
		.amdhsa_reserve_flat_scratch 0
		.amdhsa_float_round_mode_32 0
		.amdhsa_float_round_mode_16_64 0
		.amdhsa_float_denorm_mode_32 3
		.amdhsa_float_denorm_mode_16_64 3
		.amdhsa_dx10_clamp 1
		.amdhsa_ieee_mode 1
		.amdhsa_fp16_overflow 0
		.amdhsa_workgroup_processor_mode 1
		.amdhsa_memory_ordered 1
		.amdhsa_forward_progress 1
		.amdhsa_shared_vgpr_count 0
		.amdhsa_exception_fp_ieee_invalid_op 0
		.amdhsa_exception_fp_denorm_src 0
		.amdhsa_exception_fp_ieee_div_zero 0
		.amdhsa_exception_fp_ieee_overflow 0
		.amdhsa_exception_fp_ieee_underflow 0
		.amdhsa_exception_fp_ieee_inexact 0
		.amdhsa_exception_int_div_zero 0
	.end_amdhsa_kernel
	.section	.text._ZN7rocprim17ROCPRIM_400000_NS6detail17trampoline_kernelINS0_13kernel_configILj256ELj4ELj4294967295EEENS1_37radix_sort_block_sort_config_selectorIiNS0_10empty_typeEEEZNS1_21radix_sort_block_sortIS4_Lb1EN6thrust23THRUST_200600_302600_NS6detail15normal_iteratorINSA_10device_ptrIiEEEESF_PS6_SG_NS0_19identity_decomposerEEE10hipError_tT1_T2_T3_T4_jRjT5_jjP12ihipStream_tbEUlT_E_NS1_11comp_targetILNS1_3genE10ELNS1_11target_archE1200ELNS1_3gpuE4ELNS1_3repE0EEENS1_44radix_sort_block_sort_config_static_selectorELNS0_4arch9wavefront6targetE0EEEvSJ_,"axG",@progbits,_ZN7rocprim17ROCPRIM_400000_NS6detail17trampoline_kernelINS0_13kernel_configILj256ELj4ELj4294967295EEENS1_37radix_sort_block_sort_config_selectorIiNS0_10empty_typeEEEZNS1_21radix_sort_block_sortIS4_Lb1EN6thrust23THRUST_200600_302600_NS6detail15normal_iteratorINSA_10device_ptrIiEEEESF_PS6_SG_NS0_19identity_decomposerEEE10hipError_tT1_T2_T3_T4_jRjT5_jjP12ihipStream_tbEUlT_E_NS1_11comp_targetILNS1_3genE10ELNS1_11target_archE1200ELNS1_3gpuE4ELNS1_3repE0EEENS1_44radix_sort_block_sort_config_static_selectorELNS0_4arch9wavefront6targetE0EEEvSJ_,comdat
.Lfunc_end219:
	.size	_ZN7rocprim17ROCPRIM_400000_NS6detail17trampoline_kernelINS0_13kernel_configILj256ELj4ELj4294967295EEENS1_37radix_sort_block_sort_config_selectorIiNS0_10empty_typeEEEZNS1_21radix_sort_block_sortIS4_Lb1EN6thrust23THRUST_200600_302600_NS6detail15normal_iteratorINSA_10device_ptrIiEEEESF_PS6_SG_NS0_19identity_decomposerEEE10hipError_tT1_T2_T3_T4_jRjT5_jjP12ihipStream_tbEUlT_E_NS1_11comp_targetILNS1_3genE10ELNS1_11target_archE1200ELNS1_3gpuE4ELNS1_3repE0EEENS1_44radix_sort_block_sort_config_static_selectorELNS0_4arch9wavefront6targetE0EEEvSJ_, .Lfunc_end219-_ZN7rocprim17ROCPRIM_400000_NS6detail17trampoline_kernelINS0_13kernel_configILj256ELj4ELj4294967295EEENS1_37radix_sort_block_sort_config_selectorIiNS0_10empty_typeEEEZNS1_21radix_sort_block_sortIS4_Lb1EN6thrust23THRUST_200600_302600_NS6detail15normal_iteratorINSA_10device_ptrIiEEEESF_PS6_SG_NS0_19identity_decomposerEEE10hipError_tT1_T2_T3_T4_jRjT5_jjP12ihipStream_tbEUlT_E_NS1_11comp_targetILNS1_3genE10ELNS1_11target_archE1200ELNS1_3gpuE4ELNS1_3repE0EEENS1_44radix_sort_block_sort_config_static_selectorELNS0_4arch9wavefront6targetE0EEEvSJ_
                                        ; -- End function
	.set _ZN7rocprim17ROCPRIM_400000_NS6detail17trampoline_kernelINS0_13kernel_configILj256ELj4ELj4294967295EEENS1_37radix_sort_block_sort_config_selectorIiNS0_10empty_typeEEEZNS1_21radix_sort_block_sortIS4_Lb1EN6thrust23THRUST_200600_302600_NS6detail15normal_iteratorINSA_10device_ptrIiEEEESF_PS6_SG_NS0_19identity_decomposerEEE10hipError_tT1_T2_T3_T4_jRjT5_jjP12ihipStream_tbEUlT_E_NS1_11comp_targetILNS1_3genE10ELNS1_11target_archE1200ELNS1_3gpuE4ELNS1_3repE0EEENS1_44radix_sort_block_sort_config_static_selectorELNS0_4arch9wavefront6targetE0EEEvSJ_.num_vgpr, 0
	.set _ZN7rocprim17ROCPRIM_400000_NS6detail17trampoline_kernelINS0_13kernel_configILj256ELj4ELj4294967295EEENS1_37radix_sort_block_sort_config_selectorIiNS0_10empty_typeEEEZNS1_21radix_sort_block_sortIS4_Lb1EN6thrust23THRUST_200600_302600_NS6detail15normal_iteratorINSA_10device_ptrIiEEEESF_PS6_SG_NS0_19identity_decomposerEEE10hipError_tT1_T2_T3_T4_jRjT5_jjP12ihipStream_tbEUlT_E_NS1_11comp_targetILNS1_3genE10ELNS1_11target_archE1200ELNS1_3gpuE4ELNS1_3repE0EEENS1_44radix_sort_block_sort_config_static_selectorELNS0_4arch9wavefront6targetE0EEEvSJ_.num_agpr, 0
	.set _ZN7rocprim17ROCPRIM_400000_NS6detail17trampoline_kernelINS0_13kernel_configILj256ELj4ELj4294967295EEENS1_37radix_sort_block_sort_config_selectorIiNS0_10empty_typeEEEZNS1_21radix_sort_block_sortIS4_Lb1EN6thrust23THRUST_200600_302600_NS6detail15normal_iteratorINSA_10device_ptrIiEEEESF_PS6_SG_NS0_19identity_decomposerEEE10hipError_tT1_T2_T3_T4_jRjT5_jjP12ihipStream_tbEUlT_E_NS1_11comp_targetILNS1_3genE10ELNS1_11target_archE1200ELNS1_3gpuE4ELNS1_3repE0EEENS1_44radix_sort_block_sort_config_static_selectorELNS0_4arch9wavefront6targetE0EEEvSJ_.numbered_sgpr, 0
	.set _ZN7rocprim17ROCPRIM_400000_NS6detail17trampoline_kernelINS0_13kernel_configILj256ELj4ELj4294967295EEENS1_37radix_sort_block_sort_config_selectorIiNS0_10empty_typeEEEZNS1_21radix_sort_block_sortIS4_Lb1EN6thrust23THRUST_200600_302600_NS6detail15normal_iteratorINSA_10device_ptrIiEEEESF_PS6_SG_NS0_19identity_decomposerEEE10hipError_tT1_T2_T3_T4_jRjT5_jjP12ihipStream_tbEUlT_E_NS1_11comp_targetILNS1_3genE10ELNS1_11target_archE1200ELNS1_3gpuE4ELNS1_3repE0EEENS1_44radix_sort_block_sort_config_static_selectorELNS0_4arch9wavefront6targetE0EEEvSJ_.num_named_barrier, 0
	.set _ZN7rocprim17ROCPRIM_400000_NS6detail17trampoline_kernelINS0_13kernel_configILj256ELj4ELj4294967295EEENS1_37radix_sort_block_sort_config_selectorIiNS0_10empty_typeEEEZNS1_21radix_sort_block_sortIS4_Lb1EN6thrust23THRUST_200600_302600_NS6detail15normal_iteratorINSA_10device_ptrIiEEEESF_PS6_SG_NS0_19identity_decomposerEEE10hipError_tT1_T2_T3_T4_jRjT5_jjP12ihipStream_tbEUlT_E_NS1_11comp_targetILNS1_3genE10ELNS1_11target_archE1200ELNS1_3gpuE4ELNS1_3repE0EEENS1_44radix_sort_block_sort_config_static_selectorELNS0_4arch9wavefront6targetE0EEEvSJ_.private_seg_size, 0
	.set _ZN7rocprim17ROCPRIM_400000_NS6detail17trampoline_kernelINS0_13kernel_configILj256ELj4ELj4294967295EEENS1_37radix_sort_block_sort_config_selectorIiNS0_10empty_typeEEEZNS1_21radix_sort_block_sortIS4_Lb1EN6thrust23THRUST_200600_302600_NS6detail15normal_iteratorINSA_10device_ptrIiEEEESF_PS6_SG_NS0_19identity_decomposerEEE10hipError_tT1_T2_T3_T4_jRjT5_jjP12ihipStream_tbEUlT_E_NS1_11comp_targetILNS1_3genE10ELNS1_11target_archE1200ELNS1_3gpuE4ELNS1_3repE0EEENS1_44radix_sort_block_sort_config_static_selectorELNS0_4arch9wavefront6targetE0EEEvSJ_.uses_vcc, 0
	.set _ZN7rocprim17ROCPRIM_400000_NS6detail17trampoline_kernelINS0_13kernel_configILj256ELj4ELj4294967295EEENS1_37radix_sort_block_sort_config_selectorIiNS0_10empty_typeEEEZNS1_21radix_sort_block_sortIS4_Lb1EN6thrust23THRUST_200600_302600_NS6detail15normal_iteratorINSA_10device_ptrIiEEEESF_PS6_SG_NS0_19identity_decomposerEEE10hipError_tT1_T2_T3_T4_jRjT5_jjP12ihipStream_tbEUlT_E_NS1_11comp_targetILNS1_3genE10ELNS1_11target_archE1200ELNS1_3gpuE4ELNS1_3repE0EEENS1_44radix_sort_block_sort_config_static_selectorELNS0_4arch9wavefront6targetE0EEEvSJ_.uses_flat_scratch, 0
	.set _ZN7rocprim17ROCPRIM_400000_NS6detail17trampoline_kernelINS0_13kernel_configILj256ELj4ELj4294967295EEENS1_37radix_sort_block_sort_config_selectorIiNS0_10empty_typeEEEZNS1_21radix_sort_block_sortIS4_Lb1EN6thrust23THRUST_200600_302600_NS6detail15normal_iteratorINSA_10device_ptrIiEEEESF_PS6_SG_NS0_19identity_decomposerEEE10hipError_tT1_T2_T3_T4_jRjT5_jjP12ihipStream_tbEUlT_E_NS1_11comp_targetILNS1_3genE10ELNS1_11target_archE1200ELNS1_3gpuE4ELNS1_3repE0EEENS1_44radix_sort_block_sort_config_static_selectorELNS0_4arch9wavefront6targetE0EEEvSJ_.has_dyn_sized_stack, 0
	.set _ZN7rocprim17ROCPRIM_400000_NS6detail17trampoline_kernelINS0_13kernel_configILj256ELj4ELj4294967295EEENS1_37radix_sort_block_sort_config_selectorIiNS0_10empty_typeEEEZNS1_21radix_sort_block_sortIS4_Lb1EN6thrust23THRUST_200600_302600_NS6detail15normal_iteratorINSA_10device_ptrIiEEEESF_PS6_SG_NS0_19identity_decomposerEEE10hipError_tT1_T2_T3_T4_jRjT5_jjP12ihipStream_tbEUlT_E_NS1_11comp_targetILNS1_3genE10ELNS1_11target_archE1200ELNS1_3gpuE4ELNS1_3repE0EEENS1_44radix_sort_block_sort_config_static_selectorELNS0_4arch9wavefront6targetE0EEEvSJ_.has_recursion, 0
	.set _ZN7rocprim17ROCPRIM_400000_NS6detail17trampoline_kernelINS0_13kernel_configILj256ELj4ELj4294967295EEENS1_37radix_sort_block_sort_config_selectorIiNS0_10empty_typeEEEZNS1_21radix_sort_block_sortIS4_Lb1EN6thrust23THRUST_200600_302600_NS6detail15normal_iteratorINSA_10device_ptrIiEEEESF_PS6_SG_NS0_19identity_decomposerEEE10hipError_tT1_T2_T3_T4_jRjT5_jjP12ihipStream_tbEUlT_E_NS1_11comp_targetILNS1_3genE10ELNS1_11target_archE1200ELNS1_3gpuE4ELNS1_3repE0EEENS1_44radix_sort_block_sort_config_static_selectorELNS0_4arch9wavefront6targetE0EEEvSJ_.has_indirect_call, 0
	.section	.AMDGPU.csdata,"",@progbits
; Kernel info:
; codeLenInByte = 0
; TotalNumSgprs: 0
; NumVgprs: 0
; ScratchSize: 0
; MemoryBound: 0
; FloatMode: 240
; IeeeMode: 1
; LDSByteSize: 0 bytes/workgroup (compile time only)
; SGPRBlocks: 0
; VGPRBlocks: 0
; NumSGPRsForWavesPerEU: 1
; NumVGPRsForWavesPerEU: 1
; Occupancy: 16
; WaveLimiterHint : 0
; COMPUTE_PGM_RSRC2:SCRATCH_EN: 0
; COMPUTE_PGM_RSRC2:USER_SGPR: 6
; COMPUTE_PGM_RSRC2:TRAP_HANDLER: 0
; COMPUTE_PGM_RSRC2:TGID_X_EN: 1
; COMPUTE_PGM_RSRC2:TGID_Y_EN: 0
; COMPUTE_PGM_RSRC2:TGID_Z_EN: 0
; COMPUTE_PGM_RSRC2:TIDIG_COMP_CNT: 0
	.section	.text._ZN7rocprim17ROCPRIM_400000_NS6detail17trampoline_kernelINS0_13kernel_configILj256ELj4ELj4294967295EEENS1_37radix_sort_block_sort_config_selectorIiNS0_10empty_typeEEEZNS1_21radix_sort_block_sortIS4_Lb1EN6thrust23THRUST_200600_302600_NS6detail15normal_iteratorINSA_10device_ptrIiEEEESF_PS6_SG_NS0_19identity_decomposerEEE10hipError_tT1_T2_T3_T4_jRjT5_jjP12ihipStream_tbEUlT_E_NS1_11comp_targetILNS1_3genE9ELNS1_11target_archE1100ELNS1_3gpuE3ELNS1_3repE0EEENS1_44radix_sort_block_sort_config_static_selectorELNS0_4arch9wavefront6targetE0EEEvSJ_,"axG",@progbits,_ZN7rocprim17ROCPRIM_400000_NS6detail17trampoline_kernelINS0_13kernel_configILj256ELj4ELj4294967295EEENS1_37radix_sort_block_sort_config_selectorIiNS0_10empty_typeEEEZNS1_21radix_sort_block_sortIS4_Lb1EN6thrust23THRUST_200600_302600_NS6detail15normal_iteratorINSA_10device_ptrIiEEEESF_PS6_SG_NS0_19identity_decomposerEEE10hipError_tT1_T2_T3_T4_jRjT5_jjP12ihipStream_tbEUlT_E_NS1_11comp_targetILNS1_3genE9ELNS1_11target_archE1100ELNS1_3gpuE3ELNS1_3repE0EEENS1_44radix_sort_block_sort_config_static_selectorELNS0_4arch9wavefront6targetE0EEEvSJ_,comdat
	.protected	_ZN7rocprim17ROCPRIM_400000_NS6detail17trampoline_kernelINS0_13kernel_configILj256ELj4ELj4294967295EEENS1_37radix_sort_block_sort_config_selectorIiNS0_10empty_typeEEEZNS1_21radix_sort_block_sortIS4_Lb1EN6thrust23THRUST_200600_302600_NS6detail15normal_iteratorINSA_10device_ptrIiEEEESF_PS6_SG_NS0_19identity_decomposerEEE10hipError_tT1_T2_T3_T4_jRjT5_jjP12ihipStream_tbEUlT_E_NS1_11comp_targetILNS1_3genE9ELNS1_11target_archE1100ELNS1_3gpuE3ELNS1_3repE0EEENS1_44radix_sort_block_sort_config_static_selectorELNS0_4arch9wavefront6targetE0EEEvSJ_ ; -- Begin function _ZN7rocprim17ROCPRIM_400000_NS6detail17trampoline_kernelINS0_13kernel_configILj256ELj4ELj4294967295EEENS1_37radix_sort_block_sort_config_selectorIiNS0_10empty_typeEEEZNS1_21radix_sort_block_sortIS4_Lb1EN6thrust23THRUST_200600_302600_NS6detail15normal_iteratorINSA_10device_ptrIiEEEESF_PS6_SG_NS0_19identity_decomposerEEE10hipError_tT1_T2_T3_T4_jRjT5_jjP12ihipStream_tbEUlT_E_NS1_11comp_targetILNS1_3genE9ELNS1_11target_archE1100ELNS1_3gpuE3ELNS1_3repE0EEENS1_44radix_sort_block_sort_config_static_selectorELNS0_4arch9wavefront6targetE0EEEvSJ_
	.globl	_ZN7rocprim17ROCPRIM_400000_NS6detail17trampoline_kernelINS0_13kernel_configILj256ELj4ELj4294967295EEENS1_37radix_sort_block_sort_config_selectorIiNS0_10empty_typeEEEZNS1_21radix_sort_block_sortIS4_Lb1EN6thrust23THRUST_200600_302600_NS6detail15normal_iteratorINSA_10device_ptrIiEEEESF_PS6_SG_NS0_19identity_decomposerEEE10hipError_tT1_T2_T3_T4_jRjT5_jjP12ihipStream_tbEUlT_E_NS1_11comp_targetILNS1_3genE9ELNS1_11target_archE1100ELNS1_3gpuE3ELNS1_3repE0EEENS1_44radix_sort_block_sort_config_static_selectorELNS0_4arch9wavefront6targetE0EEEvSJ_
	.p2align	8
	.type	_ZN7rocprim17ROCPRIM_400000_NS6detail17trampoline_kernelINS0_13kernel_configILj256ELj4ELj4294967295EEENS1_37radix_sort_block_sort_config_selectorIiNS0_10empty_typeEEEZNS1_21radix_sort_block_sortIS4_Lb1EN6thrust23THRUST_200600_302600_NS6detail15normal_iteratorINSA_10device_ptrIiEEEESF_PS6_SG_NS0_19identity_decomposerEEE10hipError_tT1_T2_T3_T4_jRjT5_jjP12ihipStream_tbEUlT_E_NS1_11comp_targetILNS1_3genE9ELNS1_11target_archE1100ELNS1_3gpuE3ELNS1_3repE0EEENS1_44radix_sort_block_sort_config_static_selectorELNS0_4arch9wavefront6targetE0EEEvSJ_,@function
_ZN7rocprim17ROCPRIM_400000_NS6detail17trampoline_kernelINS0_13kernel_configILj256ELj4ELj4294967295EEENS1_37radix_sort_block_sort_config_selectorIiNS0_10empty_typeEEEZNS1_21radix_sort_block_sortIS4_Lb1EN6thrust23THRUST_200600_302600_NS6detail15normal_iteratorINSA_10device_ptrIiEEEESF_PS6_SG_NS0_19identity_decomposerEEE10hipError_tT1_T2_T3_T4_jRjT5_jjP12ihipStream_tbEUlT_E_NS1_11comp_targetILNS1_3genE9ELNS1_11target_archE1100ELNS1_3gpuE3ELNS1_3repE0EEENS1_44radix_sort_block_sort_config_static_selectorELNS0_4arch9wavefront6targetE0EEEvSJ_: ; @_ZN7rocprim17ROCPRIM_400000_NS6detail17trampoline_kernelINS0_13kernel_configILj256ELj4ELj4294967295EEENS1_37radix_sort_block_sort_config_selectorIiNS0_10empty_typeEEEZNS1_21radix_sort_block_sortIS4_Lb1EN6thrust23THRUST_200600_302600_NS6detail15normal_iteratorINSA_10device_ptrIiEEEESF_PS6_SG_NS0_19identity_decomposerEEE10hipError_tT1_T2_T3_T4_jRjT5_jjP12ihipStream_tbEUlT_E_NS1_11comp_targetILNS1_3genE9ELNS1_11target_archE1100ELNS1_3gpuE3ELNS1_3repE0EEENS1_44radix_sort_block_sort_config_static_selectorELNS0_4arch9wavefront6targetE0EEEvSJ_
; %bb.0:
	.section	.rodata,"a",@progbits
	.p2align	6, 0x0
	.amdhsa_kernel _ZN7rocprim17ROCPRIM_400000_NS6detail17trampoline_kernelINS0_13kernel_configILj256ELj4ELj4294967295EEENS1_37radix_sort_block_sort_config_selectorIiNS0_10empty_typeEEEZNS1_21radix_sort_block_sortIS4_Lb1EN6thrust23THRUST_200600_302600_NS6detail15normal_iteratorINSA_10device_ptrIiEEEESF_PS6_SG_NS0_19identity_decomposerEEE10hipError_tT1_T2_T3_T4_jRjT5_jjP12ihipStream_tbEUlT_E_NS1_11comp_targetILNS1_3genE9ELNS1_11target_archE1100ELNS1_3gpuE3ELNS1_3repE0EEENS1_44radix_sort_block_sort_config_static_selectorELNS0_4arch9wavefront6targetE0EEEvSJ_
		.amdhsa_group_segment_fixed_size 0
		.amdhsa_private_segment_fixed_size 0
		.amdhsa_kernarg_size 48
		.amdhsa_user_sgpr_count 6
		.amdhsa_user_sgpr_private_segment_buffer 1
		.amdhsa_user_sgpr_dispatch_ptr 0
		.amdhsa_user_sgpr_queue_ptr 0
		.amdhsa_user_sgpr_kernarg_segment_ptr 1
		.amdhsa_user_sgpr_dispatch_id 0
		.amdhsa_user_sgpr_flat_scratch_init 0
		.amdhsa_user_sgpr_private_segment_size 0
		.amdhsa_wavefront_size32 1
		.amdhsa_uses_dynamic_stack 0
		.amdhsa_system_sgpr_private_segment_wavefront_offset 0
		.amdhsa_system_sgpr_workgroup_id_x 1
		.amdhsa_system_sgpr_workgroup_id_y 0
		.amdhsa_system_sgpr_workgroup_id_z 0
		.amdhsa_system_sgpr_workgroup_info 0
		.amdhsa_system_vgpr_workitem_id 0
		.amdhsa_next_free_vgpr 1
		.amdhsa_next_free_sgpr 1
		.amdhsa_reserve_vcc 0
		.amdhsa_reserve_flat_scratch 0
		.amdhsa_float_round_mode_32 0
		.amdhsa_float_round_mode_16_64 0
		.amdhsa_float_denorm_mode_32 3
		.amdhsa_float_denorm_mode_16_64 3
		.amdhsa_dx10_clamp 1
		.amdhsa_ieee_mode 1
		.amdhsa_fp16_overflow 0
		.amdhsa_workgroup_processor_mode 1
		.amdhsa_memory_ordered 1
		.amdhsa_forward_progress 1
		.amdhsa_shared_vgpr_count 0
		.amdhsa_exception_fp_ieee_invalid_op 0
		.amdhsa_exception_fp_denorm_src 0
		.amdhsa_exception_fp_ieee_div_zero 0
		.amdhsa_exception_fp_ieee_overflow 0
		.amdhsa_exception_fp_ieee_underflow 0
		.amdhsa_exception_fp_ieee_inexact 0
		.amdhsa_exception_int_div_zero 0
	.end_amdhsa_kernel
	.section	.text._ZN7rocprim17ROCPRIM_400000_NS6detail17trampoline_kernelINS0_13kernel_configILj256ELj4ELj4294967295EEENS1_37radix_sort_block_sort_config_selectorIiNS0_10empty_typeEEEZNS1_21radix_sort_block_sortIS4_Lb1EN6thrust23THRUST_200600_302600_NS6detail15normal_iteratorINSA_10device_ptrIiEEEESF_PS6_SG_NS0_19identity_decomposerEEE10hipError_tT1_T2_T3_T4_jRjT5_jjP12ihipStream_tbEUlT_E_NS1_11comp_targetILNS1_3genE9ELNS1_11target_archE1100ELNS1_3gpuE3ELNS1_3repE0EEENS1_44radix_sort_block_sort_config_static_selectorELNS0_4arch9wavefront6targetE0EEEvSJ_,"axG",@progbits,_ZN7rocprim17ROCPRIM_400000_NS6detail17trampoline_kernelINS0_13kernel_configILj256ELj4ELj4294967295EEENS1_37radix_sort_block_sort_config_selectorIiNS0_10empty_typeEEEZNS1_21radix_sort_block_sortIS4_Lb1EN6thrust23THRUST_200600_302600_NS6detail15normal_iteratorINSA_10device_ptrIiEEEESF_PS6_SG_NS0_19identity_decomposerEEE10hipError_tT1_T2_T3_T4_jRjT5_jjP12ihipStream_tbEUlT_E_NS1_11comp_targetILNS1_3genE9ELNS1_11target_archE1100ELNS1_3gpuE3ELNS1_3repE0EEENS1_44radix_sort_block_sort_config_static_selectorELNS0_4arch9wavefront6targetE0EEEvSJ_,comdat
.Lfunc_end220:
	.size	_ZN7rocprim17ROCPRIM_400000_NS6detail17trampoline_kernelINS0_13kernel_configILj256ELj4ELj4294967295EEENS1_37radix_sort_block_sort_config_selectorIiNS0_10empty_typeEEEZNS1_21radix_sort_block_sortIS4_Lb1EN6thrust23THRUST_200600_302600_NS6detail15normal_iteratorINSA_10device_ptrIiEEEESF_PS6_SG_NS0_19identity_decomposerEEE10hipError_tT1_T2_T3_T4_jRjT5_jjP12ihipStream_tbEUlT_E_NS1_11comp_targetILNS1_3genE9ELNS1_11target_archE1100ELNS1_3gpuE3ELNS1_3repE0EEENS1_44radix_sort_block_sort_config_static_selectorELNS0_4arch9wavefront6targetE0EEEvSJ_, .Lfunc_end220-_ZN7rocprim17ROCPRIM_400000_NS6detail17trampoline_kernelINS0_13kernel_configILj256ELj4ELj4294967295EEENS1_37radix_sort_block_sort_config_selectorIiNS0_10empty_typeEEEZNS1_21radix_sort_block_sortIS4_Lb1EN6thrust23THRUST_200600_302600_NS6detail15normal_iteratorINSA_10device_ptrIiEEEESF_PS6_SG_NS0_19identity_decomposerEEE10hipError_tT1_T2_T3_T4_jRjT5_jjP12ihipStream_tbEUlT_E_NS1_11comp_targetILNS1_3genE9ELNS1_11target_archE1100ELNS1_3gpuE3ELNS1_3repE0EEENS1_44radix_sort_block_sort_config_static_selectorELNS0_4arch9wavefront6targetE0EEEvSJ_
                                        ; -- End function
	.set _ZN7rocprim17ROCPRIM_400000_NS6detail17trampoline_kernelINS0_13kernel_configILj256ELj4ELj4294967295EEENS1_37radix_sort_block_sort_config_selectorIiNS0_10empty_typeEEEZNS1_21radix_sort_block_sortIS4_Lb1EN6thrust23THRUST_200600_302600_NS6detail15normal_iteratorINSA_10device_ptrIiEEEESF_PS6_SG_NS0_19identity_decomposerEEE10hipError_tT1_T2_T3_T4_jRjT5_jjP12ihipStream_tbEUlT_E_NS1_11comp_targetILNS1_3genE9ELNS1_11target_archE1100ELNS1_3gpuE3ELNS1_3repE0EEENS1_44radix_sort_block_sort_config_static_selectorELNS0_4arch9wavefront6targetE0EEEvSJ_.num_vgpr, 0
	.set _ZN7rocprim17ROCPRIM_400000_NS6detail17trampoline_kernelINS0_13kernel_configILj256ELj4ELj4294967295EEENS1_37radix_sort_block_sort_config_selectorIiNS0_10empty_typeEEEZNS1_21radix_sort_block_sortIS4_Lb1EN6thrust23THRUST_200600_302600_NS6detail15normal_iteratorINSA_10device_ptrIiEEEESF_PS6_SG_NS0_19identity_decomposerEEE10hipError_tT1_T2_T3_T4_jRjT5_jjP12ihipStream_tbEUlT_E_NS1_11comp_targetILNS1_3genE9ELNS1_11target_archE1100ELNS1_3gpuE3ELNS1_3repE0EEENS1_44radix_sort_block_sort_config_static_selectorELNS0_4arch9wavefront6targetE0EEEvSJ_.num_agpr, 0
	.set _ZN7rocprim17ROCPRIM_400000_NS6detail17trampoline_kernelINS0_13kernel_configILj256ELj4ELj4294967295EEENS1_37radix_sort_block_sort_config_selectorIiNS0_10empty_typeEEEZNS1_21radix_sort_block_sortIS4_Lb1EN6thrust23THRUST_200600_302600_NS6detail15normal_iteratorINSA_10device_ptrIiEEEESF_PS6_SG_NS0_19identity_decomposerEEE10hipError_tT1_T2_T3_T4_jRjT5_jjP12ihipStream_tbEUlT_E_NS1_11comp_targetILNS1_3genE9ELNS1_11target_archE1100ELNS1_3gpuE3ELNS1_3repE0EEENS1_44radix_sort_block_sort_config_static_selectorELNS0_4arch9wavefront6targetE0EEEvSJ_.numbered_sgpr, 0
	.set _ZN7rocprim17ROCPRIM_400000_NS6detail17trampoline_kernelINS0_13kernel_configILj256ELj4ELj4294967295EEENS1_37radix_sort_block_sort_config_selectorIiNS0_10empty_typeEEEZNS1_21radix_sort_block_sortIS4_Lb1EN6thrust23THRUST_200600_302600_NS6detail15normal_iteratorINSA_10device_ptrIiEEEESF_PS6_SG_NS0_19identity_decomposerEEE10hipError_tT1_T2_T3_T4_jRjT5_jjP12ihipStream_tbEUlT_E_NS1_11comp_targetILNS1_3genE9ELNS1_11target_archE1100ELNS1_3gpuE3ELNS1_3repE0EEENS1_44radix_sort_block_sort_config_static_selectorELNS0_4arch9wavefront6targetE0EEEvSJ_.num_named_barrier, 0
	.set _ZN7rocprim17ROCPRIM_400000_NS6detail17trampoline_kernelINS0_13kernel_configILj256ELj4ELj4294967295EEENS1_37radix_sort_block_sort_config_selectorIiNS0_10empty_typeEEEZNS1_21radix_sort_block_sortIS4_Lb1EN6thrust23THRUST_200600_302600_NS6detail15normal_iteratorINSA_10device_ptrIiEEEESF_PS6_SG_NS0_19identity_decomposerEEE10hipError_tT1_T2_T3_T4_jRjT5_jjP12ihipStream_tbEUlT_E_NS1_11comp_targetILNS1_3genE9ELNS1_11target_archE1100ELNS1_3gpuE3ELNS1_3repE0EEENS1_44radix_sort_block_sort_config_static_selectorELNS0_4arch9wavefront6targetE0EEEvSJ_.private_seg_size, 0
	.set _ZN7rocprim17ROCPRIM_400000_NS6detail17trampoline_kernelINS0_13kernel_configILj256ELj4ELj4294967295EEENS1_37radix_sort_block_sort_config_selectorIiNS0_10empty_typeEEEZNS1_21radix_sort_block_sortIS4_Lb1EN6thrust23THRUST_200600_302600_NS6detail15normal_iteratorINSA_10device_ptrIiEEEESF_PS6_SG_NS0_19identity_decomposerEEE10hipError_tT1_T2_T3_T4_jRjT5_jjP12ihipStream_tbEUlT_E_NS1_11comp_targetILNS1_3genE9ELNS1_11target_archE1100ELNS1_3gpuE3ELNS1_3repE0EEENS1_44radix_sort_block_sort_config_static_selectorELNS0_4arch9wavefront6targetE0EEEvSJ_.uses_vcc, 0
	.set _ZN7rocprim17ROCPRIM_400000_NS6detail17trampoline_kernelINS0_13kernel_configILj256ELj4ELj4294967295EEENS1_37radix_sort_block_sort_config_selectorIiNS0_10empty_typeEEEZNS1_21radix_sort_block_sortIS4_Lb1EN6thrust23THRUST_200600_302600_NS6detail15normal_iteratorINSA_10device_ptrIiEEEESF_PS6_SG_NS0_19identity_decomposerEEE10hipError_tT1_T2_T3_T4_jRjT5_jjP12ihipStream_tbEUlT_E_NS1_11comp_targetILNS1_3genE9ELNS1_11target_archE1100ELNS1_3gpuE3ELNS1_3repE0EEENS1_44radix_sort_block_sort_config_static_selectorELNS0_4arch9wavefront6targetE0EEEvSJ_.uses_flat_scratch, 0
	.set _ZN7rocprim17ROCPRIM_400000_NS6detail17trampoline_kernelINS0_13kernel_configILj256ELj4ELj4294967295EEENS1_37radix_sort_block_sort_config_selectorIiNS0_10empty_typeEEEZNS1_21radix_sort_block_sortIS4_Lb1EN6thrust23THRUST_200600_302600_NS6detail15normal_iteratorINSA_10device_ptrIiEEEESF_PS6_SG_NS0_19identity_decomposerEEE10hipError_tT1_T2_T3_T4_jRjT5_jjP12ihipStream_tbEUlT_E_NS1_11comp_targetILNS1_3genE9ELNS1_11target_archE1100ELNS1_3gpuE3ELNS1_3repE0EEENS1_44radix_sort_block_sort_config_static_selectorELNS0_4arch9wavefront6targetE0EEEvSJ_.has_dyn_sized_stack, 0
	.set _ZN7rocprim17ROCPRIM_400000_NS6detail17trampoline_kernelINS0_13kernel_configILj256ELj4ELj4294967295EEENS1_37radix_sort_block_sort_config_selectorIiNS0_10empty_typeEEEZNS1_21radix_sort_block_sortIS4_Lb1EN6thrust23THRUST_200600_302600_NS6detail15normal_iteratorINSA_10device_ptrIiEEEESF_PS6_SG_NS0_19identity_decomposerEEE10hipError_tT1_T2_T3_T4_jRjT5_jjP12ihipStream_tbEUlT_E_NS1_11comp_targetILNS1_3genE9ELNS1_11target_archE1100ELNS1_3gpuE3ELNS1_3repE0EEENS1_44radix_sort_block_sort_config_static_selectorELNS0_4arch9wavefront6targetE0EEEvSJ_.has_recursion, 0
	.set _ZN7rocprim17ROCPRIM_400000_NS6detail17trampoline_kernelINS0_13kernel_configILj256ELj4ELj4294967295EEENS1_37radix_sort_block_sort_config_selectorIiNS0_10empty_typeEEEZNS1_21radix_sort_block_sortIS4_Lb1EN6thrust23THRUST_200600_302600_NS6detail15normal_iteratorINSA_10device_ptrIiEEEESF_PS6_SG_NS0_19identity_decomposerEEE10hipError_tT1_T2_T3_T4_jRjT5_jjP12ihipStream_tbEUlT_E_NS1_11comp_targetILNS1_3genE9ELNS1_11target_archE1100ELNS1_3gpuE3ELNS1_3repE0EEENS1_44radix_sort_block_sort_config_static_selectorELNS0_4arch9wavefront6targetE0EEEvSJ_.has_indirect_call, 0
	.section	.AMDGPU.csdata,"",@progbits
; Kernel info:
; codeLenInByte = 0
; TotalNumSgprs: 0
; NumVgprs: 0
; ScratchSize: 0
; MemoryBound: 0
; FloatMode: 240
; IeeeMode: 1
; LDSByteSize: 0 bytes/workgroup (compile time only)
; SGPRBlocks: 0
; VGPRBlocks: 0
; NumSGPRsForWavesPerEU: 1
; NumVGPRsForWavesPerEU: 1
; Occupancy: 16
; WaveLimiterHint : 0
; COMPUTE_PGM_RSRC2:SCRATCH_EN: 0
; COMPUTE_PGM_RSRC2:USER_SGPR: 6
; COMPUTE_PGM_RSRC2:TRAP_HANDLER: 0
; COMPUTE_PGM_RSRC2:TGID_X_EN: 1
; COMPUTE_PGM_RSRC2:TGID_Y_EN: 0
; COMPUTE_PGM_RSRC2:TGID_Z_EN: 0
; COMPUTE_PGM_RSRC2:TIDIG_COMP_CNT: 0
	.section	.text._ZN7rocprim17ROCPRIM_400000_NS6detail17trampoline_kernelINS0_13kernel_configILj256ELj4ELj4294967295EEENS1_37radix_sort_block_sort_config_selectorIiNS0_10empty_typeEEEZNS1_21radix_sort_block_sortIS4_Lb1EN6thrust23THRUST_200600_302600_NS6detail15normal_iteratorINSA_10device_ptrIiEEEESF_PS6_SG_NS0_19identity_decomposerEEE10hipError_tT1_T2_T3_T4_jRjT5_jjP12ihipStream_tbEUlT_E_NS1_11comp_targetILNS1_3genE8ELNS1_11target_archE1030ELNS1_3gpuE2ELNS1_3repE0EEENS1_44radix_sort_block_sort_config_static_selectorELNS0_4arch9wavefront6targetE0EEEvSJ_,"axG",@progbits,_ZN7rocprim17ROCPRIM_400000_NS6detail17trampoline_kernelINS0_13kernel_configILj256ELj4ELj4294967295EEENS1_37radix_sort_block_sort_config_selectorIiNS0_10empty_typeEEEZNS1_21radix_sort_block_sortIS4_Lb1EN6thrust23THRUST_200600_302600_NS6detail15normal_iteratorINSA_10device_ptrIiEEEESF_PS6_SG_NS0_19identity_decomposerEEE10hipError_tT1_T2_T3_T4_jRjT5_jjP12ihipStream_tbEUlT_E_NS1_11comp_targetILNS1_3genE8ELNS1_11target_archE1030ELNS1_3gpuE2ELNS1_3repE0EEENS1_44radix_sort_block_sort_config_static_selectorELNS0_4arch9wavefront6targetE0EEEvSJ_,comdat
	.protected	_ZN7rocprim17ROCPRIM_400000_NS6detail17trampoline_kernelINS0_13kernel_configILj256ELj4ELj4294967295EEENS1_37radix_sort_block_sort_config_selectorIiNS0_10empty_typeEEEZNS1_21radix_sort_block_sortIS4_Lb1EN6thrust23THRUST_200600_302600_NS6detail15normal_iteratorINSA_10device_ptrIiEEEESF_PS6_SG_NS0_19identity_decomposerEEE10hipError_tT1_T2_T3_T4_jRjT5_jjP12ihipStream_tbEUlT_E_NS1_11comp_targetILNS1_3genE8ELNS1_11target_archE1030ELNS1_3gpuE2ELNS1_3repE0EEENS1_44radix_sort_block_sort_config_static_selectorELNS0_4arch9wavefront6targetE0EEEvSJ_ ; -- Begin function _ZN7rocprim17ROCPRIM_400000_NS6detail17trampoline_kernelINS0_13kernel_configILj256ELj4ELj4294967295EEENS1_37radix_sort_block_sort_config_selectorIiNS0_10empty_typeEEEZNS1_21radix_sort_block_sortIS4_Lb1EN6thrust23THRUST_200600_302600_NS6detail15normal_iteratorINSA_10device_ptrIiEEEESF_PS6_SG_NS0_19identity_decomposerEEE10hipError_tT1_T2_T3_T4_jRjT5_jjP12ihipStream_tbEUlT_E_NS1_11comp_targetILNS1_3genE8ELNS1_11target_archE1030ELNS1_3gpuE2ELNS1_3repE0EEENS1_44radix_sort_block_sort_config_static_selectorELNS0_4arch9wavefront6targetE0EEEvSJ_
	.globl	_ZN7rocprim17ROCPRIM_400000_NS6detail17trampoline_kernelINS0_13kernel_configILj256ELj4ELj4294967295EEENS1_37radix_sort_block_sort_config_selectorIiNS0_10empty_typeEEEZNS1_21radix_sort_block_sortIS4_Lb1EN6thrust23THRUST_200600_302600_NS6detail15normal_iteratorINSA_10device_ptrIiEEEESF_PS6_SG_NS0_19identity_decomposerEEE10hipError_tT1_T2_T3_T4_jRjT5_jjP12ihipStream_tbEUlT_E_NS1_11comp_targetILNS1_3genE8ELNS1_11target_archE1030ELNS1_3gpuE2ELNS1_3repE0EEENS1_44radix_sort_block_sort_config_static_selectorELNS0_4arch9wavefront6targetE0EEEvSJ_
	.p2align	8
	.type	_ZN7rocprim17ROCPRIM_400000_NS6detail17trampoline_kernelINS0_13kernel_configILj256ELj4ELj4294967295EEENS1_37radix_sort_block_sort_config_selectorIiNS0_10empty_typeEEEZNS1_21radix_sort_block_sortIS4_Lb1EN6thrust23THRUST_200600_302600_NS6detail15normal_iteratorINSA_10device_ptrIiEEEESF_PS6_SG_NS0_19identity_decomposerEEE10hipError_tT1_T2_T3_T4_jRjT5_jjP12ihipStream_tbEUlT_E_NS1_11comp_targetILNS1_3genE8ELNS1_11target_archE1030ELNS1_3gpuE2ELNS1_3repE0EEENS1_44radix_sort_block_sort_config_static_selectorELNS0_4arch9wavefront6targetE0EEEvSJ_,@function
_ZN7rocprim17ROCPRIM_400000_NS6detail17trampoline_kernelINS0_13kernel_configILj256ELj4ELj4294967295EEENS1_37radix_sort_block_sort_config_selectorIiNS0_10empty_typeEEEZNS1_21radix_sort_block_sortIS4_Lb1EN6thrust23THRUST_200600_302600_NS6detail15normal_iteratorINSA_10device_ptrIiEEEESF_PS6_SG_NS0_19identity_decomposerEEE10hipError_tT1_T2_T3_T4_jRjT5_jjP12ihipStream_tbEUlT_E_NS1_11comp_targetILNS1_3genE8ELNS1_11target_archE1030ELNS1_3gpuE2ELNS1_3repE0EEENS1_44radix_sort_block_sort_config_static_selectorELNS0_4arch9wavefront6targetE0EEEvSJ_: ; @_ZN7rocprim17ROCPRIM_400000_NS6detail17trampoline_kernelINS0_13kernel_configILj256ELj4ELj4294967295EEENS1_37radix_sort_block_sort_config_selectorIiNS0_10empty_typeEEEZNS1_21radix_sort_block_sortIS4_Lb1EN6thrust23THRUST_200600_302600_NS6detail15normal_iteratorINSA_10device_ptrIiEEEESF_PS6_SG_NS0_19identity_decomposerEEE10hipError_tT1_T2_T3_T4_jRjT5_jjP12ihipStream_tbEUlT_E_NS1_11comp_targetILNS1_3genE8ELNS1_11target_archE1030ELNS1_3gpuE2ELNS1_3repE0EEENS1_44radix_sort_block_sort_config_static_selectorELNS0_4arch9wavefront6targetE0EEEvSJ_
; %bb.0:
	s_clause 0x1
	s_load_dword s2, s[4:5], 0x20
	s_load_dwordx4 s[12:15], s[4:5], 0x0
	v_lshlrev_b32_e32 v13, 2, v0
	v_mbcnt_lo_u32_b32 v9, -1, 0
	s_lshl_b32 s0, s6, 10
	s_mov_b32 s1, 0
	v_and_b32_e32 v11, 0x380, v13
	v_lshlrev_b32_e32 v3, 2, v9
	v_lshlrev_b32_e32 v10, 2, v11
	s_waitcnt lgkmcnt(0)
	s_lshr_b32 s3, s2, 10
	s_cmp_lg_u32 s6, s3
	s_cselect_b32 s21, -1, 0
	s_lshl_b64 s[16:17], s[0:1], 2
	s_add_u32 s7, s12, s16
	s_addc_u32 s8, s13, s17
	v_add_co_u32 v3, s7, s7, v3
	v_add_co_ci_u32_e64 v4, null, s8, 0, s7
	s_cmp_eq_u32 s6, s3
	v_add_co_u32 v7, vcc_lo, v3, v10
	v_add_co_ci_u32_e64 v8, null, 0, v4, vcc_lo
	s_mov_b32 s3, -1
                                        ; implicit-def: $vgpr3_vgpr4_vgpr5_vgpr6
	s_cbranch_scc0 .LBB221_24
; %bb.1:
	s_load_dwordx2 s[18:19], s[4:5], 0x28
	s_andn2_b32 vcc_lo, exec_lo, s3
	s_sub_i32 s20, s2, s0
	s_cbranch_vccz .LBB221_25
.LBB221_2:
	s_and_saveexec_b32 s0, s1
	s_cbranch_execz .LBB221_4
.LBB221_3:
	global_load_dword v6, v[7:8], off offset:384
.LBB221_4:
	s_or_b32 exec_lo, exec_lo, s0
	s_load_dword s7, s[4:5], 0x3c
	s_getpc_b64 s[4:5]
	s_add_u32 s4, s4, _ZN7rocprim17ROCPRIM_400000_NS16block_radix_sortIiLj256ELj4ENS0_10empty_typeELj1ELj1ELj0ELNS0_26block_radix_rank_algorithmE1ELNS0_18block_padding_hintE2ELNS0_4arch9wavefront6targetE0EE19radix_bits_per_passE@rel32@lo+4
	s_addc_u32 s5, s5, _ZN7rocprim17ROCPRIM_400000_NS16block_radix_sortIiLj256ELj4ENS0_10empty_typeELj1ELj1ELj0ELNS0_26block_radix_rank_algorithmE1ELNS0_18block_padding_hintE2ELNS0_4arch9wavefront6targetE0EE19radix_bits_per_passE@rel32@hi+12
	v_sub_co_u32 v12, s2, v9, 1
	s_load_dword s22, s[4:5], 0x0
	v_lshrrev_b32_e32 v15, 3, v0
	v_or_b32_e32 v11, 31, v0
	v_cmp_gt_i32_e32 vcc_lo, 0, v12
	v_lshlrev_b32_e32 v14, 5, v0
	v_and_b32_e32 v7, 15, v9
	s_mov_b32 s24, 0
	v_and_b32_e32 v8, 16, v9
	v_mul_i32_i24_e32 v16, 0xffffffe4, v0
	v_and_b32_e32 v17, 7, v9
	v_and_b32_e32 v15, 28, v15
	s_mov_b32 s26, s24
	s_mov_b32 s25, s24
	;; [unrolled: 1-line block ×3, first 2 shown]
	v_cmp_eq_u32_e64 s9, v0, v11
	v_lshl_add_u32 v20, v9, 2, v10
	s_waitcnt lgkmcnt(0)
	s_lshr_b32 s5, s7, 16
	s_and_b32 s7, s7, 0xffff
	v_mad_u32_u24 v1, v2, s5, v1
	s_waitcnt vmcnt(2)
	v_xor_b32_e32 v3, 0x7fffffff, v3
	s_waitcnt vmcnt(0)
	v_xor_b32_e32 v4, 0x7fffffff, v4
	v_xor_b32_e32 v5, 0x7fffffff, v5
	;; [unrolled: 1-line block ×3, first 2 shown]
	v_mad_u64_u32 v[1:2], null, v1, s7, v[0:1]
	v_cndmask_b32_e32 v2, v12, v9, vcc_lo
	v_mov_b32_e32 v9, s24
	v_mov_b32_e32 v11, s26
	v_cmp_gt_u32_e64 s0, 8, v0
	v_cmp_lt_u32_e64 s1, 31, v0
	v_cmp_eq_u32_e64 s3, 0, v0
	v_lshrrev_b32_e32 v1, 3, v1
	v_cmp_eq_u32_e64 s4, 0, v7
	v_cmp_lt_u32_e64 s5, 1, v7
	v_cmp_lt_u32_e64 s6, 3, v7
	v_cmp_lt_u32_e64 s7, 7, v7
	v_cmp_eq_u32_e64 s8, 0, v8
	v_cmp_eq_u32_e64 s10, 0, v17
	v_cmp_lt_u32_e64 s11, 1, v17
	v_cmp_lt_u32_e64 s12, 3, v17
	v_lshlrev_b32_e32 v17, 2, v2
	v_add_nc_u32_e32 v18, -4, v15
	v_and_b32_e32 v19, 0x1ffffffc, v1
	v_mov_b32_e32 v10, s25
	v_mov_b32_e32 v12, s27
	v_add_nc_u32_e32 v16, v14, v16
	s_add_i32 s23, s19, s18
	s_branch .LBB221_6
.LBB221_5:                              ;   in Loop: Header=BB221_6 Depth=1
	s_andn2_b32 vcc_lo, exec_lo, s24
	s_mov_b32 s19, s13
	s_cbranch_vccz .LBB221_22
.LBB221_6:                              ; =>This Inner Loop Header: Depth=1
	v_mov_b32_e32 v21, v3
	s_min_u32 s13, s22, s19
	ds_write2_b64 v14, v[9:10], v[11:12] offset0:4 offset1:5
	ds_write2_b64 v14, v[9:10], v[11:12] offset0:6 offset1:7
	s_lshl_b32 s13, -1, s13
	s_waitcnt lgkmcnt(0)
	v_lshrrev_b32_e32 v1, s18, v21
	s_not_b32 s24, s13
	s_barrier
	buffer_gl0_inv
	v_and_b32_e32 v2, s24, v1
	; wave barrier
	v_and_b32_e32 v1, 1, v2
	v_lshlrev_b32_e32 v3, 30, v2
	v_lshlrev_b32_e32 v7, 29, v2
	;; [unrolled: 1-line block ×4, first 2 shown]
	v_add_co_u32 v1, s13, v1, -1
	v_cndmask_b32_e64 v22, 0, 1, s13
	v_not_b32_e32 v26, v3
	v_cmp_gt_i32_e64 s13, 0, v3
	v_not_b32_e32 v3, v7
	v_lshlrev_b32_e32 v24, 26, v2
	v_cmp_ne_u32_e32 vcc_lo, 0, v22
	v_ashrrev_i32_e32 v26, 31, v26
	v_lshlrev_b32_e32 v25, 25, v2
	v_ashrrev_i32_e32 v3, 31, v3
	v_lshlrev_b32_e32 v22, 24, v2
	v_xor_b32_e32 v1, vcc_lo, v1
	v_cmp_gt_i32_e32 vcc_lo, 0, v7
	v_not_b32_e32 v7, v8
	v_xor_b32_e32 v26, s13, v26
	v_cmp_gt_i32_e64 s13, 0, v8
	v_and_b32_e32 v1, exec_lo, v1
	v_not_b32_e32 v8, v23
	v_ashrrev_i32_e32 v7, 31, v7
	v_xor_b32_e32 v3, vcc_lo, v3
	v_cmp_gt_i32_e32 vcc_lo, 0, v23
	v_and_b32_e32 v1, v1, v26
	v_not_b32_e32 v23, v24
	v_ashrrev_i32_e32 v8, 31, v8
	v_xor_b32_e32 v7, s13, v7
	v_cmp_gt_i32_e64 s13, 0, v24
	v_and_b32_e32 v1, v1, v3
	v_not_b32_e32 v3, v25
	v_ashrrev_i32_e32 v23, 31, v23
	v_xor_b32_e32 v8, vcc_lo, v8
	v_cmp_gt_i32_e32 vcc_lo, 0, v25
	v_and_b32_e32 v1, v1, v7
	v_not_b32_e32 v7, v22
	v_ashrrev_i32_e32 v3, 31, v3
	v_xor_b32_e32 v23, s13, v23
	v_cmp_gt_i32_e64 s13, 0, v22
	v_and_b32_e32 v1, v1, v8
	v_ashrrev_i32_e32 v7, 31, v7
	v_xor_b32_e32 v3, vcc_lo, v3
	v_lshlrev_b32_e32 v2, 5, v2
	v_mov_b32_e32 v22, v6
	v_and_b32_e32 v1, v1, v23
	v_xor_b32_e32 v7, s13, v7
	v_mov_b32_e32 v23, v5
	v_mov_b32_e32 v24, v4
	v_add_nc_u32_e32 v26, v19, v2
	v_and_b32_e32 v1, v1, v3
	v_and_b32_e32 v1, v1, v7
	v_mbcnt_lo_u32_b32 v25, v1, 0
	v_cmp_ne_u32_e64 s13, 0, v1
	v_cmp_eq_u32_e32 vcc_lo, 0, v25
	s_and_b32 s25, s13, vcc_lo
	s_and_saveexec_b32 s13, s25
; %bb.7:                                ;   in Loop: Header=BB221_6 Depth=1
	v_bcnt_u32_b32 v1, v1, 0
	ds_write_b32 v26, v1 offset:32
; %bb.8:                                ;   in Loop: Header=BB221_6 Depth=1
	s_or_b32 exec_lo, exec_lo, s13
	v_lshrrev_b32_e32 v1, s18, v24
	; wave barrier
	v_and_b32_e32 v1, s24, v1
	v_and_b32_e32 v2, 1, v1
	v_lshlrev_b32_e32 v3, 30, v1
	v_lshlrev_b32_e32 v4, 29, v1
	;; [unrolled: 1-line block ×4, first 2 shown]
	v_add_co_u32 v2, s13, v2, -1
	v_cndmask_b32_e64 v6, 0, 1, s13
	v_not_b32_e32 v28, v3
	v_cmp_gt_i32_e64 s13, 0, v3
	v_not_b32_e32 v3, v4
	v_lshlrev_b32_e32 v8, 26, v1
	v_cmp_ne_u32_e32 vcc_lo, 0, v6
	v_ashrrev_i32_e32 v28, 31, v28
	v_lshlrev_b32_e32 v27, 25, v1
	v_ashrrev_i32_e32 v3, 31, v3
	v_lshlrev_b32_e32 v6, 24, v1
	v_xor_b32_e32 v2, vcc_lo, v2
	v_cmp_gt_i32_e32 vcc_lo, 0, v4
	v_not_b32_e32 v4, v5
	v_xor_b32_e32 v28, s13, v28
	v_cmp_gt_i32_e64 s13, 0, v5
	v_and_b32_e32 v2, exec_lo, v2
	v_not_b32_e32 v5, v7
	v_ashrrev_i32_e32 v4, 31, v4
	v_xor_b32_e32 v3, vcc_lo, v3
	v_cmp_gt_i32_e32 vcc_lo, 0, v7
	v_and_b32_e32 v2, v2, v28
	v_not_b32_e32 v7, v8
	v_ashrrev_i32_e32 v5, 31, v5
	v_xor_b32_e32 v4, s13, v4
	v_cmp_gt_i32_e64 s13, 0, v8
	v_and_b32_e32 v2, v2, v3
	v_not_b32_e32 v3, v27
	v_ashrrev_i32_e32 v7, 31, v7
	v_xor_b32_e32 v5, vcc_lo, v5
	v_cmp_gt_i32_e32 vcc_lo, 0, v27
	v_and_b32_e32 v2, v2, v4
	v_not_b32_e32 v4, v6
	v_ashrrev_i32_e32 v3, 31, v3
	v_xor_b32_e32 v7, s13, v7
	v_lshlrev_b32_e32 v1, 5, v1
	v_and_b32_e32 v2, v2, v5
	v_cmp_gt_i32_e64 s13, 0, v6
	v_ashrrev_i32_e32 v4, 31, v4
	v_xor_b32_e32 v3, vcc_lo, v3
	v_add_nc_u32_e32 v28, v19, v1
	v_and_b32_e32 v2, v2, v7
	v_xor_b32_e32 v1, s13, v4
	ds_read_b32 v27, v28 offset:32
	v_and_b32_e32 v2, v2, v3
	; wave barrier
	v_and_b32_e32 v1, v2, v1
	v_mbcnt_lo_u32_b32 v29, v1, 0
	v_cmp_ne_u32_e64 s13, 0, v1
	v_cmp_eq_u32_e32 vcc_lo, 0, v29
	s_and_b32 s25, s13, vcc_lo
	s_and_saveexec_b32 s13, s25
	s_cbranch_execz .LBB221_10
; %bb.9:                                ;   in Loop: Header=BB221_6 Depth=1
	s_waitcnt lgkmcnt(0)
	v_bcnt_u32_b32 v1, v1, v27
	ds_write_b32 v28, v1 offset:32
.LBB221_10:                             ;   in Loop: Header=BB221_6 Depth=1
	s_or_b32 exec_lo, exec_lo, s13
	v_lshrrev_b32_e32 v1, s18, v23
	; wave barrier
	v_and_b32_e32 v1, s24, v1
	v_and_b32_e32 v2, 1, v1
	v_lshlrev_b32_e32 v3, 30, v1
	v_lshlrev_b32_e32 v4, 29, v1
	;; [unrolled: 1-line block ×4, first 2 shown]
	v_add_co_u32 v2, s13, v2, -1
	v_cndmask_b32_e64 v6, 0, 1, s13
	v_not_b32_e32 v31, v3
	v_cmp_gt_i32_e64 s13, 0, v3
	v_not_b32_e32 v3, v4
	v_lshlrev_b32_e32 v8, 26, v1
	v_cmp_ne_u32_e32 vcc_lo, 0, v6
	v_ashrrev_i32_e32 v31, 31, v31
	v_lshlrev_b32_e32 v30, 25, v1
	v_ashrrev_i32_e32 v3, 31, v3
	v_lshlrev_b32_e32 v6, 24, v1
	v_xor_b32_e32 v2, vcc_lo, v2
	v_cmp_gt_i32_e32 vcc_lo, 0, v4
	v_not_b32_e32 v4, v5
	v_xor_b32_e32 v31, s13, v31
	v_cmp_gt_i32_e64 s13, 0, v5
	v_and_b32_e32 v2, exec_lo, v2
	v_not_b32_e32 v5, v7
	v_ashrrev_i32_e32 v4, 31, v4
	v_xor_b32_e32 v3, vcc_lo, v3
	v_cmp_gt_i32_e32 vcc_lo, 0, v7
	v_and_b32_e32 v2, v2, v31
	v_not_b32_e32 v7, v8
	v_ashrrev_i32_e32 v5, 31, v5
	v_xor_b32_e32 v4, s13, v4
	v_cmp_gt_i32_e64 s13, 0, v8
	v_and_b32_e32 v2, v2, v3
	v_not_b32_e32 v3, v30
	v_ashrrev_i32_e32 v7, 31, v7
	v_xor_b32_e32 v5, vcc_lo, v5
	v_cmp_gt_i32_e32 vcc_lo, 0, v30
	v_and_b32_e32 v2, v2, v4
	v_not_b32_e32 v4, v6
	v_ashrrev_i32_e32 v3, 31, v3
	v_xor_b32_e32 v7, s13, v7
	v_lshlrev_b32_e32 v1, 5, v1
	v_and_b32_e32 v2, v2, v5
	v_cmp_gt_i32_e64 s13, 0, v6
	v_ashrrev_i32_e32 v4, 31, v4
	v_xor_b32_e32 v3, vcc_lo, v3
	v_add_nc_u32_e32 v32, v19, v1
	v_and_b32_e32 v2, v2, v7
	v_xor_b32_e32 v1, s13, v4
	ds_read_b32 v30, v32 offset:32
	v_and_b32_e32 v2, v2, v3
	; wave barrier
	v_and_b32_e32 v1, v2, v1
	v_mbcnt_lo_u32_b32 v31, v1, 0
	v_cmp_ne_u32_e64 s13, 0, v1
	v_cmp_eq_u32_e32 vcc_lo, 0, v31
	s_and_b32 s25, s13, vcc_lo
	s_and_saveexec_b32 s13, s25
	s_cbranch_execz .LBB221_12
; %bb.11:                               ;   in Loop: Header=BB221_6 Depth=1
	s_waitcnt lgkmcnt(0)
	v_bcnt_u32_b32 v1, v1, v30
	ds_write_b32 v32, v1 offset:32
.LBB221_12:                             ;   in Loop: Header=BB221_6 Depth=1
	s_or_b32 exec_lo, exec_lo, s13
	v_lshrrev_b32_e32 v1, s18, v22
	; wave barrier
	v_and_b32_e32 v1, s24, v1
	v_and_b32_e32 v2, 1, v1
	v_lshlrev_b32_e32 v3, 30, v1
	v_lshlrev_b32_e32 v4, 29, v1
	;; [unrolled: 1-line block ×4, first 2 shown]
	v_add_co_u32 v2, s13, v2, -1
	v_cndmask_b32_e64 v6, 0, 1, s13
	v_not_b32_e32 v34, v3
	v_cmp_gt_i32_e64 s13, 0, v3
	v_not_b32_e32 v3, v4
	v_lshlrev_b32_e32 v8, 26, v1
	v_cmp_ne_u32_e32 vcc_lo, 0, v6
	v_ashrrev_i32_e32 v34, 31, v34
	v_lshlrev_b32_e32 v33, 25, v1
	v_ashrrev_i32_e32 v3, 31, v3
	v_lshlrev_b32_e32 v6, 24, v1
	v_xor_b32_e32 v2, vcc_lo, v2
	v_cmp_gt_i32_e32 vcc_lo, 0, v4
	v_not_b32_e32 v4, v5
	v_xor_b32_e32 v34, s13, v34
	v_cmp_gt_i32_e64 s13, 0, v5
	v_and_b32_e32 v2, exec_lo, v2
	v_not_b32_e32 v5, v7
	v_ashrrev_i32_e32 v4, 31, v4
	v_xor_b32_e32 v3, vcc_lo, v3
	v_cmp_gt_i32_e32 vcc_lo, 0, v7
	v_and_b32_e32 v2, v2, v34
	v_not_b32_e32 v7, v8
	v_ashrrev_i32_e32 v5, 31, v5
	v_xor_b32_e32 v4, s13, v4
	v_cmp_gt_i32_e64 s13, 0, v8
	v_and_b32_e32 v2, v2, v3
	v_not_b32_e32 v3, v33
	v_ashrrev_i32_e32 v7, 31, v7
	v_xor_b32_e32 v5, vcc_lo, v5
	v_cmp_gt_i32_e32 vcc_lo, 0, v33
	v_and_b32_e32 v2, v2, v4
	v_not_b32_e32 v4, v6
	v_ashrrev_i32_e32 v3, 31, v3
	v_xor_b32_e32 v7, s13, v7
	v_lshlrev_b32_e32 v1, 5, v1
	v_and_b32_e32 v2, v2, v5
	v_cmp_gt_i32_e64 s13, 0, v6
	v_ashrrev_i32_e32 v4, 31, v4
	v_xor_b32_e32 v3, vcc_lo, v3
	v_add_nc_u32_e32 v35, v19, v1
	v_and_b32_e32 v2, v2, v7
	v_xor_b32_e32 v1, s13, v4
	ds_read_b32 v33, v35 offset:32
	v_and_b32_e32 v2, v2, v3
	; wave barrier
	v_and_b32_e32 v1, v2, v1
	v_mbcnt_lo_u32_b32 v34, v1, 0
	v_cmp_ne_u32_e64 s13, 0, v1
	v_cmp_eq_u32_e32 vcc_lo, 0, v34
	s_and_b32 s24, s13, vcc_lo
	s_and_saveexec_b32 s13, s24
	s_cbranch_execz .LBB221_14
; %bb.13:                               ;   in Loop: Header=BB221_6 Depth=1
	s_waitcnt lgkmcnt(0)
	v_bcnt_u32_b32 v1, v1, v33
	ds_write_b32 v35, v1 offset:32
.LBB221_14:                             ;   in Loop: Header=BB221_6 Depth=1
	s_or_b32 exec_lo, exec_lo, s13
	; wave barrier
	s_waitcnt lgkmcnt(0)
	s_barrier
	buffer_gl0_inv
	ds_read2_b64 v[5:8], v14 offset0:4 offset1:5
	ds_read2_b64 v[1:4], v14 offset0:6 offset1:7
	s_waitcnt lgkmcnt(1)
	v_add_nc_u32_e32 v36, v6, v5
	v_add3_u32 v36, v36, v7, v8
	s_waitcnt lgkmcnt(0)
	v_add3_u32 v36, v36, v1, v2
	v_add3_u32 v4, v36, v3, v4
	v_mov_b32_dpp v36, v4 row_shr:1 row_mask:0xf bank_mask:0xf
	v_cndmask_b32_e64 v36, v36, 0, s4
	v_add_nc_u32_e32 v4, v36, v4
	v_mov_b32_dpp v36, v4 row_shr:2 row_mask:0xf bank_mask:0xf
	v_cndmask_b32_e64 v36, 0, v36, s5
	v_add_nc_u32_e32 v4, v4, v36
	;; [unrolled: 3-line block ×4, first 2 shown]
	ds_swizzle_b32 v36, v4 offset:swizzle(BROADCAST,32,15)
	s_waitcnt lgkmcnt(0)
	v_cndmask_b32_e64 v36, v36, 0, s8
	v_add_nc_u32_e32 v4, v4, v36
	s_and_saveexec_b32 s13, s9
; %bb.15:                               ;   in Loop: Header=BB221_6 Depth=1
	ds_write_b32 v15, v4
; %bb.16:                               ;   in Loop: Header=BB221_6 Depth=1
	s_or_b32 exec_lo, exec_lo, s13
	s_waitcnt lgkmcnt(0)
	s_barrier
	buffer_gl0_inv
	s_and_saveexec_b32 s13, s0
	s_cbranch_execz .LBB221_18
; %bb.17:                               ;   in Loop: Header=BB221_6 Depth=1
	ds_read_b32 v36, v16
	s_waitcnt lgkmcnt(0)
	v_mov_b32_dpp v37, v36 row_shr:1 row_mask:0xf bank_mask:0xf
	v_cndmask_b32_e64 v37, v37, 0, s10
	v_add_nc_u32_e32 v36, v37, v36
	v_mov_b32_dpp v37, v36 row_shr:2 row_mask:0xf bank_mask:0xf
	v_cndmask_b32_e64 v37, 0, v37, s11
	v_add_nc_u32_e32 v36, v36, v37
	;; [unrolled: 3-line block ×3, first 2 shown]
	ds_write_b32 v16, v36
.LBB221_18:                             ;   in Loop: Header=BB221_6 Depth=1
	s_or_b32 exec_lo, exec_lo, s13
	v_mov_b32_e32 v36, 0
	s_waitcnt lgkmcnt(0)
	s_barrier
	buffer_gl0_inv
	s_and_saveexec_b32 s13, s1
; %bb.19:                               ;   in Loop: Header=BB221_6 Depth=1
	ds_read_b32 v36, v18
; %bb.20:                               ;   in Loop: Header=BB221_6 Depth=1
	s_or_b32 exec_lo, exec_lo, s13
	s_waitcnt lgkmcnt(0)
	v_add_nc_u32_e32 v4, v36, v4
	v_readfirstlane_b32 s13, v0
	s_add_i32 s18, s18, 8
	s_mov_b32 s24, -1
	s_cmp_ge_u32 s18, s23
	ds_bpermute_b32 v4, v17, v4
	s_waitcnt lgkmcnt(0)
	v_cndmask_b32_e64 v4, v4, v36, s2
	v_cndmask_b32_e64 v4, v4, 0, s3
	v_add_nc_u32_e32 v5, v4, v5
	v_add_nc_u32_e32 v6, v5, v6
	;; [unrolled: 1-line block ×4, first 2 shown]
	v_lshlrev_b32_e32 v8, 2, v31
	v_add_nc_u32_e32 v37, v36, v1
	v_add_nc_u32_e32 v1, v37, v2
	;; [unrolled: 1-line block ×3, first 2 shown]
	ds_write2_b64 v14, v[4:5], v[6:7] offset0:4 offset1:5
	ds_write2_b64 v14, v[36:37], v[1:2] offset0:6 offset1:7
	s_waitcnt lgkmcnt(0)
	s_barrier
	buffer_gl0_inv
	ds_read_b32 v1, v28 offset:32
	ds_read_b32 v2, v32 offset:32
	;; [unrolled: 1-line block ×4, first 2 shown]
	v_lshlrev_b32_e32 v5, 2, v25
	v_lshlrev_b32_e32 v6, 2, v29
	;; [unrolled: 1-line block ×6, first 2 shown]
	s_waitcnt lgkmcnt(0)
	v_lshlrev_b32_e32 v28, 2, v1
	v_lshlrev_b32_e32 v29, 2, v2
	;; [unrolled: 1-line block ×3, first 2 shown]
	v_lshl_add_u32 v1, v4, 2, v5
	v_add3_u32 v2, v6, v7, v28
	v_add3_u32 v7, v8, v25, v29
	;; [unrolled: 1-line block ×3, first 2 shown]
                                        ; implicit-def: $vgpr6
                                        ; implicit-def: $vgpr4
	s_cbranch_scc1 .LBB221_5
; %bb.21:                               ;   in Loop: Header=BB221_6 Depth=1
	s_barrier
	buffer_gl0_inv
	ds_write_b32 v1, v21
	ds_write_b32 v2, v24
	;; [unrolled: 1-line block ×4, first 2 shown]
	s_waitcnt lgkmcnt(0)
	s_barrier
	buffer_gl0_inv
	ds_read2_b32 v[3:4], v20 offset1:32
	ds_read2_b32 v[5:6], v20 offset0:64 offset1:96
	s_add_i32 s13, s19, -8
	s_mov_b32 s24, 0
	s_waitcnt lgkmcnt(0)
	s_barrier
	buffer_gl0_inv
	s_branch .LBB221_5
.LBB221_22:
	s_barrier
	buffer_gl0_inv
	ds_write_b32 v1, v21
	ds_write_b32 v2, v24
	;; [unrolled: 1-line block ×4, first 2 shown]
	s_waitcnt lgkmcnt(0)
	s_barrier
	buffer_gl0_inv
	ds_read2st64_b32 v[3:4], v16 offset1:4
	ds_read2st64_b32 v[1:2], v16 offset0:8 offset1:12
	s_add_u32 s0, s14, s16
	s_addc_u32 s1, s15, s17
	s_andn2_b32 vcc_lo, exec_lo, s21
	s_waitcnt lgkmcnt(1)
	v_xor_b32_e32 v6, 0x7fffffff, v3
	v_add_co_u32 v3, s0, s0, v13
	v_xor_b32_e32 v5, 0x7fffffff, v4
	s_waitcnt lgkmcnt(0)
	v_xor_b32_e32 v1, 0x7fffffff, v1
	v_add_co_ci_u32_e64 v4, null, s1, 0, s0
	s_cbranch_vccnz .LBB221_32
; %bb.23:
	v_add_co_u32 v7, vcc_lo, 0x800, v3
	v_add_co_ci_u32_e64 v8, null, 0, v4, vcc_lo
	s_mov_b32 s0, -1
	global_store_dword v[3:4], v6, off
	global_store_dword v[3:4], v5, off offset:1024
	global_store_dword v[7:8], v1, off
	s_cbranch_execz .LBB221_33
	s_branch .LBB221_40
.LBB221_24:
	s_clause 0x2
	global_load_dword v3, v[7:8], off
	global_load_dword v4, v[7:8], off offset:128
	global_load_dword v5, v[7:8], off offset:256
	s_mov_b32 s1, -1
	s_load_dwordx2 s[18:19], s[4:5], 0x28
	s_sub_i32 s20, s2, s0
	s_cbranch_execnz .LBB221_2
.LBB221_25:
	s_waitcnt vmcnt(2)
	v_bfrev_b32_e32 v3, 1
	v_or_b32_e32 v11, v9, v11
	s_mov_b32 s0, exec_lo
	s_waitcnt vmcnt(1)
	v_mov_b32_e32 v4, v3
	s_waitcnt vmcnt(0)
	v_mov_b32_e32 v5, v3
	v_mov_b32_e32 v6, v3
	v_cmpx_gt_u32_e64 s20, v11
	s_cbranch_execz .LBB221_27
; %bb.26:
	global_load_dword v14, v[7:8], off
	v_mov_b32_e32 v15, v3
	v_mov_b32_e32 v16, v3
	;; [unrolled: 1-line block ×3, first 2 shown]
	s_waitcnt vmcnt(0)
	v_mov_b32_e32 v3, v14
	v_mov_b32_e32 v4, v15
	;; [unrolled: 1-line block ×4, first 2 shown]
.LBB221_27:
	s_or_b32 exec_lo, exec_lo, s0
	v_or_b32_e32 v12, 32, v11
	s_mov_b32 s0, exec_lo
	v_cmpx_gt_u32_e64 s20, v12
	s_cbranch_execz .LBB221_29
; %bb.28:
	global_load_dword v4, v[7:8], off offset:128
.LBB221_29:
	s_or_b32 exec_lo, exec_lo, s0
	v_or_b32_e32 v12, 64, v11
	s_mov_b32 s0, exec_lo
	v_cmpx_gt_u32_e64 s20, v12
	s_cbranch_execz .LBB221_31
; %bb.30:
	global_load_dword v5, v[7:8], off offset:256
.LBB221_31:
	s_or_b32 exec_lo, exec_lo, s0
	v_or_b32_e32 v11, 0x60, v11
	v_cmp_gt_u32_e64 s1, s20, v11
	s_and_saveexec_b32 s0, s1
	s_cbranch_execnz .LBB221_3
	s_branch .LBB221_4
.LBB221_32:
	s_mov_b32 s0, 0
.LBB221_33:
	s_mov_b32 s0, exec_lo
	v_cmpx_gt_u32_e64 s20, v0
	s_cbranch_execz .LBB221_35
; %bb.34:
	global_store_dword v[3:4], v6, off
.LBB221_35:
	s_or_b32 exec_lo, exec_lo, s0
	v_or_b32_e32 v6, 0x100, v0
	s_mov_b32 s0, exec_lo
	v_cmpx_gt_u32_e64 s20, v6
	s_cbranch_execz .LBB221_37
; %bb.36:
	global_store_dword v[3:4], v5, off offset:1024
.LBB221_37:
	s_or_b32 exec_lo, exec_lo, s0
	v_or_b32_e32 v5, 0x200, v0
	s_mov_b32 s0, exec_lo
	v_cmpx_gt_u32_e64 s20, v5
	s_cbranch_execz .LBB221_39
; %bb.38:
	v_add_co_u32 v5, vcc_lo, 0x800, v3
	v_add_co_ci_u32_e64 v6, null, 0, v4, vcc_lo
	global_store_dword v[5:6], v1, off
.LBB221_39:
	s_or_b32 exec_lo, exec_lo, s0
	v_or_b32_e32 v0, 0x300, v0
	v_cmp_gt_u32_e64 s0, s20, v0
.LBB221_40:
	s_and_saveexec_b32 s1, s0
	s_cbranch_execnz .LBB221_42
; %bb.41:
	s_endpgm
.LBB221_42:
	v_add_co_u32 v0, vcc_lo, 0x800, v3
	v_xor_b32_e32 v2, 0x7fffffff, v2
	v_add_co_ci_u32_e64 v1, null, 0, v4, vcc_lo
	global_store_dword v[0:1], v2, off offset:1024
	s_endpgm
	.section	.rodata,"a",@progbits
	.p2align	6, 0x0
	.amdhsa_kernel _ZN7rocprim17ROCPRIM_400000_NS6detail17trampoline_kernelINS0_13kernel_configILj256ELj4ELj4294967295EEENS1_37radix_sort_block_sort_config_selectorIiNS0_10empty_typeEEEZNS1_21radix_sort_block_sortIS4_Lb1EN6thrust23THRUST_200600_302600_NS6detail15normal_iteratorINSA_10device_ptrIiEEEESF_PS6_SG_NS0_19identity_decomposerEEE10hipError_tT1_T2_T3_T4_jRjT5_jjP12ihipStream_tbEUlT_E_NS1_11comp_targetILNS1_3genE8ELNS1_11target_archE1030ELNS1_3gpuE2ELNS1_3repE0EEENS1_44radix_sort_block_sort_config_static_selectorELNS0_4arch9wavefront6targetE0EEEvSJ_
		.amdhsa_group_segment_fixed_size 8224
		.amdhsa_private_segment_fixed_size 0
		.amdhsa_kernarg_size 304
		.amdhsa_user_sgpr_count 6
		.amdhsa_user_sgpr_private_segment_buffer 1
		.amdhsa_user_sgpr_dispatch_ptr 0
		.amdhsa_user_sgpr_queue_ptr 0
		.amdhsa_user_sgpr_kernarg_segment_ptr 1
		.amdhsa_user_sgpr_dispatch_id 0
		.amdhsa_user_sgpr_flat_scratch_init 0
		.amdhsa_user_sgpr_private_segment_size 0
		.amdhsa_wavefront_size32 1
		.amdhsa_uses_dynamic_stack 0
		.amdhsa_system_sgpr_private_segment_wavefront_offset 0
		.amdhsa_system_sgpr_workgroup_id_x 1
		.amdhsa_system_sgpr_workgroup_id_y 0
		.amdhsa_system_sgpr_workgroup_id_z 0
		.amdhsa_system_sgpr_workgroup_info 0
		.amdhsa_system_vgpr_workitem_id 2
		.amdhsa_next_free_vgpr 38
		.amdhsa_next_free_sgpr 28
		.amdhsa_reserve_vcc 1
		.amdhsa_reserve_flat_scratch 0
		.amdhsa_float_round_mode_32 0
		.amdhsa_float_round_mode_16_64 0
		.amdhsa_float_denorm_mode_32 3
		.amdhsa_float_denorm_mode_16_64 3
		.amdhsa_dx10_clamp 1
		.amdhsa_ieee_mode 1
		.amdhsa_fp16_overflow 0
		.amdhsa_workgroup_processor_mode 1
		.amdhsa_memory_ordered 1
		.amdhsa_forward_progress 1
		.amdhsa_shared_vgpr_count 0
		.amdhsa_exception_fp_ieee_invalid_op 0
		.amdhsa_exception_fp_denorm_src 0
		.amdhsa_exception_fp_ieee_div_zero 0
		.amdhsa_exception_fp_ieee_overflow 0
		.amdhsa_exception_fp_ieee_underflow 0
		.amdhsa_exception_fp_ieee_inexact 0
		.amdhsa_exception_int_div_zero 0
	.end_amdhsa_kernel
	.section	.text._ZN7rocprim17ROCPRIM_400000_NS6detail17trampoline_kernelINS0_13kernel_configILj256ELj4ELj4294967295EEENS1_37radix_sort_block_sort_config_selectorIiNS0_10empty_typeEEEZNS1_21radix_sort_block_sortIS4_Lb1EN6thrust23THRUST_200600_302600_NS6detail15normal_iteratorINSA_10device_ptrIiEEEESF_PS6_SG_NS0_19identity_decomposerEEE10hipError_tT1_T2_T3_T4_jRjT5_jjP12ihipStream_tbEUlT_E_NS1_11comp_targetILNS1_3genE8ELNS1_11target_archE1030ELNS1_3gpuE2ELNS1_3repE0EEENS1_44radix_sort_block_sort_config_static_selectorELNS0_4arch9wavefront6targetE0EEEvSJ_,"axG",@progbits,_ZN7rocprim17ROCPRIM_400000_NS6detail17trampoline_kernelINS0_13kernel_configILj256ELj4ELj4294967295EEENS1_37radix_sort_block_sort_config_selectorIiNS0_10empty_typeEEEZNS1_21radix_sort_block_sortIS4_Lb1EN6thrust23THRUST_200600_302600_NS6detail15normal_iteratorINSA_10device_ptrIiEEEESF_PS6_SG_NS0_19identity_decomposerEEE10hipError_tT1_T2_T3_T4_jRjT5_jjP12ihipStream_tbEUlT_E_NS1_11comp_targetILNS1_3genE8ELNS1_11target_archE1030ELNS1_3gpuE2ELNS1_3repE0EEENS1_44radix_sort_block_sort_config_static_selectorELNS0_4arch9wavefront6targetE0EEEvSJ_,comdat
.Lfunc_end221:
	.size	_ZN7rocprim17ROCPRIM_400000_NS6detail17trampoline_kernelINS0_13kernel_configILj256ELj4ELj4294967295EEENS1_37radix_sort_block_sort_config_selectorIiNS0_10empty_typeEEEZNS1_21radix_sort_block_sortIS4_Lb1EN6thrust23THRUST_200600_302600_NS6detail15normal_iteratorINSA_10device_ptrIiEEEESF_PS6_SG_NS0_19identity_decomposerEEE10hipError_tT1_T2_T3_T4_jRjT5_jjP12ihipStream_tbEUlT_E_NS1_11comp_targetILNS1_3genE8ELNS1_11target_archE1030ELNS1_3gpuE2ELNS1_3repE0EEENS1_44radix_sort_block_sort_config_static_selectorELNS0_4arch9wavefront6targetE0EEEvSJ_, .Lfunc_end221-_ZN7rocprim17ROCPRIM_400000_NS6detail17trampoline_kernelINS0_13kernel_configILj256ELj4ELj4294967295EEENS1_37radix_sort_block_sort_config_selectorIiNS0_10empty_typeEEEZNS1_21radix_sort_block_sortIS4_Lb1EN6thrust23THRUST_200600_302600_NS6detail15normal_iteratorINSA_10device_ptrIiEEEESF_PS6_SG_NS0_19identity_decomposerEEE10hipError_tT1_T2_T3_T4_jRjT5_jjP12ihipStream_tbEUlT_E_NS1_11comp_targetILNS1_3genE8ELNS1_11target_archE1030ELNS1_3gpuE2ELNS1_3repE0EEENS1_44radix_sort_block_sort_config_static_selectorELNS0_4arch9wavefront6targetE0EEEvSJ_
                                        ; -- End function
	.set _ZN7rocprim17ROCPRIM_400000_NS6detail17trampoline_kernelINS0_13kernel_configILj256ELj4ELj4294967295EEENS1_37radix_sort_block_sort_config_selectorIiNS0_10empty_typeEEEZNS1_21radix_sort_block_sortIS4_Lb1EN6thrust23THRUST_200600_302600_NS6detail15normal_iteratorINSA_10device_ptrIiEEEESF_PS6_SG_NS0_19identity_decomposerEEE10hipError_tT1_T2_T3_T4_jRjT5_jjP12ihipStream_tbEUlT_E_NS1_11comp_targetILNS1_3genE8ELNS1_11target_archE1030ELNS1_3gpuE2ELNS1_3repE0EEENS1_44radix_sort_block_sort_config_static_selectorELNS0_4arch9wavefront6targetE0EEEvSJ_.num_vgpr, 38
	.set _ZN7rocprim17ROCPRIM_400000_NS6detail17trampoline_kernelINS0_13kernel_configILj256ELj4ELj4294967295EEENS1_37radix_sort_block_sort_config_selectorIiNS0_10empty_typeEEEZNS1_21radix_sort_block_sortIS4_Lb1EN6thrust23THRUST_200600_302600_NS6detail15normal_iteratorINSA_10device_ptrIiEEEESF_PS6_SG_NS0_19identity_decomposerEEE10hipError_tT1_T2_T3_T4_jRjT5_jjP12ihipStream_tbEUlT_E_NS1_11comp_targetILNS1_3genE8ELNS1_11target_archE1030ELNS1_3gpuE2ELNS1_3repE0EEENS1_44radix_sort_block_sort_config_static_selectorELNS0_4arch9wavefront6targetE0EEEvSJ_.num_agpr, 0
	.set _ZN7rocprim17ROCPRIM_400000_NS6detail17trampoline_kernelINS0_13kernel_configILj256ELj4ELj4294967295EEENS1_37radix_sort_block_sort_config_selectorIiNS0_10empty_typeEEEZNS1_21radix_sort_block_sortIS4_Lb1EN6thrust23THRUST_200600_302600_NS6detail15normal_iteratorINSA_10device_ptrIiEEEESF_PS6_SG_NS0_19identity_decomposerEEE10hipError_tT1_T2_T3_T4_jRjT5_jjP12ihipStream_tbEUlT_E_NS1_11comp_targetILNS1_3genE8ELNS1_11target_archE1030ELNS1_3gpuE2ELNS1_3repE0EEENS1_44radix_sort_block_sort_config_static_selectorELNS0_4arch9wavefront6targetE0EEEvSJ_.numbered_sgpr, 28
	.set _ZN7rocprim17ROCPRIM_400000_NS6detail17trampoline_kernelINS0_13kernel_configILj256ELj4ELj4294967295EEENS1_37radix_sort_block_sort_config_selectorIiNS0_10empty_typeEEEZNS1_21radix_sort_block_sortIS4_Lb1EN6thrust23THRUST_200600_302600_NS6detail15normal_iteratorINSA_10device_ptrIiEEEESF_PS6_SG_NS0_19identity_decomposerEEE10hipError_tT1_T2_T3_T4_jRjT5_jjP12ihipStream_tbEUlT_E_NS1_11comp_targetILNS1_3genE8ELNS1_11target_archE1030ELNS1_3gpuE2ELNS1_3repE0EEENS1_44radix_sort_block_sort_config_static_selectorELNS0_4arch9wavefront6targetE0EEEvSJ_.num_named_barrier, 0
	.set _ZN7rocprim17ROCPRIM_400000_NS6detail17trampoline_kernelINS0_13kernel_configILj256ELj4ELj4294967295EEENS1_37radix_sort_block_sort_config_selectorIiNS0_10empty_typeEEEZNS1_21radix_sort_block_sortIS4_Lb1EN6thrust23THRUST_200600_302600_NS6detail15normal_iteratorINSA_10device_ptrIiEEEESF_PS6_SG_NS0_19identity_decomposerEEE10hipError_tT1_T2_T3_T4_jRjT5_jjP12ihipStream_tbEUlT_E_NS1_11comp_targetILNS1_3genE8ELNS1_11target_archE1030ELNS1_3gpuE2ELNS1_3repE0EEENS1_44radix_sort_block_sort_config_static_selectorELNS0_4arch9wavefront6targetE0EEEvSJ_.private_seg_size, 0
	.set _ZN7rocprim17ROCPRIM_400000_NS6detail17trampoline_kernelINS0_13kernel_configILj256ELj4ELj4294967295EEENS1_37radix_sort_block_sort_config_selectorIiNS0_10empty_typeEEEZNS1_21radix_sort_block_sortIS4_Lb1EN6thrust23THRUST_200600_302600_NS6detail15normal_iteratorINSA_10device_ptrIiEEEESF_PS6_SG_NS0_19identity_decomposerEEE10hipError_tT1_T2_T3_T4_jRjT5_jjP12ihipStream_tbEUlT_E_NS1_11comp_targetILNS1_3genE8ELNS1_11target_archE1030ELNS1_3gpuE2ELNS1_3repE0EEENS1_44radix_sort_block_sort_config_static_selectorELNS0_4arch9wavefront6targetE0EEEvSJ_.uses_vcc, 1
	.set _ZN7rocprim17ROCPRIM_400000_NS6detail17trampoline_kernelINS0_13kernel_configILj256ELj4ELj4294967295EEENS1_37radix_sort_block_sort_config_selectorIiNS0_10empty_typeEEEZNS1_21radix_sort_block_sortIS4_Lb1EN6thrust23THRUST_200600_302600_NS6detail15normal_iteratorINSA_10device_ptrIiEEEESF_PS6_SG_NS0_19identity_decomposerEEE10hipError_tT1_T2_T3_T4_jRjT5_jjP12ihipStream_tbEUlT_E_NS1_11comp_targetILNS1_3genE8ELNS1_11target_archE1030ELNS1_3gpuE2ELNS1_3repE0EEENS1_44radix_sort_block_sort_config_static_selectorELNS0_4arch9wavefront6targetE0EEEvSJ_.uses_flat_scratch, 0
	.set _ZN7rocprim17ROCPRIM_400000_NS6detail17trampoline_kernelINS0_13kernel_configILj256ELj4ELj4294967295EEENS1_37radix_sort_block_sort_config_selectorIiNS0_10empty_typeEEEZNS1_21radix_sort_block_sortIS4_Lb1EN6thrust23THRUST_200600_302600_NS6detail15normal_iteratorINSA_10device_ptrIiEEEESF_PS6_SG_NS0_19identity_decomposerEEE10hipError_tT1_T2_T3_T4_jRjT5_jjP12ihipStream_tbEUlT_E_NS1_11comp_targetILNS1_3genE8ELNS1_11target_archE1030ELNS1_3gpuE2ELNS1_3repE0EEENS1_44radix_sort_block_sort_config_static_selectorELNS0_4arch9wavefront6targetE0EEEvSJ_.has_dyn_sized_stack, 0
	.set _ZN7rocprim17ROCPRIM_400000_NS6detail17trampoline_kernelINS0_13kernel_configILj256ELj4ELj4294967295EEENS1_37radix_sort_block_sort_config_selectorIiNS0_10empty_typeEEEZNS1_21radix_sort_block_sortIS4_Lb1EN6thrust23THRUST_200600_302600_NS6detail15normal_iteratorINSA_10device_ptrIiEEEESF_PS6_SG_NS0_19identity_decomposerEEE10hipError_tT1_T2_T3_T4_jRjT5_jjP12ihipStream_tbEUlT_E_NS1_11comp_targetILNS1_3genE8ELNS1_11target_archE1030ELNS1_3gpuE2ELNS1_3repE0EEENS1_44radix_sort_block_sort_config_static_selectorELNS0_4arch9wavefront6targetE0EEEvSJ_.has_recursion, 0
	.set _ZN7rocprim17ROCPRIM_400000_NS6detail17trampoline_kernelINS0_13kernel_configILj256ELj4ELj4294967295EEENS1_37radix_sort_block_sort_config_selectorIiNS0_10empty_typeEEEZNS1_21radix_sort_block_sortIS4_Lb1EN6thrust23THRUST_200600_302600_NS6detail15normal_iteratorINSA_10device_ptrIiEEEESF_PS6_SG_NS0_19identity_decomposerEEE10hipError_tT1_T2_T3_T4_jRjT5_jjP12ihipStream_tbEUlT_E_NS1_11comp_targetILNS1_3genE8ELNS1_11target_archE1030ELNS1_3gpuE2ELNS1_3repE0EEENS1_44radix_sort_block_sort_config_static_selectorELNS0_4arch9wavefront6targetE0EEEvSJ_.has_indirect_call, 0
	.section	.AMDGPU.csdata,"",@progbits
; Kernel info:
; codeLenInByte = 3016
; TotalNumSgprs: 30
; NumVgprs: 38
; ScratchSize: 0
; MemoryBound: 0
; FloatMode: 240
; IeeeMode: 1
; LDSByteSize: 8224 bytes/workgroup (compile time only)
; SGPRBlocks: 0
; VGPRBlocks: 4
; NumSGPRsForWavesPerEU: 30
; NumVGPRsForWavesPerEU: 38
; Occupancy: 16
; WaveLimiterHint : 1
; COMPUTE_PGM_RSRC2:SCRATCH_EN: 0
; COMPUTE_PGM_RSRC2:USER_SGPR: 6
; COMPUTE_PGM_RSRC2:TRAP_HANDLER: 0
; COMPUTE_PGM_RSRC2:TGID_X_EN: 1
; COMPUTE_PGM_RSRC2:TGID_Y_EN: 0
; COMPUTE_PGM_RSRC2:TGID_Z_EN: 0
; COMPUTE_PGM_RSRC2:TIDIG_COMP_CNT: 2
	.section	.text._ZN7rocprim17ROCPRIM_400000_NS6detail17trampoline_kernelINS0_14default_configENS1_38merge_sort_block_merge_config_selectorIiNS0_10empty_typeEEEZZNS1_27merge_sort_block_merge_implIS3_N6thrust23THRUST_200600_302600_NS6detail15normal_iteratorINS9_10device_ptrIiEEEEPS5_jNS1_19radix_merge_compareILb1ELb0EiNS0_19identity_decomposerEEEEE10hipError_tT0_T1_T2_jT3_P12ihipStream_tbPNSt15iterator_traitsISK_E10value_typeEPNSQ_ISL_E10value_typeEPSM_NS1_7vsmem_tEENKUlT_SK_SL_SM_E_clIPiSE_SF_SF_EESJ_SZ_SK_SL_SM_EUlSZ_E_NS1_11comp_targetILNS1_3genE0ELNS1_11target_archE4294967295ELNS1_3gpuE0ELNS1_3repE0EEENS1_48merge_mergepath_partition_config_static_selectorELNS0_4arch9wavefront6targetE0EEEvSL_,"axG",@progbits,_ZN7rocprim17ROCPRIM_400000_NS6detail17trampoline_kernelINS0_14default_configENS1_38merge_sort_block_merge_config_selectorIiNS0_10empty_typeEEEZZNS1_27merge_sort_block_merge_implIS3_N6thrust23THRUST_200600_302600_NS6detail15normal_iteratorINS9_10device_ptrIiEEEEPS5_jNS1_19radix_merge_compareILb1ELb0EiNS0_19identity_decomposerEEEEE10hipError_tT0_T1_T2_jT3_P12ihipStream_tbPNSt15iterator_traitsISK_E10value_typeEPNSQ_ISL_E10value_typeEPSM_NS1_7vsmem_tEENKUlT_SK_SL_SM_E_clIPiSE_SF_SF_EESJ_SZ_SK_SL_SM_EUlSZ_E_NS1_11comp_targetILNS1_3genE0ELNS1_11target_archE4294967295ELNS1_3gpuE0ELNS1_3repE0EEENS1_48merge_mergepath_partition_config_static_selectorELNS0_4arch9wavefront6targetE0EEEvSL_,comdat
	.protected	_ZN7rocprim17ROCPRIM_400000_NS6detail17trampoline_kernelINS0_14default_configENS1_38merge_sort_block_merge_config_selectorIiNS0_10empty_typeEEEZZNS1_27merge_sort_block_merge_implIS3_N6thrust23THRUST_200600_302600_NS6detail15normal_iteratorINS9_10device_ptrIiEEEEPS5_jNS1_19radix_merge_compareILb1ELb0EiNS0_19identity_decomposerEEEEE10hipError_tT0_T1_T2_jT3_P12ihipStream_tbPNSt15iterator_traitsISK_E10value_typeEPNSQ_ISL_E10value_typeEPSM_NS1_7vsmem_tEENKUlT_SK_SL_SM_E_clIPiSE_SF_SF_EESJ_SZ_SK_SL_SM_EUlSZ_E_NS1_11comp_targetILNS1_3genE0ELNS1_11target_archE4294967295ELNS1_3gpuE0ELNS1_3repE0EEENS1_48merge_mergepath_partition_config_static_selectorELNS0_4arch9wavefront6targetE0EEEvSL_ ; -- Begin function _ZN7rocprim17ROCPRIM_400000_NS6detail17trampoline_kernelINS0_14default_configENS1_38merge_sort_block_merge_config_selectorIiNS0_10empty_typeEEEZZNS1_27merge_sort_block_merge_implIS3_N6thrust23THRUST_200600_302600_NS6detail15normal_iteratorINS9_10device_ptrIiEEEEPS5_jNS1_19radix_merge_compareILb1ELb0EiNS0_19identity_decomposerEEEEE10hipError_tT0_T1_T2_jT3_P12ihipStream_tbPNSt15iterator_traitsISK_E10value_typeEPNSQ_ISL_E10value_typeEPSM_NS1_7vsmem_tEENKUlT_SK_SL_SM_E_clIPiSE_SF_SF_EESJ_SZ_SK_SL_SM_EUlSZ_E_NS1_11comp_targetILNS1_3genE0ELNS1_11target_archE4294967295ELNS1_3gpuE0ELNS1_3repE0EEENS1_48merge_mergepath_partition_config_static_selectorELNS0_4arch9wavefront6targetE0EEEvSL_
	.globl	_ZN7rocprim17ROCPRIM_400000_NS6detail17trampoline_kernelINS0_14default_configENS1_38merge_sort_block_merge_config_selectorIiNS0_10empty_typeEEEZZNS1_27merge_sort_block_merge_implIS3_N6thrust23THRUST_200600_302600_NS6detail15normal_iteratorINS9_10device_ptrIiEEEEPS5_jNS1_19radix_merge_compareILb1ELb0EiNS0_19identity_decomposerEEEEE10hipError_tT0_T1_T2_jT3_P12ihipStream_tbPNSt15iterator_traitsISK_E10value_typeEPNSQ_ISL_E10value_typeEPSM_NS1_7vsmem_tEENKUlT_SK_SL_SM_E_clIPiSE_SF_SF_EESJ_SZ_SK_SL_SM_EUlSZ_E_NS1_11comp_targetILNS1_3genE0ELNS1_11target_archE4294967295ELNS1_3gpuE0ELNS1_3repE0EEENS1_48merge_mergepath_partition_config_static_selectorELNS0_4arch9wavefront6targetE0EEEvSL_
	.p2align	8
	.type	_ZN7rocprim17ROCPRIM_400000_NS6detail17trampoline_kernelINS0_14default_configENS1_38merge_sort_block_merge_config_selectorIiNS0_10empty_typeEEEZZNS1_27merge_sort_block_merge_implIS3_N6thrust23THRUST_200600_302600_NS6detail15normal_iteratorINS9_10device_ptrIiEEEEPS5_jNS1_19radix_merge_compareILb1ELb0EiNS0_19identity_decomposerEEEEE10hipError_tT0_T1_T2_jT3_P12ihipStream_tbPNSt15iterator_traitsISK_E10value_typeEPNSQ_ISL_E10value_typeEPSM_NS1_7vsmem_tEENKUlT_SK_SL_SM_E_clIPiSE_SF_SF_EESJ_SZ_SK_SL_SM_EUlSZ_E_NS1_11comp_targetILNS1_3genE0ELNS1_11target_archE4294967295ELNS1_3gpuE0ELNS1_3repE0EEENS1_48merge_mergepath_partition_config_static_selectorELNS0_4arch9wavefront6targetE0EEEvSL_,@function
_ZN7rocprim17ROCPRIM_400000_NS6detail17trampoline_kernelINS0_14default_configENS1_38merge_sort_block_merge_config_selectorIiNS0_10empty_typeEEEZZNS1_27merge_sort_block_merge_implIS3_N6thrust23THRUST_200600_302600_NS6detail15normal_iteratorINS9_10device_ptrIiEEEEPS5_jNS1_19radix_merge_compareILb1ELb0EiNS0_19identity_decomposerEEEEE10hipError_tT0_T1_T2_jT3_P12ihipStream_tbPNSt15iterator_traitsISK_E10value_typeEPNSQ_ISL_E10value_typeEPSM_NS1_7vsmem_tEENKUlT_SK_SL_SM_E_clIPiSE_SF_SF_EESJ_SZ_SK_SL_SM_EUlSZ_E_NS1_11comp_targetILNS1_3genE0ELNS1_11target_archE4294967295ELNS1_3gpuE0ELNS1_3repE0EEENS1_48merge_mergepath_partition_config_static_selectorELNS0_4arch9wavefront6targetE0EEEvSL_: ; @_ZN7rocprim17ROCPRIM_400000_NS6detail17trampoline_kernelINS0_14default_configENS1_38merge_sort_block_merge_config_selectorIiNS0_10empty_typeEEEZZNS1_27merge_sort_block_merge_implIS3_N6thrust23THRUST_200600_302600_NS6detail15normal_iteratorINS9_10device_ptrIiEEEEPS5_jNS1_19radix_merge_compareILb1ELb0EiNS0_19identity_decomposerEEEEE10hipError_tT0_T1_T2_jT3_P12ihipStream_tbPNSt15iterator_traitsISK_E10value_typeEPNSQ_ISL_E10value_typeEPSM_NS1_7vsmem_tEENKUlT_SK_SL_SM_E_clIPiSE_SF_SF_EESJ_SZ_SK_SL_SM_EUlSZ_E_NS1_11comp_targetILNS1_3genE0ELNS1_11target_archE4294967295ELNS1_3gpuE0ELNS1_3repE0EEENS1_48merge_mergepath_partition_config_static_selectorELNS0_4arch9wavefront6targetE0EEEvSL_
; %bb.0:
	.section	.rodata,"a",@progbits
	.p2align	6, 0x0
	.amdhsa_kernel _ZN7rocprim17ROCPRIM_400000_NS6detail17trampoline_kernelINS0_14default_configENS1_38merge_sort_block_merge_config_selectorIiNS0_10empty_typeEEEZZNS1_27merge_sort_block_merge_implIS3_N6thrust23THRUST_200600_302600_NS6detail15normal_iteratorINS9_10device_ptrIiEEEEPS5_jNS1_19radix_merge_compareILb1ELb0EiNS0_19identity_decomposerEEEEE10hipError_tT0_T1_T2_jT3_P12ihipStream_tbPNSt15iterator_traitsISK_E10value_typeEPNSQ_ISL_E10value_typeEPSM_NS1_7vsmem_tEENKUlT_SK_SL_SM_E_clIPiSE_SF_SF_EESJ_SZ_SK_SL_SM_EUlSZ_E_NS1_11comp_targetILNS1_3genE0ELNS1_11target_archE4294967295ELNS1_3gpuE0ELNS1_3repE0EEENS1_48merge_mergepath_partition_config_static_selectorELNS0_4arch9wavefront6targetE0EEEvSL_
		.amdhsa_group_segment_fixed_size 0
		.amdhsa_private_segment_fixed_size 0
		.amdhsa_kernarg_size 40
		.amdhsa_user_sgpr_count 6
		.amdhsa_user_sgpr_private_segment_buffer 1
		.amdhsa_user_sgpr_dispatch_ptr 0
		.amdhsa_user_sgpr_queue_ptr 0
		.amdhsa_user_sgpr_kernarg_segment_ptr 1
		.amdhsa_user_sgpr_dispatch_id 0
		.amdhsa_user_sgpr_flat_scratch_init 0
		.amdhsa_user_sgpr_private_segment_size 0
		.amdhsa_wavefront_size32 1
		.amdhsa_uses_dynamic_stack 0
		.amdhsa_system_sgpr_private_segment_wavefront_offset 0
		.amdhsa_system_sgpr_workgroup_id_x 1
		.amdhsa_system_sgpr_workgroup_id_y 0
		.amdhsa_system_sgpr_workgroup_id_z 0
		.amdhsa_system_sgpr_workgroup_info 0
		.amdhsa_system_vgpr_workitem_id 0
		.amdhsa_next_free_vgpr 1
		.amdhsa_next_free_sgpr 1
		.amdhsa_reserve_vcc 0
		.amdhsa_reserve_flat_scratch 0
		.amdhsa_float_round_mode_32 0
		.amdhsa_float_round_mode_16_64 0
		.amdhsa_float_denorm_mode_32 3
		.amdhsa_float_denorm_mode_16_64 3
		.amdhsa_dx10_clamp 1
		.amdhsa_ieee_mode 1
		.amdhsa_fp16_overflow 0
		.amdhsa_workgroup_processor_mode 1
		.amdhsa_memory_ordered 1
		.amdhsa_forward_progress 1
		.amdhsa_shared_vgpr_count 0
		.amdhsa_exception_fp_ieee_invalid_op 0
		.amdhsa_exception_fp_denorm_src 0
		.amdhsa_exception_fp_ieee_div_zero 0
		.amdhsa_exception_fp_ieee_overflow 0
		.amdhsa_exception_fp_ieee_underflow 0
		.amdhsa_exception_fp_ieee_inexact 0
		.amdhsa_exception_int_div_zero 0
	.end_amdhsa_kernel
	.section	.text._ZN7rocprim17ROCPRIM_400000_NS6detail17trampoline_kernelINS0_14default_configENS1_38merge_sort_block_merge_config_selectorIiNS0_10empty_typeEEEZZNS1_27merge_sort_block_merge_implIS3_N6thrust23THRUST_200600_302600_NS6detail15normal_iteratorINS9_10device_ptrIiEEEEPS5_jNS1_19radix_merge_compareILb1ELb0EiNS0_19identity_decomposerEEEEE10hipError_tT0_T1_T2_jT3_P12ihipStream_tbPNSt15iterator_traitsISK_E10value_typeEPNSQ_ISL_E10value_typeEPSM_NS1_7vsmem_tEENKUlT_SK_SL_SM_E_clIPiSE_SF_SF_EESJ_SZ_SK_SL_SM_EUlSZ_E_NS1_11comp_targetILNS1_3genE0ELNS1_11target_archE4294967295ELNS1_3gpuE0ELNS1_3repE0EEENS1_48merge_mergepath_partition_config_static_selectorELNS0_4arch9wavefront6targetE0EEEvSL_,"axG",@progbits,_ZN7rocprim17ROCPRIM_400000_NS6detail17trampoline_kernelINS0_14default_configENS1_38merge_sort_block_merge_config_selectorIiNS0_10empty_typeEEEZZNS1_27merge_sort_block_merge_implIS3_N6thrust23THRUST_200600_302600_NS6detail15normal_iteratorINS9_10device_ptrIiEEEEPS5_jNS1_19radix_merge_compareILb1ELb0EiNS0_19identity_decomposerEEEEE10hipError_tT0_T1_T2_jT3_P12ihipStream_tbPNSt15iterator_traitsISK_E10value_typeEPNSQ_ISL_E10value_typeEPSM_NS1_7vsmem_tEENKUlT_SK_SL_SM_E_clIPiSE_SF_SF_EESJ_SZ_SK_SL_SM_EUlSZ_E_NS1_11comp_targetILNS1_3genE0ELNS1_11target_archE4294967295ELNS1_3gpuE0ELNS1_3repE0EEENS1_48merge_mergepath_partition_config_static_selectorELNS0_4arch9wavefront6targetE0EEEvSL_,comdat
.Lfunc_end222:
	.size	_ZN7rocprim17ROCPRIM_400000_NS6detail17trampoline_kernelINS0_14default_configENS1_38merge_sort_block_merge_config_selectorIiNS0_10empty_typeEEEZZNS1_27merge_sort_block_merge_implIS3_N6thrust23THRUST_200600_302600_NS6detail15normal_iteratorINS9_10device_ptrIiEEEEPS5_jNS1_19radix_merge_compareILb1ELb0EiNS0_19identity_decomposerEEEEE10hipError_tT0_T1_T2_jT3_P12ihipStream_tbPNSt15iterator_traitsISK_E10value_typeEPNSQ_ISL_E10value_typeEPSM_NS1_7vsmem_tEENKUlT_SK_SL_SM_E_clIPiSE_SF_SF_EESJ_SZ_SK_SL_SM_EUlSZ_E_NS1_11comp_targetILNS1_3genE0ELNS1_11target_archE4294967295ELNS1_3gpuE0ELNS1_3repE0EEENS1_48merge_mergepath_partition_config_static_selectorELNS0_4arch9wavefront6targetE0EEEvSL_, .Lfunc_end222-_ZN7rocprim17ROCPRIM_400000_NS6detail17trampoline_kernelINS0_14default_configENS1_38merge_sort_block_merge_config_selectorIiNS0_10empty_typeEEEZZNS1_27merge_sort_block_merge_implIS3_N6thrust23THRUST_200600_302600_NS6detail15normal_iteratorINS9_10device_ptrIiEEEEPS5_jNS1_19radix_merge_compareILb1ELb0EiNS0_19identity_decomposerEEEEE10hipError_tT0_T1_T2_jT3_P12ihipStream_tbPNSt15iterator_traitsISK_E10value_typeEPNSQ_ISL_E10value_typeEPSM_NS1_7vsmem_tEENKUlT_SK_SL_SM_E_clIPiSE_SF_SF_EESJ_SZ_SK_SL_SM_EUlSZ_E_NS1_11comp_targetILNS1_3genE0ELNS1_11target_archE4294967295ELNS1_3gpuE0ELNS1_3repE0EEENS1_48merge_mergepath_partition_config_static_selectorELNS0_4arch9wavefront6targetE0EEEvSL_
                                        ; -- End function
	.set _ZN7rocprim17ROCPRIM_400000_NS6detail17trampoline_kernelINS0_14default_configENS1_38merge_sort_block_merge_config_selectorIiNS0_10empty_typeEEEZZNS1_27merge_sort_block_merge_implIS3_N6thrust23THRUST_200600_302600_NS6detail15normal_iteratorINS9_10device_ptrIiEEEEPS5_jNS1_19radix_merge_compareILb1ELb0EiNS0_19identity_decomposerEEEEE10hipError_tT0_T1_T2_jT3_P12ihipStream_tbPNSt15iterator_traitsISK_E10value_typeEPNSQ_ISL_E10value_typeEPSM_NS1_7vsmem_tEENKUlT_SK_SL_SM_E_clIPiSE_SF_SF_EESJ_SZ_SK_SL_SM_EUlSZ_E_NS1_11comp_targetILNS1_3genE0ELNS1_11target_archE4294967295ELNS1_3gpuE0ELNS1_3repE0EEENS1_48merge_mergepath_partition_config_static_selectorELNS0_4arch9wavefront6targetE0EEEvSL_.num_vgpr, 0
	.set _ZN7rocprim17ROCPRIM_400000_NS6detail17trampoline_kernelINS0_14default_configENS1_38merge_sort_block_merge_config_selectorIiNS0_10empty_typeEEEZZNS1_27merge_sort_block_merge_implIS3_N6thrust23THRUST_200600_302600_NS6detail15normal_iteratorINS9_10device_ptrIiEEEEPS5_jNS1_19radix_merge_compareILb1ELb0EiNS0_19identity_decomposerEEEEE10hipError_tT0_T1_T2_jT3_P12ihipStream_tbPNSt15iterator_traitsISK_E10value_typeEPNSQ_ISL_E10value_typeEPSM_NS1_7vsmem_tEENKUlT_SK_SL_SM_E_clIPiSE_SF_SF_EESJ_SZ_SK_SL_SM_EUlSZ_E_NS1_11comp_targetILNS1_3genE0ELNS1_11target_archE4294967295ELNS1_3gpuE0ELNS1_3repE0EEENS1_48merge_mergepath_partition_config_static_selectorELNS0_4arch9wavefront6targetE0EEEvSL_.num_agpr, 0
	.set _ZN7rocprim17ROCPRIM_400000_NS6detail17trampoline_kernelINS0_14default_configENS1_38merge_sort_block_merge_config_selectorIiNS0_10empty_typeEEEZZNS1_27merge_sort_block_merge_implIS3_N6thrust23THRUST_200600_302600_NS6detail15normal_iteratorINS9_10device_ptrIiEEEEPS5_jNS1_19radix_merge_compareILb1ELb0EiNS0_19identity_decomposerEEEEE10hipError_tT0_T1_T2_jT3_P12ihipStream_tbPNSt15iterator_traitsISK_E10value_typeEPNSQ_ISL_E10value_typeEPSM_NS1_7vsmem_tEENKUlT_SK_SL_SM_E_clIPiSE_SF_SF_EESJ_SZ_SK_SL_SM_EUlSZ_E_NS1_11comp_targetILNS1_3genE0ELNS1_11target_archE4294967295ELNS1_3gpuE0ELNS1_3repE0EEENS1_48merge_mergepath_partition_config_static_selectorELNS0_4arch9wavefront6targetE0EEEvSL_.numbered_sgpr, 0
	.set _ZN7rocprim17ROCPRIM_400000_NS6detail17trampoline_kernelINS0_14default_configENS1_38merge_sort_block_merge_config_selectorIiNS0_10empty_typeEEEZZNS1_27merge_sort_block_merge_implIS3_N6thrust23THRUST_200600_302600_NS6detail15normal_iteratorINS9_10device_ptrIiEEEEPS5_jNS1_19radix_merge_compareILb1ELb0EiNS0_19identity_decomposerEEEEE10hipError_tT0_T1_T2_jT3_P12ihipStream_tbPNSt15iterator_traitsISK_E10value_typeEPNSQ_ISL_E10value_typeEPSM_NS1_7vsmem_tEENKUlT_SK_SL_SM_E_clIPiSE_SF_SF_EESJ_SZ_SK_SL_SM_EUlSZ_E_NS1_11comp_targetILNS1_3genE0ELNS1_11target_archE4294967295ELNS1_3gpuE0ELNS1_3repE0EEENS1_48merge_mergepath_partition_config_static_selectorELNS0_4arch9wavefront6targetE0EEEvSL_.num_named_barrier, 0
	.set _ZN7rocprim17ROCPRIM_400000_NS6detail17trampoline_kernelINS0_14default_configENS1_38merge_sort_block_merge_config_selectorIiNS0_10empty_typeEEEZZNS1_27merge_sort_block_merge_implIS3_N6thrust23THRUST_200600_302600_NS6detail15normal_iteratorINS9_10device_ptrIiEEEEPS5_jNS1_19radix_merge_compareILb1ELb0EiNS0_19identity_decomposerEEEEE10hipError_tT0_T1_T2_jT3_P12ihipStream_tbPNSt15iterator_traitsISK_E10value_typeEPNSQ_ISL_E10value_typeEPSM_NS1_7vsmem_tEENKUlT_SK_SL_SM_E_clIPiSE_SF_SF_EESJ_SZ_SK_SL_SM_EUlSZ_E_NS1_11comp_targetILNS1_3genE0ELNS1_11target_archE4294967295ELNS1_3gpuE0ELNS1_3repE0EEENS1_48merge_mergepath_partition_config_static_selectorELNS0_4arch9wavefront6targetE0EEEvSL_.private_seg_size, 0
	.set _ZN7rocprim17ROCPRIM_400000_NS6detail17trampoline_kernelINS0_14default_configENS1_38merge_sort_block_merge_config_selectorIiNS0_10empty_typeEEEZZNS1_27merge_sort_block_merge_implIS3_N6thrust23THRUST_200600_302600_NS6detail15normal_iteratorINS9_10device_ptrIiEEEEPS5_jNS1_19radix_merge_compareILb1ELb0EiNS0_19identity_decomposerEEEEE10hipError_tT0_T1_T2_jT3_P12ihipStream_tbPNSt15iterator_traitsISK_E10value_typeEPNSQ_ISL_E10value_typeEPSM_NS1_7vsmem_tEENKUlT_SK_SL_SM_E_clIPiSE_SF_SF_EESJ_SZ_SK_SL_SM_EUlSZ_E_NS1_11comp_targetILNS1_3genE0ELNS1_11target_archE4294967295ELNS1_3gpuE0ELNS1_3repE0EEENS1_48merge_mergepath_partition_config_static_selectorELNS0_4arch9wavefront6targetE0EEEvSL_.uses_vcc, 0
	.set _ZN7rocprim17ROCPRIM_400000_NS6detail17trampoline_kernelINS0_14default_configENS1_38merge_sort_block_merge_config_selectorIiNS0_10empty_typeEEEZZNS1_27merge_sort_block_merge_implIS3_N6thrust23THRUST_200600_302600_NS6detail15normal_iteratorINS9_10device_ptrIiEEEEPS5_jNS1_19radix_merge_compareILb1ELb0EiNS0_19identity_decomposerEEEEE10hipError_tT0_T1_T2_jT3_P12ihipStream_tbPNSt15iterator_traitsISK_E10value_typeEPNSQ_ISL_E10value_typeEPSM_NS1_7vsmem_tEENKUlT_SK_SL_SM_E_clIPiSE_SF_SF_EESJ_SZ_SK_SL_SM_EUlSZ_E_NS1_11comp_targetILNS1_3genE0ELNS1_11target_archE4294967295ELNS1_3gpuE0ELNS1_3repE0EEENS1_48merge_mergepath_partition_config_static_selectorELNS0_4arch9wavefront6targetE0EEEvSL_.uses_flat_scratch, 0
	.set _ZN7rocprim17ROCPRIM_400000_NS6detail17trampoline_kernelINS0_14default_configENS1_38merge_sort_block_merge_config_selectorIiNS0_10empty_typeEEEZZNS1_27merge_sort_block_merge_implIS3_N6thrust23THRUST_200600_302600_NS6detail15normal_iteratorINS9_10device_ptrIiEEEEPS5_jNS1_19radix_merge_compareILb1ELb0EiNS0_19identity_decomposerEEEEE10hipError_tT0_T1_T2_jT3_P12ihipStream_tbPNSt15iterator_traitsISK_E10value_typeEPNSQ_ISL_E10value_typeEPSM_NS1_7vsmem_tEENKUlT_SK_SL_SM_E_clIPiSE_SF_SF_EESJ_SZ_SK_SL_SM_EUlSZ_E_NS1_11comp_targetILNS1_3genE0ELNS1_11target_archE4294967295ELNS1_3gpuE0ELNS1_3repE0EEENS1_48merge_mergepath_partition_config_static_selectorELNS0_4arch9wavefront6targetE0EEEvSL_.has_dyn_sized_stack, 0
	.set _ZN7rocprim17ROCPRIM_400000_NS6detail17trampoline_kernelINS0_14default_configENS1_38merge_sort_block_merge_config_selectorIiNS0_10empty_typeEEEZZNS1_27merge_sort_block_merge_implIS3_N6thrust23THRUST_200600_302600_NS6detail15normal_iteratorINS9_10device_ptrIiEEEEPS5_jNS1_19radix_merge_compareILb1ELb0EiNS0_19identity_decomposerEEEEE10hipError_tT0_T1_T2_jT3_P12ihipStream_tbPNSt15iterator_traitsISK_E10value_typeEPNSQ_ISL_E10value_typeEPSM_NS1_7vsmem_tEENKUlT_SK_SL_SM_E_clIPiSE_SF_SF_EESJ_SZ_SK_SL_SM_EUlSZ_E_NS1_11comp_targetILNS1_3genE0ELNS1_11target_archE4294967295ELNS1_3gpuE0ELNS1_3repE0EEENS1_48merge_mergepath_partition_config_static_selectorELNS0_4arch9wavefront6targetE0EEEvSL_.has_recursion, 0
	.set _ZN7rocprim17ROCPRIM_400000_NS6detail17trampoline_kernelINS0_14default_configENS1_38merge_sort_block_merge_config_selectorIiNS0_10empty_typeEEEZZNS1_27merge_sort_block_merge_implIS3_N6thrust23THRUST_200600_302600_NS6detail15normal_iteratorINS9_10device_ptrIiEEEEPS5_jNS1_19radix_merge_compareILb1ELb0EiNS0_19identity_decomposerEEEEE10hipError_tT0_T1_T2_jT3_P12ihipStream_tbPNSt15iterator_traitsISK_E10value_typeEPNSQ_ISL_E10value_typeEPSM_NS1_7vsmem_tEENKUlT_SK_SL_SM_E_clIPiSE_SF_SF_EESJ_SZ_SK_SL_SM_EUlSZ_E_NS1_11comp_targetILNS1_3genE0ELNS1_11target_archE4294967295ELNS1_3gpuE0ELNS1_3repE0EEENS1_48merge_mergepath_partition_config_static_selectorELNS0_4arch9wavefront6targetE0EEEvSL_.has_indirect_call, 0
	.section	.AMDGPU.csdata,"",@progbits
; Kernel info:
; codeLenInByte = 0
; TotalNumSgprs: 0
; NumVgprs: 0
; ScratchSize: 0
; MemoryBound: 0
; FloatMode: 240
; IeeeMode: 1
; LDSByteSize: 0 bytes/workgroup (compile time only)
; SGPRBlocks: 0
; VGPRBlocks: 0
; NumSGPRsForWavesPerEU: 1
; NumVGPRsForWavesPerEU: 1
; Occupancy: 16
; WaveLimiterHint : 0
; COMPUTE_PGM_RSRC2:SCRATCH_EN: 0
; COMPUTE_PGM_RSRC2:USER_SGPR: 6
; COMPUTE_PGM_RSRC2:TRAP_HANDLER: 0
; COMPUTE_PGM_RSRC2:TGID_X_EN: 1
; COMPUTE_PGM_RSRC2:TGID_Y_EN: 0
; COMPUTE_PGM_RSRC2:TGID_Z_EN: 0
; COMPUTE_PGM_RSRC2:TIDIG_COMP_CNT: 0
	.section	.text._ZN7rocprim17ROCPRIM_400000_NS6detail17trampoline_kernelINS0_14default_configENS1_38merge_sort_block_merge_config_selectorIiNS0_10empty_typeEEEZZNS1_27merge_sort_block_merge_implIS3_N6thrust23THRUST_200600_302600_NS6detail15normal_iteratorINS9_10device_ptrIiEEEEPS5_jNS1_19radix_merge_compareILb1ELb0EiNS0_19identity_decomposerEEEEE10hipError_tT0_T1_T2_jT3_P12ihipStream_tbPNSt15iterator_traitsISK_E10value_typeEPNSQ_ISL_E10value_typeEPSM_NS1_7vsmem_tEENKUlT_SK_SL_SM_E_clIPiSE_SF_SF_EESJ_SZ_SK_SL_SM_EUlSZ_E_NS1_11comp_targetILNS1_3genE10ELNS1_11target_archE1201ELNS1_3gpuE5ELNS1_3repE0EEENS1_48merge_mergepath_partition_config_static_selectorELNS0_4arch9wavefront6targetE0EEEvSL_,"axG",@progbits,_ZN7rocprim17ROCPRIM_400000_NS6detail17trampoline_kernelINS0_14default_configENS1_38merge_sort_block_merge_config_selectorIiNS0_10empty_typeEEEZZNS1_27merge_sort_block_merge_implIS3_N6thrust23THRUST_200600_302600_NS6detail15normal_iteratorINS9_10device_ptrIiEEEEPS5_jNS1_19radix_merge_compareILb1ELb0EiNS0_19identity_decomposerEEEEE10hipError_tT0_T1_T2_jT3_P12ihipStream_tbPNSt15iterator_traitsISK_E10value_typeEPNSQ_ISL_E10value_typeEPSM_NS1_7vsmem_tEENKUlT_SK_SL_SM_E_clIPiSE_SF_SF_EESJ_SZ_SK_SL_SM_EUlSZ_E_NS1_11comp_targetILNS1_3genE10ELNS1_11target_archE1201ELNS1_3gpuE5ELNS1_3repE0EEENS1_48merge_mergepath_partition_config_static_selectorELNS0_4arch9wavefront6targetE0EEEvSL_,comdat
	.protected	_ZN7rocprim17ROCPRIM_400000_NS6detail17trampoline_kernelINS0_14default_configENS1_38merge_sort_block_merge_config_selectorIiNS0_10empty_typeEEEZZNS1_27merge_sort_block_merge_implIS3_N6thrust23THRUST_200600_302600_NS6detail15normal_iteratorINS9_10device_ptrIiEEEEPS5_jNS1_19radix_merge_compareILb1ELb0EiNS0_19identity_decomposerEEEEE10hipError_tT0_T1_T2_jT3_P12ihipStream_tbPNSt15iterator_traitsISK_E10value_typeEPNSQ_ISL_E10value_typeEPSM_NS1_7vsmem_tEENKUlT_SK_SL_SM_E_clIPiSE_SF_SF_EESJ_SZ_SK_SL_SM_EUlSZ_E_NS1_11comp_targetILNS1_3genE10ELNS1_11target_archE1201ELNS1_3gpuE5ELNS1_3repE0EEENS1_48merge_mergepath_partition_config_static_selectorELNS0_4arch9wavefront6targetE0EEEvSL_ ; -- Begin function _ZN7rocprim17ROCPRIM_400000_NS6detail17trampoline_kernelINS0_14default_configENS1_38merge_sort_block_merge_config_selectorIiNS0_10empty_typeEEEZZNS1_27merge_sort_block_merge_implIS3_N6thrust23THRUST_200600_302600_NS6detail15normal_iteratorINS9_10device_ptrIiEEEEPS5_jNS1_19radix_merge_compareILb1ELb0EiNS0_19identity_decomposerEEEEE10hipError_tT0_T1_T2_jT3_P12ihipStream_tbPNSt15iterator_traitsISK_E10value_typeEPNSQ_ISL_E10value_typeEPSM_NS1_7vsmem_tEENKUlT_SK_SL_SM_E_clIPiSE_SF_SF_EESJ_SZ_SK_SL_SM_EUlSZ_E_NS1_11comp_targetILNS1_3genE10ELNS1_11target_archE1201ELNS1_3gpuE5ELNS1_3repE0EEENS1_48merge_mergepath_partition_config_static_selectorELNS0_4arch9wavefront6targetE0EEEvSL_
	.globl	_ZN7rocprim17ROCPRIM_400000_NS6detail17trampoline_kernelINS0_14default_configENS1_38merge_sort_block_merge_config_selectorIiNS0_10empty_typeEEEZZNS1_27merge_sort_block_merge_implIS3_N6thrust23THRUST_200600_302600_NS6detail15normal_iteratorINS9_10device_ptrIiEEEEPS5_jNS1_19radix_merge_compareILb1ELb0EiNS0_19identity_decomposerEEEEE10hipError_tT0_T1_T2_jT3_P12ihipStream_tbPNSt15iterator_traitsISK_E10value_typeEPNSQ_ISL_E10value_typeEPSM_NS1_7vsmem_tEENKUlT_SK_SL_SM_E_clIPiSE_SF_SF_EESJ_SZ_SK_SL_SM_EUlSZ_E_NS1_11comp_targetILNS1_3genE10ELNS1_11target_archE1201ELNS1_3gpuE5ELNS1_3repE0EEENS1_48merge_mergepath_partition_config_static_selectorELNS0_4arch9wavefront6targetE0EEEvSL_
	.p2align	8
	.type	_ZN7rocprim17ROCPRIM_400000_NS6detail17trampoline_kernelINS0_14default_configENS1_38merge_sort_block_merge_config_selectorIiNS0_10empty_typeEEEZZNS1_27merge_sort_block_merge_implIS3_N6thrust23THRUST_200600_302600_NS6detail15normal_iteratorINS9_10device_ptrIiEEEEPS5_jNS1_19radix_merge_compareILb1ELb0EiNS0_19identity_decomposerEEEEE10hipError_tT0_T1_T2_jT3_P12ihipStream_tbPNSt15iterator_traitsISK_E10value_typeEPNSQ_ISL_E10value_typeEPSM_NS1_7vsmem_tEENKUlT_SK_SL_SM_E_clIPiSE_SF_SF_EESJ_SZ_SK_SL_SM_EUlSZ_E_NS1_11comp_targetILNS1_3genE10ELNS1_11target_archE1201ELNS1_3gpuE5ELNS1_3repE0EEENS1_48merge_mergepath_partition_config_static_selectorELNS0_4arch9wavefront6targetE0EEEvSL_,@function
_ZN7rocprim17ROCPRIM_400000_NS6detail17trampoline_kernelINS0_14default_configENS1_38merge_sort_block_merge_config_selectorIiNS0_10empty_typeEEEZZNS1_27merge_sort_block_merge_implIS3_N6thrust23THRUST_200600_302600_NS6detail15normal_iteratorINS9_10device_ptrIiEEEEPS5_jNS1_19radix_merge_compareILb1ELb0EiNS0_19identity_decomposerEEEEE10hipError_tT0_T1_T2_jT3_P12ihipStream_tbPNSt15iterator_traitsISK_E10value_typeEPNSQ_ISL_E10value_typeEPSM_NS1_7vsmem_tEENKUlT_SK_SL_SM_E_clIPiSE_SF_SF_EESJ_SZ_SK_SL_SM_EUlSZ_E_NS1_11comp_targetILNS1_3genE10ELNS1_11target_archE1201ELNS1_3gpuE5ELNS1_3repE0EEENS1_48merge_mergepath_partition_config_static_selectorELNS0_4arch9wavefront6targetE0EEEvSL_: ; @_ZN7rocprim17ROCPRIM_400000_NS6detail17trampoline_kernelINS0_14default_configENS1_38merge_sort_block_merge_config_selectorIiNS0_10empty_typeEEEZZNS1_27merge_sort_block_merge_implIS3_N6thrust23THRUST_200600_302600_NS6detail15normal_iteratorINS9_10device_ptrIiEEEEPS5_jNS1_19radix_merge_compareILb1ELb0EiNS0_19identity_decomposerEEEEE10hipError_tT0_T1_T2_jT3_P12ihipStream_tbPNSt15iterator_traitsISK_E10value_typeEPNSQ_ISL_E10value_typeEPSM_NS1_7vsmem_tEENKUlT_SK_SL_SM_E_clIPiSE_SF_SF_EESJ_SZ_SK_SL_SM_EUlSZ_E_NS1_11comp_targetILNS1_3genE10ELNS1_11target_archE1201ELNS1_3gpuE5ELNS1_3repE0EEENS1_48merge_mergepath_partition_config_static_selectorELNS0_4arch9wavefront6targetE0EEEvSL_
; %bb.0:
	.section	.rodata,"a",@progbits
	.p2align	6, 0x0
	.amdhsa_kernel _ZN7rocprim17ROCPRIM_400000_NS6detail17trampoline_kernelINS0_14default_configENS1_38merge_sort_block_merge_config_selectorIiNS0_10empty_typeEEEZZNS1_27merge_sort_block_merge_implIS3_N6thrust23THRUST_200600_302600_NS6detail15normal_iteratorINS9_10device_ptrIiEEEEPS5_jNS1_19radix_merge_compareILb1ELb0EiNS0_19identity_decomposerEEEEE10hipError_tT0_T1_T2_jT3_P12ihipStream_tbPNSt15iterator_traitsISK_E10value_typeEPNSQ_ISL_E10value_typeEPSM_NS1_7vsmem_tEENKUlT_SK_SL_SM_E_clIPiSE_SF_SF_EESJ_SZ_SK_SL_SM_EUlSZ_E_NS1_11comp_targetILNS1_3genE10ELNS1_11target_archE1201ELNS1_3gpuE5ELNS1_3repE0EEENS1_48merge_mergepath_partition_config_static_selectorELNS0_4arch9wavefront6targetE0EEEvSL_
		.amdhsa_group_segment_fixed_size 0
		.amdhsa_private_segment_fixed_size 0
		.amdhsa_kernarg_size 40
		.amdhsa_user_sgpr_count 6
		.amdhsa_user_sgpr_private_segment_buffer 1
		.amdhsa_user_sgpr_dispatch_ptr 0
		.amdhsa_user_sgpr_queue_ptr 0
		.amdhsa_user_sgpr_kernarg_segment_ptr 1
		.amdhsa_user_sgpr_dispatch_id 0
		.amdhsa_user_sgpr_flat_scratch_init 0
		.amdhsa_user_sgpr_private_segment_size 0
		.amdhsa_wavefront_size32 1
		.amdhsa_uses_dynamic_stack 0
		.amdhsa_system_sgpr_private_segment_wavefront_offset 0
		.amdhsa_system_sgpr_workgroup_id_x 1
		.amdhsa_system_sgpr_workgroup_id_y 0
		.amdhsa_system_sgpr_workgroup_id_z 0
		.amdhsa_system_sgpr_workgroup_info 0
		.amdhsa_system_vgpr_workitem_id 0
		.amdhsa_next_free_vgpr 1
		.amdhsa_next_free_sgpr 1
		.amdhsa_reserve_vcc 0
		.amdhsa_reserve_flat_scratch 0
		.amdhsa_float_round_mode_32 0
		.amdhsa_float_round_mode_16_64 0
		.amdhsa_float_denorm_mode_32 3
		.amdhsa_float_denorm_mode_16_64 3
		.amdhsa_dx10_clamp 1
		.amdhsa_ieee_mode 1
		.amdhsa_fp16_overflow 0
		.amdhsa_workgroup_processor_mode 1
		.amdhsa_memory_ordered 1
		.amdhsa_forward_progress 1
		.amdhsa_shared_vgpr_count 0
		.amdhsa_exception_fp_ieee_invalid_op 0
		.amdhsa_exception_fp_denorm_src 0
		.amdhsa_exception_fp_ieee_div_zero 0
		.amdhsa_exception_fp_ieee_overflow 0
		.amdhsa_exception_fp_ieee_underflow 0
		.amdhsa_exception_fp_ieee_inexact 0
		.amdhsa_exception_int_div_zero 0
	.end_amdhsa_kernel
	.section	.text._ZN7rocprim17ROCPRIM_400000_NS6detail17trampoline_kernelINS0_14default_configENS1_38merge_sort_block_merge_config_selectorIiNS0_10empty_typeEEEZZNS1_27merge_sort_block_merge_implIS3_N6thrust23THRUST_200600_302600_NS6detail15normal_iteratorINS9_10device_ptrIiEEEEPS5_jNS1_19radix_merge_compareILb1ELb0EiNS0_19identity_decomposerEEEEE10hipError_tT0_T1_T2_jT3_P12ihipStream_tbPNSt15iterator_traitsISK_E10value_typeEPNSQ_ISL_E10value_typeEPSM_NS1_7vsmem_tEENKUlT_SK_SL_SM_E_clIPiSE_SF_SF_EESJ_SZ_SK_SL_SM_EUlSZ_E_NS1_11comp_targetILNS1_3genE10ELNS1_11target_archE1201ELNS1_3gpuE5ELNS1_3repE0EEENS1_48merge_mergepath_partition_config_static_selectorELNS0_4arch9wavefront6targetE0EEEvSL_,"axG",@progbits,_ZN7rocprim17ROCPRIM_400000_NS6detail17trampoline_kernelINS0_14default_configENS1_38merge_sort_block_merge_config_selectorIiNS0_10empty_typeEEEZZNS1_27merge_sort_block_merge_implIS3_N6thrust23THRUST_200600_302600_NS6detail15normal_iteratorINS9_10device_ptrIiEEEEPS5_jNS1_19radix_merge_compareILb1ELb0EiNS0_19identity_decomposerEEEEE10hipError_tT0_T1_T2_jT3_P12ihipStream_tbPNSt15iterator_traitsISK_E10value_typeEPNSQ_ISL_E10value_typeEPSM_NS1_7vsmem_tEENKUlT_SK_SL_SM_E_clIPiSE_SF_SF_EESJ_SZ_SK_SL_SM_EUlSZ_E_NS1_11comp_targetILNS1_3genE10ELNS1_11target_archE1201ELNS1_3gpuE5ELNS1_3repE0EEENS1_48merge_mergepath_partition_config_static_selectorELNS0_4arch9wavefront6targetE0EEEvSL_,comdat
.Lfunc_end223:
	.size	_ZN7rocprim17ROCPRIM_400000_NS6detail17trampoline_kernelINS0_14default_configENS1_38merge_sort_block_merge_config_selectorIiNS0_10empty_typeEEEZZNS1_27merge_sort_block_merge_implIS3_N6thrust23THRUST_200600_302600_NS6detail15normal_iteratorINS9_10device_ptrIiEEEEPS5_jNS1_19radix_merge_compareILb1ELb0EiNS0_19identity_decomposerEEEEE10hipError_tT0_T1_T2_jT3_P12ihipStream_tbPNSt15iterator_traitsISK_E10value_typeEPNSQ_ISL_E10value_typeEPSM_NS1_7vsmem_tEENKUlT_SK_SL_SM_E_clIPiSE_SF_SF_EESJ_SZ_SK_SL_SM_EUlSZ_E_NS1_11comp_targetILNS1_3genE10ELNS1_11target_archE1201ELNS1_3gpuE5ELNS1_3repE0EEENS1_48merge_mergepath_partition_config_static_selectorELNS0_4arch9wavefront6targetE0EEEvSL_, .Lfunc_end223-_ZN7rocprim17ROCPRIM_400000_NS6detail17trampoline_kernelINS0_14default_configENS1_38merge_sort_block_merge_config_selectorIiNS0_10empty_typeEEEZZNS1_27merge_sort_block_merge_implIS3_N6thrust23THRUST_200600_302600_NS6detail15normal_iteratorINS9_10device_ptrIiEEEEPS5_jNS1_19radix_merge_compareILb1ELb0EiNS0_19identity_decomposerEEEEE10hipError_tT0_T1_T2_jT3_P12ihipStream_tbPNSt15iterator_traitsISK_E10value_typeEPNSQ_ISL_E10value_typeEPSM_NS1_7vsmem_tEENKUlT_SK_SL_SM_E_clIPiSE_SF_SF_EESJ_SZ_SK_SL_SM_EUlSZ_E_NS1_11comp_targetILNS1_3genE10ELNS1_11target_archE1201ELNS1_3gpuE5ELNS1_3repE0EEENS1_48merge_mergepath_partition_config_static_selectorELNS0_4arch9wavefront6targetE0EEEvSL_
                                        ; -- End function
	.set _ZN7rocprim17ROCPRIM_400000_NS6detail17trampoline_kernelINS0_14default_configENS1_38merge_sort_block_merge_config_selectorIiNS0_10empty_typeEEEZZNS1_27merge_sort_block_merge_implIS3_N6thrust23THRUST_200600_302600_NS6detail15normal_iteratorINS9_10device_ptrIiEEEEPS5_jNS1_19radix_merge_compareILb1ELb0EiNS0_19identity_decomposerEEEEE10hipError_tT0_T1_T2_jT3_P12ihipStream_tbPNSt15iterator_traitsISK_E10value_typeEPNSQ_ISL_E10value_typeEPSM_NS1_7vsmem_tEENKUlT_SK_SL_SM_E_clIPiSE_SF_SF_EESJ_SZ_SK_SL_SM_EUlSZ_E_NS1_11comp_targetILNS1_3genE10ELNS1_11target_archE1201ELNS1_3gpuE5ELNS1_3repE0EEENS1_48merge_mergepath_partition_config_static_selectorELNS0_4arch9wavefront6targetE0EEEvSL_.num_vgpr, 0
	.set _ZN7rocprim17ROCPRIM_400000_NS6detail17trampoline_kernelINS0_14default_configENS1_38merge_sort_block_merge_config_selectorIiNS0_10empty_typeEEEZZNS1_27merge_sort_block_merge_implIS3_N6thrust23THRUST_200600_302600_NS6detail15normal_iteratorINS9_10device_ptrIiEEEEPS5_jNS1_19radix_merge_compareILb1ELb0EiNS0_19identity_decomposerEEEEE10hipError_tT0_T1_T2_jT3_P12ihipStream_tbPNSt15iterator_traitsISK_E10value_typeEPNSQ_ISL_E10value_typeEPSM_NS1_7vsmem_tEENKUlT_SK_SL_SM_E_clIPiSE_SF_SF_EESJ_SZ_SK_SL_SM_EUlSZ_E_NS1_11comp_targetILNS1_3genE10ELNS1_11target_archE1201ELNS1_3gpuE5ELNS1_3repE0EEENS1_48merge_mergepath_partition_config_static_selectorELNS0_4arch9wavefront6targetE0EEEvSL_.num_agpr, 0
	.set _ZN7rocprim17ROCPRIM_400000_NS6detail17trampoline_kernelINS0_14default_configENS1_38merge_sort_block_merge_config_selectorIiNS0_10empty_typeEEEZZNS1_27merge_sort_block_merge_implIS3_N6thrust23THRUST_200600_302600_NS6detail15normal_iteratorINS9_10device_ptrIiEEEEPS5_jNS1_19radix_merge_compareILb1ELb0EiNS0_19identity_decomposerEEEEE10hipError_tT0_T1_T2_jT3_P12ihipStream_tbPNSt15iterator_traitsISK_E10value_typeEPNSQ_ISL_E10value_typeEPSM_NS1_7vsmem_tEENKUlT_SK_SL_SM_E_clIPiSE_SF_SF_EESJ_SZ_SK_SL_SM_EUlSZ_E_NS1_11comp_targetILNS1_3genE10ELNS1_11target_archE1201ELNS1_3gpuE5ELNS1_3repE0EEENS1_48merge_mergepath_partition_config_static_selectorELNS0_4arch9wavefront6targetE0EEEvSL_.numbered_sgpr, 0
	.set _ZN7rocprim17ROCPRIM_400000_NS6detail17trampoline_kernelINS0_14default_configENS1_38merge_sort_block_merge_config_selectorIiNS0_10empty_typeEEEZZNS1_27merge_sort_block_merge_implIS3_N6thrust23THRUST_200600_302600_NS6detail15normal_iteratorINS9_10device_ptrIiEEEEPS5_jNS1_19radix_merge_compareILb1ELb0EiNS0_19identity_decomposerEEEEE10hipError_tT0_T1_T2_jT3_P12ihipStream_tbPNSt15iterator_traitsISK_E10value_typeEPNSQ_ISL_E10value_typeEPSM_NS1_7vsmem_tEENKUlT_SK_SL_SM_E_clIPiSE_SF_SF_EESJ_SZ_SK_SL_SM_EUlSZ_E_NS1_11comp_targetILNS1_3genE10ELNS1_11target_archE1201ELNS1_3gpuE5ELNS1_3repE0EEENS1_48merge_mergepath_partition_config_static_selectorELNS0_4arch9wavefront6targetE0EEEvSL_.num_named_barrier, 0
	.set _ZN7rocprim17ROCPRIM_400000_NS6detail17trampoline_kernelINS0_14default_configENS1_38merge_sort_block_merge_config_selectorIiNS0_10empty_typeEEEZZNS1_27merge_sort_block_merge_implIS3_N6thrust23THRUST_200600_302600_NS6detail15normal_iteratorINS9_10device_ptrIiEEEEPS5_jNS1_19radix_merge_compareILb1ELb0EiNS0_19identity_decomposerEEEEE10hipError_tT0_T1_T2_jT3_P12ihipStream_tbPNSt15iterator_traitsISK_E10value_typeEPNSQ_ISL_E10value_typeEPSM_NS1_7vsmem_tEENKUlT_SK_SL_SM_E_clIPiSE_SF_SF_EESJ_SZ_SK_SL_SM_EUlSZ_E_NS1_11comp_targetILNS1_3genE10ELNS1_11target_archE1201ELNS1_3gpuE5ELNS1_3repE0EEENS1_48merge_mergepath_partition_config_static_selectorELNS0_4arch9wavefront6targetE0EEEvSL_.private_seg_size, 0
	.set _ZN7rocprim17ROCPRIM_400000_NS6detail17trampoline_kernelINS0_14default_configENS1_38merge_sort_block_merge_config_selectorIiNS0_10empty_typeEEEZZNS1_27merge_sort_block_merge_implIS3_N6thrust23THRUST_200600_302600_NS6detail15normal_iteratorINS9_10device_ptrIiEEEEPS5_jNS1_19radix_merge_compareILb1ELb0EiNS0_19identity_decomposerEEEEE10hipError_tT0_T1_T2_jT3_P12ihipStream_tbPNSt15iterator_traitsISK_E10value_typeEPNSQ_ISL_E10value_typeEPSM_NS1_7vsmem_tEENKUlT_SK_SL_SM_E_clIPiSE_SF_SF_EESJ_SZ_SK_SL_SM_EUlSZ_E_NS1_11comp_targetILNS1_3genE10ELNS1_11target_archE1201ELNS1_3gpuE5ELNS1_3repE0EEENS1_48merge_mergepath_partition_config_static_selectorELNS0_4arch9wavefront6targetE0EEEvSL_.uses_vcc, 0
	.set _ZN7rocprim17ROCPRIM_400000_NS6detail17trampoline_kernelINS0_14default_configENS1_38merge_sort_block_merge_config_selectorIiNS0_10empty_typeEEEZZNS1_27merge_sort_block_merge_implIS3_N6thrust23THRUST_200600_302600_NS6detail15normal_iteratorINS9_10device_ptrIiEEEEPS5_jNS1_19radix_merge_compareILb1ELb0EiNS0_19identity_decomposerEEEEE10hipError_tT0_T1_T2_jT3_P12ihipStream_tbPNSt15iterator_traitsISK_E10value_typeEPNSQ_ISL_E10value_typeEPSM_NS1_7vsmem_tEENKUlT_SK_SL_SM_E_clIPiSE_SF_SF_EESJ_SZ_SK_SL_SM_EUlSZ_E_NS1_11comp_targetILNS1_3genE10ELNS1_11target_archE1201ELNS1_3gpuE5ELNS1_3repE0EEENS1_48merge_mergepath_partition_config_static_selectorELNS0_4arch9wavefront6targetE0EEEvSL_.uses_flat_scratch, 0
	.set _ZN7rocprim17ROCPRIM_400000_NS6detail17trampoline_kernelINS0_14default_configENS1_38merge_sort_block_merge_config_selectorIiNS0_10empty_typeEEEZZNS1_27merge_sort_block_merge_implIS3_N6thrust23THRUST_200600_302600_NS6detail15normal_iteratorINS9_10device_ptrIiEEEEPS5_jNS1_19radix_merge_compareILb1ELb0EiNS0_19identity_decomposerEEEEE10hipError_tT0_T1_T2_jT3_P12ihipStream_tbPNSt15iterator_traitsISK_E10value_typeEPNSQ_ISL_E10value_typeEPSM_NS1_7vsmem_tEENKUlT_SK_SL_SM_E_clIPiSE_SF_SF_EESJ_SZ_SK_SL_SM_EUlSZ_E_NS1_11comp_targetILNS1_3genE10ELNS1_11target_archE1201ELNS1_3gpuE5ELNS1_3repE0EEENS1_48merge_mergepath_partition_config_static_selectorELNS0_4arch9wavefront6targetE0EEEvSL_.has_dyn_sized_stack, 0
	.set _ZN7rocprim17ROCPRIM_400000_NS6detail17trampoline_kernelINS0_14default_configENS1_38merge_sort_block_merge_config_selectorIiNS0_10empty_typeEEEZZNS1_27merge_sort_block_merge_implIS3_N6thrust23THRUST_200600_302600_NS6detail15normal_iteratorINS9_10device_ptrIiEEEEPS5_jNS1_19radix_merge_compareILb1ELb0EiNS0_19identity_decomposerEEEEE10hipError_tT0_T1_T2_jT3_P12ihipStream_tbPNSt15iterator_traitsISK_E10value_typeEPNSQ_ISL_E10value_typeEPSM_NS1_7vsmem_tEENKUlT_SK_SL_SM_E_clIPiSE_SF_SF_EESJ_SZ_SK_SL_SM_EUlSZ_E_NS1_11comp_targetILNS1_3genE10ELNS1_11target_archE1201ELNS1_3gpuE5ELNS1_3repE0EEENS1_48merge_mergepath_partition_config_static_selectorELNS0_4arch9wavefront6targetE0EEEvSL_.has_recursion, 0
	.set _ZN7rocprim17ROCPRIM_400000_NS6detail17trampoline_kernelINS0_14default_configENS1_38merge_sort_block_merge_config_selectorIiNS0_10empty_typeEEEZZNS1_27merge_sort_block_merge_implIS3_N6thrust23THRUST_200600_302600_NS6detail15normal_iteratorINS9_10device_ptrIiEEEEPS5_jNS1_19radix_merge_compareILb1ELb0EiNS0_19identity_decomposerEEEEE10hipError_tT0_T1_T2_jT3_P12ihipStream_tbPNSt15iterator_traitsISK_E10value_typeEPNSQ_ISL_E10value_typeEPSM_NS1_7vsmem_tEENKUlT_SK_SL_SM_E_clIPiSE_SF_SF_EESJ_SZ_SK_SL_SM_EUlSZ_E_NS1_11comp_targetILNS1_3genE10ELNS1_11target_archE1201ELNS1_3gpuE5ELNS1_3repE0EEENS1_48merge_mergepath_partition_config_static_selectorELNS0_4arch9wavefront6targetE0EEEvSL_.has_indirect_call, 0
	.section	.AMDGPU.csdata,"",@progbits
; Kernel info:
; codeLenInByte = 0
; TotalNumSgprs: 0
; NumVgprs: 0
; ScratchSize: 0
; MemoryBound: 0
; FloatMode: 240
; IeeeMode: 1
; LDSByteSize: 0 bytes/workgroup (compile time only)
; SGPRBlocks: 0
; VGPRBlocks: 0
; NumSGPRsForWavesPerEU: 1
; NumVGPRsForWavesPerEU: 1
; Occupancy: 16
; WaveLimiterHint : 0
; COMPUTE_PGM_RSRC2:SCRATCH_EN: 0
; COMPUTE_PGM_RSRC2:USER_SGPR: 6
; COMPUTE_PGM_RSRC2:TRAP_HANDLER: 0
; COMPUTE_PGM_RSRC2:TGID_X_EN: 1
; COMPUTE_PGM_RSRC2:TGID_Y_EN: 0
; COMPUTE_PGM_RSRC2:TGID_Z_EN: 0
; COMPUTE_PGM_RSRC2:TIDIG_COMP_CNT: 0
	.section	.text._ZN7rocprim17ROCPRIM_400000_NS6detail17trampoline_kernelINS0_14default_configENS1_38merge_sort_block_merge_config_selectorIiNS0_10empty_typeEEEZZNS1_27merge_sort_block_merge_implIS3_N6thrust23THRUST_200600_302600_NS6detail15normal_iteratorINS9_10device_ptrIiEEEEPS5_jNS1_19radix_merge_compareILb1ELb0EiNS0_19identity_decomposerEEEEE10hipError_tT0_T1_T2_jT3_P12ihipStream_tbPNSt15iterator_traitsISK_E10value_typeEPNSQ_ISL_E10value_typeEPSM_NS1_7vsmem_tEENKUlT_SK_SL_SM_E_clIPiSE_SF_SF_EESJ_SZ_SK_SL_SM_EUlSZ_E_NS1_11comp_targetILNS1_3genE5ELNS1_11target_archE942ELNS1_3gpuE9ELNS1_3repE0EEENS1_48merge_mergepath_partition_config_static_selectorELNS0_4arch9wavefront6targetE0EEEvSL_,"axG",@progbits,_ZN7rocprim17ROCPRIM_400000_NS6detail17trampoline_kernelINS0_14default_configENS1_38merge_sort_block_merge_config_selectorIiNS0_10empty_typeEEEZZNS1_27merge_sort_block_merge_implIS3_N6thrust23THRUST_200600_302600_NS6detail15normal_iteratorINS9_10device_ptrIiEEEEPS5_jNS1_19radix_merge_compareILb1ELb0EiNS0_19identity_decomposerEEEEE10hipError_tT0_T1_T2_jT3_P12ihipStream_tbPNSt15iterator_traitsISK_E10value_typeEPNSQ_ISL_E10value_typeEPSM_NS1_7vsmem_tEENKUlT_SK_SL_SM_E_clIPiSE_SF_SF_EESJ_SZ_SK_SL_SM_EUlSZ_E_NS1_11comp_targetILNS1_3genE5ELNS1_11target_archE942ELNS1_3gpuE9ELNS1_3repE0EEENS1_48merge_mergepath_partition_config_static_selectorELNS0_4arch9wavefront6targetE0EEEvSL_,comdat
	.protected	_ZN7rocprim17ROCPRIM_400000_NS6detail17trampoline_kernelINS0_14default_configENS1_38merge_sort_block_merge_config_selectorIiNS0_10empty_typeEEEZZNS1_27merge_sort_block_merge_implIS3_N6thrust23THRUST_200600_302600_NS6detail15normal_iteratorINS9_10device_ptrIiEEEEPS5_jNS1_19radix_merge_compareILb1ELb0EiNS0_19identity_decomposerEEEEE10hipError_tT0_T1_T2_jT3_P12ihipStream_tbPNSt15iterator_traitsISK_E10value_typeEPNSQ_ISL_E10value_typeEPSM_NS1_7vsmem_tEENKUlT_SK_SL_SM_E_clIPiSE_SF_SF_EESJ_SZ_SK_SL_SM_EUlSZ_E_NS1_11comp_targetILNS1_3genE5ELNS1_11target_archE942ELNS1_3gpuE9ELNS1_3repE0EEENS1_48merge_mergepath_partition_config_static_selectorELNS0_4arch9wavefront6targetE0EEEvSL_ ; -- Begin function _ZN7rocprim17ROCPRIM_400000_NS6detail17trampoline_kernelINS0_14default_configENS1_38merge_sort_block_merge_config_selectorIiNS0_10empty_typeEEEZZNS1_27merge_sort_block_merge_implIS3_N6thrust23THRUST_200600_302600_NS6detail15normal_iteratorINS9_10device_ptrIiEEEEPS5_jNS1_19radix_merge_compareILb1ELb0EiNS0_19identity_decomposerEEEEE10hipError_tT0_T1_T2_jT3_P12ihipStream_tbPNSt15iterator_traitsISK_E10value_typeEPNSQ_ISL_E10value_typeEPSM_NS1_7vsmem_tEENKUlT_SK_SL_SM_E_clIPiSE_SF_SF_EESJ_SZ_SK_SL_SM_EUlSZ_E_NS1_11comp_targetILNS1_3genE5ELNS1_11target_archE942ELNS1_3gpuE9ELNS1_3repE0EEENS1_48merge_mergepath_partition_config_static_selectorELNS0_4arch9wavefront6targetE0EEEvSL_
	.globl	_ZN7rocprim17ROCPRIM_400000_NS6detail17trampoline_kernelINS0_14default_configENS1_38merge_sort_block_merge_config_selectorIiNS0_10empty_typeEEEZZNS1_27merge_sort_block_merge_implIS3_N6thrust23THRUST_200600_302600_NS6detail15normal_iteratorINS9_10device_ptrIiEEEEPS5_jNS1_19radix_merge_compareILb1ELb0EiNS0_19identity_decomposerEEEEE10hipError_tT0_T1_T2_jT3_P12ihipStream_tbPNSt15iterator_traitsISK_E10value_typeEPNSQ_ISL_E10value_typeEPSM_NS1_7vsmem_tEENKUlT_SK_SL_SM_E_clIPiSE_SF_SF_EESJ_SZ_SK_SL_SM_EUlSZ_E_NS1_11comp_targetILNS1_3genE5ELNS1_11target_archE942ELNS1_3gpuE9ELNS1_3repE0EEENS1_48merge_mergepath_partition_config_static_selectorELNS0_4arch9wavefront6targetE0EEEvSL_
	.p2align	8
	.type	_ZN7rocprim17ROCPRIM_400000_NS6detail17trampoline_kernelINS0_14default_configENS1_38merge_sort_block_merge_config_selectorIiNS0_10empty_typeEEEZZNS1_27merge_sort_block_merge_implIS3_N6thrust23THRUST_200600_302600_NS6detail15normal_iteratorINS9_10device_ptrIiEEEEPS5_jNS1_19radix_merge_compareILb1ELb0EiNS0_19identity_decomposerEEEEE10hipError_tT0_T1_T2_jT3_P12ihipStream_tbPNSt15iterator_traitsISK_E10value_typeEPNSQ_ISL_E10value_typeEPSM_NS1_7vsmem_tEENKUlT_SK_SL_SM_E_clIPiSE_SF_SF_EESJ_SZ_SK_SL_SM_EUlSZ_E_NS1_11comp_targetILNS1_3genE5ELNS1_11target_archE942ELNS1_3gpuE9ELNS1_3repE0EEENS1_48merge_mergepath_partition_config_static_selectorELNS0_4arch9wavefront6targetE0EEEvSL_,@function
_ZN7rocprim17ROCPRIM_400000_NS6detail17trampoline_kernelINS0_14default_configENS1_38merge_sort_block_merge_config_selectorIiNS0_10empty_typeEEEZZNS1_27merge_sort_block_merge_implIS3_N6thrust23THRUST_200600_302600_NS6detail15normal_iteratorINS9_10device_ptrIiEEEEPS5_jNS1_19radix_merge_compareILb1ELb0EiNS0_19identity_decomposerEEEEE10hipError_tT0_T1_T2_jT3_P12ihipStream_tbPNSt15iterator_traitsISK_E10value_typeEPNSQ_ISL_E10value_typeEPSM_NS1_7vsmem_tEENKUlT_SK_SL_SM_E_clIPiSE_SF_SF_EESJ_SZ_SK_SL_SM_EUlSZ_E_NS1_11comp_targetILNS1_3genE5ELNS1_11target_archE942ELNS1_3gpuE9ELNS1_3repE0EEENS1_48merge_mergepath_partition_config_static_selectorELNS0_4arch9wavefront6targetE0EEEvSL_: ; @_ZN7rocprim17ROCPRIM_400000_NS6detail17trampoline_kernelINS0_14default_configENS1_38merge_sort_block_merge_config_selectorIiNS0_10empty_typeEEEZZNS1_27merge_sort_block_merge_implIS3_N6thrust23THRUST_200600_302600_NS6detail15normal_iteratorINS9_10device_ptrIiEEEEPS5_jNS1_19radix_merge_compareILb1ELb0EiNS0_19identity_decomposerEEEEE10hipError_tT0_T1_T2_jT3_P12ihipStream_tbPNSt15iterator_traitsISK_E10value_typeEPNSQ_ISL_E10value_typeEPSM_NS1_7vsmem_tEENKUlT_SK_SL_SM_E_clIPiSE_SF_SF_EESJ_SZ_SK_SL_SM_EUlSZ_E_NS1_11comp_targetILNS1_3genE5ELNS1_11target_archE942ELNS1_3gpuE9ELNS1_3repE0EEENS1_48merge_mergepath_partition_config_static_selectorELNS0_4arch9wavefront6targetE0EEEvSL_
; %bb.0:
	.section	.rodata,"a",@progbits
	.p2align	6, 0x0
	.amdhsa_kernel _ZN7rocprim17ROCPRIM_400000_NS6detail17trampoline_kernelINS0_14default_configENS1_38merge_sort_block_merge_config_selectorIiNS0_10empty_typeEEEZZNS1_27merge_sort_block_merge_implIS3_N6thrust23THRUST_200600_302600_NS6detail15normal_iteratorINS9_10device_ptrIiEEEEPS5_jNS1_19radix_merge_compareILb1ELb0EiNS0_19identity_decomposerEEEEE10hipError_tT0_T1_T2_jT3_P12ihipStream_tbPNSt15iterator_traitsISK_E10value_typeEPNSQ_ISL_E10value_typeEPSM_NS1_7vsmem_tEENKUlT_SK_SL_SM_E_clIPiSE_SF_SF_EESJ_SZ_SK_SL_SM_EUlSZ_E_NS1_11comp_targetILNS1_3genE5ELNS1_11target_archE942ELNS1_3gpuE9ELNS1_3repE0EEENS1_48merge_mergepath_partition_config_static_selectorELNS0_4arch9wavefront6targetE0EEEvSL_
		.amdhsa_group_segment_fixed_size 0
		.amdhsa_private_segment_fixed_size 0
		.amdhsa_kernarg_size 40
		.amdhsa_user_sgpr_count 6
		.amdhsa_user_sgpr_private_segment_buffer 1
		.amdhsa_user_sgpr_dispatch_ptr 0
		.amdhsa_user_sgpr_queue_ptr 0
		.amdhsa_user_sgpr_kernarg_segment_ptr 1
		.amdhsa_user_sgpr_dispatch_id 0
		.amdhsa_user_sgpr_flat_scratch_init 0
		.amdhsa_user_sgpr_private_segment_size 0
		.amdhsa_wavefront_size32 1
		.amdhsa_uses_dynamic_stack 0
		.amdhsa_system_sgpr_private_segment_wavefront_offset 0
		.amdhsa_system_sgpr_workgroup_id_x 1
		.amdhsa_system_sgpr_workgroup_id_y 0
		.amdhsa_system_sgpr_workgroup_id_z 0
		.amdhsa_system_sgpr_workgroup_info 0
		.amdhsa_system_vgpr_workitem_id 0
		.amdhsa_next_free_vgpr 1
		.amdhsa_next_free_sgpr 1
		.amdhsa_reserve_vcc 0
		.amdhsa_reserve_flat_scratch 0
		.amdhsa_float_round_mode_32 0
		.amdhsa_float_round_mode_16_64 0
		.amdhsa_float_denorm_mode_32 3
		.amdhsa_float_denorm_mode_16_64 3
		.amdhsa_dx10_clamp 1
		.amdhsa_ieee_mode 1
		.amdhsa_fp16_overflow 0
		.amdhsa_workgroup_processor_mode 1
		.amdhsa_memory_ordered 1
		.amdhsa_forward_progress 1
		.amdhsa_shared_vgpr_count 0
		.amdhsa_exception_fp_ieee_invalid_op 0
		.amdhsa_exception_fp_denorm_src 0
		.amdhsa_exception_fp_ieee_div_zero 0
		.amdhsa_exception_fp_ieee_overflow 0
		.amdhsa_exception_fp_ieee_underflow 0
		.amdhsa_exception_fp_ieee_inexact 0
		.amdhsa_exception_int_div_zero 0
	.end_amdhsa_kernel
	.section	.text._ZN7rocprim17ROCPRIM_400000_NS6detail17trampoline_kernelINS0_14default_configENS1_38merge_sort_block_merge_config_selectorIiNS0_10empty_typeEEEZZNS1_27merge_sort_block_merge_implIS3_N6thrust23THRUST_200600_302600_NS6detail15normal_iteratorINS9_10device_ptrIiEEEEPS5_jNS1_19radix_merge_compareILb1ELb0EiNS0_19identity_decomposerEEEEE10hipError_tT0_T1_T2_jT3_P12ihipStream_tbPNSt15iterator_traitsISK_E10value_typeEPNSQ_ISL_E10value_typeEPSM_NS1_7vsmem_tEENKUlT_SK_SL_SM_E_clIPiSE_SF_SF_EESJ_SZ_SK_SL_SM_EUlSZ_E_NS1_11comp_targetILNS1_3genE5ELNS1_11target_archE942ELNS1_3gpuE9ELNS1_3repE0EEENS1_48merge_mergepath_partition_config_static_selectorELNS0_4arch9wavefront6targetE0EEEvSL_,"axG",@progbits,_ZN7rocprim17ROCPRIM_400000_NS6detail17trampoline_kernelINS0_14default_configENS1_38merge_sort_block_merge_config_selectorIiNS0_10empty_typeEEEZZNS1_27merge_sort_block_merge_implIS3_N6thrust23THRUST_200600_302600_NS6detail15normal_iteratorINS9_10device_ptrIiEEEEPS5_jNS1_19radix_merge_compareILb1ELb0EiNS0_19identity_decomposerEEEEE10hipError_tT0_T1_T2_jT3_P12ihipStream_tbPNSt15iterator_traitsISK_E10value_typeEPNSQ_ISL_E10value_typeEPSM_NS1_7vsmem_tEENKUlT_SK_SL_SM_E_clIPiSE_SF_SF_EESJ_SZ_SK_SL_SM_EUlSZ_E_NS1_11comp_targetILNS1_3genE5ELNS1_11target_archE942ELNS1_3gpuE9ELNS1_3repE0EEENS1_48merge_mergepath_partition_config_static_selectorELNS0_4arch9wavefront6targetE0EEEvSL_,comdat
.Lfunc_end224:
	.size	_ZN7rocprim17ROCPRIM_400000_NS6detail17trampoline_kernelINS0_14default_configENS1_38merge_sort_block_merge_config_selectorIiNS0_10empty_typeEEEZZNS1_27merge_sort_block_merge_implIS3_N6thrust23THRUST_200600_302600_NS6detail15normal_iteratorINS9_10device_ptrIiEEEEPS5_jNS1_19radix_merge_compareILb1ELb0EiNS0_19identity_decomposerEEEEE10hipError_tT0_T1_T2_jT3_P12ihipStream_tbPNSt15iterator_traitsISK_E10value_typeEPNSQ_ISL_E10value_typeEPSM_NS1_7vsmem_tEENKUlT_SK_SL_SM_E_clIPiSE_SF_SF_EESJ_SZ_SK_SL_SM_EUlSZ_E_NS1_11comp_targetILNS1_3genE5ELNS1_11target_archE942ELNS1_3gpuE9ELNS1_3repE0EEENS1_48merge_mergepath_partition_config_static_selectorELNS0_4arch9wavefront6targetE0EEEvSL_, .Lfunc_end224-_ZN7rocprim17ROCPRIM_400000_NS6detail17trampoline_kernelINS0_14default_configENS1_38merge_sort_block_merge_config_selectorIiNS0_10empty_typeEEEZZNS1_27merge_sort_block_merge_implIS3_N6thrust23THRUST_200600_302600_NS6detail15normal_iteratorINS9_10device_ptrIiEEEEPS5_jNS1_19radix_merge_compareILb1ELb0EiNS0_19identity_decomposerEEEEE10hipError_tT0_T1_T2_jT3_P12ihipStream_tbPNSt15iterator_traitsISK_E10value_typeEPNSQ_ISL_E10value_typeEPSM_NS1_7vsmem_tEENKUlT_SK_SL_SM_E_clIPiSE_SF_SF_EESJ_SZ_SK_SL_SM_EUlSZ_E_NS1_11comp_targetILNS1_3genE5ELNS1_11target_archE942ELNS1_3gpuE9ELNS1_3repE0EEENS1_48merge_mergepath_partition_config_static_selectorELNS0_4arch9wavefront6targetE0EEEvSL_
                                        ; -- End function
	.set _ZN7rocprim17ROCPRIM_400000_NS6detail17trampoline_kernelINS0_14default_configENS1_38merge_sort_block_merge_config_selectorIiNS0_10empty_typeEEEZZNS1_27merge_sort_block_merge_implIS3_N6thrust23THRUST_200600_302600_NS6detail15normal_iteratorINS9_10device_ptrIiEEEEPS5_jNS1_19radix_merge_compareILb1ELb0EiNS0_19identity_decomposerEEEEE10hipError_tT0_T1_T2_jT3_P12ihipStream_tbPNSt15iterator_traitsISK_E10value_typeEPNSQ_ISL_E10value_typeEPSM_NS1_7vsmem_tEENKUlT_SK_SL_SM_E_clIPiSE_SF_SF_EESJ_SZ_SK_SL_SM_EUlSZ_E_NS1_11comp_targetILNS1_3genE5ELNS1_11target_archE942ELNS1_3gpuE9ELNS1_3repE0EEENS1_48merge_mergepath_partition_config_static_selectorELNS0_4arch9wavefront6targetE0EEEvSL_.num_vgpr, 0
	.set _ZN7rocprim17ROCPRIM_400000_NS6detail17trampoline_kernelINS0_14default_configENS1_38merge_sort_block_merge_config_selectorIiNS0_10empty_typeEEEZZNS1_27merge_sort_block_merge_implIS3_N6thrust23THRUST_200600_302600_NS6detail15normal_iteratorINS9_10device_ptrIiEEEEPS5_jNS1_19radix_merge_compareILb1ELb0EiNS0_19identity_decomposerEEEEE10hipError_tT0_T1_T2_jT3_P12ihipStream_tbPNSt15iterator_traitsISK_E10value_typeEPNSQ_ISL_E10value_typeEPSM_NS1_7vsmem_tEENKUlT_SK_SL_SM_E_clIPiSE_SF_SF_EESJ_SZ_SK_SL_SM_EUlSZ_E_NS1_11comp_targetILNS1_3genE5ELNS1_11target_archE942ELNS1_3gpuE9ELNS1_3repE0EEENS1_48merge_mergepath_partition_config_static_selectorELNS0_4arch9wavefront6targetE0EEEvSL_.num_agpr, 0
	.set _ZN7rocprim17ROCPRIM_400000_NS6detail17trampoline_kernelINS0_14default_configENS1_38merge_sort_block_merge_config_selectorIiNS0_10empty_typeEEEZZNS1_27merge_sort_block_merge_implIS3_N6thrust23THRUST_200600_302600_NS6detail15normal_iteratorINS9_10device_ptrIiEEEEPS5_jNS1_19radix_merge_compareILb1ELb0EiNS0_19identity_decomposerEEEEE10hipError_tT0_T1_T2_jT3_P12ihipStream_tbPNSt15iterator_traitsISK_E10value_typeEPNSQ_ISL_E10value_typeEPSM_NS1_7vsmem_tEENKUlT_SK_SL_SM_E_clIPiSE_SF_SF_EESJ_SZ_SK_SL_SM_EUlSZ_E_NS1_11comp_targetILNS1_3genE5ELNS1_11target_archE942ELNS1_3gpuE9ELNS1_3repE0EEENS1_48merge_mergepath_partition_config_static_selectorELNS0_4arch9wavefront6targetE0EEEvSL_.numbered_sgpr, 0
	.set _ZN7rocprim17ROCPRIM_400000_NS6detail17trampoline_kernelINS0_14default_configENS1_38merge_sort_block_merge_config_selectorIiNS0_10empty_typeEEEZZNS1_27merge_sort_block_merge_implIS3_N6thrust23THRUST_200600_302600_NS6detail15normal_iteratorINS9_10device_ptrIiEEEEPS5_jNS1_19radix_merge_compareILb1ELb0EiNS0_19identity_decomposerEEEEE10hipError_tT0_T1_T2_jT3_P12ihipStream_tbPNSt15iterator_traitsISK_E10value_typeEPNSQ_ISL_E10value_typeEPSM_NS1_7vsmem_tEENKUlT_SK_SL_SM_E_clIPiSE_SF_SF_EESJ_SZ_SK_SL_SM_EUlSZ_E_NS1_11comp_targetILNS1_3genE5ELNS1_11target_archE942ELNS1_3gpuE9ELNS1_3repE0EEENS1_48merge_mergepath_partition_config_static_selectorELNS0_4arch9wavefront6targetE0EEEvSL_.num_named_barrier, 0
	.set _ZN7rocprim17ROCPRIM_400000_NS6detail17trampoline_kernelINS0_14default_configENS1_38merge_sort_block_merge_config_selectorIiNS0_10empty_typeEEEZZNS1_27merge_sort_block_merge_implIS3_N6thrust23THRUST_200600_302600_NS6detail15normal_iteratorINS9_10device_ptrIiEEEEPS5_jNS1_19radix_merge_compareILb1ELb0EiNS0_19identity_decomposerEEEEE10hipError_tT0_T1_T2_jT3_P12ihipStream_tbPNSt15iterator_traitsISK_E10value_typeEPNSQ_ISL_E10value_typeEPSM_NS1_7vsmem_tEENKUlT_SK_SL_SM_E_clIPiSE_SF_SF_EESJ_SZ_SK_SL_SM_EUlSZ_E_NS1_11comp_targetILNS1_3genE5ELNS1_11target_archE942ELNS1_3gpuE9ELNS1_3repE0EEENS1_48merge_mergepath_partition_config_static_selectorELNS0_4arch9wavefront6targetE0EEEvSL_.private_seg_size, 0
	.set _ZN7rocprim17ROCPRIM_400000_NS6detail17trampoline_kernelINS0_14default_configENS1_38merge_sort_block_merge_config_selectorIiNS0_10empty_typeEEEZZNS1_27merge_sort_block_merge_implIS3_N6thrust23THRUST_200600_302600_NS6detail15normal_iteratorINS9_10device_ptrIiEEEEPS5_jNS1_19radix_merge_compareILb1ELb0EiNS0_19identity_decomposerEEEEE10hipError_tT0_T1_T2_jT3_P12ihipStream_tbPNSt15iterator_traitsISK_E10value_typeEPNSQ_ISL_E10value_typeEPSM_NS1_7vsmem_tEENKUlT_SK_SL_SM_E_clIPiSE_SF_SF_EESJ_SZ_SK_SL_SM_EUlSZ_E_NS1_11comp_targetILNS1_3genE5ELNS1_11target_archE942ELNS1_3gpuE9ELNS1_3repE0EEENS1_48merge_mergepath_partition_config_static_selectorELNS0_4arch9wavefront6targetE0EEEvSL_.uses_vcc, 0
	.set _ZN7rocprim17ROCPRIM_400000_NS6detail17trampoline_kernelINS0_14default_configENS1_38merge_sort_block_merge_config_selectorIiNS0_10empty_typeEEEZZNS1_27merge_sort_block_merge_implIS3_N6thrust23THRUST_200600_302600_NS6detail15normal_iteratorINS9_10device_ptrIiEEEEPS5_jNS1_19radix_merge_compareILb1ELb0EiNS0_19identity_decomposerEEEEE10hipError_tT0_T1_T2_jT3_P12ihipStream_tbPNSt15iterator_traitsISK_E10value_typeEPNSQ_ISL_E10value_typeEPSM_NS1_7vsmem_tEENKUlT_SK_SL_SM_E_clIPiSE_SF_SF_EESJ_SZ_SK_SL_SM_EUlSZ_E_NS1_11comp_targetILNS1_3genE5ELNS1_11target_archE942ELNS1_3gpuE9ELNS1_3repE0EEENS1_48merge_mergepath_partition_config_static_selectorELNS0_4arch9wavefront6targetE0EEEvSL_.uses_flat_scratch, 0
	.set _ZN7rocprim17ROCPRIM_400000_NS6detail17trampoline_kernelINS0_14default_configENS1_38merge_sort_block_merge_config_selectorIiNS0_10empty_typeEEEZZNS1_27merge_sort_block_merge_implIS3_N6thrust23THRUST_200600_302600_NS6detail15normal_iteratorINS9_10device_ptrIiEEEEPS5_jNS1_19radix_merge_compareILb1ELb0EiNS0_19identity_decomposerEEEEE10hipError_tT0_T1_T2_jT3_P12ihipStream_tbPNSt15iterator_traitsISK_E10value_typeEPNSQ_ISL_E10value_typeEPSM_NS1_7vsmem_tEENKUlT_SK_SL_SM_E_clIPiSE_SF_SF_EESJ_SZ_SK_SL_SM_EUlSZ_E_NS1_11comp_targetILNS1_3genE5ELNS1_11target_archE942ELNS1_3gpuE9ELNS1_3repE0EEENS1_48merge_mergepath_partition_config_static_selectorELNS0_4arch9wavefront6targetE0EEEvSL_.has_dyn_sized_stack, 0
	.set _ZN7rocprim17ROCPRIM_400000_NS6detail17trampoline_kernelINS0_14default_configENS1_38merge_sort_block_merge_config_selectorIiNS0_10empty_typeEEEZZNS1_27merge_sort_block_merge_implIS3_N6thrust23THRUST_200600_302600_NS6detail15normal_iteratorINS9_10device_ptrIiEEEEPS5_jNS1_19radix_merge_compareILb1ELb0EiNS0_19identity_decomposerEEEEE10hipError_tT0_T1_T2_jT3_P12ihipStream_tbPNSt15iterator_traitsISK_E10value_typeEPNSQ_ISL_E10value_typeEPSM_NS1_7vsmem_tEENKUlT_SK_SL_SM_E_clIPiSE_SF_SF_EESJ_SZ_SK_SL_SM_EUlSZ_E_NS1_11comp_targetILNS1_3genE5ELNS1_11target_archE942ELNS1_3gpuE9ELNS1_3repE0EEENS1_48merge_mergepath_partition_config_static_selectorELNS0_4arch9wavefront6targetE0EEEvSL_.has_recursion, 0
	.set _ZN7rocprim17ROCPRIM_400000_NS6detail17trampoline_kernelINS0_14default_configENS1_38merge_sort_block_merge_config_selectorIiNS0_10empty_typeEEEZZNS1_27merge_sort_block_merge_implIS3_N6thrust23THRUST_200600_302600_NS6detail15normal_iteratorINS9_10device_ptrIiEEEEPS5_jNS1_19radix_merge_compareILb1ELb0EiNS0_19identity_decomposerEEEEE10hipError_tT0_T1_T2_jT3_P12ihipStream_tbPNSt15iterator_traitsISK_E10value_typeEPNSQ_ISL_E10value_typeEPSM_NS1_7vsmem_tEENKUlT_SK_SL_SM_E_clIPiSE_SF_SF_EESJ_SZ_SK_SL_SM_EUlSZ_E_NS1_11comp_targetILNS1_3genE5ELNS1_11target_archE942ELNS1_3gpuE9ELNS1_3repE0EEENS1_48merge_mergepath_partition_config_static_selectorELNS0_4arch9wavefront6targetE0EEEvSL_.has_indirect_call, 0
	.section	.AMDGPU.csdata,"",@progbits
; Kernel info:
; codeLenInByte = 0
; TotalNumSgprs: 0
; NumVgprs: 0
; ScratchSize: 0
; MemoryBound: 0
; FloatMode: 240
; IeeeMode: 1
; LDSByteSize: 0 bytes/workgroup (compile time only)
; SGPRBlocks: 0
; VGPRBlocks: 0
; NumSGPRsForWavesPerEU: 1
; NumVGPRsForWavesPerEU: 1
; Occupancy: 16
; WaveLimiterHint : 0
; COMPUTE_PGM_RSRC2:SCRATCH_EN: 0
; COMPUTE_PGM_RSRC2:USER_SGPR: 6
; COMPUTE_PGM_RSRC2:TRAP_HANDLER: 0
; COMPUTE_PGM_RSRC2:TGID_X_EN: 1
; COMPUTE_PGM_RSRC2:TGID_Y_EN: 0
; COMPUTE_PGM_RSRC2:TGID_Z_EN: 0
; COMPUTE_PGM_RSRC2:TIDIG_COMP_CNT: 0
	.section	.text._ZN7rocprim17ROCPRIM_400000_NS6detail17trampoline_kernelINS0_14default_configENS1_38merge_sort_block_merge_config_selectorIiNS0_10empty_typeEEEZZNS1_27merge_sort_block_merge_implIS3_N6thrust23THRUST_200600_302600_NS6detail15normal_iteratorINS9_10device_ptrIiEEEEPS5_jNS1_19radix_merge_compareILb1ELb0EiNS0_19identity_decomposerEEEEE10hipError_tT0_T1_T2_jT3_P12ihipStream_tbPNSt15iterator_traitsISK_E10value_typeEPNSQ_ISL_E10value_typeEPSM_NS1_7vsmem_tEENKUlT_SK_SL_SM_E_clIPiSE_SF_SF_EESJ_SZ_SK_SL_SM_EUlSZ_E_NS1_11comp_targetILNS1_3genE4ELNS1_11target_archE910ELNS1_3gpuE8ELNS1_3repE0EEENS1_48merge_mergepath_partition_config_static_selectorELNS0_4arch9wavefront6targetE0EEEvSL_,"axG",@progbits,_ZN7rocprim17ROCPRIM_400000_NS6detail17trampoline_kernelINS0_14default_configENS1_38merge_sort_block_merge_config_selectorIiNS0_10empty_typeEEEZZNS1_27merge_sort_block_merge_implIS3_N6thrust23THRUST_200600_302600_NS6detail15normal_iteratorINS9_10device_ptrIiEEEEPS5_jNS1_19radix_merge_compareILb1ELb0EiNS0_19identity_decomposerEEEEE10hipError_tT0_T1_T2_jT3_P12ihipStream_tbPNSt15iterator_traitsISK_E10value_typeEPNSQ_ISL_E10value_typeEPSM_NS1_7vsmem_tEENKUlT_SK_SL_SM_E_clIPiSE_SF_SF_EESJ_SZ_SK_SL_SM_EUlSZ_E_NS1_11comp_targetILNS1_3genE4ELNS1_11target_archE910ELNS1_3gpuE8ELNS1_3repE0EEENS1_48merge_mergepath_partition_config_static_selectorELNS0_4arch9wavefront6targetE0EEEvSL_,comdat
	.protected	_ZN7rocprim17ROCPRIM_400000_NS6detail17trampoline_kernelINS0_14default_configENS1_38merge_sort_block_merge_config_selectorIiNS0_10empty_typeEEEZZNS1_27merge_sort_block_merge_implIS3_N6thrust23THRUST_200600_302600_NS6detail15normal_iteratorINS9_10device_ptrIiEEEEPS5_jNS1_19radix_merge_compareILb1ELb0EiNS0_19identity_decomposerEEEEE10hipError_tT0_T1_T2_jT3_P12ihipStream_tbPNSt15iterator_traitsISK_E10value_typeEPNSQ_ISL_E10value_typeEPSM_NS1_7vsmem_tEENKUlT_SK_SL_SM_E_clIPiSE_SF_SF_EESJ_SZ_SK_SL_SM_EUlSZ_E_NS1_11comp_targetILNS1_3genE4ELNS1_11target_archE910ELNS1_3gpuE8ELNS1_3repE0EEENS1_48merge_mergepath_partition_config_static_selectorELNS0_4arch9wavefront6targetE0EEEvSL_ ; -- Begin function _ZN7rocprim17ROCPRIM_400000_NS6detail17trampoline_kernelINS0_14default_configENS1_38merge_sort_block_merge_config_selectorIiNS0_10empty_typeEEEZZNS1_27merge_sort_block_merge_implIS3_N6thrust23THRUST_200600_302600_NS6detail15normal_iteratorINS9_10device_ptrIiEEEEPS5_jNS1_19radix_merge_compareILb1ELb0EiNS0_19identity_decomposerEEEEE10hipError_tT0_T1_T2_jT3_P12ihipStream_tbPNSt15iterator_traitsISK_E10value_typeEPNSQ_ISL_E10value_typeEPSM_NS1_7vsmem_tEENKUlT_SK_SL_SM_E_clIPiSE_SF_SF_EESJ_SZ_SK_SL_SM_EUlSZ_E_NS1_11comp_targetILNS1_3genE4ELNS1_11target_archE910ELNS1_3gpuE8ELNS1_3repE0EEENS1_48merge_mergepath_partition_config_static_selectorELNS0_4arch9wavefront6targetE0EEEvSL_
	.globl	_ZN7rocprim17ROCPRIM_400000_NS6detail17trampoline_kernelINS0_14default_configENS1_38merge_sort_block_merge_config_selectorIiNS0_10empty_typeEEEZZNS1_27merge_sort_block_merge_implIS3_N6thrust23THRUST_200600_302600_NS6detail15normal_iteratorINS9_10device_ptrIiEEEEPS5_jNS1_19radix_merge_compareILb1ELb0EiNS0_19identity_decomposerEEEEE10hipError_tT0_T1_T2_jT3_P12ihipStream_tbPNSt15iterator_traitsISK_E10value_typeEPNSQ_ISL_E10value_typeEPSM_NS1_7vsmem_tEENKUlT_SK_SL_SM_E_clIPiSE_SF_SF_EESJ_SZ_SK_SL_SM_EUlSZ_E_NS1_11comp_targetILNS1_3genE4ELNS1_11target_archE910ELNS1_3gpuE8ELNS1_3repE0EEENS1_48merge_mergepath_partition_config_static_selectorELNS0_4arch9wavefront6targetE0EEEvSL_
	.p2align	8
	.type	_ZN7rocprim17ROCPRIM_400000_NS6detail17trampoline_kernelINS0_14default_configENS1_38merge_sort_block_merge_config_selectorIiNS0_10empty_typeEEEZZNS1_27merge_sort_block_merge_implIS3_N6thrust23THRUST_200600_302600_NS6detail15normal_iteratorINS9_10device_ptrIiEEEEPS5_jNS1_19radix_merge_compareILb1ELb0EiNS0_19identity_decomposerEEEEE10hipError_tT0_T1_T2_jT3_P12ihipStream_tbPNSt15iterator_traitsISK_E10value_typeEPNSQ_ISL_E10value_typeEPSM_NS1_7vsmem_tEENKUlT_SK_SL_SM_E_clIPiSE_SF_SF_EESJ_SZ_SK_SL_SM_EUlSZ_E_NS1_11comp_targetILNS1_3genE4ELNS1_11target_archE910ELNS1_3gpuE8ELNS1_3repE0EEENS1_48merge_mergepath_partition_config_static_selectorELNS0_4arch9wavefront6targetE0EEEvSL_,@function
_ZN7rocprim17ROCPRIM_400000_NS6detail17trampoline_kernelINS0_14default_configENS1_38merge_sort_block_merge_config_selectorIiNS0_10empty_typeEEEZZNS1_27merge_sort_block_merge_implIS3_N6thrust23THRUST_200600_302600_NS6detail15normal_iteratorINS9_10device_ptrIiEEEEPS5_jNS1_19radix_merge_compareILb1ELb0EiNS0_19identity_decomposerEEEEE10hipError_tT0_T1_T2_jT3_P12ihipStream_tbPNSt15iterator_traitsISK_E10value_typeEPNSQ_ISL_E10value_typeEPSM_NS1_7vsmem_tEENKUlT_SK_SL_SM_E_clIPiSE_SF_SF_EESJ_SZ_SK_SL_SM_EUlSZ_E_NS1_11comp_targetILNS1_3genE4ELNS1_11target_archE910ELNS1_3gpuE8ELNS1_3repE0EEENS1_48merge_mergepath_partition_config_static_selectorELNS0_4arch9wavefront6targetE0EEEvSL_: ; @_ZN7rocprim17ROCPRIM_400000_NS6detail17trampoline_kernelINS0_14default_configENS1_38merge_sort_block_merge_config_selectorIiNS0_10empty_typeEEEZZNS1_27merge_sort_block_merge_implIS3_N6thrust23THRUST_200600_302600_NS6detail15normal_iteratorINS9_10device_ptrIiEEEEPS5_jNS1_19radix_merge_compareILb1ELb0EiNS0_19identity_decomposerEEEEE10hipError_tT0_T1_T2_jT3_P12ihipStream_tbPNSt15iterator_traitsISK_E10value_typeEPNSQ_ISL_E10value_typeEPSM_NS1_7vsmem_tEENKUlT_SK_SL_SM_E_clIPiSE_SF_SF_EESJ_SZ_SK_SL_SM_EUlSZ_E_NS1_11comp_targetILNS1_3genE4ELNS1_11target_archE910ELNS1_3gpuE8ELNS1_3repE0EEENS1_48merge_mergepath_partition_config_static_selectorELNS0_4arch9wavefront6targetE0EEEvSL_
; %bb.0:
	.section	.rodata,"a",@progbits
	.p2align	6, 0x0
	.amdhsa_kernel _ZN7rocprim17ROCPRIM_400000_NS6detail17trampoline_kernelINS0_14default_configENS1_38merge_sort_block_merge_config_selectorIiNS0_10empty_typeEEEZZNS1_27merge_sort_block_merge_implIS3_N6thrust23THRUST_200600_302600_NS6detail15normal_iteratorINS9_10device_ptrIiEEEEPS5_jNS1_19radix_merge_compareILb1ELb0EiNS0_19identity_decomposerEEEEE10hipError_tT0_T1_T2_jT3_P12ihipStream_tbPNSt15iterator_traitsISK_E10value_typeEPNSQ_ISL_E10value_typeEPSM_NS1_7vsmem_tEENKUlT_SK_SL_SM_E_clIPiSE_SF_SF_EESJ_SZ_SK_SL_SM_EUlSZ_E_NS1_11comp_targetILNS1_3genE4ELNS1_11target_archE910ELNS1_3gpuE8ELNS1_3repE0EEENS1_48merge_mergepath_partition_config_static_selectorELNS0_4arch9wavefront6targetE0EEEvSL_
		.amdhsa_group_segment_fixed_size 0
		.amdhsa_private_segment_fixed_size 0
		.amdhsa_kernarg_size 40
		.amdhsa_user_sgpr_count 6
		.amdhsa_user_sgpr_private_segment_buffer 1
		.amdhsa_user_sgpr_dispatch_ptr 0
		.amdhsa_user_sgpr_queue_ptr 0
		.amdhsa_user_sgpr_kernarg_segment_ptr 1
		.amdhsa_user_sgpr_dispatch_id 0
		.amdhsa_user_sgpr_flat_scratch_init 0
		.amdhsa_user_sgpr_private_segment_size 0
		.amdhsa_wavefront_size32 1
		.amdhsa_uses_dynamic_stack 0
		.amdhsa_system_sgpr_private_segment_wavefront_offset 0
		.amdhsa_system_sgpr_workgroup_id_x 1
		.amdhsa_system_sgpr_workgroup_id_y 0
		.amdhsa_system_sgpr_workgroup_id_z 0
		.amdhsa_system_sgpr_workgroup_info 0
		.amdhsa_system_vgpr_workitem_id 0
		.amdhsa_next_free_vgpr 1
		.amdhsa_next_free_sgpr 1
		.amdhsa_reserve_vcc 0
		.amdhsa_reserve_flat_scratch 0
		.amdhsa_float_round_mode_32 0
		.amdhsa_float_round_mode_16_64 0
		.amdhsa_float_denorm_mode_32 3
		.amdhsa_float_denorm_mode_16_64 3
		.amdhsa_dx10_clamp 1
		.amdhsa_ieee_mode 1
		.amdhsa_fp16_overflow 0
		.amdhsa_workgroup_processor_mode 1
		.amdhsa_memory_ordered 1
		.amdhsa_forward_progress 1
		.amdhsa_shared_vgpr_count 0
		.amdhsa_exception_fp_ieee_invalid_op 0
		.amdhsa_exception_fp_denorm_src 0
		.amdhsa_exception_fp_ieee_div_zero 0
		.amdhsa_exception_fp_ieee_overflow 0
		.amdhsa_exception_fp_ieee_underflow 0
		.amdhsa_exception_fp_ieee_inexact 0
		.amdhsa_exception_int_div_zero 0
	.end_amdhsa_kernel
	.section	.text._ZN7rocprim17ROCPRIM_400000_NS6detail17trampoline_kernelINS0_14default_configENS1_38merge_sort_block_merge_config_selectorIiNS0_10empty_typeEEEZZNS1_27merge_sort_block_merge_implIS3_N6thrust23THRUST_200600_302600_NS6detail15normal_iteratorINS9_10device_ptrIiEEEEPS5_jNS1_19radix_merge_compareILb1ELb0EiNS0_19identity_decomposerEEEEE10hipError_tT0_T1_T2_jT3_P12ihipStream_tbPNSt15iterator_traitsISK_E10value_typeEPNSQ_ISL_E10value_typeEPSM_NS1_7vsmem_tEENKUlT_SK_SL_SM_E_clIPiSE_SF_SF_EESJ_SZ_SK_SL_SM_EUlSZ_E_NS1_11comp_targetILNS1_3genE4ELNS1_11target_archE910ELNS1_3gpuE8ELNS1_3repE0EEENS1_48merge_mergepath_partition_config_static_selectorELNS0_4arch9wavefront6targetE0EEEvSL_,"axG",@progbits,_ZN7rocprim17ROCPRIM_400000_NS6detail17trampoline_kernelINS0_14default_configENS1_38merge_sort_block_merge_config_selectorIiNS0_10empty_typeEEEZZNS1_27merge_sort_block_merge_implIS3_N6thrust23THRUST_200600_302600_NS6detail15normal_iteratorINS9_10device_ptrIiEEEEPS5_jNS1_19radix_merge_compareILb1ELb0EiNS0_19identity_decomposerEEEEE10hipError_tT0_T1_T2_jT3_P12ihipStream_tbPNSt15iterator_traitsISK_E10value_typeEPNSQ_ISL_E10value_typeEPSM_NS1_7vsmem_tEENKUlT_SK_SL_SM_E_clIPiSE_SF_SF_EESJ_SZ_SK_SL_SM_EUlSZ_E_NS1_11comp_targetILNS1_3genE4ELNS1_11target_archE910ELNS1_3gpuE8ELNS1_3repE0EEENS1_48merge_mergepath_partition_config_static_selectorELNS0_4arch9wavefront6targetE0EEEvSL_,comdat
.Lfunc_end225:
	.size	_ZN7rocprim17ROCPRIM_400000_NS6detail17trampoline_kernelINS0_14default_configENS1_38merge_sort_block_merge_config_selectorIiNS0_10empty_typeEEEZZNS1_27merge_sort_block_merge_implIS3_N6thrust23THRUST_200600_302600_NS6detail15normal_iteratorINS9_10device_ptrIiEEEEPS5_jNS1_19radix_merge_compareILb1ELb0EiNS0_19identity_decomposerEEEEE10hipError_tT0_T1_T2_jT3_P12ihipStream_tbPNSt15iterator_traitsISK_E10value_typeEPNSQ_ISL_E10value_typeEPSM_NS1_7vsmem_tEENKUlT_SK_SL_SM_E_clIPiSE_SF_SF_EESJ_SZ_SK_SL_SM_EUlSZ_E_NS1_11comp_targetILNS1_3genE4ELNS1_11target_archE910ELNS1_3gpuE8ELNS1_3repE0EEENS1_48merge_mergepath_partition_config_static_selectorELNS0_4arch9wavefront6targetE0EEEvSL_, .Lfunc_end225-_ZN7rocprim17ROCPRIM_400000_NS6detail17trampoline_kernelINS0_14default_configENS1_38merge_sort_block_merge_config_selectorIiNS0_10empty_typeEEEZZNS1_27merge_sort_block_merge_implIS3_N6thrust23THRUST_200600_302600_NS6detail15normal_iteratorINS9_10device_ptrIiEEEEPS5_jNS1_19radix_merge_compareILb1ELb0EiNS0_19identity_decomposerEEEEE10hipError_tT0_T1_T2_jT3_P12ihipStream_tbPNSt15iterator_traitsISK_E10value_typeEPNSQ_ISL_E10value_typeEPSM_NS1_7vsmem_tEENKUlT_SK_SL_SM_E_clIPiSE_SF_SF_EESJ_SZ_SK_SL_SM_EUlSZ_E_NS1_11comp_targetILNS1_3genE4ELNS1_11target_archE910ELNS1_3gpuE8ELNS1_3repE0EEENS1_48merge_mergepath_partition_config_static_selectorELNS0_4arch9wavefront6targetE0EEEvSL_
                                        ; -- End function
	.set _ZN7rocprim17ROCPRIM_400000_NS6detail17trampoline_kernelINS0_14default_configENS1_38merge_sort_block_merge_config_selectorIiNS0_10empty_typeEEEZZNS1_27merge_sort_block_merge_implIS3_N6thrust23THRUST_200600_302600_NS6detail15normal_iteratorINS9_10device_ptrIiEEEEPS5_jNS1_19radix_merge_compareILb1ELb0EiNS0_19identity_decomposerEEEEE10hipError_tT0_T1_T2_jT3_P12ihipStream_tbPNSt15iterator_traitsISK_E10value_typeEPNSQ_ISL_E10value_typeEPSM_NS1_7vsmem_tEENKUlT_SK_SL_SM_E_clIPiSE_SF_SF_EESJ_SZ_SK_SL_SM_EUlSZ_E_NS1_11comp_targetILNS1_3genE4ELNS1_11target_archE910ELNS1_3gpuE8ELNS1_3repE0EEENS1_48merge_mergepath_partition_config_static_selectorELNS0_4arch9wavefront6targetE0EEEvSL_.num_vgpr, 0
	.set _ZN7rocprim17ROCPRIM_400000_NS6detail17trampoline_kernelINS0_14default_configENS1_38merge_sort_block_merge_config_selectorIiNS0_10empty_typeEEEZZNS1_27merge_sort_block_merge_implIS3_N6thrust23THRUST_200600_302600_NS6detail15normal_iteratorINS9_10device_ptrIiEEEEPS5_jNS1_19radix_merge_compareILb1ELb0EiNS0_19identity_decomposerEEEEE10hipError_tT0_T1_T2_jT3_P12ihipStream_tbPNSt15iterator_traitsISK_E10value_typeEPNSQ_ISL_E10value_typeEPSM_NS1_7vsmem_tEENKUlT_SK_SL_SM_E_clIPiSE_SF_SF_EESJ_SZ_SK_SL_SM_EUlSZ_E_NS1_11comp_targetILNS1_3genE4ELNS1_11target_archE910ELNS1_3gpuE8ELNS1_3repE0EEENS1_48merge_mergepath_partition_config_static_selectorELNS0_4arch9wavefront6targetE0EEEvSL_.num_agpr, 0
	.set _ZN7rocprim17ROCPRIM_400000_NS6detail17trampoline_kernelINS0_14default_configENS1_38merge_sort_block_merge_config_selectorIiNS0_10empty_typeEEEZZNS1_27merge_sort_block_merge_implIS3_N6thrust23THRUST_200600_302600_NS6detail15normal_iteratorINS9_10device_ptrIiEEEEPS5_jNS1_19radix_merge_compareILb1ELb0EiNS0_19identity_decomposerEEEEE10hipError_tT0_T1_T2_jT3_P12ihipStream_tbPNSt15iterator_traitsISK_E10value_typeEPNSQ_ISL_E10value_typeEPSM_NS1_7vsmem_tEENKUlT_SK_SL_SM_E_clIPiSE_SF_SF_EESJ_SZ_SK_SL_SM_EUlSZ_E_NS1_11comp_targetILNS1_3genE4ELNS1_11target_archE910ELNS1_3gpuE8ELNS1_3repE0EEENS1_48merge_mergepath_partition_config_static_selectorELNS0_4arch9wavefront6targetE0EEEvSL_.numbered_sgpr, 0
	.set _ZN7rocprim17ROCPRIM_400000_NS6detail17trampoline_kernelINS0_14default_configENS1_38merge_sort_block_merge_config_selectorIiNS0_10empty_typeEEEZZNS1_27merge_sort_block_merge_implIS3_N6thrust23THRUST_200600_302600_NS6detail15normal_iteratorINS9_10device_ptrIiEEEEPS5_jNS1_19radix_merge_compareILb1ELb0EiNS0_19identity_decomposerEEEEE10hipError_tT0_T1_T2_jT3_P12ihipStream_tbPNSt15iterator_traitsISK_E10value_typeEPNSQ_ISL_E10value_typeEPSM_NS1_7vsmem_tEENKUlT_SK_SL_SM_E_clIPiSE_SF_SF_EESJ_SZ_SK_SL_SM_EUlSZ_E_NS1_11comp_targetILNS1_3genE4ELNS1_11target_archE910ELNS1_3gpuE8ELNS1_3repE0EEENS1_48merge_mergepath_partition_config_static_selectorELNS0_4arch9wavefront6targetE0EEEvSL_.num_named_barrier, 0
	.set _ZN7rocprim17ROCPRIM_400000_NS6detail17trampoline_kernelINS0_14default_configENS1_38merge_sort_block_merge_config_selectorIiNS0_10empty_typeEEEZZNS1_27merge_sort_block_merge_implIS3_N6thrust23THRUST_200600_302600_NS6detail15normal_iteratorINS9_10device_ptrIiEEEEPS5_jNS1_19radix_merge_compareILb1ELb0EiNS0_19identity_decomposerEEEEE10hipError_tT0_T1_T2_jT3_P12ihipStream_tbPNSt15iterator_traitsISK_E10value_typeEPNSQ_ISL_E10value_typeEPSM_NS1_7vsmem_tEENKUlT_SK_SL_SM_E_clIPiSE_SF_SF_EESJ_SZ_SK_SL_SM_EUlSZ_E_NS1_11comp_targetILNS1_3genE4ELNS1_11target_archE910ELNS1_3gpuE8ELNS1_3repE0EEENS1_48merge_mergepath_partition_config_static_selectorELNS0_4arch9wavefront6targetE0EEEvSL_.private_seg_size, 0
	.set _ZN7rocprim17ROCPRIM_400000_NS6detail17trampoline_kernelINS0_14default_configENS1_38merge_sort_block_merge_config_selectorIiNS0_10empty_typeEEEZZNS1_27merge_sort_block_merge_implIS3_N6thrust23THRUST_200600_302600_NS6detail15normal_iteratorINS9_10device_ptrIiEEEEPS5_jNS1_19radix_merge_compareILb1ELb0EiNS0_19identity_decomposerEEEEE10hipError_tT0_T1_T2_jT3_P12ihipStream_tbPNSt15iterator_traitsISK_E10value_typeEPNSQ_ISL_E10value_typeEPSM_NS1_7vsmem_tEENKUlT_SK_SL_SM_E_clIPiSE_SF_SF_EESJ_SZ_SK_SL_SM_EUlSZ_E_NS1_11comp_targetILNS1_3genE4ELNS1_11target_archE910ELNS1_3gpuE8ELNS1_3repE0EEENS1_48merge_mergepath_partition_config_static_selectorELNS0_4arch9wavefront6targetE0EEEvSL_.uses_vcc, 0
	.set _ZN7rocprim17ROCPRIM_400000_NS6detail17trampoline_kernelINS0_14default_configENS1_38merge_sort_block_merge_config_selectorIiNS0_10empty_typeEEEZZNS1_27merge_sort_block_merge_implIS3_N6thrust23THRUST_200600_302600_NS6detail15normal_iteratorINS9_10device_ptrIiEEEEPS5_jNS1_19radix_merge_compareILb1ELb0EiNS0_19identity_decomposerEEEEE10hipError_tT0_T1_T2_jT3_P12ihipStream_tbPNSt15iterator_traitsISK_E10value_typeEPNSQ_ISL_E10value_typeEPSM_NS1_7vsmem_tEENKUlT_SK_SL_SM_E_clIPiSE_SF_SF_EESJ_SZ_SK_SL_SM_EUlSZ_E_NS1_11comp_targetILNS1_3genE4ELNS1_11target_archE910ELNS1_3gpuE8ELNS1_3repE0EEENS1_48merge_mergepath_partition_config_static_selectorELNS0_4arch9wavefront6targetE0EEEvSL_.uses_flat_scratch, 0
	.set _ZN7rocprim17ROCPRIM_400000_NS6detail17trampoline_kernelINS0_14default_configENS1_38merge_sort_block_merge_config_selectorIiNS0_10empty_typeEEEZZNS1_27merge_sort_block_merge_implIS3_N6thrust23THRUST_200600_302600_NS6detail15normal_iteratorINS9_10device_ptrIiEEEEPS5_jNS1_19radix_merge_compareILb1ELb0EiNS0_19identity_decomposerEEEEE10hipError_tT0_T1_T2_jT3_P12ihipStream_tbPNSt15iterator_traitsISK_E10value_typeEPNSQ_ISL_E10value_typeEPSM_NS1_7vsmem_tEENKUlT_SK_SL_SM_E_clIPiSE_SF_SF_EESJ_SZ_SK_SL_SM_EUlSZ_E_NS1_11comp_targetILNS1_3genE4ELNS1_11target_archE910ELNS1_3gpuE8ELNS1_3repE0EEENS1_48merge_mergepath_partition_config_static_selectorELNS0_4arch9wavefront6targetE0EEEvSL_.has_dyn_sized_stack, 0
	.set _ZN7rocprim17ROCPRIM_400000_NS6detail17trampoline_kernelINS0_14default_configENS1_38merge_sort_block_merge_config_selectorIiNS0_10empty_typeEEEZZNS1_27merge_sort_block_merge_implIS3_N6thrust23THRUST_200600_302600_NS6detail15normal_iteratorINS9_10device_ptrIiEEEEPS5_jNS1_19radix_merge_compareILb1ELb0EiNS0_19identity_decomposerEEEEE10hipError_tT0_T1_T2_jT3_P12ihipStream_tbPNSt15iterator_traitsISK_E10value_typeEPNSQ_ISL_E10value_typeEPSM_NS1_7vsmem_tEENKUlT_SK_SL_SM_E_clIPiSE_SF_SF_EESJ_SZ_SK_SL_SM_EUlSZ_E_NS1_11comp_targetILNS1_3genE4ELNS1_11target_archE910ELNS1_3gpuE8ELNS1_3repE0EEENS1_48merge_mergepath_partition_config_static_selectorELNS0_4arch9wavefront6targetE0EEEvSL_.has_recursion, 0
	.set _ZN7rocprim17ROCPRIM_400000_NS6detail17trampoline_kernelINS0_14default_configENS1_38merge_sort_block_merge_config_selectorIiNS0_10empty_typeEEEZZNS1_27merge_sort_block_merge_implIS3_N6thrust23THRUST_200600_302600_NS6detail15normal_iteratorINS9_10device_ptrIiEEEEPS5_jNS1_19radix_merge_compareILb1ELb0EiNS0_19identity_decomposerEEEEE10hipError_tT0_T1_T2_jT3_P12ihipStream_tbPNSt15iterator_traitsISK_E10value_typeEPNSQ_ISL_E10value_typeEPSM_NS1_7vsmem_tEENKUlT_SK_SL_SM_E_clIPiSE_SF_SF_EESJ_SZ_SK_SL_SM_EUlSZ_E_NS1_11comp_targetILNS1_3genE4ELNS1_11target_archE910ELNS1_3gpuE8ELNS1_3repE0EEENS1_48merge_mergepath_partition_config_static_selectorELNS0_4arch9wavefront6targetE0EEEvSL_.has_indirect_call, 0
	.section	.AMDGPU.csdata,"",@progbits
; Kernel info:
; codeLenInByte = 0
; TotalNumSgprs: 0
; NumVgprs: 0
; ScratchSize: 0
; MemoryBound: 0
; FloatMode: 240
; IeeeMode: 1
; LDSByteSize: 0 bytes/workgroup (compile time only)
; SGPRBlocks: 0
; VGPRBlocks: 0
; NumSGPRsForWavesPerEU: 1
; NumVGPRsForWavesPerEU: 1
; Occupancy: 16
; WaveLimiterHint : 0
; COMPUTE_PGM_RSRC2:SCRATCH_EN: 0
; COMPUTE_PGM_RSRC2:USER_SGPR: 6
; COMPUTE_PGM_RSRC2:TRAP_HANDLER: 0
; COMPUTE_PGM_RSRC2:TGID_X_EN: 1
; COMPUTE_PGM_RSRC2:TGID_Y_EN: 0
; COMPUTE_PGM_RSRC2:TGID_Z_EN: 0
; COMPUTE_PGM_RSRC2:TIDIG_COMP_CNT: 0
	.section	.text._ZN7rocprim17ROCPRIM_400000_NS6detail17trampoline_kernelINS0_14default_configENS1_38merge_sort_block_merge_config_selectorIiNS0_10empty_typeEEEZZNS1_27merge_sort_block_merge_implIS3_N6thrust23THRUST_200600_302600_NS6detail15normal_iteratorINS9_10device_ptrIiEEEEPS5_jNS1_19radix_merge_compareILb1ELb0EiNS0_19identity_decomposerEEEEE10hipError_tT0_T1_T2_jT3_P12ihipStream_tbPNSt15iterator_traitsISK_E10value_typeEPNSQ_ISL_E10value_typeEPSM_NS1_7vsmem_tEENKUlT_SK_SL_SM_E_clIPiSE_SF_SF_EESJ_SZ_SK_SL_SM_EUlSZ_E_NS1_11comp_targetILNS1_3genE3ELNS1_11target_archE908ELNS1_3gpuE7ELNS1_3repE0EEENS1_48merge_mergepath_partition_config_static_selectorELNS0_4arch9wavefront6targetE0EEEvSL_,"axG",@progbits,_ZN7rocprim17ROCPRIM_400000_NS6detail17trampoline_kernelINS0_14default_configENS1_38merge_sort_block_merge_config_selectorIiNS0_10empty_typeEEEZZNS1_27merge_sort_block_merge_implIS3_N6thrust23THRUST_200600_302600_NS6detail15normal_iteratorINS9_10device_ptrIiEEEEPS5_jNS1_19radix_merge_compareILb1ELb0EiNS0_19identity_decomposerEEEEE10hipError_tT0_T1_T2_jT3_P12ihipStream_tbPNSt15iterator_traitsISK_E10value_typeEPNSQ_ISL_E10value_typeEPSM_NS1_7vsmem_tEENKUlT_SK_SL_SM_E_clIPiSE_SF_SF_EESJ_SZ_SK_SL_SM_EUlSZ_E_NS1_11comp_targetILNS1_3genE3ELNS1_11target_archE908ELNS1_3gpuE7ELNS1_3repE0EEENS1_48merge_mergepath_partition_config_static_selectorELNS0_4arch9wavefront6targetE0EEEvSL_,comdat
	.protected	_ZN7rocprim17ROCPRIM_400000_NS6detail17trampoline_kernelINS0_14default_configENS1_38merge_sort_block_merge_config_selectorIiNS0_10empty_typeEEEZZNS1_27merge_sort_block_merge_implIS3_N6thrust23THRUST_200600_302600_NS6detail15normal_iteratorINS9_10device_ptrIiEEEEPS5_jNS1_19radix_merge_compareILb1ELb0EiNS0_19identity_decomposerEEEEE10hipError_tT0_T1_T2_jT3_P12ihipStream_tbPNSt15iterator_traitsISK_E10value_typeEPNSQ_ISL_E10value_typeEPSM_NS1_7vsmem_tEENKUlT_SK_SL_SM_E_clIPiSE_SF_SF_EESJ_SZ_SK_SL_SM_EUlSZ_E_NS1_11comp_targetILNS1_3genE3ELNS1_11target_archE908ELNS1_3gpuE7ELNS1_3repE0EEENS1_48merge_mergepath_partition_config_static_selectorELNS0_4arch9wavefront6targetE0EEEvSL_ ; -- Begin function _ZN7rocprim17ROCPRIM_400000_NS6detail17trampoline_kernelINS0_14default_configENS1_38merge_sort_block_merge_config_selectorIiNS0_10empty_typeEEEZZNS1_27merge_sort_block_merge_implIS3_N6thrust23THRUST_200600_302600_NS6detail15normal_iteratorINS9_10device_ptrIiEEEEPS5_jNS1_19radix_merge_compareILb1ELb0EiNS0_19identity_decomposerEEEEE10hipError_tT0_T1_T2_jT3_P12ihipStream_tbPNSt15iterator_traitsISK_E10value_typeEPNSQ_ISL_E10value_typeEPSM_NS1_7vsmem_tEENKUlT_SK_SL_SM_E_clIPiSE_SF_SF_EESJ_SZ_SK_SL_SM_EUlSZ_E_NS1_11comp_targetILNS1_3genE3ELNS1_11target_archE908ELNS1_3gpuE7ELNS1_3repE0EEENS1_48merge_mergepath_partition_config_static_selectorELNS0_4arch9wavefront6targetE0EEEvSL_
	.globl	_ZN7rocprim17ROCPRIM_400000_NS6detail17trampoline_kernelINS0_14default_configENS1_38merge_sort_block_merge_config_selectorIiNS0_10empty_typeEEEZZNS1_27merge_sort_block_merge_implIS3_N6thrust23THRUST_200600_302600_NS6detail15normal_iteratorINS9_10device_ptrIiEEEEPS5_jNS1_19radix_merge_compareILb1ELb0EiNS0_19identity_decomposerEEEEE10hipError_tT0_T1_T2_jT3_P12ihipStream_tbPNSt15iterator_traitsISK_E10value_typeEPNSQ_ISL_E10value_typeEPSM_NS1_7vsmem_tEENKUlT_SK_SL_SM_E_clIPiSE_SF_SF_EESJ_SZ_SK_SL_SM_EUlSZ_E_NS1_11comp_targetILNS1_3genE3ELNS1_11target_archE908ELNS1_3gpuE7ELNS1_3repE0EEENS1_48merge_mergepath_partition_config_static_selectorELNS0_4arch9wavefront6targetE0EEEvSL_
	.p2align	8
	.type	_ZN7rocprim17ROCPRIM_400000_NS6detail17trampoline_kernelINS0_14default_configENS1_38merge_sort_block_merge_config_selectorIiNS0_10empty_typeEEEZZNS1_27merge_sort_block_merge_implIS3_N6thrust23THRUST_200600_302600_NS6detail15normal_iteratorINS9_10device_ptrIiEEEEPS5_jNS1_19radix_merge_compareILb1ELb0EiNS0_19identity_decomposerEEEEE10hipError_tT0_T1_T2_jT3_P12ihipStream_tbPNSt15iterator_traitsISK_E10value_typeEPNSQ_ISL_E10value_typeEPSM_NS1_7vsmem_tEENKUlT_SK_SL_SM_E_clIPiSE_SF_SF_EESJ_SZ_SK_SL_SM_EUlSZ_E_NS1_11comp_targetILNS1_3genE3ELNS1_11target_archE908ELNS1_3gpuE7ELNS1_3repE0EEENS1_48merge_mergepath_partition_config_static_selectorELNS0_4arch9wavefront6targetE0EEEvSL_,@function
_ZN7rocprim17ROCPRIM_400000_NS6detail17trampoline_kernelINS0_14default_configENS1_38merge_sort_block_merge_config_selectorIiNS0_10empty_typeEEEZZNS1_27merge_sort_block_merge_implIS3_N6thrust23THRUST_200600_302600_NS6detail15normal_iteratorINS9_10device_ptrIiEEEEPS5_jNS1_19radix_merge_compareILb1ELb0EiNS0_19identity_decomposerEEEEE10hipError_tT0_T1_T2_jT3_P12ihipStream_tbPNSt15iterator_traitsISK_E10value_typeEPNSQ_ISL_E10value_typeEPSM_NS1_7vsmem_tEENKUlT_SK_SL_SM_E_clIPiSE_SF_SF_EESJ_SZ_SK_SL_SM_EUlSZ_E_NS1_11comp_targetILNS1_3genE3ELNS1_11target_archE908ELNS1_3gpuE7ELNS1_3repE0EEENS1_48merge_mergepath_partition_config_static_selectorELNS0_4arch9wavefront6targetE0EEEvSL_: ; @_ZN7rocprim17ROCPRIM_400000_NS6detail17trampoline_kernelINS0_14default_configENS1_38merge_sort_block_merge_config_selectorIiNS0_10empty_typeEEEZZNS1_27merge_sort_block_merge_implIS3_N6thrust23THRUST_200600_302600_NS6detail15normal_iteratorINS9_10device_ptrIiEEEEPS5_jNS1_19radix_merge_compareILb1ELb0EiNS0_19identity_decomposerEEEEE10hipError_tT0_T1_T2_jT3_P12ihipStream_tbPNSt15iterator_traitsISK_E10value_typeEPNSQ_ISL_E10value_typeEPSM_NS1_7vsmem_tEENKUlT_SK_SL_SM_E_clIPiSE_SF_SF_EESJ_SZ_SK_SL_SM_EUlSZ_E_NS1_11comp_targetILNS1_3genE3ELNS1_11target_archE908ELNS1_3gpuE7ELNS1_3repE0EEENS1_48merge_mergepath_partition_config_static_selectorELNS0_4arch9wavefront6targetE0EEEvSL_
; %bb.0:
	.section	.rodata,"a",@progbits
	.p2align	6, 0x0
	.amdhsa_kernel _ZN7rocprim17ROCPRIM_400000_NS6detail17trampoline_kernelINS0_14default_configENS1_38merge_sort_block_merge_config_selectorIiNS0_10empty_typeEEEZZNS1_27merge_sort_block_merge_implIS3_N6thrust23THRUST_200600_302600_NS6detail15normal_iteratorINS9_10device_ptrIiEEEEPS5_jNS1_19radix_merge_compareILb1ELb0EiNS0_19identity_decomposerEEEEE10hipError_tT0_T1_T2_jT3_P12ihipStream_tbPNSt15iterator_traitsISK_E10value_typeEPNSQ_ISL_E10value_typeEPSM_NS1_7vsmem_tEENKUlT_SK_SL_SM_E_clIPiSE_SF_SF_EESJ_SZ_SK_SL_SM_EUlSZ_E_NS1_11comp_targetILNS1_3genE3ELNS1_11target_archE908ELNS1_3gpuE7ELNS1_3repE0EEENS1_48merge_mergepath_partition_config_static_selectorELNS0_4arch9wavefront6targetE0EEEvSL_
		.amdhsa_group_segment_fixed_size 0
		.amdhsa_private_segment_fixed_size 0
		.amdhsa_kernarg_size 40
		.amdhsa_user_sgpr_count 6
		.amdhsa_user_sgpr_private_segment_buffer 1
		.amdhsa_user_sgpr_dispatch_ptr 0
		.amdhsa_user_sgpr_queue_ptr 0
		.amdhsa_user_sgpr_kernarg_segment_ptr 1
		.amdhsa_user_sgpr_dispatch_id 0
		.amdhsa_user_sgpr_flat_scratch_init 0
		.amdhsa_user_sgpr_private_segment_size 0
		.amdhsa_wavefront_size32 1
		.amdhsa_uses_dynamic_stack 0
		.amdhsa_system_sgpr_private_segment_wavefront_offset 0
		.amdhsa_system_sgpr_workgroup_id_x 1
		.amdhsa_system_sgpr_workgroup_id_y 0
		.amdhsa_system_sgpr_workgroup_id_z 0
		.amdhsa_system_sgpr_workgroup_info 0
		.amdhsa_system_vgpr_workitem_id 0
		.amdhsa_next_free_vgpr 1
		.amdhsa_next_free_sgpr 1
		.amdhsa_reserve_vcc 0
		.amdhsa_reserve_flat_scratch 0
		.amdhsa_float_round_mode_32 0
		.amdhsa_float_round_mode_16_64 0
		.amdhsa_float_denorm_mode_32 3
		.amdhsa_float_denorm_mode_16_64 3
		.amdhsa_dx10_clamp 1
		.amdhsa_ieee_mode 1
		.amdhsa_fp16_overflow 0
		.amdhsa_workgroup_processor_mode 1
		.amdhsa_memory_ordered 1
		.amdhsa_forward_progress 1
		.amdhsa_shared_vgpr_count 0
		.amdhsa_exception_fp_ieee_invalid_op 0
		.amdhsa_exception_fp_denorm_src 0
		.amdhsa_exception_fp_ieee_div_zero 0
		.amdhsa_exception_fp_ieee_overflow 0
		.amdhsa_exception_fp_ieee_underflow 0
		.amdhsa_exception_fp_ieee_inexact 0
		.amdhsa_exception_int_div_zero 0
	.end_amdhsa_kernel
	.section	.text._ZN7rocprim17ROCPRIM_400000_NS6detail17trampoline_kernelINS0_14default_configENS1_38merge_sort_block_merge_config_selectorIiNS0_10empty_typeEEEZZNS1_27merge_sort_block_merge_implIS3_N6thrust23THRUST_200600_302600_NS6detail15normal_iteratorINS9_10device_ptrIiEEEEPS5_jNS1_19radix_merge_compareILb1ELb0EiNS0_19identity_decomposerEEEEE10hipError_tT0_T1_T2_jT3_P12ihipStream_tbPNSt15iterator_traitsISK_E10value_typeEPNSQ_ISL_E10value_typeEPSM_NS1_7vsmem_tEENKUlT_SK_SL_SM_E_clIPiSE_SF_SF_EESJ_SZ_SK_SL_SM_EUlSZ_E_NS1_11comp_targetILNS1_3genE3ELNS1_11target_archE908ELNS1_3gpuE7ELNS1_3repE0EEENS1_48merge_mergepath_partition_config_static_selectorELNS0_4arch9wavefront6targetE0EEEvSL_,"axG",@progbits,_ZN7rocprim17ROCPRIM_400000_NS6detail17trampoline_kernelINS0_14default_configENS1_38merge_sort_block_merge_config_selectorIiNS0_10empty_typeEEEZZNS1_27merge_sort_block_merge_implIS3_N6thrust23THRUST_200600_302600_NS6detail15normal_iteratorINS9_10device_ptrIiEEEEPS5_jNS1_19radix_merge_compareILb1ELb0EiNS0_19identity_decomposerEEEEE10hipError_tT0_T1_T2_jT3_P12ihipStream_tbPNSt15iterator_traitsISK_E10value_typeEPNSQ_ISL_E10value_typeEPSM_NS1_7vsmem_tEENKUlT_SK_SL_SM_E_clIPiSE_SF_SF_EESJ_SZ_SK_SL_SM_EUlSZ_E_NS1_11comp_targetILNS1_3genE3ELNS1_11target_archE908ELNS1_3gpuE7ELNS1_3repE0EEENS1_48merge_mergepath_partition_config_static_selectorELNS0_4arch9wavefront6targetE0EEEvSL_,comdat
.Lfunc_end226:
	.size	_ZN7rocprim17ROCPRIM_400000_NS6detail17trampoline_kernelINS0_14default_configENS1_38merge_sort_block_merge_config_selectorIiNS0_10empty_typeEEEZZNS1_27merge_sort_block_merge_implIS3_N6thrust23THRUST_200600_302600_NS6detail15normal_iteratorINS9_10device_ptrIiEEEEPS5_jNS1_19radix_merge_compareILb1ELb0EiNS0_19identity_decomposerEEEEE10hipError_tT0_T1_T2_jT3_P12ihipStream_tbPNSt15iterator_traitsISK_E10value_typeEPNSQ_ISL_E10value_typeEPSM_NS1_7vsmem_tEENKUlT_SK_SL_SM_E_clIPiSE_SF_SF_EESJ_SZ_SK_SL_SM_EUlSZ_E_NS1_11comp_targetILNS1_3genE3ELNS1_11target_archE908ELNS1_3gpuE7ELNS1_3repE0EEENS1_48merge_mergepath_partition_config_static_selectorELNS0_4arch9wavefront6targetE0EEEvSL_, .Lfunc_end226-_ZN7rocprim17ROCPRIM_400000_NS6detail17trampoline_kernelINS0_14default_configENS1_38merge_sort_block_merge_config_selectorIiNS0_10empty_typeEEEZZNS1_27merge_sort_block_merge_implIS3_N6thrust23THRUST_200600_302600_NS6detail15normal_iteratorINS9_10device_ptrIiEEEEPS5_jNS1_19radix_merge_compareILb1ELb0EiNS0_19identity_decomposerEEEEE10hipError_tT0_T1_T2_jT3_P12ihipStream_tbPNSt15iterator_traitsISK_E10value_typeEPNSQ_ISL_E10value_typeEPSM_NS1_7vsmem_tEENKUlT_SK_SL_SM_E_clIPiSE_SF_SF_EESJ_SZ_SK_SL_SM_EUlSZ_E_NS1_11comp_targetILNS1_3genE3ELNS1_11target_archE908ELNS1_3gpuE7ELNS1_3repE0EEENS1_48merge_mergepath_partition_config_static_selectorELNS0_4arch9wavefront6targetE0EEEvSL_
                                        ; -- End function
	.set _ZN7rocprim17ROCPRIM_400000_NS6detail17trampoline_kernelINS0_14default_configENS1_38merge_sort_block_merge_config_selectorIiNS0_10empty_typeEEEZZNS1_27merge_sort_block_merge_implIS3_N6thrust23THRUST_200600_302600_NS6detail15normal_iteratorINS9_10device_ptrIiEEEEPS5_jNS1_19radix_merge_compareILb1ELb0EiNS0_19identity_decomposerEEEEE10hipError_tT0_T1_T2_jT3_P12ihipStream_tbPNSt15iterator_traitsISK_E10value_typeEPNSQ_ISL_E10value_typeEPSM_NS1_7vsmem_tEENKUlT_SK_SL_SM_E_clIPiSE_SF_SF_EESJ_SZ_SK_SL_SM_EUlSZ_E_NS1_11comp_targetILNS1_3genE3ELNS1_11target_archE908ELNS1_3gpuE7ELNS1_3repE0EEENS1_48merge_mergepath_partition_config_static_selectorELNS0_4arch9wavefront6targetE0EEEvSL_.num_vgpr, 0
	.set _ZN7rocprim17ROCPRIM_400000_NS6detail17trampoline_kernelINS0_14default_configENS1_38merge_sort_block_merge_config_selectorIiNS0_10empty_typeEEEZZNS1_27merge_sort_block_merge_implIS3_N6thrust23THRUST_200600_302600_NS6detail15normal_iteratorINS9_10device_ptrIiEEEEPS5_jNS1_19radix_merge_compareILb1ELb0EiNS0_19identity_decomposerEEEEE10hipError_tT0_T1_T2_jT3_P12ihipStream_tbPNSt15iterator_traitsISK_E10value_typeEPNSQ_ISL_E10value_typeEPSM_NS1_7vsmem_tEENKUlT_SK_SL_SM_E_clIPiSE_SF_SF_EESJ_SZ_SK_SL_SM_EUlSZ_E_NS1_11comp_targetILNS1_3genE3ELNS1_11target_archE908ELNS1_3gpuE7ELNS1_3repE0EEENS1_48merge_mergepath_partition_config_static_selectorELNS0_4arch9wavefront6targetE0EEEvSL_.num_agpr, 0
	.set _ZN7rocprim17ROCPRIM_400000_NS6detail17trampoline_kernelINS0_14default_configENS1_38merge_sort_block_merge_config_selectorIiNS0_10empty_typeEEEZZNS1_27merge_sort_block_merge_implIS3_N6thrust23THRUST_200600_302600_NS6detail15normal_iteratorINS9_10device_ptrIiEEEEPS5_jNS1_19radix_merge_compareILb1ELb0EiNS0_19identity_decomposerEEEEE10hipError_tT0_T1_T2_jT3_P12ihipStream_tbPNSt15iterator_traitsISK_E10value_typeEPNSQ_ISL_E10value_typeEPSM_NS1_7vsmem_tEENKUlT_SK_SL_SM_E_clIPiSE_SF_SF_EESJ_SZ_SK_SL_SM_EUlSZ_E_NS1_11comp_targetILNS1_3genE3ELNS1_11target_archE908ELNS1_3gpuE7ELNS1_3repE0EEENS1_48merge_mergepath_partition_config_static_selectorELNS0_4arch9wavefront6targetE0EEEvSL_.numbered_sgpr, 0
	.set _ZN7rocprim17ROCPRIM_400000_NS6detail17trampoline_kernelINS0_14default_configENS1_38merge_sort_block_merge_config_selectorIiNS0_10empty_typeEEEZZNS1_27merge_sort_block_merge_implIS3_N6thrust23THRUST_200600_302600_NS6detail15normal_iteratorINS9_10device_ptrIiEEEEPS5_jNS1_19radix_merge_compareILb1ELb0EiNS0_19identity_decomposerEEEEE10hipError_tT0_T1_T2_jT3_P12ihipStream_tbPNSt15iterator_traitsISK_E10value_typeEPNSQ_ISL_E10value_typeEPSM_NS1_7vsmem_tEENKUlT_SK_SL_SM_E_clIPiSE_SF_SF_EESJ_SZ_SK_SL_SM_EUlSZ_E_NS1_11comp_targetILNS1_3genE3ELNS1_11target_archE908ELNS1_3gpuE7ELNS1_3repE0EEENS1_48merge_mergepath_partition_config_static_selectorELNS0_4arch9wavefront6targetE0EEEvSL_.num_named_barrier, 0
	.set _ZN7rocprim17ROCPRIM_400000_NS6detail17trampoline_kernelINS0_14default_configENS1_38merge_sort_block_merge_config_selectorIiNS0_10empty_typeEEEZZNS1_27merge_sort_block_merge_implIS3_N6thrust23THRUST_200600_302600_NS6detail15normal_iteratorINS9_10device_ptrIiEEEEPS5_jNS1_19radix_merge_compareILb1ELb0EiNS0_19identity_decomposerEEEEE10hipError_tT0_T1_T2_jT3_P12ihipStream_tbPNSt15iterator_traitsISK_E10value_typeEPNSQ_ISL_E10value_typeEPSM_NS1_7vsmem_tEENKUlT_SK_SL_SM_E_clIPiSE_SF_SF_EESJ_SZ_SK_SL_SM_EUlSZ_E_NS1_11comp_targetILNS1_3genE3ELNS1_11target_archE908ELNS1_3gpuE7ELNS1_3repE0EEENS1_48merge_mergepath_partition_config_static_selectorELNS0_4arch9wavefront6targetE0EEEvSL_.private_seg_size, 0
	.set _ZN7rocprim17ROCPRIM_400000_NS6detail17trampoline_kernelINS0_14default_configENS1_38merge_sort_block_merge_config_selectorIiNS0_10empty_typeEEEZZNS1_27merge_sort_block_merge_implIS3_N6thrust23THRUST_200600_302600_NS6detail15normal_iteratorINS9_10device_ptrIiEEEEPS5_jNS1_19radix_merge_compareILb1ELb0EiNS0_19identity_decomposerEEEEE10hipError_tT0_T1_T2_jT3_P12ihipStream_tbPNSt15iterator_traitsISK_E10value_typeEPNSQ_ISL_E10value_typeEPSM_NS1_7vsmem_tEENKUlT_SK_SL_SM_E_clIPiSE_SF_SF_EESJ_SZ_SK_SL_SM_EUlSZ_E_NS1_11comp_targetILNS1_3genE3ELNS1_11target_archE908ELNS1_3gpuE7ELNS1_3repE0EEENS1_48merge_mergepath_partition_config_static_selectorELNS0_4arch9wavefront6targetE0EEEvSL_.uses_vcc, 0
	.set _ZN7rocprim17ROCPRIM_400000_NS6detail17trampoline_kernelINS0_14default_configENS1_38merge_sort_block_merge_config_selectorIiNS0_10empty_typeEEEZZNS1_27merge_sort_block_merge_implIS3_N6thrust23THRUST_200600_302600_NS6detail15normal_iteratorINS9_10device_ptrIiEEEEPS5_jNS1_19radix_merge_compareILb1ELb0EiNS0_19identity_decomposerEEEEE10hipError_tT0_T1_T2_jT3_P12ihipStream_tbPNSt15iterator_traitsISK_E10value_typeEPNSQ_ISL_E10value_typeEPSM_NS1_7vsmem_tEENKUlT_SK_SL_SM_E_clIPiSE_SF_SF_EESJ_SZ_SK_SL_SM_EUlSZ_E_NS1_11comp_targetILNS1_3genE3ELNS1_11target_archE908ELNS1_3gpuE7ELNS1_3repE0EEENS1_48merge_mergepath_partition_config_static_selectorELNS0_4arch9wavefront6targetE0EEEvSL_.uses_flat_scratch, 0
	.set _ZN7rocprim17ROCPRIM_400000_NS6detail17trampoline_kernelINS0_14default_configENS1_38merge_sort_block_merge_config_selectorIiNS0_10empty_typeEEEZZNS1_27merge_sort_block_merge_implIS3_N6thrust23THRUST_200600_302600_NS6detail15normal_iteratorINS9_10device_ptrIiEEEEPS5_jNS1_19radix_merge_compareILb1ELb0EiNS0_19identity_decomposerEEEEE10hipError_tT0_T1_T2_jT3_P12ihipStream_tbPNSt15iterator_traitsISK_E10value_typeEPNSQ_ISL_E10value_typeEPSM_NS1_7vsmem_tEENKUlT_SK_SL_SM_E_clIPiSE_SF_SF_EESJ_SZ_SK_SL_SM_EUlSZ_E_NS1_11comp_targetILNS1_3genE3ELNS1_11target_archE908ELNS1_3gpuE7ELNS1_3repE0EEENS1_48merge_mergepath_partition_config_static_selectorELNS0_4arch9wavefront6targetE0EEEvSL_.has_dyn_sized_stack, 0
	.set _ZN7rocprim17ROCPRIM_400000_NS6detail17trampoline_kernelINS0_14default_configENS1_38merge_sort_block_merge_config_selectorIiNS0_10empty_typeEEEZZNS1_27merge_sort_block_merge_implIS3_N6thrust23THRUST_200600_302600_NS6detail15normal_iteratorINS9_10device_ptrIiEEEEPS5_jNS1_19radix_merge_compareILb1ELb0EiNS0_19identity_decomposerEEEEE10hipError_tT0_T1_T2_jT3_P12ihipStream_tbPNSt15iterator_traitsISK_E10value_typeEPNSQ_ISL_E10value_typeEPSM_NS1_7vsmem_tEENKUlT_SK_SL_SM_E_clIPiSE_SF_SF_EESJ_SZ_SK_SL_SM_EUlSZ_E_NS1_11comp_targetILNS1_3genE3ELNS1_11target_archE908ELNS1_3gpuE7ELNS1_3repE0EEENS1_48merge_mergepath_partition_config_static_selectorELNS0_4arch9wavefront6targetE0EEEvSL_.has_recursion, 0
	.set _ZN7rocprim17ROCPRIM_400000_NS6detail17trampoline_kernelINS0_14default_configENS1_38merge_sort_block_merge_config_selectorIiNS0_10empty_typeEEEZZNS1_27merge_sort_block_merge_implIS3_N6thrust23THRUST_200600_302600_NS6detail15normal_iteratorINS9_10device_ptrIiEEEEPS5_jNS1_19radix_merge_compareILb1ELb0EiNS0_19identity_decomposerEEEEE10hipError_tT0_T1_T2_jT3_P12ihipStream_tbPNSt15iterator_traitsISK_E10value_typeEPNSQ_ISL_E10value_typeEPSM_NS1_7vsmem_tEENKUlT_SK_SL_SM_E_clIPiSE_SF_SF_EESJ_SZ_SK_SL_SM_EUlSZ_E_NS1_11comp_targetILNS1_3genE3ELNS1_11target_archE908ELNS1_3gpuE7ELNS1_3repE0EEENS1_48merge_mergepath_partition_config_static_selectorELNS0_4arch9wavefront6targetE0EEEvSL_.has_indirect_call, 0
	.section	.AMDGPU.csdata,"",@progbits
; Kernel info:
; codeLenInByte = 0
; TotalNumSgprs: 0
; NumVgprs: 0
; ScratchSize: 0
; MemoryBound: 0
; FloatMode: 240
; IeeeMode: 1
; LDSByteSize: 0 bytes/workgroup (compile time only)
; SGPRBlocks: 0
; VGPRBlocks: 0
; NumSGPRsForWavesPerEU: 1
; NumVGPRsForWavesPerEU: 1
; Occupancy: 16
; WaveLimiterHint : 0
; COMPUTE_PGM_RSRC2:SCRATCH_EN: 0
; COMPUTE_PGM_RSRC2:USER_SGPR: 6
; COMPUTE_PGM_RSRC2:TRAP_HANDLER: 0
; COMPUTE_PGM_RSRC2:TGID_X_EN: 1
; COMPUTE_PGM_RSRC2:TGID_Y_EN: 0
; COMPUTE_PGM_RSRC2:TGID_Z_EN: 0
; COMPUTE_PGM_RSRC2:TIDIG_COMP_CNT: 0
	.section	.text._ZN7rocprim17ROCPRIM_400000_NS6detail17trampoline_kernelINS0_14default_configENS1_38merge_sort_block_merge_config_selectorIiNS0_10empty_typeEEEZZNS1_27merge_sort_block_merge_implIS3_N6thrust23THRUST_200600_302600_NS6detail15normal_iteratorINS9_10device_ptrIiEEEEPS5_jNS1_19radix_merge_compareILb1ELb0EiNS0_19identity_decomposerEEEEE10hipError_tT0_T1_T2_jT3_P12ihipStream_tbPNSt15iterator_traitsISK_E10value_typeEPNSQ_ISL_E10value_typeEPSM_NS1_7vsmem_tEENKUlT_SK_SL_SM_E_clIPiSE_SF_SF_EESJ_SZ_SK_SL_SM_EUlSZ_E_NS1_11comp_targetILNS1_3genE2ELNS1_11target_archE906ELNS1_3gpuE6ELNS1_3repE0EEENS1_48merge_mergepath_partition_config_static_selectorELNS0_4arch9wavefront6targetE0EEEvSL_,"axG",@progbits,_ZN7rocprim17ROCPRIM_400000_NS6detail17trampoline_kernelINS0_14default_configENS1_38merge_sort_block_merge_config_selectorIiNS0_10empty_typeEEEZZNS1_27merge_sort_block_merge_implIS3_N6thrust23THRUST_200600_302600_NS6detail15normal_iteratorINS9_10device_ptrIiEEEEPS5_jNS1_19radix_merge_compareILb1ELb0EiNS0_19identity_decomposerEEEEE10hipError_tT0_T1_T2_jT3_P12ihipStream_tbPNSt15iterator_traitsISK_E10value_typeEPNSQ_ISL_E10value_typeEPSM_NS1_7vsmem_tEENKUlT_SK_SL_SM_E_clIPiSE_SF_SF_EESJ_SZ_SK_SL_SM_EUlSZ_E_NS1_11comp_targetILNS1_3genE2ELNS1_11target_archE906ELNS1_3gpuE6ELNS1_3repE0EEENS1_48merge_mergepath_partition_config_static_selectorELNS0_4arch9wavefront6targetE0EEEvSL_,comdat
	.protected	_ZN7rocprim17ROCPRIM_400000_NS6detail17trampoline_kernelINS0_14default_configENS1_38merge_sort_block_merge_config_selectorIiNS0_10empty_typeEEEZZNS1_27merge_sort_block_merge_implIS3_N6thrust23THRUST_200600_302600_NS6detail15normal_iteratorINS9_10device_ptrIiEEEEPS5_jNS1_19radix_merge_compareILb1ELb0EiNS0_19identity_decomposerEEEEE10hipError_tT0_T1_T2_jT3_P12ihipStream_tbPNSt15iterator_traitsISK_E10value_typeEPNSQ_ISL_E10value_typeEPSM_NS1_7vsmem_tEENKUlT_SK_SL_SM_E_clIPiSE_SF_SF_EESJ_SZ_SK_SL_SM_EUlSZ_E_NS1_11comp_targetILNS1_3genE2ELNS1_11target_archE906ELNS1_3gpuE6ELNS1_3repE0EEENS1_48merge_mergepath_partition_config_static_selectorELNS0_4arch9wavefront6targetE0EEEvSL_ ; -- Begin function _ZN7rocprim17ROCPRIM_400000_NS6detail17trampoline_kernelINS0_14default_configENS1_38merge_sort_block_merge_config_selectorIiNS0_10empty_typeEEEZZNS1_27merge_sort_block_merge_implIS3_N6thrust23THRUST_200600_302600_NS6detail15normal_iteratorINS9_10device_ptrIiEEEEPS5_jNS1_19radix_merge_compareILb1ELb0EiNS0_19identity_decomposerEEEEE10hipError_tT0_T1_T2_jT3_P12ihipStream_tbPNSt15iterator_traitsISK_E10value_typeEPNSQ_ISL_E10value_typeEPSM_NS1_7vsmem_tEENKUlT_SK_SL_SM_E_clIPiSE_SF_SF_EESJ_SZ_SK_SL_SM_EUlSZ_E_NS1_11comp_targetILNS1_3genE2ELNS1_11target_archE906ELNS1_3gpuE6ELNS1_3repE0EEENS1_48merge_mergepath_partition_config_static_selectorELNS0_4arch9wavefront6targetE0EEEvSL_
	.globl	_ZN7rocprim17ROCPRIM_400000_NS6detail17trampoline_kernelINS0_14default_configENS1_38merge_sort_block_merge_config_selectorIiNS0_10empty_typeEEEZZNS1_27merge_sort_block_merge_implIS3_N6thrust23THRUST_200600_302600_NS6detail15normal_iteratorINS9_10device_ptrIiEEEEPS5_jNS1_19radix_merge_compareILb1ELb0EiNS0_19identity_decomposerEEEEE10hipError_tT0_T1_T2_jT3_P12ihipStream_tbPNSt15iterator_traitsISK_E10value_typeEPNSQ_ISL_E10value_typeEPSM_NS1_7vsmem_tEENKUlT_SK_SL_SM_E_clIPiSE_SF_SF_EESJ_SZ_SK_SL_SM_EUlSZ_E_NS1_11comp_targetILNS1_3genE2ELNS1_11target_archE906ELNS1_3gpuE6ELNS1_3repE0EEENS1_48merge_mergepath_partition_config_static_selectorELNS0_4arch9wavefront6targetE0EEEvSL_
	.p2align	8
	.type	_ZN7rocprim17ROCPRIM_400000_NS6detail17trampoline_kernelINS0_14default_configENS1_38merge_sort_block_merge_config_selectorIiNS0_10empty_typeEEEZZNS1_27merge_sort_block_merge_implIS3_N6thrust23THRUST_200600_302600_NS6detail15normal_iteratorINS9_10device_ptrIiEEEEPS5_jNS1_19radix_merge_compareILb1ELb0EiNS0_19identity_decomposerEEEEE10hipError_tT0_T1_T2_jT3_P12ihipStream_tbPNSt15iterator_traitsISK_E10value_typeEPNSQ_ISL_E10value_typeEPSM_NS1_7vsmem_tEENKUlT_SK_SL_SM_E_clIPiSE_SF_SF_EESJ_SZ_SK_SL_SM_EUlSZ_E_NS1_11comp_targetILNS1_3genE2ELNS1_11target_archE906ELNS1_3gpuE6ELNS1_3repE0EEENS1_48merge_mergepath_partition_config_static_selectorELNS0_4arch9wavefront6targetE0EEEvSL_,@function
_ZN7rocprim17ROCPRIM_400000_NS6detail17trampoline_kernelINS0_14default_configENS1_38merge_sort_block_merge_config_selectorIiNS0_10empty_typeEEEZZNS1_27merge_sort_block_merge_implIS3_N6thrust23THRUST_200600_302600_NS6detail15normal_iteratorINS9_10device_ptrIiEEEEPS5_jNS1_19radix_merge_compareILb1ELb0EiNS0_19identity_decomposerEEEEE10hipError_tT0_T1_T2_jT3_P12ihipStream_tbPNSt15iterator_traitsISK_E10value_typeEPNSQ_ISL_E10value_typeEPSM_NS1_7vsmem_tEENKUlT_SK_SL_SM_E_clIPiSE_SF_SF_EESJ_SZ_SK_SL_SM_EUlSZ_E_NS1_11comp_targetILNS1_3genE2ELNS1_11target_archE906ELNS1_3gpuE6ELNS1_3repE0EEENS1_48merge_mergepath_partition_config_static_selectorELNS0_4arch9wavefront6targetE0EEEvSL_: ; @_ZN7rocprim17ROCPRIM_400000_NS6detail17trampoline_kernelINS0_14default_configENS1_38merge_sort_block_merge_config_selectorIiNS0_10empty_typeEEEZZNS1_27merge_sort_block_merge_implIS3_N6thrust23THRUST_200600_302600_NS6detail15normal_iteratorINS9_10device_ptrIiEEEEPS5_jNS1_19radix_merge_compareILb1ELb0EiNS0_19identity_decomposerEEEEE10hipError_tT0_T1_T2_jT3_P12ihipStream_tbPNSt15iterator_traitsISK_E10value_typeEPNSQ_ISL_E10value_typeEPSM_NS1_7vsmem_tEENKUlT_SK_SL_SM_E_clIPiSE_SF_SF_EESJ_SZ_SK_SL_SM_EUlSZ_E_NS1_11comp_targetILNS1_3genE2ELNS1_11target_archE906ELNS1_3gpuE6ELNS1_3repE0EEENS1_48merge_mergepath_partition_config_static_selectorELNS0_4arch9wavefront6targetE0EEEvSL_
; %bb.0:
	.section	.rodata,"a",@progbits
	.p2align	6, 0x0
	.amdhsa_kernel _ZN7rocprim17ROCPRIM_400000_NS6detail17trampoline_kernelINS0_14default_configENS1_38merge_sort_block_merge_config_selectorIiNS0_10empty_typeEEEZZNS1_27merge_sort_block_merge_implIS3_N6thrust23THRUST_200600_302600_NS6detail15normal_iteratorINS9_10device_ptrIiEEEEPS5_jNS1_19radix_merge_compareILb1ELb0EiNS0_19identity_decomposerEEEEE10hipError_tT0_T1_T2_jT3_P12ihipStream_tbPNSt15iterator_traitsISK_E10value_typeEPNSQ_ISL_E10value_typeEPSM_NS1_7vsmem_tEENKUlT_SK_SL_SM_E_clIPiSE_SF_SF_EESJ_SZ_SK_SL_SM_EUlSZ_E_NS1_11comp_targetILNS1_3genE2ELNS1_11target_archE906ELNS1_3gpuE6ELNS1_3repE0EEENS1_48merge_mergepath_partition_config_static_selectorELNS0_4arch9wavefront6targetE0EEEvSL_
		.amdhsa_group_segment_fixed_size 0
		.amdhsa_private_segment_fixed_size 0
		.amdhsa_kernarg_size 40
		.amdhsa_user_sgpr_count 6
		.amdhsa_user_sgpr_private_segment_buffer 1
		.amdhsa_user_sgpr_dispatch_ptr 0
		.amdhsa_user_sgpr_queue_ptr 0
		.amdhsa_user_sgpr_kernarg_segment_ptr 1
		.amdhsa_user_sgpr_dispatch_id 0
		.amdhsa_user_sgpr_flat_scratch_init 0
		.amdhsa_user_sgpr_private_segment_size 0
		.amdhsa_wavefront_size32 1
		.amdhsa_uses_dynamic_stack 0
		.amdhsa_system_sgpr_private_segment_wavefront_offset 0
		.amdhsa_system_sgpr_workgroup_id_x 1
		.amdhsa_system_sgpr_workgroup_id_y 0
		.amdhsa_system_sgpr_workgroup_id_z 0
		.amdhsa_system_sgpr_workgroup_info 0
		.amdhsa_system_vgpr_workitem_id 0
		.amdhsa_next_free_vgpr 1
		.amdhsa_next_free_sgpr 1
		.amdhsa_reserve_vcc 0
		.amdhsa_reserve_flat_scratch 0
		.amdhsa_float_round_mode_32 0
		.amdhsa_float_round_mode_16_64 0
		.amdhsa_float_denorm_mode_32 3
		.amdhsa_float_denorm_mode_16_64 3
		.amdhsa_dx10_clamp 1
		.amdhsa_ieee_mode 1
		.amdhsa_fp16_overflow 0
		.amdhsa_workgroup_processor_mode 1
		.amdhsa_memory_ordered 1
		.amdhsa_forward_progress 1
		.amdhsa_shared_vgpr_count 0
		.amdhsa_exception_fp_ieee_invalid_op 0
		.amdhsa_exception_fp_denorm_src 0
		.amdhsa_exception_fp_ieee_div_zero 0
		.amdhsa_exception_fp_ieee_overflow 0
		.amdhsa_exception_fp_ieee_underflow 0
		.amdhsa_exception_fp_ieee_inexact 0
		.amdhsa_exception_int_div_zero 0
	.end_amdhsa_kernel
	.section	.text._ZN7rocprim17ROCPRIM_400000_NS6detail17trampoline_kernelINS0_14default_configENS1_38merge_sort_block_merge_config_selectorIiNS0_10empty_typeEEEZZNS1_27merge_sort_block_merge_implIS3_N6thrust23THRUST_200600_302600_NS6detail15normal_iteratorINS9_10device_ptrIiEEEEPS5_jNS1_19radix_merge_compareILb1ELb0EiNS0_19identity_decomposerEEEEE10hipError_tT0_T1_T2_jT3_P12ihipStream_tbPNSt15iterator_traitsISK_E10value_typeEPNSQ_ISL_E10value_typeEPSM_NS1_7vsmem_tEENKUlT_SK_SL_SM_E_clIPiSE_SF_SF_EESJ_SZ_SK_SL_SM_EUlSZ_E_NS1_11comp_targetILNS1_3genE2ELNS1_11target_archE906ELNS1_3gpuE6ELNS1_3repE0EEENS1_48merge_mergepath_partition_config_static_selectorELNS0_4arch9wavefront6targetE0EEEvSL_,"axG",@progbits,_ZN7rocprim17ROCPRIM_400000_NS6detail17trampoline_kernelINS0_14default_configENS1_38merge_sort_block_merge_config_selectorIiNS0_10empty_typeEEEZZNS1_27merge_sort_block_merge_implIS3_N6thrust23THRUST_200600_302600_NS6detail15normal_iteratorINS9_10device_ptrIiEEEEPS5_jNS1_19radix_merge_compareILb1ELb0EiNS0_19identity_decomposerEEEEE10hipError_tT0_T1_T2_jT3_P12ihipStream_tbPNSt15iterator_traitsISK_E10value_typeEPNSQ_ISL_E10value_typeEPSM_NS1_7vsmem_tEENKUlT_SK_SL_SM_E_clIPiSE_SF_SF_EESJ_SZ_SK_SL_SM_EUlSZ_E_NS1_11comp_targetILNS1_3genE2ELNS1_11target_archE906ELNS1_3gpuE6ELNS1_3repE0EEENS1_48merge_mergepath_partition_config_static_selectorELNS0_4arch9wavefront6targetE0EEEvSL_,comdat
.Lfunc_end227:
	.size	_ZN7rocprim17ROCPRIM_400000_NS6detail17trampoline_kernelINS0_14default_configENS1_38merge_sort_block_merge_config_selectorIiNS0_10empty_typeEEEZZNS1_27merge_sort_block_merge_implIS3_N6thrust23THRUST_200600_302600_NS6detail15normal_iteratorINS9_10device_ptrIiEEEEPS5_jNS1_19radix_merge_compareILb1ELb0EiNS0_19identity_decomposerEEEEE10hipError_tT0_T1_T2_jT3_P12ihipStream_tbPNSt15iterator_traitsISK_E10value_typeEPNSQ_ISL_E10value_typeEPSM_NS1_7vsmem_tEENKUlT_SK_SL_SM_E_clIPiSE_SF_SF_EESJ_SZ_SK_SL_SM_EUlSZ_E_NS1_11comp_targetILNS1_3genE2ELNS1_11target_archE906ELNS1_3gpuE6ELNS1_3repE0EEENS1_48merge_mergepath_partition_config_static_selectorELNS0_4arch9wavefront6targetE0EEEvSL_, .Lfunc_end227-_ZN7rocprim17ROCPRIM_400000_NS6detail17trampoline_kernelINS0_14default_configENS1_38merge_sort_block_merge_config_selectorIiNS0_10empty_typeEEEZZNS1_27merge_sort_block_merge_implIS3_N6thrust23THRUST_200600_302600_NS6detail15normal_iteratorINS9_10device_ptrIiEEEEPS5_jNS1_19radix_merge_compareILb1ELb0EiNS0_19identity_decomposerEEEEE10hipError_tT0_T1_T2_jT3_P12ihipStream_tbPNSt15iterator_traitsISK_E10value_typeEPNSQ_ISL_E10value_typeEPSM_NS1_7vsmem_tEENKUlT_SK_SL_SM_E_clIPiSE_SF_SF_EESJ_SZ_SK_SL_SM_EUlSZ_E_NS1_11comp_targetILNS1_3genE2ELNS1_11target_archE906ELNS1_3gpuE6ELNS1_3repE0EEENS1_48merge_mergepath_partition_config_static_selectorELNS0_4arch9wavefront6targetE0EEEvSL_
                                        ; -- End function
	.set _ZN7rocprim17ROCPRIM_400000_NS6detail17trampoline_kernelINS0_14default_configENS1_38merge_sort_block_merge_config_selectorIiNS0_10empty_typeEEEZZNS1_27merge_sort_block_merge_implIS3_N6thrust23THRUST_200600_302600_NS6detail15normal_iteratorINS9_10device_ptrIiEEEEPS5_jNS1_19radix_merge_compareILb1ELb0EiNS0_19identity_decomposerEEEEE10hipError_tT0_T1_T2_jT3_P12ihipStream_tbPNSt15iterator_traitsISK_E10value_typeEPNSQ_ISL_E10value_typeEPSM_NS1_7vsmem_tEENKUlT_SK_SL_SM_E_clIPiSE_SF_SF_EESJ_SZ_SK_SL_SM_EUlSZ_E_NS1_11comp_targetILNS1_3genE2ELNS1_11target_archE906ELNS1_3gpuE6ELNS1_3repE0EEENS1_48merge_mergepath_partition_config_static_selectorELNS0_4arch9wavefront6targetE0EEEvSL_.num_vgpr, 0
	.set _ZN7rocprim17ROCPRIM_400000_NS6detail17trampoline_kernelINS0_14default_configENS1_38merge_sort_block_merge_config_selectorIiNS0_10empty_typeEEEZZNS1_27merge_sort_block_merge_implIS3_N6thrust23THRUST_200600_302600_NS6detail15normal_iteratorINS9_10device_ptrIiEEEEPS5_jNS1_19radix_merge_compareILb1ELb0EiNS0_19identity_decomposerEEEEE10hipError_tT0_T1_T2_jT3_P12ihipStream_tbPNSt15iterator_traitsISK_E10value_typeEPNSQ_ISL_E10value_typeEPSM_NS1_7vsmem_tEENKUlT_SK_SL_SM_E_clIPiSE_SF_SF_EESJ_SZ_SK_SL_SM_EUlSZ_E_NS1_11comp_targetILNS1_3genE2ELNS1_11target_archE906ELNS1_3gpuE6ELNS1_3repE0EEENS1_48merge_mergepath_partition_config_static_selectorELNS0_4arch9wavefront6targetE0EEEvSL_.num_agpr, 0
	.set _ZN7rocprim17ROCPRIM_400000_NS6detail17trampoline_kernelINS0_14default_configENS1_38merge_sort_block_merge_config_selectorIiNS0_10empty_typeEEEZZNS1_27merge_sort_block_merge_implIS3_N6thrust23THRUST_200600_302600_NS6detail15normal_iteratorINS9_10device_ptrIiEEEEPS5_jNS1_19radix_merge_compareILb1ELb0EiNS0_19identity_decomposerEEEEE10hipError_tT0_T1_T2_jT3_P12ihipStream_tbPNSt15iterator_traitsISK_E10value_typeEPNSQ_ISL_E10value_typeEPSM_NS1_7vsmem_tEENKUlT_SK_SL_SM_E_clIPiSE_SF_SF_EESJ_SZ_SK_SL_SM_EUlSZ_E_NS1_11comp_targetILNS1_3genE2ELNS1_11target_archE906ELNS1_3gpuE6ELNS1_3repE0EEENS1_48merge_mergepath_partition_config_static_selectorELNS0_4arch9wavefront6targetE0EEEvSL_.numbered_sgpr, 0
	.set _ZN7rocprim17ROCPRIM_400000_NS6detail17trampoline_kernelINS0_14default_configENS1_38merge_sort_block_merge_config_selectorIiNS0_10empty_typeEEEZZNS1_27merge_sort_block_merge_implIS3_N6thrust23THRUST_200600_302600_NS6detail15normal_iteratorINS9_10device_ptrIiEEEEPS5_jNS1_19radix_merge_compareILb1ELb0EiNS0_19identity_decomposerEEEEE10hipError_tT0_T1_T2_jT3_P12ihipStream_tbPNSt15iterator_traitsISK_E10value_typeEPNSQ_ISL_E10value_typeEPSM_NS1_7vsmem_tEENKUlT_SK_SL_SM_E_clIPiSE_SF_SF_EESJ_SZ_SK_SL_SM_EUlSZ_E_NS1_11comp_targetILNS1_3genE2ELNS1_11target_archE906ELNS1_3gpuE6ELNS1_3repE0EEENS1_48merge_mergepath_partition_config_static_selectorELNS0_4arch9wavefront6targetE0EEEvSL_.num_named_barrier, 0
	.set _ZN7rocprim17ROCPRIM_400000_NS6detail17trampoline_kernelINS0_14default_configENS1_38merge_sort_block_merge_config_selectorIiNS0_10empty_typeEEEZZNS1_27merge_sort_block_merge_implIS3_N6thrust23THRUST_200600_302600_NS6detail15normal_iteratorINS9_10device_ptrIiEEEEPS5_jNS1_19radix_merge_compareILb1ELb0EiNS0_19identity_decomposerEEEEE10hipError_tT0_T1_T2_jT3_P12ihipStream_tbPNSt15iterator_traitsISK_E10value_typeEPNSQ_ISL_E10value_typeEPSM_NS1_7vsmem_tEENKUlT_SK_SL_SM_E_clIPiSE_SF_SF_EESJ_SZ_SK_SL_SM_EUlSZ_E_NS1_11comp_targetILNS1_3genE2ELNS1_11target_archE906ELNS1_3gpuE6ELNS1_3repE0EEENS1_48merge_mergepath_partition_config_static_selectorELNS0_4arch9wavefront6targetE0EEEvSL_.private_seg_size, 0
	.set _ZN7rocprim17ROCPRIM_400000_NS6detail17trampoline_kernelINS0_14default_configENS1_38merge_sort_block_merge_config_selectorIiNS0_10empty_typeEEEZZNS1_27merge_sort_block_merge_implIS3_N6thrust23THRUST_200600_302600_NS6detail15normal_iteratorINS9_10device_ptrIiEEEEPS5_jNS1_19radix_merge_compareILb1ELb0EiNS0_19identity_decomposerEEEEE10hipError_tT0_T1_T2_jT3_P12ihipStream_tbPNSt15iterator_traitsISK_E10value_typeEPNSQ_ISL_E10value_typeEPSM_NS1_7vsmem_tEENKUlT_SK_SL_SM_E_clIPiSE_SF_SF_EESJ_SZ_SK_SL_SM_EUlSZ_E_NS1_11comp_targetILNS1_3genE2ELNS1_11target_archE906ELNS1_3gpuE6ELNS1_3repE0EEENS1_48merge_mergepath_partition_config_static_selectorELNS0_4arch9wavefront6targetE0EEEvSL_.uses_vcc, 0
	.set _ZN7rocprim17ROCPRIM_400000_NS6detail17trampoline_kernelINS0_14default_configENS1_38merge_sort_block_merge_config_selectorIiNS0_10empty_typeEEEZZNS1_27merge_sort_block_merge_implIS3_N6thrust23THRUST_200600_302600_NS6detail15normal_iteratorINS9_10device_ptrIiEEEEPS5_jNS1_19radix_merge_compareILb1ELb0EiNS0_19identity_decomposerEEEEE10hipError_tT0_T1_T2_jT3_P12ihipStream_tbPNSt15iterator_traitsISK_E10value_typeEPNSQ_ISL_E10value_typeEPSM_NS1_7vsmem_tEENKUlT_SK_SL_SM_E_clIPiSE_SF_SF_EESJ_SZ_SK_SL_SM_EUlSZ_E_NS1_11comp_targetILNS1_3genE2ELNS1_11target_archE906ELNS1_3gpuE6ELNS1_3repE0EEENS1_48merge_mergepath_partition_config_static_selectorELNS0_4arch9wavefront6targetE0EEEvSL_.uses_flat_scratch, 0
	.set _ZN7rocprim17ROCPRIM_400000_NS6detail17trampoline_kernelINS0_14default_configENS1_38merge_sort_block_merge_config_selectorIiNS0_10empty_typeEEEZZNS1_27merge_sort_block_merge_implIS3_N6thrust23THRUST_200600_302600_NS6detail15normal_iteratorINS9_10device_ptrIiEEEEPS5_jNS1_19radix_merge_compareILb1ELb0EiNS0_19identity_decomposerEEEEE10hipError_tT0_T1_T2_jT3_P12ihipStream_tbPNSt15iterator_traitsISK_E10value_typeEPNSQ_ISL_E10value_typeEPSM_NS1_7vsmem_tEENKUlT_SK_SL_SM_E_clIPiSE_SF_SF_EESJ_SZ_SK_SL_SM_EUlSZ_E_NS1_11comp_targetILNS1_3genE2ELNS1_11target_archE906ELNS1_3gpuE6ELNS1_3repE0EEENS1_48merge_mergepath_partition_config_static_selectorELNS0_4arch9wavefront6targetE0EEEvSL_.has_dyn_sized_stack, 0
	.set _ZN7rocprim17ROCPRIM_400000_NS6detail17trampoline_kernelINS0_14default_configENS1_38merge_sort_block_merge_config_selectorIiNS0_10empty_typeEEEZZNS1_27merge_sort_block_merge_implIS3_N6thrust23THRUST_200600_302600_NS6detail15normal_iteratorINS9_10device_ptrIiEEEEPS5_jNS1_19radix_merge_compareILb1ELb0EiNS0_19identity_decomposerEEEEE10hipError_tT0_T1_T2_jT3_P12ihipStream_tbPNSt15iterator_traitsISK_E10value_typeEPNSQ_ISL_E10value_typeEPSM_NS1_7vsmem_tEENKUlT_SK_SL_SM_E_clIPiSE_SF_SF_EESJ_SZ_SK_SL_SM_EUlSZ_E_NS1_11comp_targetILNS1_3genE2ELNS1_11target_archE906ELNS1_3gpuE6ELNS1_3repE0EEENS1_48merge_mergepath_partition_config_static_selectorELNS0_4arch9wavefront6targetE0EEEvSL_.has_recursion, 0
	.set _ZN7rocprim17ROCPRIM_400000_NS6detail17trampoline_kernelINS0_14default_configENS1_38merge_sort_block_merge_config_selectorIiNS0_10empty_typeEEEZZNS1_27merge_sort_block_merge_implIS3_N6thrust23THRUST_200600_302600_NS6detail15normal_iteratorINS9_10device_ptrIiEEEEPS5_jNS1_19radix_merge_compareILb1ELb0EiNS0_19identity_decomposerEEEEE10hipError_tT0_T1_T2_jT3_P12ihipStream_tbPNSt15iterator_traitsISK_E10value_typeEPNSQ_ISL_E10value_typeEPSM_NS1_7vsmem_tEENKUlT_SK_SL_SM_E_clIPiSE_SF_SF_EESJ_SZ_SK_SL_SM_EUlSZ_E_NS1_11comp_targetILNS1_3genE2ELNS1_11target_archE906ELNS1_3gpuE6ELNS1_3repE0EEENS1_48merge_mergepath_partition_config_static_selectorELNS0_4arch9wavefront6targetE0EEEvSL_.has_indirect_call, 0
	.section	.AMDGPU.csdata,"",@progbits
; Kernel info:
; codeLenInByte = 0
; TotalNumSgprs: 0
; NumVgprs: 0
; ScratchSize: 0
; MemoryBound: 0
; FloatMode: 240
; IeeeMode: 1
; LDSByteSize: 0 bytes/workgroup (compile time only)
; SGPRBlocks: 0
; VGPRBlocks: 0
; NumSGPRsForWavesPerEU: 1
; NumVGPRsForWavesPerEU: 1
; Occupancy: 16
; WaveLimiterHint : 0
; COMPUTE_PGM_RSRC2:SCRATCH_EN: 0
; COMPUTE_PGM_RSRC2:USER_SGPR: 6
; COMPUTE_PGM_RSRC2:TRAP_HANDLER: 0
; COMPUTE_PGM_RSRC2:TGID_X_EN: 1
; COMPUTE_PGM_RSRC2:TGID_Y_EN: 0
; COMPUTE_PGM_RSRC2:TGID_Z_EN: 0
; COMPUTE_PGM_RSRC2:TIDIG_COMP_CNT: 0
	.section	.text._ZN7rocprim17ROCPRIM_400000_NS6detail17trampoline_kernelINS0_14default_configENS1_38merge_sort_block_merge_config_selectorIiNS0_10empty_typeEEEZZNS1_27merge_sort_block_merge_implIS3_N6thrust23THRUST_200600_302600_NS6detail15normal_iteratorINS9_10device_ptrIiEEEEPS5_jNS1_19radix_merge_compareILb1ELb0EiNS0_19identity_decomposerEEEEE10hipError_tT0_T1_T2_jT3_P12ihipStream_tbPNSt15iterator_traitsISK_E10value_typeEPNSQ_ISL_E10value_typeEPSM_NS1_7vsmem_tEENKUlT_SK_SL_SM_E_clIPiSE_SF_SF_EESJ_SZ_SK_SL_SM_EUlSZ_E_NS1_11comp_targetILNS1_3genE9ELNS1_11target_archE1100ELNS1_3gpuE3ELNS1_3repE0EEENS1_48merge_mergepath_partition_config_static_selectorELNS0_4arch9wavefront6targetE0EEEvSL_,"axG",@progbits,_ZN7rocprim17ROCPRIM_400000_NS6detail17trampoline_kernelINS0_14default_configENS1_38merge_sort_block_merge_config_selectorIiNS0_10empty_typeEEEZZNS1_27merge_sort_block_merge_implIS3_N6thrust23THRUST_200600_302600_NS6detail15normal_iteratorINS9_10device_ptrIiEEEEPS5_jNS1_19radix_merge_compareILb1ELb0EiNS0_19identity_decomposerEEEEE10hipError_tT0_T1_T2_jT3_P12ihipStream_tbPNSt15iterator_traitsISK_E10value_typeEPNSQ_ISL_E10value_typeEPSM_NS1_7vsmem_tEENKUlT_SK_SL_SM_E_clIPiSE_SF_SF_EESJ_SZ_SK_SL_SM_EUlSZ_E_NS1_11comp_targetILNS1_3genE9ELNS1_11target_archE1100ELNS1_3gpuE3ELNS1_3repE0EEENS1_48merge_mergepath_partition_config_static_selectorELNS0_4arch9wavefront6targetE0EEEvSL_,comdat
	.protected	_ZN7rocprim17ROCPRIM_400000_NS6detail17trampoline_kernelINS0_14default_configENS1_38merge_sort_block_merge_config_selectorIiNS0_10empty_typeEEEZZNS1_27merge_sort_block_merge_implIS3_N6thrust23THRUST_200600_302600_NS6detail15normal_iteratorINS9_10device_ptrIiEEEEPS5_jNS1_19radix_merge_compareILb1ELb0EiNS0_19identity_decomposerEEEEE10hipError_tT0_T1_T2_jT3_P12ihipStream_tbPNSt15iterator_traitsISK_E10value_typeEPNSQ_ISL_E10value_typeEPSM_NS1_7vsmem_tEENKUlT_SK_SL_SM_E_clIPiSE_SF_SF_EESJ_SZ_SK_SL_SM_EUlSZ_E_NS1_11comp_targetILNS1_3genE9ELNS1_11target_archE1100ELNS1_3gpuE3ELNS1_3repE0EEENS1_48merge_mergepath_partition_config_static_selectorELNS0_4arch9wavefront6targetE0EEEvSL_ ; -- Begin function _ZN7rocprim17ROCPRIM_400000_NS6detail17trampoline_kernelINS0_14default_configENS1_38merge_sort_block_merge_config_selectorIiNS0_10empty_typeEEEZZNS1_27merge_sort_block_merge_implIS3_N6thrust23THRUST_200600_302600_NS6detail15normal_iteratorINS9_10device_ptrIiEEEEPS5_jNS1_19radix_merge_compareILb1ELb0EiNS0_19identity_decomposerEEEEE10hipError_tT0_T1_T2_jT3_P12ihipStream_tbPNSt15iterator_traitsISK_E10value_typeEPNSQ_ISL_E10value_typeEPSM_NS1_7vsmem_tEENKUlT_SK_SL_SM_E_clIPiSE_SF_SF_EESJ_SZ_SK_SL_SM_EUlSZ_E_NS1_11comp_targetILNS1_3genE9ELNS1_11target_archE1100ELNS1_3gpuE3ELNS1_3repE0EEENS1_48merge_mergepath_partition_config_static_selectorELNS0_4arch9wavefront6targetE0EEEvSL_
	.globl	_ZN7rocprim17ROCPRIM_400000_NS6detail17trampoline_kernelINS0_14default_configENS1_38merge_sort_block_merge_config_selectorIiNS0_10empty_typeEEEZZNS1_27merge_sort_block_merge_implIS3_N6thrust23THRUST_200600_302600_NS6detail15normal_iteratorINS9_10device_ptrIiEEEEPS5_jNS1_19radix_merge_compareILb1ELb0EiNS0_19identity_decomposerEEEEE10hipError_tT0_T1_T2_jT3_P12ihipStream_tbPNSt15iterator_traitsISK_E10value_typeEPNSQ_ISL_E10value_typeEPSM_NS1_7vsmem_tEENKUlT_SK_SL_SM_E_clIPiSE_SF_SF_EESJ_SZ_SK_SL_SM_EUlSZ_E_NS1_11comp_targetILNS1_3genE9ELNS1_11target_archE1100ELNS1_3gpuE3ELNS1_3repE0EEENS1_48merge_mergepath_partition_config_static_selectorELNS0_4arch9wavefront6targetE0EEEvSL_
	.p2align	8
	.type	_ZN7rocprim17ROCPRIM_400000_NS6detail17trampoline_kernelINS0_14default_configENS1_38merge_sort_block_merge_config_selectorIiNS0_10empty_typeEEEZZNS1_27merge_sort_block_merge_implIS3_N6thrust23THRUST_200600_302600_NS6detail15normal_iteratorINS9_10device_ptrIiEEEEPS5_jNS1_19radix_merge_compareILb1ELb0EiNS0_19identity_decomposerEEEEE10hipError_tT0_T1_T2_jT3_P12ihipStream_tbPNSt15iterator_traitsISK_E10value_typeEPNSQ_ISL_E10value_typeEPSM_NS1_7vsmem_tEENKUlT_SK_SL_SM_E_clIPiSE_SF_SF_EESJ_SZ_SK_SL_SM_EUlSZ_E_NS1_11comp_targetILNS1_3genE9ELNS1_11target_archE1100ELNS1_3gpuE3ELNS1_3repE0EEENS1_48merge_mergepath_partition_config_static_selectorELNS0_4arch9wavefront6targetE0EEEvSL_,@function
_ZN7rocprim17ROCPRIM_400000_NS6detail17trampoline_kernelINS0_14default_configENS1_38merge_sort_block_merge_config_selectorIiNS0_10empty_typeEEEZZNS1_27merge_sort_block_merge_implIS3_N6thrust23THRUST_200600_302600_NS6detail15normal_iteratorINS9_10device_ptrIiEEEEPS5_jNS1_19radix_merge_compareILb1ELb0EiNS0_19identity_decomposerEEEEE10hipError_tT0_T1_T2_jT3_P12ihipStream_tbPNSt15iterator_traitsISK_E10value_typeEPNSQ_ISL_E10value_typeEPSM_NS1_7vsmem_tEENKUlT_SK_SL_SM_E_clIPiSE_SF_SF_EESJ_SZ_SK_SL_SM_EUlSZ_E_NS1_11comp_targetILNS1_3genE9ELNS1_11target_archE1100ELNS1_3gpuE3ELNS1_3repE0EEENS1_48merge_mergepath_partition_config_static_selectorELNS0_4arch9wavefront6targetE0EEEvSL_: ; @_ZN7rocprim17ROCPRIM_400000_NS6detail17trampoline_kernelINS0_14default_configENS1_38merge_sort_block_merge_config_selectorIiNS0_10empty_typeEEEZZNS1_27merge_sort_block_merge_implIS3_N6thrust23THRUST_200600_302600_NS6detail15normal_iteratorINS9_10device_ptrIiEEEEPS5_jNS1_19radix_merge_compareILb1ELb0EiNS0_19identity_decomposerEEEEE10hipError_tT0_T1_T2_jT3_P12ihipStream_tbPNSt15iterator_traitsISK_E10value_typeEPNSQ_ISL_E10value_typeEPSM_NS1_7vsmem_tEENKUlT_SK_SL_SM_E_clIPiSE_SF_SF_EESJ_SZ_SK_SL_SM_EUlSZ_E_NS1_11comp_targetILNS1_3genE9ELNS1_11target_archE1100ELNS1_3gpuE3ELNS1_3repE0EEENS1_48merge_mergepath_partition_config_static_selectorELNS0_4arch9wavefront6targetE0EEEvSL_
; %bb.0:
	.section	.rodata,"a",@progbits
	.p2align	6, 0x0
	.amdhsa_kernel _ZN7rocprim17ROCPRIM_400000_NS6detail17trampoline_kernelINS0_14default_configENS1_38merge_sort_block_merge_config_selectorIiNS0_10empty_typeEEEZZNS1_27merge_sort_block_merge_implIS3_N6thrust23THRUST_200600_302600_NS6detail15normal_iteratorINS9_10device_ptrIiEEEEPS5_jNS1_19radix_merge_compareILb1ELb0EiNS0_19identity_decomposerEEEEE10hipError_tT0_T1_T2_jT3_P12ihipStream_tbPNSt15iterator_traitsISK_E10value_typeEPNSQ_ISL_E10value_typeEPSM_NS1_7vsmem_tEENKUlT_SK_SL_SM_E_clIPiSE_SF_SF_EESJ_SZ_SK_SL_SM_EUlSZ_E_NS1_11comp_targetILNS1_3genE9ELNS1_11target_archE1100ELNS1_3gpuE3ELNS1_3repE0EEENS1_48merge_mergepath_partition_config_static_selectorELNS0_4arch9wavefront6targetE0EEEvSL_
		.amdhsa_group_segment_fixed_size 0
		.amdhsa_private_segment_fixed_size 0
		.amdhsa_kernarg_size 40
		.amdhsa_user_sgpr_count 6
		.amdhsa_user_sgpr_private_segment_buffer 1
		.amdhsa_user_sgpr_dispatch_ptr 0
		.amdhsa_user_sgpr_queue_ptr 0
		.amdhsa_user_sgpr_kernarg_segment_ptr 1
		.amdhsa_user_sgpr_dispatch_id 0
		.amdhsa_user_sgpr_flat_scratch_init 0
		.amdhsa_user_sgpr_private_segment_size 0
		.amdhsa_wavefront_size32 1
		.amdhsa_uses_dynamic_stack 0
		.amdhsa_system_sgpr_private_segment_wavefront_offset 0
		.amdhsa_system_sgpr_workgroup_id_x 1
		.amdhsa_system_sgpr_workgroup_id_y 0
		.amdhsa_system_sgpr_workgroup_id_z 0
		.amdhsa_system_sgpr_workgroup_info 0
		.amdhsa_system_vgpr_workitem_id 0
		.amdhsa_next_free_vgpr 1
		.amdhsa_next_free_sgpr 1
		.amdhsa_reserve_vcc 0
		.amdhsa_reserve_flat_scratch 0
		.amdhsa_float_round_mode_32 0
		.amdhsa_float_round_mode_16_64 0
		.amdhsa_float_denorm_mode_32 3
		.amdhsa_float_denorm_mode_16_64 3
		.amdhsa_dx10_clamp 1
		.amdhsa_ieee_mode 1
		.amdhsa_fp16_overflow 0
		.amdhsa_workgroup_processor_mode 1
		.amdhsa_memory_ordered 1
		.amdhsa_forward_progress 1
		.amdhsa_shared_vgpr_count 0
		.amdhsa_exception_fp_ieee_invalid_op 0
		.amdhsa_exception_fp_denorm_src 0
		.amdhsa_exception_fp_ieee_div_zero 0
		.amdhsa_exception_fp_ieee_overflow 0
		.amdhsa_exception_fp_ieee_underflow 0
		.amdhsa_exception_fp_ieee_inexact 0
		.amdhsa_exception_int_div_zero 0
	.end_amdhsa_kernel
	.section	.text._ZN7rocprim17ROCPRIM_400000_NS6detail17trampoline_kernelINS0_14default_configENS1_38merge_sort_block_merge_config_selectorIiNS0_10empty_typeEEEZZNS1_27merge_sort_block_merge_implIS3_N6thrust23THRUST_200600_302600_NS6detail15normal_iteratorINS9_10device_ptrIiEEEEPS5_jNS1_19radix_merge_compareILb1ELb0EiNS0_19identity_decomposerEEEEE10hipError_tT0_T1_T2_jT3_P12ihipStream_tbPNSt15iterator_traitsISK_E10value_typeEPNSQ_ISL_E10value_typeEPSM_NS1_7vsmem_tEENKUlT_SK_SL_SM_E_clIPiSE_SF_SF_EESJ_SZ_SK_SL_SM_EUlSZ_E_NS1_11comp_targetILNS1_3genE9ELNS1_11target_archE1100ELNS1_3gpuE3ELNS1_3repE0EEENS1_48merge_mergepath_partition_config_static_selectorELNS0_4arch9wavefront6targetE0EEEvSL_,"axG",@progbits,_ZN7rocprim17ROCPRIM_400000_NS6detail17trampoline_kernelINS0_14default_configENS1_38merge_sort_block_merge_config_selectorIiNS0_10empty_typeEEEZZNS1_27merge_sort_block_merge_implIS3_N6thrust23THRUST_200600_302600_NS6detail15normal_iteratorINS9_10device_ptrIiEEEEPS5_jNS1_19radix_merge_compareILb1ELb0EiNS0_19identity_decomposerEEEEE10hipError_tT0_T1_T2_jT3_P12ihipStream_tbPNSt15iterator_traitsISK_E10value_typeEPNSQ_ISL_E10value_typeEPSM_NS1_7vsmem_tEENKUlT_SK_SL_SM_E_clIPiSE_SF_SF_EESJ_SZ_SK_SL_SM_EUlSZ_E_NS1_11comp_targetILNS1_3genE9ELNS1_11target_archE1100ELNS1_3gpuE3ELNS1_3repE0EEENS1_48merge_mergepath_partition_config_static_selectorELNS0_4arch9wavefront6targetE0EEEvSL_,comdat
.Lfunc_end228:
	.size	_ZN7rocprim17ROCPRIM_400000_NS6detail17trampoline_kernelINS0_14default_configENS1_38merge_sort_block_merge_config_selectorIiNS0_10empty_typeEEEZZNS1_27merge_sort_block_merge_implIS3_N6thrust23THRUST_200600_302600_NS6detail15normal_iteratorINS9_10device_ptrIiEEEEPS5_jNS1_19radix_merge_compareILb1ELb0EiNS0_19identity_decomposerEEEEE10hipError_tT0_T1_T2_jT3_P12ihipStream_tbPNSt15iterator_traitsISK_E10value_typeEPNSQ_ISL_E10value_typeEPSM_NS1_7vsmem_tEENKUlT_SK_SL_SM_E_clIPiSE_SF_SF_EESJ_SZ_SK_SL_SM_EUlSZ_E_NS1_11comp_targetILNS1_3genE9ELNS1_11target_archE1100ELNS1_3gpuE3ELNS1_3repE0EEENS1_48merge_mergepath_partition_config_static_selectorELNS0_4arch9wavefront6targetE0EEEvSL_, .Lfunc_end228-_ZN7rocprim17ROCPRIM_400000_NS6detail17trampoline_kernelINS0_14default_configENS1_38merge_sort_block_merge_config_selectorIiNS0_10empty_typeEEEZZNS1_27merge_sort_block_merge_implIS3_N6thrust23THRUST_200600_302600_NS6detail15normal_iteratorINS9_10device_ptrIiEEEEPS5_jNS1_19radix_merge_compareILb1ELb0EiNS0_19identity_decomposerEEEEE10hipError_tT0_T1_T2_jT3_P12ihipStream_tbPNSt15iterator_traitsISK_E10value_typeEPNSQ_ISL_E10value_typeEPSM_NS1_7vsmem_tEENKUlT_SK_SL_SM_E_clIPiSE_SF_SF_EESJ_SZ_SK_SL_SM_EUlSZ_E_NS1_11comp_targetILNS1_3genE9ELNS1_11target_archE1100ELNS1_3gpuE3ELNS1_3repE0EEENS1_48merge_mergepath_partition_config_static_selectorELNS0_4arch9wavefront6targetE0EEEvSL_
                                        ; -- End function
	.set _ZN7rocprim17ROCPRIM_400000_NS6detail17trampoline_kernelINS0_14default_configENS1_38merge_sort_block_merge_config_selectorIiNS0_10empty_typeEEEZZNS1_27merge_sort_block_merge_implIS3_N6thrust23THRUST_200600_302600_NS6detail15normal_iteratorINS9_10device_ptrIiEEEEPS5_jNS1_19radix_merge_compareILb1ELb0EiNS0_19identity_decomposerEEEEE10hipError_tT0_T1_T2_jT3_P12ihipStream_tbPNSt15iterator_traitsISK_E10value_typeEPNSQ_ISL_E10value_typeEPSM_NS1_7vsmem_tEENKUlT_SK_SL_SM_E_clIPiSE_SF_SF_EESJ_SZ_SK_SL_SM_EUlSZ_E_NS1_11comp_targetILNS1_3genE9ELNS1_11target_archE1100ELNS1_3gpuE3ELNS1_3repE0EEENS1_48merge_mergepath_partition_config_static_selectorELNS0_4arch9wavefront6targetE0EEEvSL_.num_vgpr, 0
	.set _ZN7rocprim17ROCPRIM_400000_NS6detail17trampoline_kernelINS0_14default_configENS1_38merge_sort_block_merge_config_selectorIiNS0_10empty_typeEEEZZNS1_27merge_sort_block_merge_implIS3_N6thrust23THRUST_200600_302600_NS6detail15normal_iteratorINS9_10device_ptrIiEEEEPS5_jNS1_19radix_merge_compareILb1ELb0EiNS0_19identity_decomposerEEEEE10hipError_tT0_T1_T2_jT3_P12ihipStream_tbPNSt15iterator_traitsISK_E10value_typeEPNSQ_ISL_E10value_typeEPSM_NS1_7vsmem_tEENKUlT_SK_SL_SM_E_clIPiSE_SF_SF_EESJ_SZ_SK_SL_SM_EUlSZ_E_NS1_11comp_targetILNS1_3genE9ELNS1_11target_archE1100ELNS1_3gpuE3ELNS1_3repE0EEENS1_48merge_mergepath_partition_config_static_selectorELNS0_4arch9wavefront6targetE0EEEvSL_.num_agpr, 0
	.set _ZN7rocprim17ROCPRIM_400000_NS6detail17trampoline_kernelINS0_14default_configENS1_38merge_sort_block_merge_config_selectorIiNS0_10empty_typeEEEZZNS1_27merge_sort_block_merge_implIS3_N6thrust23THRUST_200600_302600_NS6detail15normal_iteratorINS9_10device_ptrIiEEEEPS5_jNS1_19radix_merge_compareILb1ELb0EiNS0_19identity_decomposerEEEEE10hipError_tT0_T1_T2_jT3_P12ihipStream_tbPNSt15iterator_traitsISK_E10value_typeEPNSQ_ISL_E10value_typeEPSM_NS1_7vsmem_tEENKUlT_SK_SL_SM_E_clIPiSE_SF_SF_EESJ_SZ_SK_SL_SM_EUlSZ_E_NS1_11comp_targetILNS1_3genE9ELNS1_11target_archE1100ELNS1_3gpuE3ELNS1_3repE0EEENS1_48merge_mergepath_partition_config_static_selectorELNS0_4arch9wavefront6targetE0EEEvSL_.numbered_sgpr, 0
	.set _ZN7rocprim17ROCPRIM_400000_NS6detail17trampoline_kernelINS0_14default_configENS1_38merge_sort_block_merge_config_selectorIiNS0_10empty_typeEEEZZNS1_27merge_sort_block_merge_implIS3_N6thrust23THRUST_200600_302600_NS6detail15normal_iteratorINS9_10device_ptrIiEEEEPS5_jNS1_19radix_merge_compareILb1ELb0EiNS0_19identity_decomposerEEEEE10hipError_tT0_T1_T2_jT3_P12ihipStream_tbPNSt15iterator_traitsISK_E10value_typeEPNSQ_ISL_E10value_typeEPSM_NS1_7vsmem_tEENKUlT_SK_SL_SM_E_clIPiSE_SF_SF_EESJ_SZ_SK_SL_SM_EUlSZ_E_NS1_11comp_targetILNS1_3genE9ELNS1_11target_archE1100ELNS1_3gpuE3ELNS1_3repE0EEENS1_48merge_mergepath_partition_config_static_selectorELNS0_4arch9wavefront6targetE0EEEvSL_.num_named_barrier, 0
	.set _ZN7rocprim17ROCPRIM_400000_NS6detail17trampoline_kernelINS0_14default_configENS1_38merge_sort_block_merge_config_selectorIiNS0_10empty_typeEEEZZNS1_27merge_sort_block_merge_implIS3_N6thrust23THRUST_200600_302600_NS6detail15normal_iteratorINS9_10device_ptrIiEEEEPS5_jNS1_19radix_merge_compareILb1ELb0EiNS0_19identity_decomposerEEEEE10hipError_tT0_T1_T2_jT3_P12ihipStream_tbPNSt15iterator_traitsISK_E10value_typeEPNSQ_ISL_E10value_typeEPSM_NS1_7vsmem_tEENKUlT_SK_SL_SM_E_clIPiSE_SF_SF_EESJ_SZ_SK_SL_SM_EUlSZ_E_NS1_11comp_targetILNS1_3genE9ELNS1_11target_archE1100ELNS1_3gpuE3ELNS1_3repE0EEENS1_48merge_mergepath_partition_config_static_selectorELNS0_4arch9wavefront6targetE0EEEvSL_.private_seg_size, 0
	.set _ZN7rocprim17ROCPRIM_400000_NS6detail17trampoline_kernelINS0_14default_configENS1_38merge_sort_block_merge_config_selectorIiNS0_10empty_typeEEEZZNS1_27merge_sort_block_merge_implIS3_N6thrust23THRUST_200600_302600_NS6detail15normal_iteratorINS9_10device_ptrIiEEEEPS5_jNS1_19radix_merge_compareILb1ELb0EiNS0_19identity_decomposerEEEEE10hipError_tT0_T1_T2_jT3_P12ihipStream_tbPNSt15iterator_traitsISK_E10value_typeEPNSQ_ISL_E10value_typeEPSM_NS1_7vsmem_tEENKUlT_SK_SL_SM_E_clIPiSE_SF_SF_EESJ_SZ_SK_SL_SM_EUlSZ_E_NS1_11comp_targetILNS1_3genE9ELNS1_11target_archE1100ELNS1_3gpuE3ELNS1_3repE0EEENS1_48merge_mergepath_partition_config_static_selectorELNS0_4arch9wavefront6targetE0EEEvSL_.uses_vcc, 0
	.set _ZN7rocprim17ROCPRIM_400000_NS6detail17trampoline_kernelINS0_14default_configENS1_38merge_sort_block_merge_config_selectorIiNS0_10empty_typeEEEZZNS1_27merge_sort_block_merge_implIS3_N6thrust23THRUST_200600_302600_NS6detail15normal_iteratorINS9_10device_ptrIiEEEEPS5_jNS1_19radix_merge_compareILb1ELb0EiNS0_19identity_decomposerEEEEE10hipError_tT0_T1_T2_jT3_P12ihipStream_tbPNSt15iterator_traitsISK_E10value_typeEPNSQ_ISL_E10value_typeEPSM_NS1_7vsmem_tEENKUlT_SK_SL_SM_E_clIPiSE_SF_SF_EESJ_SZ_SK_SL_SM_EUlSZ_E_NS1_11comp_targetILNS1_3genE9ELNS1_11target_archE1100ELNS1_3gpuE3ELNS1_3repE0EEENS1_48merge_mergepath_partition_config_static_selectorELNS0_4arch9wavefront6targetE0EEEvSL_.uses_flat_scratch, 0
	.set _ZN7rocprim17ROCPRIM_400000_NS6detail17trampoline_kernelINS0_14default_configENS1_38merge_sort_block_merge_config_selectorIiNS0_10empty_typeEEEZZNS1_27merge_sort_block_merge_implIS3_N6thrust23THRUST_200600_302600_NS6detail15normal_iteratorINS9_10device_ptrIiEEEEPS5_jNS1_19radix_merge_compareILb1ELb0EiNS0_19identity_decomposerEEEEE10hipError_tT0_T1_T2_jT3_P12ihipStream_tbPNSt15iterator_traitsISK_E10value_typeEPNSQ_ISL_E10value_typeEPSM_NS1_7vsmem_tEENKUlT_SK_SL_SM_E_clIPiSE_SF_SF_EESJ_SZ_SK_SL_SM_EUlSZ_E_NS1_11comp_targetILNS1_3genE9ELNS1_11target_archE1100ELNS1_3gpuE3ELNS1_3repE0EEENS1_48merge_mergepath_partition_config_static_selectorELNS0_4arch9wavefront6targetE0EEEvSL_.has_dyn_sized_stack, 0
	.set _ZN7rocprim17ROCPRIM_400000_NS6detail17trampoline_kernelINS0_14default_configENS1_38merge_sort_block_merge_config_selectorIiNS0_10empty_typeEEEZZNS1_27merge_sort_block_merge_implIS3_N6thrust23THRUST_200600_302600_NS6detail15normal_iteratorINS9_10device_ptrIiEEEEPS5_jNS1_19radix_merge_compareILb1ELb0EiNS0_19identity_decomposerEEEEE10hipError_tT0_T1_T2_jT3_P12ihipStream_tbPNSt15iterator_traitsISK_E10value_typeEPNSQ_ISL_E10value_typeEPSM_NS1_7vsmem_tEENKUlT_SK_SL_SM_E_clIPiSE_SF_SF_EESJ_SZ_SK_SL_SM_EUlSZ_E_NS1_11comp_targetILNS1_3genE9ELNS1_11target_archE1100ELNS1_3gpuE3ELNS1_3repE0EEENS1_48merge_mergepath_partition_config_static_selectorELNS0_4arch9wavefront6targetE0EEEvSL_.has_recursion, 0
	.set _ZN7rocprim17ROCPRIM_400000_NS6detail17trampoline_kernelINS0_14default_configENS1_38merge_sort_block_merge_config_selectorIiNS0_10empty_typeEEEZZNS1_27merge_sort_block_merge_implIS3_N6thrust23THRUST_200600_302600_NS6detail15normal_iteratorINS9_10device_ptrIiEEEEPS5_jNS1_19radix_merge_compareILb1ELb0EiNS0_19identity_decomposerEEEEE10hipError_tT0_T1_T2_jT3_P12ihipStream_tbPNSt15iterator_traitsISK_E10value_typeEPNSQ_ISL_E10value_typeEPSM_NS1_7vsmem_tEENKUlT_SK_SL_SM_E_clIPiSE_SF_SF_EESJ_SZ_SK_SL_SM_EUlSZ_E_NS1_11comp_targetILNS1_3genE9ELNS1_11target_archE1100ELNS1_3gpuE3ELNS1_3repE0EEENS1_48merge_mergepath_partition_config_static_selectorELNS0_4arch9wavefront6targetE0EEEvSL_.has_indirect_call, 0
	.section	.AMDGPU.csdata,"",@progbits
; Kernel info:
; codeLenInByte = 0
; TotalNumSgprs: 0
; NumVgprs: 0
; ScratchSize: 0
; MemoryBound: 0
; FloatMode: 240
; IeeeMode: 1
; LDSByteSize: 0 bytes/workgroup (compile time only)
; SGPRBlocks: 0
; VGPRBlocks: 0
; NumSGPRsForWavesPerEU: 1
; NumVGPRsForWavesPerEU: 1
; Occupancy: 16
; WaveLimiterHint : 0
; COMPUTE_PGM_RSRC2:SCRATCH_EN: 0
; COMPUTE_PGM_RSRC2:USER_SGPR: 6
; COMPUTE_PGM_RSRC2:TRAP_HANDLER: 0
; COMPUTE_PGM_RSRC2:TGID_X_EN: 1
; COMPUTE_PGM_RSRC2:TGID_Y_EN: 0
; COMPUTE_PGM_RSRC2:TGID_Z_EN: 0
; COMPUTE_PGM_RSRC2:TIDIG_COMP_CNT: 0
	.section	.text._ZN7rocprim17ROCPRIM_400000_NS6detail17trampoline_kernelINS0_14default_configENS1_38merge_sort_block_merge_config_selectorIiNS0_10empty_typeEEEZZNS1_27merge_sort_block_merge_implIS3_N6thrust23THRUST_200600_302600_NS6detail15normal_iteratorINS9_10device_ptrIiEEEEPS5_jNS1_19radix_merge_compareILb1ELb0EiNS0_19identity_decomposerEEEEE10hipError_tT0_T1_T2_jT3_P12ihipStream_tbPNSt15iterator_traitsISK_E10value_typeEPNSQ_ISL_E10value_typeEPSM_NS1_7vsmem_tEENKUlT_SK_SL_SM_E_clIPiSE_SF_SF_EESJ_SZ_SK_SL_SM_EUlSZ_E_NS1_11comp_targetILNS1_3genE8ELNS1_11target_archE1030ELNS1_3gpuE2ELNS1_3repE0EEENS1_48merge_mergepath_partition_config_static_selectorELNS0_4arch9wavefront6targetE0EEEvSL_,"axG",@progbits,_ZN7rocprim17ROCPRIM_400000_NS6detail17trampoline_kernelINS0_14default_configENS1_38merge_sort_block_merge_config_selectorIiNS0_10empty_typeEEEZZNS1_27merge_sort_block_merge_implIS3_N6thrust23THRUST_200600_302600_NS6detail15normal_iteratorINS9_10device_ptrIiEEEEPS5_jNS1_19radix_merge_compareILb1ELb0EiNS0_19identity_decomposerEEEEE10hipError_tT0_T1_T2_jT3_P12ihipStream_tbPNSt15iterator_traitsISK_E10value_typeEPNSQ_ISL_E10value_typeEPSM_NS1_7vsmem_tEENKUlT_SK_SL_SM_E_clIPiSE_SF_SF_EESJ_SZ_SK_SL_SM_EUlSZ_E_NS1_11comp_targetILNS1_3genE8ELNS1_11target_archE1030ELNS1_3gpuE2ELNS1_3repE0EEENS1_48merge_mergepath_partition_config_static_selectorELNS0_4arch9wavefront6targetE0EEEvSL_,comdat
	.protected	_ZN7rocprim17ROCPRIM_400000_NS6detail17trampoline_kernelINS0_14default_configENS1_38merge_sort_block_merge_config_selectorIiNS0_10empty_typeEEEZZNS1_27merge_sort_block_merge_implIS3_N6thrust23THRUST_200600_302600_NS6detail15normal_iteratorINS9_10device_ptrIiEEEEPS5_jNS1_19radix_merge_compareILb1ELb0EiNS0_19identity_decomposerEEEEE10hipError_tT0_T1_T2_jT3_P12ihipStream_tbPNSt15iterator_traitsISK_E10value_typeEPNSQ_ISL_E10value_typeEPSM_NS1_7vsmem_tEENKUlT_SK_SL_SM_E_clIPiSE_SF_SF_EESJ_SZ_SK_SL_SM_EUlSZ_E_NS1_11comp_targetILNS1_3genE8ELNS1_11target_archE1030ELNS1_3gpuE2ELNS1_3repE0EEENS1_48merge_mergepath_partition_config_static_selectorELNS0_4arch9wavefront6targetE0EEEvSL_ ; -- Begin function _ZN7rocprim17ROCPRIM_400000_NS6detail17trampoline_kernelINS0_14default_configENS1_38merge_sort_block_merge_config_selectorIiNS0_10empty_typeEEEZZNS1_27merge_sort_block_merge_implIS3_N6thrust23THRUST_200600_302600_NS6detail15normal_iteratorINS9_10device_ptrIiEEEEPS5_jNS1_19radix_merge_compareILb1ELb0EiNS0_19identity_decomposerEEEEE10hipError_tT0_T1_T2_jT3_P12ihipStream_tbPNSt15iterator_traitsISK_E10value_typeEPNSQ_ISL_E10value_typeEPSM_NS1_7vsmem_tEENKUlT_SK_SL_SM_E_clIPiSE_SF_SF_EESJ_SZ_SK_SL_SM_EUlSZ_E_NS1_11comp_targetILNS1_3genE8ELNS1_11target_archE1030ELNS1_3gpuE2ELNS1_3repE0EEENS1_48merge_mergepath_partition_config_static_selectorELNS0_4arch9wavefront6targetE0EEEvSL_
	.globl	_ZN7rocprim17ROCPRIM_400000_NS6detail17trampoline_kernelINS0_14default_configENS1_38merge_sort_block_merge_config_selectorIiNS0_10empty_typeEEEZZNS1_27merge_sort_block_merge_implIS3_N6thrust23THRUST_200600_302600_NS6detail15normal_iteratorINS9_10device_ptrIiEEEEPS5_jNS1_19radix_merge_compareILb1ELb0EiNS0_19identity_decomposerEEEEE10hipError_tT0_T1_T2_jT3_P12ihipStream_tbPNSt15iterator_traitsISK_E10value_typeEPNSQ_ISL_E10value_typeEPSM_NS1_7vsmem_tEENKUlT_SK_SL_SM_E_clIPiSE_SF_SF_EESJ_SZ_SK_SL_SM_EUlSZ_E_NS1_11comp_targetILNS1_3genE8ELNS1_11target_archE1030ELNS1_3gpuE2ELNS1_3repE0EEENS1_48merge_mergepath_partition_config_static_selectorELNS0_4arch9wavefront6targetE0EEEvSL_
	.p2align	8
	.type	_ZN7rocprim17ROCPRIM_400000_NS6detail17trampoline_kernelINS0_14default_configENS1_38merge_sort_block_merge_config_selectorIiNS0_10empty_typeEEEZZNS1_27merge_sort_block_merge_implIS3_N6thrust23THRUST_200600_302600_NS6detail15normal_iteratorINS9_10device_ptrIiEEEEPS5_jNS1_19radix_merge_compareILb1ELb0EiNS0_19identity_decomposerEEEEE10hipError_tT0_T1_T2_jT3_P12ihipStream_tbPNSt15iterator_traitsISK_E10value_typeEPNSQ_ISL_E10value_typeEPSM_NS1_7vsmem_tEENKUlT_SK_SL_SM_E_clIPiSE_SF_SF_EESJ_SZ_SK_SL_SM_EUlSZ_E_NS1_11comp_targetILNS1_3genE8ELNS1_11target_archE1030ELNS1_3gpuE2ELNS1_3repE0EEENS1_48merge_mergepath_partition_config_static_selectorELNS0_4arch9wavefront6targetE0EEEvSL_,@function
_ZN7rocprim17ROCPRIM_400000_NS6detail17trampoline_kernelINS0_14default_configENS1_38merge_sort_block_merge_config_selectorIiNS0_10empty_typeEEEZZNS1_27merge_sort_block_merge_implIS3_N6thrust23THRUST_200600_302600_NS6detail15normal_iteratorINS9_10device_ptrIiEEEEPS5_jNS1_19radix_merge_compareILb1ELb0EiNS0_19identity_decomposerEEEEE10hipError_tT0_T1_T2_jT3_P12ihipStream_tbPNSt15iterator_traitsISK_E10value_typeEPNSQ_ISL_E10value_typeEPSM_NS1_7vsmem_tEENKUlT_SK_SL_SM_E_clIPiSE_SF_SF_EESJ_SZ_SK_SL_SM_EUlSZ_E_NS1_11comp_targetILNS1_3genE8ELNS1_11target_archE1030ELNS1_3gpuE2ELNS1_3repE0EEENS1_48merge_mergepath_partition_config_static_selectorELNS0_4arch9wavefront6targetE0EEEvSL_: ; @_ZN7rocprim17ROCPRIM_400000_NS6detail17trampoline_kernelINS0_14default_configENS1_38merge_sort_block_merge_config_selectorIiNS0_10empty_typeEEEZZNS1_27merge_sort_block_merge_implIS3_N6thrust23THRUST_200600_302600_NS6detail15normal_iteratorINS9_10device_ptrIiEEEEPS5_jNS1_19radix_merge_compareILb1ELb0EiNS0_19identity_decomposerEEEEE10hipError_tT0_T1_T2_jT3_P12ihipStream_tbPNSt15iterator_traitsISK_E10value_typeEPNSQ_ISL_E10value_typeEPSM_NS1_7vsmem_tEENKUlT_SK_SL_SM_E_clIPiSE_SF_SF_EESJ_SZ_SK_SL_SM_EUlSZ_E_NS1_11comp_targetILNS1_3genE8ELNS1_11target_archE1030ELNS1_3gpuE2ELNS1_3repE0EEENS1_48merge_mergepath_partition_config_static_selectorELNS0_4arch9wavefront6targetE0EEEvSL_
; %bb.0:
	s_load_dword s0, s[4:5], 0x0
	v_lshl_or_b32 v0, s6, 7, v0
	s_waitcnt lgkmcnt(0)
	v_cmp_gt_u32_e32 vcc_lo, s0, v0
	s_and_saveexec_b32 s0, vcc_lo
	s_cbranch_execz .LBB229_6
; %bb.1:
	s_load_dwordx2 s[0:1], s[4:5], 0x4
	s_waitcnt lgkmcnt(0)
	s_lshr_b32 s2, s0, 9
	s_and_b32 s2, s2, 0x7ffffe
	s_sub_i32 s3, 0, s2
	s_add_i32 s2, s2, -1
	v_and_b32_e32 v1, s3, v0
	v_and_b32_e32 v5, s2, v0
	s_mov_b32 s3, 0
	s_mov_b32 s2, exec_lo
	v_lshlrev_b32_e32 v1, 10, v1
	v_add_nc_u32_e32 v2, s0, v1
	v_min_u32_e32 v4, s1, v2
	v_min_u32_e32 v2, s1, v1
	v_add_nc_u32_e32 v3, s0, v4
	v_min_u32_e32 v1, s1, v3
	s_load_dwordx2 s[0:1], s[4:5], 0x20
	v_lshlrev_b32_e32 v3, 10, v5
	v_sub_nc_u32_e32 v5, v1, v2
	v_sub_nc_u32_e32 v6, v1, v4
	v_min_u32_e32 v1, v5, v3
	v_sub_nc_u32_e32 v3, v4, v2
	v_sub_nc_u32_e64 v6, v1, v6 clamp
	v_min_u32_e32 v7, v1, v3
	v_cmpx_lt_u32_e64 v6, v7
	s_cbranch_execz .LBB229_5
; %bb.2:
	s_load_dwordx2 s[4:5], s[4:5], 0x10
	v_mov_b32_e32 v5, 0
	v_mov_b32_e32 v3, v5
	v_lshlrev_b64 v[10:11], 2, v[4:5]
	v_lshlrev_b64 v[8:9], 2, v[2:3]
	s_waitcnt lgkmcnt(0)
	v_add_co_u32 v3, vcc_lo, s4, v8
	v_add_co_ci_u32_e64 v8, null, s5, v9, vcc_lo
	v_add_co_u32 v9, vcc_lo, s4, v10
	v_add_co_ci_u32_e64 v10, null, s5, v11, vcc_lo
	.p2align	6
.LBB229_3:                              ; =>This Inner Loop Header: Depth=1
	v_add_nc_u32_e32 v4, v7, v6
	v_mov_b32_e32 v12, v5
	v_lshrrev_b32_e32 v4, 1, v4
	v_xad_u32 v11, v4, -1, v1
	v_lshlrev_b64 v[13:14], 2, v[4:5]
	v_lshlrev_b64 v[11:12], 2, v[11:12]
	v_add_co_u32 v13, vcc_lo, v3, v13
	v_add_co_ci_u32_e64 v14, null, v8, v14, vcc_lo
	v_add_co_u32 v11, vcc_lo, v9, v11
	v_add_co_ci_u32_e64 v12, null, v10, v12, vcc_lo
	s_clause 0x1
	global_load_dword v13, v[13:14], off
	global_load_dword v11, v[11:12], off
	v_add_nc_u32_e32 v12, 1, v4
	s_waitcnt vmcnt(0)
	v_cmp_gt_i32_e32 vcc_lo, v11, v13
	v_cndmask_b32_e32 v7, v7, v4, vcc_lo
	v_cndmask_b32_e32 v6, v12, v6, vcc_lo
	v_cmp_ge_u32_e32 vcc_lo, v6, v7
	s_or_b32 s3, vcc_lo, s3
	s_andn2_b32 exec_lo, exec_lo, s3
	s_cbranch_execnz .LBB229_3
; %bb.4:
	s_or_b32 exec_lo, exec_lo, s3
.LBB229_5:
	s_or_b32 exec_lo, exec_lo, s2
	v_mov_b32_e32 v1, 0
	v_add_nc_u32_e32 v2, v6, v2
	v_lshlrev_b64 v[0:1], 2, v[0:1]
	s_waitcnt lgkmcnt(0)
	v_add_co_u32 v0, vcc_lo, s0, v0
	v_add_co_ci_u32_e64 v1, null, s1, v1, vcc_lo
	global_store_dword v[0:1], v2, off
.LBB229_6:
	s_endpgm
	.section	.rodata,"a",@progbits
	.p2align	6, 0x0
	.amdhsa_kernel _ZN7rocprim17ROCPRIM_400000_NS6detail17trampoline_kernelINS0_14default_configENS1_38merge_sort_block_merge_config_selectorIiNS0_10empty_typeEEEZZNS1_27merge_sort_block_merge_implIS3_N6thrust23THRUST_200600_302600_NS6detail15normal_iteratorINS9_10device_ptrIiEEEEPS5_jNS1_19radix_merge_compareILb1ELb0EiNS0_19identity_decomposerEEEEE10hipError_tT0_T1_T2_jT3_P12ihipStream_tbPNSt15iterator_traitsISK_E10value_typeEPNSQ_ISL_E10value_typeEPSM_NS1_7vsmem_tEENKUlT_SK_SL_SM_E_clIPiSE_SF_SF_EESJ_SZ_SK_SL_SM_EUlSZ_E_NS1_11comp_targetILNS1_3genE8ELNS1_11target_archE1030ELNS1_3gpuE2ELNS1_3repE0EEENS1_48merge_mergepath_partition_config_static_selectorELNS0_4arch9wavefront6targetE0EEEvSL_
		.amdhsa_group_segment_fixed_size 0
		.amdhsa_private_segment_fixed_size 0
		.amdhsa_kernarg_size 40
		.amdhsa_user_sgpr_count 6
		.amdhsa_user_sgpr_private_segment_buffer 1
		.amdhsa_user_sgpr_dispatch_ptr 0
		.amdhsa_user_sgpr_queue_ptr 0
		.amdhsa_user_sgpr_kernarg_segment_ptr 1
		.amdhsa_user_sgpr_dispatch_id 0
		.amdhsa_user_sgpr_flat_scratch_init 0
		.amdhsa_user_sgpr_private_segment_size 0
		.amdhsa_wavefront_size32 1
		.amdhsa_uses_dynamic_stack 0
		.amdhsa_system_sgpr_private_segment_wavefront_offset 0
		.amdhsa_system_sgpr_workgroup_id_x 1
		.amdhsa_system_sgpr_workgroup_id_y 0
		.amdhsa_system_sgpr_workgroup_id_z 0
		.amdhsa_system_sgpr_workgroup_info 0
		.amdhsa_system_vgpr_workitem_id 0
		.amdhsa_next_free_vgpr 15
		.amdhsa_next_free_sgpr 7
		.amdhsa_reserve_vcc 1
		.amdhsa_reserve_flat_scratch 0
		.amdhsa_float_round_mode_32 0
		.amdhsa_float_round_mode_16_64 0
		.amdhsa_float_denorm_mode_32 3
		.amdhsa_float_denorm_mode_16_64 3
		.amdhsa_dx10_clamp 1
		.amdhsa_ieee_mode 1
		.amdhsa_fp16_overflow 0
		.amdhsa_workgroup_processor_mode 1
		.amdhsa_memory_ordered 1
		.amdhsa_forward_progress 1
		.amdhsa_shared_vgpr_count 0
		.amdhsa_exception_fp_ieee_invalid_op 0
		.amdhsa_exception_fp_denorm_src 0
		.amdhsa_exception_fp_ieee_div_zero 0
		.amdhsa_exception_fp_ieee_overflow 0
		.amdhsa_exception_fp_ieee_underflow 0
		.amdhsa_exception_fp_ieee_inexact 0
		.amdhsa_exception_int_div_zero 0
	.end_amdhsa_kernel
	.section	.text._ZN7rocprim17ROCPRIM_400000_NS6detail17trampoline_kernelINS0_14default_configENS1_38merge_sort_block_merge_config_selectorIiNS0_10empty_typeEEEZZNS1_27merge_sort_block_merge_implIS3_N6thrust23THRUST_200600_302600_NS6detail15normal_iteratorINS9_10device_ptrIiEEEEPS5_jNS1_19radix_merge_compareILb1ELb0EiNS0_19identity_decomposerEEEEE10hipError_tT0_T1_T2_jT3_P12ihipStream_tbPNSt15iterator_traitsISK_E10value_typeEPNSQ_ISL_E10value_typeEPSM_NS1_7vsmem_tEENKUlT_SK_SL_SM_E_clIPiSE_SF_SF_EESJ_SZ_SK_SL_SM_EUlSZ_E_NS1_11comp_targetILNS1_3genE8ELNS1_11target_archE1030ELNS1_3gpuE2ELNS1_3repE0EEENS1_48merge_mergepath_partition_config_static_selectorELNS0_4arch9wavefront6targetE0EEEvSL_,"axG",@progbits,_ZN7rocprim17ROCPRIM_400000_NS6detail17trampoline_kernelINS0_14default_configENS1_38merge_sort_block_merge_config_selectorIiNS0_10empty_typeEEEZZNS1_27merge_sort_block_merge_implIS3_N6thrust23THRUST_200600_302600_NS6detail15normal_iteratorINS9_10device_ptrIiEEEEPS5_jNS1_19radix_merge_compareILb1ELb0EiNS0_19identity_decomposerEEEEE10hipError_tT0_T1_T2_jT3_P12ihipStream_tbPNSt15iterator_traitsISK_E10value_typeEPNSQ_ISL_E10value_typeEPSM_NS1_7vsmem_tEENKUlT_SK_SL_SM_E_clIPiSE_SF_SF_EESJ_SZ_SK_SL_SM_EUlSZ_E_NS1_11comp_targetILNS1_3genE8ELNS1_11target_archE1030ELNS1_3gpuE2ELNS1_3repE0EEENS1_48merge_mergepath_partition_config_static_selectorELNS0_4arch9wavefront6targetE0EEEvSL_,comdat
.Lfunc_end229:
	.size	_ZN7rocprim17ROCPRIM_400000_NS6detail17trampoline_kernelINS0_14default_configENS1_38merge_sort_block_merge_config_selectorIiNS0_10empty_typeEEEZZNS1_27merge_sort_block_merge_implIS3_N6thrust23THRUST_200600_302600_NS6detail15normal_iteratorINS9_10device_ptrIiEEEEPS5_jNS1_19radix_merge_compareILb1ELb0EiNS0_19identity_decomposerEEEEE10hipError_tT0_T1_T2_jT3_P12ihipStream_tbPNSt15iterator_traitsISK_E10value_typeEPNSQ_ISL_E10value_typeEPSM_NS1_7vsmem_tEENKUlT_SK_SL_SM_E_clIPiSE_SF_SF_EESJ_SZ_SK_SL_SM_EUlSZ_E_NS1_11comp_targetILNS1_3genE8ELNS1_11target_archE1030ELNS1_3gpuE2ELNS1_3repE0EEENS1_48merge_mergepath_partition_config_static_selectorELNS0_4arch9wavefront6targetE0EEEvSL_, .Lfunc_end229-_ZN7rocprim17ROCPRIM_400000_NS6detail17trampoline_kernelINS0_14default_configENS1_38merge_sort_block_merge_config_selectorIiNS0_10empty_typeEEEZZNS1_27merge_sort_block_merge_implIS3_N6thrust23THRUST_200600_302600_NS6detail15normal_iteratorINS9_10device_ptrIiEEEEPS5_jNS1_19radix_merge_compareILb1ELb0EiNS0_19identity_decomposerEEEEE10hipError_tT0_T1_T2_jT3_P12ihipStream_tbPNSt15iterator_traitsISK_E10value_typeEPNSQ_ISL_E10value_typeEPSM_NS1_7vsmem_tEENKUlT_SK_SL_SM_E_clIPiSE_SF_SF_EESJ_SZ_SK_SL_SM_EUlSZ_E_NS1_11comp_targetILNS1_3genE8ELNS1_11target_archE1030ELNS1_3gpuE2ELNS1_3repE0EEENS1_48merge_mergepath_partition_config_static_selectorELNS0_4arch9wavefront6targetE0EEEvSL_
                                        ; -- End function
	.set _ZN7rocprim17ROCPRIM_400000_NS6detail17trampoline_kernelINS0_14default_configENS1_38merge_sort_block_merge_config_selectorIiNS0_10empty_typeEEEZZNS1_27merge_sort_block_merge_implIS3_N6thrust23THRUST_200600_302600_NS6detail15normal_iteratorINS9_10device_ptrIiEEEEPS5_jNS1_19radix_merge_compareILb1ELb0EiNS0_19identity_decomposerEEEEE10hipError_tT0_T1_T2_jT3_P12ihipStream_tbPNSt15iterator_traitsISK_E10value_typeEPNSQ_ISL_E10value_typeEPSM_NS1_7vsmem_tEENKUlT_SK_SL_SM_E_clIPiSE_SF_SF_EESJ_SZ_SK_SL_SM_EUlSZ_E_NS1_11comp_targetILNS1_3genE8ELNS1_11target_archE1030ELNS1_3gpuE2ELNS1_3repE0EEENS1_48merge_mergepath_partition_config_static_selectorELNS0_4arch9wavefront6targetE0EEEvSL_.num_vgpr, 15
	.set _ZN7rocprim17ROCPRIM_400000_NS6detail17trampoline_kernelINS0_14default_configENS1_38merge_sort_block_merge_config_selectorIiNS0_10empty_typeEEEZZNS1_27merge_sort_block_merge_implIS3_N6thrust23THRUST_200600_302600_NS6detail15normal_iteratorINS9_10device_ptrIiEEEEPS5_jNS1_19radix_merge_compareILb1ELb0EiNS0_19identity_decomposerEEEEE10hipError_tT0_T1_T2_jT3_P12ihipStream_tbPNSt15iterator_traitsISK_E10value_typeEPNSQ_ISL_E10value_typeEPSM_NS1_7vsmem_tEENKUlT_SK_SL_SM_E_clIPiSE_SF_SF_EESJ_SZ_SK_SL_SM_EUlSZ_E_NS1_11comp_targetILNS1_3genE8ELNS1_11target_archE1030ELNS1_3gpuE2ELNS1_3repE0EEENS1_48merge_mergepath_partition_config_static_selectorELNS0_4arch9wavefront6targetE0EEEvSL_.num_agpr, 0
	.set _ZN7rocprim17ROCPRIM_400000_NS6detail17trampoline_kernelINS0_14default_configENS1_38merge_sort_block_merge_config_selectorIiNS0_10empty_typeEEEZZNS1_27merge_sort_block_merge_implIS3_N6thrust23THRUST_200600_302600_NS6detail15normal_iteratorINS9_10device_ptrIiEEEEPS5_jNS1_19radix_merge_compareILb1ELb0EiNS0_19identity_decomposerEEEEE10hipError_tT0_T1_T2_jT3_P12ihipStream_tbPNSt15iterator_traitsISK_E10value_typeEPNSQ_ISL_E10value_typeEPSM_NS1_7vsmem_tEENKUlT_SK_SL_SM_E_clIPiSE_SF_SF_EESJ_SZ_SK_SL_SM_EUlSZ_E_NS1_11comp_targetILNS1_3genE8ELNS1_11target_archE1030ELNS1_3gpuE2ELNS1_3repE0EEENS1_48merge_mergepath_partition_config_static_selectorELNS0_4arch9wavefront6targetE0EEEvSL_.numbered_sgpr, 7
	.set _ZN7rocprim17ROCPRIM_400000_NS6detail17trampoline_kernelINS0_14default_configENS1_38merge_sort_block_merge_config_selectorIiNS0_10empty_typeEEEZZNS1_27merge_sort_block_merge_implIS3_N6thrust23THRUST_200600_302600_NS6detail15normal_iteratorINS9_10device_ptrIiEEEEPS5_jNS1_19radix_merge_compareILb1ELb0EiNS0_19identity_decomposerEEEEE10hipError_tT0_T1_T2_jT3_P12ihipStream_tbPNSt15iterator_traitsISK_E10value_typeEPNSQ_ISL_E10value_typeEPSM_NS1_7vsmem_tEENKUlT_SK_SL_SM_E_clIPiSE_SF_SF_EESJ_SZ_SK_SL_SM_EUlSZ_E_NS1_11comp_targetILNS1_3genE8ELNS1_11target_archE1030ELNS1_3gpuE2ELNS1_3repE0EEENS1_48merge_mergepath_partition_config_static_selectorELNS0_4arch9wavefront6targetE0EEEvSL_.num_named_barrier, 0
	.set _ZN7rocprim17ROCPRIM_400000_NS6detail17trampoline_kernelINS0_14default_configENS1_38merge_sort_block_merge_config_selectorIiNS0_10empty_typeEEEZZNS1_27merge_sort_block_merge_implIS3_N6thrust23THRUST_200600_302600_NS6detail15normal_iteratorINS9_10device_ptrIiEEEEPS5_jNS1_19radix_merge_compareILb1ELb0EiNS0_19identity_decomposerEEEEE10hipError_tT0_T1_T2_jT3_P12ihipStream_tbPNSt15iterator_traitsISK_E10value_typeEPNSQ_ISL_E10value_typeEPSM_NS1_7vsmem_tEENKUlT_SK_SL_SM_E_clIPiSE_SF_SF_EESJ_SZ_SK_SL_SM_EUlSZ_E_NS1_11comp_targetILNS1_3genE8ELNS1_11target_archE1030ELNS1_3gpuE2ELNS1_3repE0EEENS1_48merge_mergepath_partition_config_static_selectorELNS0_4arch9wavefront6targetE0EEEvSL_.private_seg_size, 0
	.set _ZN7rocprim17ROCPRIM_400000_NS6detail17trampoline_kernelINS0_14default_configENS1_38merge_sort_block_merge_config_selectorIiNS0_10empty_typeEEEZZNS1_27merge_sort_block_merge_implIS3_N6thrust23THRUST_200600_302600_NS6detail15normal_iteratorINS9_10device_ptrIiEEEEPS5_jNS1_19radix_merge_compareILb1ELb0EiNS0_19identity_decomposerEEEEE10hipError_tT0_T1_T2_jT3_P12ihipStream_tbPNSt15iterator_traitsISK_E10value_typeEPNSQ_ISL_E10value_typeEPSM_NS1_7vsmem_tEENKUlT_SK_SL_SM_E_clIPiSE_SF_SF_EESJ_SZ_SK_SL_SM_EUlSZ_E_NS1_11comp_targetILNS1_3genE8ELNS1_11target_archE1030ELNS1_3gpuE2ELNS1_3repE0EEENS1_48merge_mergepath_partition_config_static_selectorELNS0_4arch9wavefront6targetE0EEEvSL_.uses_vcc, 1
	.set _ZN7rocprim17ROCPRIM_400000_NS6detail17trampoline_kernelINS0_14default_configENS1_38merge_sort_block_merge_config_selectorIiNS0_10empty_typeEEEZZNS1_27merge_sort_block_merge_implIS3_N6thrust23THRUST_200600_302600_NS6detail15normal_iteratorINS9_10device_ptrIiEEEEPS5_jNS1_19radix_merge_compareILb1ELb0EiNS0_19identity_decomposerEEEEE10hipError_tT0_T1_T2_jT3_P12ihipStream_tbPNSt15iterator_traitsISK_E10value_typeEPNSQ_ISL_E10value_typeEPSM_NS1_7vsmem_tEENKUlT_SK_SL_SM_E_clIPiSE_SF_SF_EESJ_SZ_SK_SL_SM_EUlSZ_E_NS1_11comp_targetILNS1_3genE8ELNS1_11target_archE1030ELNS1_3gpuE2ELNS1_3repE0EEENS1_48merge_mergepath_partition_config_static_selectorELNS0_4arch9wavefront6targetE0EEEvSL_.uses_flat_scratch, 0
	.set _ZN7rocprim17ROCPRIM_400000_NS6detail17trampoline_kernelINS0_14default_configENS1_38merge_sort_block_merge_config_selectorIiNS0_10empty_typeEEEZZNS1_27merge_sort_block_merge_implIS3_N6thrust23THRUST_200600_302600_NS6detail15normal_iteratorINS9_10device_ptrIiEEEEPS5_jNS1_19radix_merge_compareILb1ELb0EiNS0_19identity_decomposerEEEEE10hipError_tT0_T1_T2_jT3_P12ihipStream_tbPNSt15iterator_traitsISK_E10value_typeEPNSQ_ISL_E10value_typeEPSM_NS1_7vsmem_tEENKUlT_SK_SL_SM_E_clIPiSE_SF_SF_EESJ_SZ_SK_SL_SM_EUlSZ_E_NS1_11comp_targetILNS1_3genE8ELNS1_11target_archE1030ELNS1_3gpuE2ELNS1_3repE0EEENS1_48merge_mergepath_partition_config_static_selectorELNS0_4arch9wavefront6targetE0EEEvSL_.has_dyn_sized_stack, 0
	.set _ZN7rocprim17ROCPRIM_400000_NS6detail17trampoline_kernelINS0_14default_configENS1_38merge_sort_block_merge_config_selectorIiNS0_10empty_typeEEEZZNS1_27merge_sort_block_merge_implIS3_N6thrust23THRUST_200600_302600_NS6detail15normal_iteratorINS9_10device_ptrIiEEEEPS5_jNS1_19radix_merge_compareILb1ELb0EiNS0_19identity_decomposerEEEEE10hipError_tT0_T1_T2_jT3_P12ihipStream_tbPNSt15iterator_traitsISK_E10value_typeEPNSQ_ISL_E10value_typeEPSM_NS1_7vsmem_tEENKUlT_SK_SL_SM_E_clIPiSE_SF_SF_EESJ_SZ_SK_SL_SM_EUlSZ_E_NS1_11comp_targetILNS1_3genE8ELNS1_11target_archE1030ELNS1_3gpuE2ELNS1_3repE0EEENS1_48merge_mergepath_partition_config_static_selectorELNS0_4arch9wavefront6targetE0EEEvSL_.has_recursion, 0
	.set _ZN7rocprim17ROCPRIM_400000_NS6detail17trampoline_kernelINS0_14default_configENS1_38merge_sort_block_merge_config_selectorIiNS0_10empty_typeEEEZZNS1_27merge_sort_block_merge_implIS3_N6thrust23THRUST_200600_302600_NS6detail15normal_iteratorINS9_10device_ptrIiEEEEPS5_jNS1_19radix_merge_compareILb1ELb0EiNS0_19identity_decomposerEEEEE10hipError_tT0_T1_T2_jT3_P12ihipStream_tbPNSt15iterator_traitsISK_E10value_typeEPNSQ_ISL_E10value_typeEPSM_NS1_7vsmem_tEENKUlT_SK_SL_SM_E_clIPiSE_SF_SF_EESJ_SZ_SK_SL_SM_EUlSZ_E_NS1_11comp_targetILNS1_3genE8ELNS1_11target_archE1030ELNS1_3gpuE2ELNS1_3repE0EEENS1_48merge_mergepath_partition_config_static_selectorELNS0_4arch9wavefront6targetE0EEEvSL_.has_indirect_call, 0
	.section	.AMDGPU.csdata,"",@progbits
; Kernel info:
; codeLenInByte = 436
; TotalNumSgprs: 9
; NumVgprs: 15
; ScratchSize: 0
; MemoryBound: 0
; FloatMode: 240
; IeeeMode: 1
; LDSByteSize: 0 bytes/workgroup (compile time only)
; SGPRBlocks: 0
; VGPRBlocks: 1
; NumSGPRsForWavesPerEU: 9
; NumVGPRsForWavesPerEU: 15
; Occupancy: 16
; WaveLimiterHint : 0
; COMPUTE_PGM_RSRC2:SCRATCH_EN: 0
; COMPUTE_PGM_RSRC2:USER_SGPR: 6
; COMPUTE_PGM_RSRC2:TRAP_HANDLER: 0
; COMPUTE_PGM_RSRC2:TGID_X_EN: 1
; COMPUTE_PGM_RSRC2:TGID_Y_EN: 0
; COMPUTE_PGM_RSRC2:TGID_Z_EN: 0
; COMPUTE_PGM_RSRC2:TIDIG_COMP_CNT: 0
	.section	.text._ZN7rocprim17ROCPRIM_400000_NS6detail17trampoline_kernelINS0_14default_configENS1_38merge_sort_block_merge_config_selectorIiNS0_10empty_typeEEEZZNS1_27merge_sort_block_merge_implIS3_N6thrust23THRUST_200600_302600_NS6detail15normal_iteratorINS9_10device_ptrIiEEEEPS5_jNS1_19radix_merge_compareILb1ELb0EiNS0_19identity_decomposerEEEEE10hipError_tT0_T1_T2_jT3_P12ihipStream_tbPNSt15iterator_traitsISK_E10value_typeEPNSQ_ISL_E10value_typeEPSM_NS1_7vsmem_tEENKUlT_SK_SL_SM_E_clIPiSE_SF_SF_EESJ_SZ_SK_SL_SM_EUlSZ_E0_NS1_11comp_targetILNS1_3genE0ELNS1_11target_archE4294967295ELNS1_3gpuE0ELNS1_3repE0EEENS1_38merge_mergepath_config_static_selectorELNS0_4arch9wavefront6targetE0EEEvSL_,"axG",@progbits,_ZN7rocprim17ROCPRIM_400000_NS6detail17trampoline_kernelINS0_14default_configENS1_38merge_sort_block_merge_config_selectorIiNS0_10empty_typeEEEZZNS1_27merge_sort_block_merge_implIS3_N6thrust23THRUST_200600_302600_NS6detail15normal_iteratorINS9_10device_ptrIiEEEEPS5_jNS1_19radix_merge_compareILb1ELb0EiNS0_19identity_decomposerEEEEE10hipError_tT0_T1_T2_jT3_P12ihipStream_tbPNSt15iterator_traitsISK_E10value_typeEPNSQ_ISL_E10value_typeEPSM_NS1_7vsmem_tEENKUlT_SK_SL_SM_E_clIPiSE_SF_SF_EESJ_SZ_SK_SL_SM_EUlSZ_E0_NS1_11comp_targetILNS1_3genE0ELNS1_11target_archE4294967295ELNS1_3gpuE0ELNS1_3repE0EEENS1_38merge_mergepath_config_static_selectorELNS0_4arch9wavefront6targetE0EEEvSL_,comdat
	.protected	_ZN7rocprim17ROCPRIM_400000_NS6detail17trampoline_kernelINS0_14default_configENS1_38merge_sort_block_merge_config_selectorIiNS0_10empty_typeEEEZZNS1_27merge_sort_block_merge_implIS3_N6thrust23THRUST_200600_302600_NS6detail15normal_iteratorINS9_10device_ptrIiEEEEPS5_jNS1_19radix_merge_compareILb1ELb0EiNS0_19identity_decomposerEEEEE10hipError_tT0_T1_T2_jT3_P12ihipStream_tbPNSt15iterator_traitsISK_E10value_typeEPNSQ_ISL_E10value_typeEPSM_NS1_7vsmem_tEENKUlT_SK_SL_SM_E_clIPiSE_SF_SF_EESJ_SZ_SK_SL_SM_EUlSZ_E0_NS1_11comp_targetILNS1_3genE0ELNS1_11target_archE4294967295ELNS1_3gpuE0ELNS1_3repE0EEENS1_38merge_mergepath_config_static_selectorELNS0_4arch9wavefront6targetE0EEEvSL_ ; -- Begin function _ZN7rocprim17ROCPRIM_400000_NS6detail17trampoline_kernelINS0_14default_configENS1_38merge_sort_block_merge_config_selectorIiNS0_10empty_typeEEEZZNS1_27merge_sort_block_merge_implIS3_N6thrust23THRUST_200600_302600_NS6detail15normal_iteratorINS9_10device_ptrIiEEEEPS5_jNS1_19radix_merge_compareILb1ELb0EiNS0_19identity_decomposerEEEEE10hipError_tT0_T1_T2_jT3_P12ihipStream_tbPNSt15iterator_traitsISK_E10value_typeEPNSQ_ISL_E10value_typeEPSM_NS1_7vsmem_tEENKUlT_SK_SL_SM_E_clIPiSE_SF_SF_EESJ_SZ_SK_SL_SM_EUlSZ_E0_NS1_11comp_targetILNS1_3genE0ELNS1_11target_archE4294967295ELNS1_3gpuE0ELNS1_3repE0EEENS1_38merge_mergepath_config_static_selectorELNS0_4arch9wavefront6targetE0EEEvSL_
	.globl	_ZN7rocprim17ROCPRIM_400000_NS6detail17trampoline_kernelINS0_14default_configENS1_38merge_sort_block_merge_config_selectorIiNS0_10empty_typeEEEZZNS1_27merge_sort_block_merge_implIS3_N6thrust23THRUST_200600_302600_NS6detail15normal_iteratorINS9_10device_ptrIiEEEEPS5_jNS1_19radix_merge_compareILb1ELb0EiNS0_19identity_decomposerEEEEE10hipError_tT0_T1_T2_jT3_P12ihipStream_tbPNSt15iterator_traitsISK_E10value_typeEPNSQ_ISL_E10value_typeEPSM_NS1_7vsmem_tEENKUlT_SK_SL_SM_E_clIPiSE_SF_SF_EESJ_SZ_SK_SL_SM_EUlSZ_E0_NS1_11comp_targetILNS1_3genE0ELNS1_11target_archE4294967295ELNS1_3gpuE0ELNS1_3repE0EEENS1_38merge_mergepath_config_static_selectorELNS0_4arch9wavefront6targetE0EEEvSL_
	.p2align	8
	.type	_ZN7rocprim17ROCPRIM_400000_NS6detail17trampoline_kernelINS0_14default_configENS1_38merge_sort_block_merge_config_selectorIiNS0_10empty_typeEEEZZNS1_27merge_sort_block_merge_implIS3_N6thrust23THRUST_200600_302600_NS6detail15normal_iteratorINS9_10device_ptrIiEEEEPS5_jNS1_19radix_merge_compareILb1ELb0EiNS0_19identity_decomposerEEEEE10hipError_tT0_T1_T2_jT3_P12ihipStream_tbPNSt15iterator_traitsISK_E10value_typeEPNSQ_ISL_E10value_typeEPSM_NS1_7vsmem_tEENKUlT_SK_SL_SM_E_clIPiSE_SF_SF_EESJ_SZ_SK_SL_SM_EUlSZ_E0_NS1_11comp_targetILNS1_3genE0ELNS1_11target_archE4294967295ELNS1_3gpuE0ELNS1_3repE0EEENS1_38merge_mergepath_config_static_selectorELNS0_4arch9wavefront6targetE0EEEvSL_,@function
_ZN7rocprim17ROCPRIM_400000_NS6detail17trampoline_kernelINS0_14default_configENS1_38merge_sort_block_merge_config_selectorIiNS0_10empty_typeEEEZZNS1_27merge_sort_block_merge_implIS3_N6thrust23THRUST_200600_302600_NS6detail15normal_iteratorINS9_10device_ptrIiEEEEPS5_jNS1_19radix_merge_compareILb1ELb0EiNS0_19identity_decomposerEEEEE10hipError_tT0_T1_T2_jT3_P12ihipStream_tbPNSt15iterator_traitsISK_E10value_typeEPNSQ_ISL_E10value_typeEPSM_NS1_7vsmem_tEENKUlT_SK_SL_SM_E_clIPiSE_SF_SF_EESJ_SZ_SK_SL_SM_EUlSZ_E0_NS1_11comp_targetILNS1_3genE0ELNS1_11target_archE4294967295ELNS1_3gpuE0ELNS1_3repE0EEENS1_38merge_mergepath_config_static_selectorELNS0_4arch9wavefront6targetE0EEEvSL_: ; @_ZN7rocprim17ROCPRIM_400000_NS6detail17trampoline_kernelINS0_14default_configENS1_38merge_sort_block_merge_config_selectorIiNS0_10empty_typeEEEZZNS1_27merge_sort_block_merge_implIS3_N6thrust23THRUST_200600_302600_NS6detail15normal_iteratorINS9_10device_ptrIiEEEEPS5_jNS1_19radix_merge_compareILb1ELb0EiNS0_19identity_decomposerEEEEE10hipError_tT0_T1_T2_jT3_P12ihipStream_tbPNSt15iterator_traitsISK_E10value_typeEPNSQ_ISL_E10value_typeEPSM_NS1_7vsmem_tEENKUlT_SK_SL_SM_E_clIPiSE_SF_SF_EESJ_SZ_SK_SL_SM_EUlSZ_E0_NS1_11comp_targetILNS1_3genE0ELNS1_11target_archE4294967295ELNS1_3gpuE0ELNS1_3repE0EEENS1_38merge_mergepath_config_static_selectorELNS0_4arch9wavefront6targetE0EEEvSL_
; %bb.0:
	.section	.rodata,"a",@progbits
	.p2align	6, 0x0
	.amdhsa_kernel _ZN7rocprim17ROCPRIM_400000_NS6detail17trampoline_kernelINS0_14default_configENS1_38merge_sort_block_merge_config_selectorIiNS0_10empty_typeEEEZZNS1_27merge_sort_block_merge_implIS3_N6thrust23THRUST_200600_302600_NS6detail15normal_iteratorINS9_10device_ptrIiEEEEPS5_jNS1_19radix_merge_compareILb1ELb0EiNS0_19identity_decomposerEEEEE10hipError_tT0_T1_T2_jT3_P12ihipStream_tbPNSt15iterator_traitsISK_E10value_typeEPNSQ_ISL_E10value_typeEPSM_NS1_7vsmem_tEENKUlT_SK_SL_SM_E_clIPiSE_SF_SF_EESJ_SZ_SK_SL_SM_EUlSZ_E0_NS1_11comp_targetILNS1_3genE0ELNS1_11target_archE4294967295ELNS1_3gpuE0ELNS1_3repE0EEENS1_38merge_mergepath_config_static_selectorELNS0_4arch9wavefront6targetE0EEEvSL_
		.amdhsa_group_segment_fixed_size 0
		.amdhsa_private_segment_fixed_size 0
		.amdhsa_kernarg_size 64
		.amdhsa_user_sgpr_count 6
		.amdhsa_user_sgpr_private_segment_buffer 1
		.amdhsa_user_sgpr_dispatch_ptr 0
		.amdhsa_user_sgpr_queue_ptr 0
		.amdhsa_user_sgpr_kernarg_segment_ptr 1
		.amdhsa_user_sgpr_dispatch_id 0
		.amdhsa_user_sgpr_flat_scratch_init 0
		.amdhsa_user_sgpr_private_segment_size 0
		.amdhsa_wavefront_size32 1
		.amdhsa_uses_dynamic_stack 0
		.amdhsa_system_sgpr_private_segment_wavefront_offset 0
		.amdhsa_system_sgpr_workgroup_id_x 1
		.amdhsa_system_sgpr_workgroup_id_y 0
		.amdhsa_system_sgpr_workgroup_id_z 0
		.amdhsa_system_sgpr_workgroup_info 0
		.amdhsa_system_vgpr_workitem_id 0
		.amdhsa_next_free_vgpr 1
		.amdhsa_next_free_sgpr 1
		.amdhsa_reserve_vcc 0
		.amdhsa_reserve_flat_scratch 0
		.amdhsa_float_round_mode_32 0
		.amdhsa_float_round_mode_16_64 0
		.amdhsa_float_denorm_mode_32 3
		.amdhsa_float_denorm_mode_16_64 3
		.amdhsa_dx10_clamp 1
		.amdhsa_ieee_mode 1
		.amdhsa_fp16_overflow 0
		.amdhsa_workgroup_processor_mode 1
		.amdhsa_memory_ordered 1
		.amdhsa_forward_progress 1
		.amdhsa_shared_vgpr_count 0
		.amdhsa_exception_fp_ieee_invalid_op 0
		.amdhsa_exception_fp_denorm_src 0
		.amdhsa_exception_fp_ieee_div_zero 0
		.amdhsa_exception_fp_ieee_overflow 0
		.amdhsa_exception_fp_ieee_underflow 0
		.amdhsa_exception_fp_ieee_inexact 0
		.amdhsa_exception_int_div_zero 0
	.end_amdhsa_kernel
	.section	.text._ZN7rocprim17ROCPRIM_400000_NS6detail17trampoline_kernelINS0_14default_configENS1_38merge_sort_block_merge_config_selectorIiNS0_10empty_typeEEEZZNS1_27merge_sort_block_merge_implIS3_N6thrust23THRUST_200600_302600_NS6detail15normal_iteratorINS9_10device_ptrIiEEEEPS5_jNS1_19radix_merge_compareILb1ELb0EiNS0_19identity_decomposerEEEEE10hipError_tT0_T1_T2_jT3_P12ihipStream_tbPNSt15iterator_traitsISK_E10value_typeEPNSQ_ISL_E10value_typeEPSM_NS1_7vsmem_tEENKUlT_SK_SL_SM_E_clIPiSE_SF_SF_EESJ_SZ_SK_SL_SM_EUlSZ_E0_NS1_11comp_targetILNS1_3genE0ELNS1_11target_archE4294967295ELNS1_3gpuE0ELNS1_3repE0EEENS1_38merge_mergepath_config_static_selectorELNS0_4arch9wavefront6targetE0EEEvSL_,"axG",@progbits,_ZN7rocprim17ROCPRIM_400000_NS6detail17trampoline_kernelINS0_14default_configENS1_38merge_sort_block_merge_config_selectorIiNS0_10empty_typeEEEZZNS1_27merge_sort_block_merge_implIS3_N6thrust23THRUST_200600_302600_NS6detail15normal_iteratorINS9_10device_ptrIiEEEEPS5_jNS1_19radix_merge_compareILb1ELb0EiNS0_19identity_decomposerEEEEE10hipError_tT0_T1_T2_jT3_P12ihipStream_tbPNSt15iterator_traitsISK_E10value_typeEPNSQ_ISL_E10value_typeEPSM_NS1_7vsmem_tEENKUlT_SK_SL_SM_E_clIPiSE_SF_SF_EESJ_SZ_SK_SL_SM_EUlSZ_E0_NS1_11comp_targetILNS1_3genE0ELNS1_11target_archE4294967295ELNS1_3gpuE0ELNS1_3repE0EEENS1_38merge_mergepath_config_static_selectorELNS0_4arch9wavefront6targetE0EEEvSL_,comdat
.Lfunc_end230:
	.size	_ZN7rocprim17ROCPRIM_400000_NS6detail17trampoline_kernelINS0_14default_configENS1_38merge_sort_block_merge_config_selectorIiNS0_10empty_typeEEEZZNS1_27merge_sort_block_merge_implIS3_N6thrust23THRUST_200600_302600_NS6detail15normal_iteratorINS9_10device_ptrIiEEEEPS5_jNS1_19radix_merge_compareILb1ELb0EiNS0_19identity_decomposerEEEEE10hipError_tT0_T1_T2_jT3_P12ihipStream_tbPNSt15iterator_traitsISK_E10value_typeEPNSQ_ISL_E10value_typeEPSM_NS1_7vsmem_tEENKUlT_SK_SL_SM_E_clIPiSE_SF_SF_EESJ_SZ_SK_SL_SM_EUlSZ_E0_NS1_11comp_targetILNS1_3genE0ELNS1_11target_archE4294967295ELNS1_3gpuE0ELNS1_3repE0EEENS1_38merge_mergepath_config_static_selectorELNS0_4arch9wavefront6targetE0EEEvSL_, .Lfunc_end230-_ZN7rocprim17ROCPRIM_400000_NS6detail17trampoline_kernelINS0_14default_configENS1_38merge_sort_block_merge_config_selectorIiNS0_10empty_typeEEEZZNS1_27merge_sort_block_merge_implIS3_N6thrust23THRUST_200600_302600_NS6detail15normal_iteratorINS9_10device_ptrIiEEEEPS5_jNS1_19radix_merge_compareILb1ELb0EiNS0_19identity_decomposerEEEEE10hipError_tT0_T1_T2_jT3_P12ihipStream_tbPNSt15iterator_traitsISK_E10value_typeEPNSQ_ISL_E10value_typeEPSM_NS1_7vsmem_tEENKUlT_SK_SL_SM_E_clIPiSE_SF_SF_EESJ_SZ_SK_SL_SM_EUlSZ_E0_NS1_11comp_targetILNS1_3genE0ELNS1_11target_archE4294967295ELNS1_3gpuE0ELNS1_3repE0EEENS1_38merge_mergepath_config_static_selectorELNS0_4arch9wavefront6targetE0EEEvSL_
                                        ; -- End function
	.set _ZN7rocprim17ROCPRIM_400000_NS6detail17trampoline_kernelINS0_14default_configENS1_38merge_sort_block_merge_config_selectorIiNS0_10empty_typeEEEZZNS1_27merge_sort_block_merge_implIS3_N6thrust23THRUST_200600_302600_NS6detail15normal_iteratorINS9_10device_ptrIiEEEEPS5_jNS1_19radix_merge_compareILb1ELb0EiNS0_19identity_decomposerEEEEE10hipError_tT0_T1_T2_jT3_P12ihipStream_tbPNSt15iterator_traitsISK_E10value_typeEPNSQ_ISL_E10value_typeEPSM_NS1_7vsmem_tEENKUlT_SK_SL_SM_E_clIPiSE_SF_SF_EESJ_SZ_SK_SL_SM_EUlSZ_E0_NS1_11comp_targetILNS1_3genE0ELNS1_11target_archE4294967295ELNS1_3gpuE0ELNS1_3repE0EEENS1_38merge_mergepath_config_static_selectorELNS0_4arch9wavefront6targetE0EEEvSL_.num_vgpr, 0
	.set _ZN7rocprim17ROCPRIM_400000_NS6detail17trampoline_kernelINS0_14default_configENS1_38merge_sort_block_merge_config_selectorIiNS0_10empty_typeEEEZZNS1_27merge_sort_block_merge_implIS3_N6thrust23THRUST_200600_302600_NS6detail15normal_iteratorINS9_10device_ptrIiEEEEPS5_jNS1_19radix_merge_compareILb1ELb0EiNS0_19identity_decomposerEEEEE10hipError_tT0_T1_T2_jT3_P12ihipStream_tbPNSt15iterator_traitsISK_E10value_typeEPNSQ_ISL_E10value_typeEPSM_NS1_7vsmem_tEENKUlT_SK_SL_SM_E_clIPiSE_SF_SF_EESJ_SZ_SK_SL_SM_EUlSZ_E0_NS1_11comp_targetILNS1_3genE0ELNS1_11target_archE4294967295ELNS1_3gpuE0ELNS1_3repE0EEENS1_38merge_mergepath_config_static_selectorELNS0_4arch9wavefront6targetE0EEEvSL_.num_agpr, 0
	.set _ZN7rocprim17ROCPRIM_400000_NS6detail17trampoline_kernelINS0_14default_configENS1_38merge_sort_block_merge_config_selectorIiNS0_10empty_typeEEEZZNS1_27merge_sort_block_merge_implIS3_N6thrust23THRUST_200600_302600_NS6detail15normal_iteratorINS9_10device_ptrIiEEEEPS5_jNS1_19radix_merge_compareILb1ELb0EiNS0_19identity_decomposerEEEEE10hipError_tT0_T1_T2_jT3_P12ihipStream_tbPNSt15iterator_traitsISK_E10value_typeEPNSQ_ISL_E10value_typeEPSM_NS1_7vsmem_tEENKUlT_SK_SL_SM_E_clIPiSE_SF_SF_EESJ_SZ_SK_SL_SM_EUlSZ_E0_NS1_11comp_targetILNS1_3genE0ELNS1_11target_archE4294967295ELNS1_3gpuE0ELNS1_3repE0EEENS1_38merge_mergepath_config_static_selectorELNS0_4arch9wavefront6targetE0EEEvSL_.numbered_sgpr, 0
	.set _ZN7rocprim17ROCPRIM_400000_NS6detail17trampoline_kernelINS0_14default_configENS1_38merge_sort_block_merge_config_selectorIiNS0_10empty_typeEEEZZNS1_27merge_sort_block_merge_implIS3_N6thrust23THRUST_200600_302600_NS6detail15normal_iteratorINS9_10device_ptrIiEEEEPS5_jNS1_19radix_merge_compareILb1ELb0EiNS0_19identity_decomposerEEEEE10hipError_tT0_T1_T2_jT3_P12ihipStream_tbPNSt15iterator_traitsISK_E10value_typeEPNSQ_ISL_E10value_typeEPSM_NS1_7vsmem_tEENKUlT_SK_SL_SM_E_clIPiSE_SF_SF_EESJ_SZ_SK_SL_SM_EUlSZ_E0_NS1_11comp_targetILNS1_3genE0ELNS1_11target_archE4294967295ELNS1_3gpuE0ELNS1_3repE0EEENS1_38merge_mergepath_config_static_selectorELNS0_4arch9wavefront6targetE0EEEvSL_.num_named_barrier, 0
	.set _ZN7rocprim17ROCPRIM_400000_NS6detail17trampoline_kernelINS0_14default_configENS1_38merge_sort_block_merge_config_selectorIiNS0_10empty_typeEEEZZNS1_27merge_sort_block_merge_implIS3_N6thrust23THRUST_200600_302600_NS6detail15normal_iteratorINS9_10device_ptrIiEEEEPS5_jNS1_19radix_merge_compareILb1ELb0EiNS0_19identity_decomposerEEEEE10hipError_tT0_T1_T2_jT3_P12ihipStream_tbPNSt15iterator_traitsISK_E10value_typeEPNSQ_ISL_E10value_typeEPSM_NS1_7vsmem_tEENKUlT_SK_SL_SM_E_clIPiSE_SF_SF_EESJ_SZ_SK_SL_SM_EUlSZ_E0_NS1_11comp_targetILNS1_3genE0ELNS1_11target_archE4294967295ELNS1_3gpuE0ELNS1_3repE0EEENS1_38merge_mergepath_config_static_selectorELNS0_4arch9wavefront6targetE0EEEvSL_.private_seg_size, 0
	.set _ZN7rocprim17ROCPRIM_400000_NS6detail17trampoline_kernelINS0_14default_configENS1_38merge_sort_block_merge_config_selectorIiNS0_10empty_typeEEEZZNS1_27merge_sort_block_merge_implIS3_N6thrust23THRUST_200600_302600_NS6detail15normal_iteratorINS9_10device_ptrIiEEEEPS5_jNS1_19radix_merge_compareILb1ELb0EiNS0_19identity_decomposerEEEEE10hipError_tT0_T1_T2_jT3_P12ihipStream_tbPNSt15iterator_traitsISK_E10value_typeEPNSQ_ISL_E10value_typeEPSM_NS1_7vsmem_tEENKUlT_SK_SL_SM_E_clIPiSE_SF_SF_EESJ_SZ_SK_SL_SM_EUlSZ_E0_NS1_11comp_targetILNS1_3genE0ELNS1_11target_archE4294967295ELNS1_3gpuE0ELNS1_3repE0EEENS1_38merge_mergepath_config_static_selectorELNS0_4arch9wavefront6targetE0EEEvSL_.uses_vcc, 0
	.set _ZN7rocprim17ROCPRIM_400000_NS6detail17trampoline_kernelINS0_14default_configENS1_38merge_sort_block_merge_config_selectorIiNS0_10empty_typeEEEZZNS1_27merge_sort_block_merge_implIS3_N6thrust23THRUST_200600_302600_NS6detail15normal_iteratorINS9_10device_ptrIiEEEEPS5_jNS1_19radix_merge_compareILb1ELb0EiNS0_19identity_decomposerEEEEE10hipError_tT0_T1_T2_jT3_P12ihipStream_tbPNSt15iterator_traitsISK_E10value_typeEPNSQ_ISL_E10value_typeEPSM_NS1_7vsmem_tEENKUlT_SK_SL_SM_E_clIPiSE_SF_SF_EESJ_SZ_SK_SL_SM_EUlSZ_E0_NS1_11comp_targetILNS1_3genE0ELNS1_11target_archE4294967295ELNS1_3gpuE0ELNS1_3repE0EEENS1_38merge_mergepath_config_static_selectorELNS0_4arch9wavefront6targetE0EEEvSL_.uses_flat_scratch, 0
	.set _ZN7rocprim17ROCPRIM_400000_NS6detail17trampoline_kernelINS0_14default_configENS1_38merge_sort_block_merge_config_selectorIiNS0_10empty_typeEEEZZNS1_27merge_sort_block_merge_implIS3_N6thrust23THRUST_200600_302600_NS6detail15normal_iteratorINS9_10device_ptrIiEEEEPS5_jNS1_19radix_merge_compareILb1ELb0EiNS0_19identity_decomposerEEEEE10hipError_tT0_T1_T2_jT3_P12ihipStream_tbPNSt15iterator_traitsISK_E10value_typeEPNSQ_ISL_E10value_typeEPSM_NS1_7vsmem_tEENKUlT_SK_SL_SM_E_clIPiSE_SF_SF_EESJ_SZ_SK_SL_SM_EUlSZ_E0_NS1_11comp_targetILNS1_3genE0ELNS1_11target_archE4294967295ELNS1_3gpuE0ELNS1_3repE0EEENS1_38merge_mergepath_config_static_selectorELNS0_4arch9wavefront6targetE0EEEvSL_.has_dyn_sized_stack, 0
	.set _ZN7rocprim17ROCPRIM_400000_NS6detail17trampoline_kernelINS0_14default_configENS1_38merge_sort_block_merge_config_selectorIiNS0_10empty_typeEEEZZNS1_27merge_sort_block_merge_implIS3_N6thrust23THRUST_200600_302600_NS6detail15normal_iteratorINS9_10device_ptrIiEEEEPS5_jNS1_19radix_merge_compareILb1ELb0EiNS0_19identity_decomposerEEEEE10hipError_tT0_T1_T2_jT3_P12ihipStream_tbPNSt15iterator_traitsISK_E10value_typeEPNSQ_ISL_E10value_typeEPSM_NS1_7vsmem_tEENKUlT_SK_SL_SM_E_clIPiSE_SF_SF_EESJ_SZ_SK_SL_SM_EUlSZ_E0_NS1_11comp_targetILNS1_3genE0ELNS1_11target_archE4294967295ELNS1_3gpuE0ELNS1_3repE0EEENS1_38merge_mergepath_config_static_selectorELNS0_4arch9wavefront6targetE0EEEvSL_.has_recursion, 0
	.set _ZN7rocprim17ROCPRIM_400000_NS6detail17trampoline_kernelINS0_14default_configENS1_38merge_sort_block_merge_config_selectorIiNS0_10empty_typeEEEZZNS1_27merge_sort_block_merge_implIS3_N6thrust23THRUST_200600_302600_NS6detail15normal_iteratorINS9_10device_ptrIiEEEEPS5_jNS1_19radix_merge_compareILb1ELb0EiNS0_19identity_decomposerEEEEE10hipError_tT0_T1_T2_jT3_P12ihipStream_tbPNSt15iterator_traitsISK_E10value_typeEPNSQ_ISL_E10value_typeEPSM_NS1_7vsmem_tEENKUlT_SK_SL_SM_E_clIPiSE_SF_SF_EESJ_SZ_SK_SL_SM_EUlSZ_E0_NS1_11comp_targetILNS1_3genE0ELNS1_11target_archE4294967295ELNS1_3gpuE0ELNS1_3repE0EEENS1_38merge_mergepath_config_static_selectorELNS0_4arch9wavefront6targetE0EEEvSL_.has_indirect_call, 0
	.section	.AMDGPU.csdata,"",@progbits
; Kernel info:
; codeLenInByte = 0
; TotalNumSgprs: 0
; NumVgprs: 0
; ScratchSize: 0
; MemoryBound: 0
; FloatMode: 240
; IeeeMode: 1
; LDSByteSize: 0 bytes/workgroup (compile time only)
; SGPRBlocks: 0
; VGPRBlocks: 0
; NumSGPRsForWavesPerEU: 1
; NumVGPRsForWavesPerEU: 1
; Occupancy: 16
; WaveLimiterHint : 0
; COMPUTE_PGM_RSRC2:SCRATCH_EN: 0
; COMPUTE_PGM_RSRC2:USER_SGPR: 6
; COMPUTE_PGM_RSRC2:TRAP_HANDLER: 0
; COMPUTE_PGM_RSRC2:TGID_X_EN: 1
; COMPUTE_PGM_RSRC2:TGID_Y_EN: 0
; COMPUTE_PGM_RSRC2:TGID_Z_EN: 0
; COMPUTE_PGM_RSRC2:TIDIG_COMP_CNT: 0
	.section	.text._ZN7rocprim17ROCPRIM_400000_NS6detail17trampoline_kernelINS0_14default_configENS1_38merge_sort_block_merge_config_selectorIiNS0_10empty_typeEEEZZNS1_27merge_sort_block_merge_implIS3_N6thrust23THRUST_200600_302600_NS6detail15normal_iteratorINS9_10device_ptrIiEEEEPS5_jNS1_19radix_merge_compareILb1ELb0EiNS0_19identity_decomposerEEEEE10hipError_tT0_T1_T2_jT3_P12ihipStream_tbPNSt15iterator_traitsISK_E10value_typeEPNSQ_ISL_E10value_typeEPSM_NS1_7vsmem_tEENKUlT_SK_SL_SM_E_clIPiSE_SF_SF_EESJ_SZ_SK_SL_SM_EUlSZ_E0_NS1_11comp_targetILNS1_3genE10ELNS1_11target_archE1201ELNS1_3gpuE5ELNS1_3repE0EEENS1_38merge_mergepath_config_static_selectorELNS0_4arch9wavefront6targetE0EEEvSL_,"axG",@progbits,_ZN7rocprim17ROCPRIM_400000_NS6detail17trampoline_kernelINS0_14default_configENS1_38merge_sort_block_merge_config_selectorIiNS0_10empty_typeEEEZZNS1_27merge_sort_block_merge_implIS3_N6thrust23THRUST_200600_302600_NS6detail15normal_iteratorINS9_10device_ptrIiEEEEPS5_jNS1_19radix_merge_compareILb1ELb0EiNS0_19identity_decomposerEEEEE10hipError_tT0_T1_T2_jT3_P12ihipStream_tbPNSt15iterator_traitsISK_E10value_typeEPNSQ_ISL_E10value_typeEPSM_NS1_7vsmem_tEENKUlT_SK_SL_SM_E_clIPiSE_SF_SF_EESJ_SZ_SK_SL_SM_EUlSZ_E0_NS1_11comp_targetILNS1_3genE10ELNS1_11target_archE1201ELNS1_3gpuE5ELNS1_3repE0EEENS1_38merge_mergepath_config_static_selectorELNS0_4arch9wavefront6targetE0EEEvSL_,comdat
	.protected	_ZN7rocprim17ROCPRIM_400000_NS6detail17trampoline_kernelINS0_14default_configENS1_38merge_sort_block_merge_config_selectorIiNS0_10empty_typeEEEZZNS1_27merge_sort_block_merge_implIS3_N6thrust23THRUST_200600_302600_NS6detail15normal_iteratorINS9_10device_ptrIiEEEEPS5_jNS1_19radix_merge_compareILb1ELb0EiNS0_19identity_decomposerEEEEE10hipError_tT0_T1_T2_jT3_P12ihipStream_tbPNSt15iterator_traitsISK_E10value_typeEPNSQ_ISL_E10value_typeEPSM_NS1_7vsmem_tEENKUlT_SK_SL_SM_E_clIPiSE_SF_SF_EESJ_SZ_SK_SL_SM_EUlSZ_E0_NS1_11comp_targetILNS1_3genE10ELNS1_11target_archE1201ELNS1_3gpuE5ELNS1_3repE0EEENS1_38merge_mergepath_config_static_selectorELNS0_4arch9wavefront6targetE0EEEvSL_ ; -- Begin function _ZN7rocprim17ROCPRIM_400000_NS6detail17trampoline_kernelINS0_14default_configENS1_38merge_sort_block_merge_config_selectorIiNS0_10empty_typeEEEZZNS1_27merge_sort_block_merge_implIS3_N6thrust23THRUST_200600_302600_NS6detail15normal_iteratorINS9_10device_ptrIiEEEEPS5_jNS1_19radix_merge_compareILb1ELb0EiNS0_19identity_decomposerEEEEE10hipError_tT0_T1_T2_jT3_P12ihipStream_tbPNSt15iterator_traitsISK_E10value_typeEPNSQ_ISL_E10value_typeEPSM_NS1_7vsmem_tEENKUlT_SK_SL_SM_E_clIPiSE_SF_SF_EESJ_SZ_SK_SL_SM_EUlSZ_E0_NS1_11comp_targetILNS1_3genE10ELNS1_11target_archE1201ELNS1_3gpuE5ELNS1_3repE0EEENS1_38merge_mergepath_config_static_selectorELNS0_4arch9wavefront6targetE0EEEvSL_
	.globl	_ZN7rocprim17ROCPRIM_400000_NS6detail17trampoline_kernelINS0_14default_configENS1_38merge_sort_block_merge_config_selectorIiNS0_10empty_typeEEEZZNS1_27merge_sort_block_merge_implIS3_N6thrust23THRUST_200600_302600_NS6detail15normal_iteratorINS9_10device_ptrIiEEEEPS5_jNS1_19radix_merge_compareILb1ELb0EiNS0_19identity_decomposerEEEEE10hipError_tT0_T1_T2_jT3_P12ihipStream_tbPNSt15iterator_traitsISK_E10value_typeEPNSQ_ISL_E10value_typeEPSM_NS1_7vsmem_tEENKUlT_SK_SL_SM_E_clIPiSE_SF_SF_EESJ_SZ_SK_SL_SM_EUlSZ_E0_NS1_11comp_targetILNS1_3genE10ELNS1_11target_archE1201ELNS1_3gpuE5ELNS1_3repE0EEENS1_38merge_mergepath_config_static_selectorELNS0_4arch9wavefront6targetE0EEEvSL_
	.p2align	8
	.type	_ZN7rocprim17ROCPRIM_400000_NS6detail17trampoline_kernelINS0_14default_configENS1_38merge_sort_block_merge_config_selectorIiNS0_10empty_typeEEEZZNS1_27merge_sort_block_merge_implIS3_N6thrust23THRUST_200600_302600_NS6detail15normal_iteratorINS9_10device_ptrIiEEEEPS5_jNS1_19radix_merge_compareILb1ELb0EiNS0_19identity_decomposerEEEEE10hipError_tT0_T1_T2_jT3_P12ihipStream_tbPNSt15iterator_traitsISK_E10value_typeEPNSQ_ISL_E10value_typeEPSM_NS1_7vsmem_tEENKUlT_SK_SL_SM_E_clIPiSE_SF_SF_EESJ_SZ_SK_SL_SM_EUlSZ_E0_NS1_11comp_targetILNS1_3genE10ELNS1_11target_archE1201ELNS1_3gpuE5ELNS1_3repE0EEENS1_38merge_mergepath_config_static_selectorELNS0_4arch9wavefront6targetE0EEEvSL_,@function
_ZN7rocprim17ROCPRIM_400000_NS6detail17trampoline_kernelINS0_14default_configENS1_38merge_sort_block_merge_config_selectorIiNS0_10empty_typeEEEZZNS1_27merge_sort_block_merge_implIS3_N6thrust23THRUST_200600_302600_NS6detail15normal_iteratorINS9_10device_ptrIiEEEEPS5_jNS1_19radix_merge_compareILb1ELb0EiNS0_19identity_decomposerEEEEE10hipError_tT0_T1_T2_jT3_P12ihipStream_tbPNSt15iterator_traitsISK_E10value_typeEPNSQ_ISL_E10value_typeEPSM_NS1_7vsmem_tEENKUlT_SK_SL_SM_E_clIPiSE_SF_SF_EESJ_SZ_SK_SL_SM_EUlSZ_E0_NS1_11comp_targetILNS1_3genE10ELNS1_11target_archE1201ELNS1_3gpuE5ELNS1_3repE0EEENS1_38merge_mergepath_config_static_selectorELNS0_4arch9wavefront6targetE0EEEvSL_: ; @_ZN7rocprim17ROCPRIM_400000_NS6detail17trampoline_kernelINS0_14default_configENS1_38merge_sort_block_merge_config_selectorIiNS0_10empty_typeEEEZZNS1_27merge_sort_block_merge_implIS3_N6thrust23THRUST_200600_302600_NS6detail15normal_iteratorINS9_10device_ptrIiEEEEPS5_jNS1_19radix_merge_compareILb1ELb0EiNS0_19identity_decomposerEEEEE10hipError_tT0_T1_T2_jT3_P12ihipStream_tbPNSt15iterator_traitsISK_E10value_typeEPNSQ_ISL_E10value_typeEPSM_NS1_7vsmem_tEENKUlT_SK_SL_SM_E_clIPiSE_SF_SF_EESJ_SZ_SK_SL_SM_EUlSZ_E0_NS1_11comp_targetILNS1_3genE10ELNS1_11target_archE1201ELNS1_3gpuE5ELNS1_3repE0EEENS1_38merge_mergepath_config_static_selectorELNS0_4arch9wavefront6targetE0EEEvSL_
; %bb.0:
	.section	.rodata,"a",@progbits
	.p2align	6, 0x0
	.amdhsa_kernel _ZN7rocprim17ROCPRIM_400000_NS6detail17trampoline_kernelINS0_14default_configENS1_38merge_sort_block_merge_config_selectorIiNS0_10empty_typeEEEZZNS1_27merge_sort_block_merge_implIS3_N6thrust23THRUST_200600_302600_NS6detail15normal_iteratorINS9_10device_ptrIiEEEEPS5_jNS1_19radix_merge_compareILb1ELb0EiNS0_19identity_decomposerEEEEE10hipError_tT0_T1_T2_jT3_P12ihipStream_tbPNSt15iterator_traitsISK_E10value_typeEPNSQ_ISL_E10value_typeEPSM_NS1_7vsmem_tEENKUlT_SK_SL_SM_E_clIPiSE_SF_SF_EESJ_SZ_SK_SL_SM_EUlSZ_E0_NS1_11comp_targetILNS1_3genE10ELNS1_11target_archE1201ELNS1_3gpuE5ELNS1_3repE0EEENS1_38merge_mergepath_config_static_selectorELNS0_4arch9wavefront6targetE0EEEvSL_
		.amdhsa_group_segment_fixed_size 0
		.amdhsa_private_segment_fixed_size 0
		.amdhsa_kernarg_size 64
		.amdhsa_user_sgpr_count 6
		.amdhsa_user_sgpr_private_segment_buffer 1
		.amdhsa_user_sgpr_dispatch_ptr 0
		.amdhsa_user_sgpr_queue_ptr 0
		.amdhsa_user_sgpr_kernarg_segment_ptr 1
		.amdhsa_user_sgpr_dispatch_id 0
		.amdhsa_user_sgpr_flat_scratch_init 0
		.amdhsa_user_sgpr_private_segment_size 0
		.amdhsa_wavefront_size32 1
		.amdhsa_uses_dynamic_stack 0
		.amdhsa_system_sgpr_private_segment_wavefront_offset 0
		.amdhsa_system_sgpr_workgroup_id_x 1
		.amdhsa_system_sgpr_workgroup_id_y 0
		.amdhsa_system_sgpr_workgroup_id_z 0
		.amdhsa_system_sgpr_workgroup_info 0
		.amdhsa_system_vgpr_workitem_id 0
		.amdhsa_next_free_vgpr 1
		.amdhsa_next_free_sgpr 1
		.amdhsa_reserve_vcc 0
		.amdhsa_reserve_flat_scratch 0
		.amdhsa_float_round_mode_32 0
		.amdhsa_float_round_mode_16_64 0
		.amdhsa_float_denorm_mode_32 3
		.amdhsa_float_denorm_mode_16_64 3
		.amdhsa_dx10_clamp 1
		.amdhsa_ieee_mode 1
		.amdhsa_fp16_overflow 0
		.amdhsa_workgroup_processor_mode 1
		.amdhsa_memory_ordered 1
		.amdhsa_forward_progress 1
		.amdhsa_shared_vgpr_count 0
		.amdhsa_exception_fp_ieee_invalid_op 0
		.amdhsa_exception_fp_denorm_src 0
		.amdhsa_exception_fp_ieee_div_zero 0
		.amdhsa_exception_fp_ieee_overflow 0
		.amdhsa_exception_fp_ieee_underflow 0
		.amdhsa_exception_fp_ieee_inexact 0
		.amdhsa_exception_int_div_zero 0
	.end_amdhsa_kernel
	.section	.text._ZN7rocprim17ROCPRIM_400000_NS6detail17trampoline_kernelINS0_14default_configENS1_38merge_sort_block_merge_config_selectorIiNS0_10empty_typeEEEZZNS1_27merge_sort_block_merge_implIS3_N6thrust23THRUST_200600_302600_NS6detail15normal_iteratorINS9_10device_ptrIiEEEEPS5_jNS1_19radix_merge_compareILb1ELb0EiNS0_19identity_decomposerEEEEE10hipError_tT0_T1_T2_jT3_P12ihipStream_tbPNSt15iterator_traitsISK_E10value_typeEPNSQ_ISL_E10value_typeEPSM_NS1_7vsmem_tEENKUlT_SK_SL_SM_E_clIPiSE_SF_SF_EESJ_SZ_SK_SL_SM_EUlSZ_E0_NS1_11comp_targetILNS1_3genE10ELNS1_11target_archE1201ELNS1_3gpuE5ELNS1_3repE0EEENS1_38merge_mergepath_config_static_selectorELNS0_4arch9wavefront6targetE0EEEvSL_,"axG",@progbits,_ZN7rocprim17ROCPRIM_400000_NS6detail17trampoline_kernelINS0_14default_configENS1_38merge_sort_block_merge_config_selectorIiNS0_10empty_typeEEEZZNS1_27merge_sort_block_merge_implIS3_N6thrust23THRUST_200600_302600_NS6detail15normal_iteratorINS9_10device_ptrIiEEEEPS5_jNS1_19radix_merge_compareILb1ELb0EiNS0_19identity_decomposerEEEEE10hipError_tT0_T1_T2_jT3_P12ihipStream_tbPNSt15iterator_traitsISK_E10value_typeEPNSQ_ISL_E10value_typeEPSM_NS1_7vsmem_tEENKUlT_SK_SL_SM_E_clIPiSE_SF_SF_EESJ_SZ_SK_SL_SM_EUlSZ_E0_NS1_11comp_targetILNS1_3genE10ELNS1_11target_archE1201ELNS1_3gpuE5ELNS1_3repE0EEENS1_38merge_mergepath_config_static_selectorELNS0_4arch9wavefront6targetE0EEEvSL_,comdat
.Lfunc_end231:
	.size	_ZN7rocprim17ROCPRIM_400000_NS6detail17trampoline_kernelINS0_14default_configENS1_38merge_sort_block_merge_config_selectorIiNS0_10empty_typeEEEZZNS1_27merge_sort_block_merge_implIS3_N6thrust23THRUST_200600_302600_NS6detail15normal_iteratorINS9_10device_ptrIiEEEEPS5_jNS1_19radix_merge_compareILb1ELb0EiNS0_19identity_decomposerEEEEE10hipError_tT0_T1_T2_jT3_P12ihipStream_tbPNSt15iterator_traitsISK_E10value_typeEPNSQ_ISL_E10value_typeEPSM_NS1_7vsmem_tEENKUlT_SK_SL_SM_E_clIPiSE_SF_SF_EESJ_SZ_SK_SL_SM_EUlSZ_E0_NS1_11comp_targetILNS1_3genE10ELNS1_11target_archE1201ELNS1_3gpuE5ELNS1_3repE0EEENS1_38merge_mergepath_config_static_selectorELNS0_4arch9wavefront6targetE0EEEvSL_, .Lfunc_end231-_ZN7rocprim17ROCPRIM_400000_NS6detail17trampoline_kernelINS0_14default_configENS1_38merge_sort_block_merge_config_selectorIiNS0_10empty_typeEEEZZNS1_27merge_sort_block_merge_implIS3_N6thrust23THRUST_200600_302600_NS6detail15normal_iteratorINS9_10device_ptrIiEEEEPS5_jNS1_19radix_merge_compareILb1ELb0EiNS0_19identity_decomposerEEEEE10hipError_tT0_T1_T2_jT3_P12ihipStream_tbPNSt15iterator_traitsISK_E10value_typeEPNSQ_ISL_E10value_typeEPSM_NS1_7vsmem_tEENKUlT_SK_SL_SM_E_clIPiSE_SF_SF_EESJ_SZ_SK_SL_SM_EUlSZ_E0_NS1_11comp_targetILNS1_3genE10ELNS1_11target_archE1201ELNS1_3gpuE5ELNS1_3repE0EEENS1_38merge_mergepath_config_static_selectorELNS0_4arch9wavefront6targetE0EEEvSL_
                                        ; -- End function
	.set _ZN7rocprim17ROCPRIM_400000_NS6detail17trampoline_kernelINS0_14default_configENS1_38merge_sort_block_merge_config_selectorIiNS0_10empty_typeEEEZZNS1_27merge_sort_block_merge_implIS3_N6thrust23THRUST_200600_302600_NS6detail15normal_iteratorINS9_10device_ptrIiEEEEPS5_jNS1_19radix_merge_compareILb1ELb0EiNS0_19identity_decomposerEEEEE10hipError_tT0_T1_T2_jT3_P12ihipStream_tbPNSt15iterator_traitsISK_E10value_typeEPNSQ_ISL_E10value_typeEPSM_NS1_7vsmem_tEENKUlT_SK_SL_SM_E_clIPiSE_SF_SF_EESJ_SZ_SK_SL_SM_EUlSZ_E0_NS1_11comp_targetILNS1_3genE10ELNS1_11target_archE1201ELNS1_3gpuE5ELNS1_3repE0EEENS1_38merge_mergepath_config_static_selectorELNS0_4arch9wavefront6targetE0EEEvSL_.num_vgpr, 0
	.set _ZN7rocprim17ROCPRIM_400000_NS6detail17trampoline_kernelINS0_14default_configENS1_38merge_sort_block_merge_config_selectorIiNS0_10empty_typeEEEZZNS1_27merge_sort_block_merge_implIS3_N6thrust23THRUST_200600_302600_NS6detail15normal_iteratorINS9_10device_ptrIiEEEEPS5_jNS1_19radix_merge_compareILb1ELb0EiNS0_19identity_decomposerEEEEE10hipError_tT0_T1_T2_jT3_P12ihipStream_tbPNSt15iterator_traitsISK_E10value_typeEPNSQ_ISL_E10value_typeEPSM_NS1_7vsmem_tEENKUlT_SK_SL_SM_E_clIPiSE_SF_SF_EESJ_SZ_SK_SL_SM_EUlSZ_E0_NS1_11comp_targetILNS1_3genE10ELNS1_11target_archE1201ELNS1_3gpuE5ELNS1_3repE0EEENS1_38merge_mergepath_config_static_selectorELNS0_4arch9wavefront6targetE0EEEvSL_.num_agpr, 0
	.set _ZN7rocprim17ROCPRIM_400000_NS6detail17trampoline_kernelINS0_14default_configENS1_38merge_sort_block_merge_config_selectorIiNS0_10empty_typeEEEZZNS1_27merge_sort_block_merge_implIS3_N6thrust23THRUST_200600_302600_NS6detail15normal_iteratorINS9_10device_ptrIiEEEEPS5_jNS1_19radix_merge_compareILb1ELb0EiNS0_19identity_decomposerEEEEE10hipError_tT0_T1_T2_jT3_P12ihipStream_tbPNSt15iterator_traitsISK_E10value_typeEPNSQ_ISL_E10value_typeEPSM_NS1_7vsmem_tEENKUlT_SK_SL_SM_E_clIPiSE_SF_SF_EESJ_SZ_SK_SL_SM_EUlSZ_E0_NS1_11comp_targetILNS1_3genE10ELNS1_11target_archE1201ELNS1_3gpuE5ELNS1_3repE0EEENS1_38merge_mergepath_config_static_selectorELNS0_4arch9wavefront6targetE0EEEvSL_.numbered_sgpr, 0
	.set _ZN7rocprim17ROCPRIM_400000_NS6detail17trampoline_kernelINS0_14default_configENS1_38merge_sort_block_merge_config_selectorIiNS0_10empty_typeEEEZZNS1_27merge_sort_block_merge_implIS3_N6thrust23THRUST_200600_302600_NS6detail15normal_iteratorINS9_10device_ptrIiEEEEPS5_jNS1_19radix_merge_compareILb1ELb0EiNS0_19identity_decomposerEEEEE10hipError_tT0_T1_T2_jT3_P12ihipStream_tbPNSt15iterator_traitsISK_E10value_typeEPNSQ_ISL_E10value_typeEPSM_NS1_7vsmem_tEENKUlT_SK_SL_SM_E_clIPiSE_SF_SF_EESJ_SZ_SK_SL_SM_EUlSZ_E0_NS1_11comp_targetILNS1_3genE10ELNS1_11target_archE1201ELNS1_3gpuE5ELNS1_3repE0EEENS1_38merge_mergepath_config_static_selectorELNS0_4arch9wavefront6targetE0EEEvSL_.num_named_barrier, 0
	.set _ZN7rocprim17ROCPRIM_400000_NS6detail17trampoline_kernelINS0_14default_configENS1_38merge_sort_block_merge_config_selectorIiNS0_10empty_typeEEEZZNS1_27merge_sort_block_merge_implIS3_N6thrust23THRUST_200600_302600_NS6detail15normal_iteratorINS9_10device_ptrIiEEEEPS5_jNS1_19radix_merge_compareILb1ELb0EiNS0_19identity_decomposerEEEEE10hipError_tT0_T1_T2_jT3_P12ihipStream_tbPNSt15iterator_traitsISK_E10value_typeEPNSQ_ISL_E10value_typeEPSM_NS1_7vsmem_tEENKUlT_SK_SL_SM_E_clIPiSE_SF_SF_EESJ_SZ_SK_SL_SM_EUlSZ_E0_NS1_11comp_targetILNS1_3genE10ELNS1_11target_archE1201ELNS1_3gpuE5ELNS1_3repE0EEENS1_38merge_mergepath_config_static_selectorELNS0_4arch9wavefront6targetE0EEEvSL_.private_seg_size, 0
	.set _ZN7rocprim17ROCPRIM_400000_NS6detail17trampoline_kernelINS0_14default_configENS1_38merge_sort_block_merge_config_selectorIiNS0_10empty_typeEEEZZNS1_27merge_sort_block_merge_implIS3_N6thrust23THRUST_200600_302600_NS6detail15normal_iteratorINS9_10device_ptrIiEEEEPS5_jNS1_19radix_merge_compareILb1ELb0EiNS0_19identity_decomposerEEEEE10hipError_tT0_T1_T2_jT3_P12ihipStream_tbPNSt15iterator_traitsISK_E10value_typeEPNSQ_ISL_E10value_typeEPSM_NS1_7vsmem_tEENKUlT_SK_SL_SM_E_clIPiSE_SF_SF_EESJ_SZ_SK_SL_SM_EUlSZ_E0_NS1_11comp_targetILNS1_3genE10ELNS1_11target_archE1201ELNS1_3gpuE5ELNS1_3repE0EEENS1_38merge_mergepath_config_static_selectorELNS0_4arch9wavefront6targetE0EEEvSL_.uses_vcc, 0
	.set _ZN7rocprim17ROCPRIM_400000_NS6detail17trampoline_kernelINS0_14default_configENS1_38merge_sort_block_merge_config_selectorIiNS0_10empty_typeEEEZZNS1_27merge_sort_block_merge_implIS3_N6thrust23THRUST_200600_302600_NS6detail15normal_iteratorINS9_10device_ptrIiEEEEPS5_jNS1_19radix_merge_compareILb1ELb0EiNS0_19identity_decomposerEEEEE10hipError_tT0_T1_T2_jT3_P12ihipStream_tbPNSt15iterator_traitsISK_E10value_typeEPNSQ_ISL_E10value_typeEPSM_NS1_7vsmem_tEENKUlT_SK_SL_SM_E_clIPiSE_SF_SF_EESJ_SZ_SK_SL_SM_EUlSZ_E0_NS1_11comp_targetILNS1_3genE10ELNS1_11target_archE1201ELNS1_3gpuE5ELNS1_3repE0EEENS1_38merge_mergepath_config_static_selectorELNS0_4arch9wavefront6targetE0EEEvSL_.uses_flat_scratch, 0
	.set _ZN7rocprim17ROCPRIM_400000_NS6detail17trampoline_kernelINS0_14default_configENS1_38merge_sort_block_merge_config_selectorIiNS0_10empty_typeEEEZZNS1_27merge_sort_block_merge_implIS3_N6thrust23THRUST_200600_302600_NS6detail15normal_iteratorINS9_10device_ptrIiEEEEPS5_jNS1_19radix_merge_compareILb1ELb0EiNS0_19identity_decomposerEEEEE10hipError_tT0_T1_T2_jT3_P12ihipStream_tbPNSt15iterator_traitsISK_E10value_typeEPNSQ_ISL_E10value_typeEPSM_NS1_7vsmem_tEENKUlT_SK_SL_SM_E_clIPiSE_SF_SF_EESJ_SZ_SK_SL_SM_EUlSZ_E0_NS1_11comp_targetILNS1_3genE10ELNS1_11target_archE1201ELNS1_3gpuE5ELNS1_3repE0EEENS1_38merge_mergepath_config_static_selectorELNS0_4arch9wavefront6targetE0EEEvSL_.has_dyn_sized_stack, 0
	.set _ZN7rocprim17ROCPRIM_400000_NS6detail17trampoline_kernelINS0_14default_configENS1_38merge_sort_block_merge_config_selectorIiNS0_10empty_typeEEEZZNS1_27merge_sort_block_merge_implIS3_N6thrust23THRUST_200600_302600_NS6detail15normal_iteratorINS9_10device_ptrIiEEEEPS5_jNS1_19radix_merge_compareILb1ELb0EiNS0_19identity_decomposerEEEEE10hipError_tT0_T1_T2_jT3_P12ihipStream_tbPNSt15iterator_traitsISK_E10value_typeEPNSQ_ISL_E10value_typeEPSM_NS1_7vsmem_tEENKUlT_SK_SL_SM_E_clIPiSE_SF_SF_EESJ_SZ_SK_SL_SM_EUlSZ_E0_NS1_11comp_targetILNS1_3genE10ELNS1_11target_archE1201ELNS1_3gpuE5ELNS1_3repE0EEENS1_38merge_mergepath_config_static_selectorELNS0_4arch9wavefront6targetE0EEEvSL_.has_recursion, 0
	.set _ZN7rocprim17ROCPRIM_400000_NS6detail17trampoline_kernelINS0_14default_configENS1_38merge_sort_block_merge_config_selectorIiNS0_10empty_typeEEEZZNS1_27merge_sort_block_merge_implIS3_N6thrust23THRUST_200600_302600_NS6detail15normal_iteratorINS9_10device_ptrIiEEEEPS5_jNS1_19radix_merge_compareILb1ELb0EiNS0_19identity_decomposerEEEEE10hipError_tT0_T1_T2_jT3_P12ihipStream_tbPNSt15iterator_traitsISK_E10value_typeEPNSQ_ISL_E10value_typeEPSM_NS1_7vsmem_tEENKUlT_SK_SL_SM_E_clIPiSE_SF_SF_EESJ_SZ_SK_SL_SM_EUlSZ_E0_NS1_11comp_targetILNS1_3genE10ELNS1_11target_archE1201ELNS1_3gpuE5ELNS1_3repE0EEENS1_38merge_mergepath_config_static_selectorELNS0_4arch9wavefront6targetE0EEEvSL_.has_indirect_call, 0
	.section	.AMDGPU.csdata,"",@progbits
; Kernel info:
; codeLenInByte = 0
; TotalNumSgprs: 0
; NumVgprs: 0
; ScratchSize: 0
; MemoryBound: 0
; FloatMode: 240
; IeeeMode: 1
; LDSByteSize: 0 bytes/workgroup (compile time only)
; SGPRBlocks: 0
; VGPRBlocks: 0
; NumSGPRsForWavesPerEU: 1
; NumVGPRsForWavesPerEU: 1
; Occupancy: 16
; WaveLimiterHint : 0
; COMPUTE_PGM_RSRC2:SCRATCH_EN: 0
; COMPUTE_PGM_RSRC2:USER_SGPR: 6
; COMPUTE_PGM_RSRC2:TRAP_HANDLER: 0
; COMPUTE_PGM_RSRC2:TGID_X_EN: 1
; COMPUTE_PGM_RSRC2:TGID_Y_EN: 0
; COMPUTE_PGM_RSRC2:TGID_Z_EN: 0
; COMPUTE_PGM_RSRC2:TIDIG_COMP_CNT: 0
	.section	.text._ZN7rocprim17ROCPRIM_400000_NS6detail17trampoline_kernelINS0_14default_configENS1_38merge_sort_block_merge_config_selectorIiNS0_10empty_typeEEEZZNS1_27merge_sort_block_merge_implIS3_N6thrust23THRUST_200600_302600_NS6detail15normal_iteratorINS9_10device_ptrIiEEEEPS5_jNS1_19radix_merge_compareILb1ELb0EiNS0_19identity_decomposerEEEEE10hipError_tT0_T1_T2_jT3_P12ihipStream_tbPNSt15iterator_traitsISK_E10value_typeEPNSQ_ISL_E10value_typeEPSM_NS1_7vsmem_tEENKUlT_SK_SL_SM_E_clIPiSE_SF_SF_EESJ_SZ_SK_SL_SM_EUlSZ_E0_NS1_11comp_targetILNS1_3genE5ELNS1_11target_archE942ELNS1_3gpuE9ELNS1_3repE0EEENS1_38merge_mergepath_config_static_selectorELNS0_4arch9wavefront6targetE0EEEvSL_,"axG",@progbits,_ZN7rocprim17ROCPRIM_400000_NS6detail17trampoline_kernelINS0_14default_configENS1_38merge_sort_block_merge_config_selectorIiNS0_10empty_typeEEEZZNS1_27merge_sort_block_merge_implIS3_N6thrust23THRUST_200600_302600_NS6detail15normal_iteratorINS9_10device_ptrIiEEEEPS5_jNS1_19radix_merge_compareILb1ELb0EiNS0_19identity_decomposerEEEEE10hipError_tT0_T1_T2_jT3_P12ihipStream_tbPNSt15iterator_traitsISK_E10value_typeEPNSQ_ISL_E10value_typeEPSM_NS1_7vsmem_tEENKUlT_SK_SL_SM_E_clIPiSE_SF_SF_EESJ_SZ_SK_SL_SM_EUlSZ_E0_NS1_11comp_targetILNS1_3genE5ELNS1_11target_archE942ELNS1_3gpuE9ELNS1_3repE0EEENS1_38merge_mergepath_config_static_selectorELNS0_4arch9wavefront6targetE0EEEvSL_,comdat
	.protected	_ZN7rocprim17ROCPRIM_400000_NS6detail17trampoline_kernelINS0_14default_configENS1_38merge_sort_block_merge_config_selectorIiNS0_10empty_typeEEEZZNS1_27merge_sort_block_merge_implIS3_N6thrust23THRUST_200600_302600_NS6detail15normal_iteratorINS9_10device_ptrIiEEEEPS5_jNS1_19radix_merge_compareILb1ELb0EiNS0_19identity_decomposerEEEEE10hipError_tT0_T1_T2_jT3_P12ihipStream_tbPNSt15iterator_traitsISK_E10value_typeEPNSQ_ISL_E10value_typeEPSM_NS1_7vsmem_tEENKUlT_SK_SL_SM_E_clIPiSE_SF_SF_EESJ_SZ_SK_SL_SM_EUlSZ_E0_NS1_11comp_targetILNS1_3genE5ELNS1_11target_archE942ELNS1_3gpuE9ELNS1_3repE0EEENS1_38merge_mergepath_config_static_selectorELNS0_4arch9wavefront6targetE0EEEvSL_ ; -- Begin function _ZN7rocprim17ROCPRIM_400000_NS6detail17trampoline_kernelINS0_14default_configENS1_38merge_sort_block_merge_config_selectorIiNS0_10empty_typeEEEZZNS1_27merge_sort_block_merge_implIS3_N6thrust23THRUST_200600_302600_NS6detail15normal_iteratorINS9_10device_ptrIiEEEEPS5_jNS1_19radix_merge_compareILb1ELb0EiNS0_19identity_decomposerEEEEE10hipError_tT0_T1_T2_jT3_P12ihipStream_tbPNSt15iterator_traitsISK_E10value_typeEPNSQ_ISL_E10value_typeEPSM_NS1_7vsmem_tEENKUlT_SK_SL_SM_E_clIPiSE_SF_SF_EESJ_SZ_SK_SL_SM_EUlSZ_E0_NS1_11comp_targetILNS1_3genE5ELNS1_11target_archE942ELNS1_3gpuE9ELNS1_3repE0EEENS1_38merge_mergepath_config_static_selectorELNS0_4arch9wavefront6targetE0EEEvSL_
	.globl	_ZN7rocprim17ROCPRIM_400000_NS6detail17trampoline_kernelINS0_14default_configENS1_38merge_sort_block_merge_config_selectorIiNS0_10empty_typeEEEZZNS1_27merge_sort_block_merge_implIS3_N6thrust23THRUST_200600_302600_NS6detail15normal_iteratorINS9_10device_ptrIiEEEEPS5_jNS1_19radix_merge_compareILb1ELb0EiNS0_19identity_decomposerEEEEE10hipError_tT0_T1_T2_jT3_P12ihipStream_tbPNSt15iterator_traitsISK_E10value_typeEPNSQ_ISL_E10value_typeEPSM_NS1_7vsmem_tEENKUlT_SK_SL_SM_E_clIPiSE_SF_SF_EESJ_SZ_SK_SL_SM_EUlSZ_E0_NS1_11comp_targetILNS1_3genE5ELNS1_11target_archE942ELNS1_3gpuE9ELNS1_3repE0EEENS1_38merge_mergepath_config_static_selectorELNS0_4arch9wavefront6targetE0EEEvSL_
	.p2align	8
	.type	_ZN7rocprim17ROCPRIM_400000_NS6detail17trampoline_kernelINS0_14default_configENS1_38merge_sort_block_merge_config_selectorIiNS0_10empty_typeEEEZZNS1_27merge_sort_block_merge_implIS3_N6thrust23THRUST_200600_302600_NS6detail15normal_iteratorINS9_10device_ptrIiEEEEPS5_jNS1_19radix_merge_compareILb1ELb0EiNS0_19identity_decomposerEEEEE10hipError_tT0_T1_T2_jT3_P12ihipStream_tbPNSt15iterator_traitsISK_E10value_typeEPNSQ_ISL_E10value_typeEPSM_NS1_7vsmem_tEENKUlT_SK_SL_SM_E_clIPiSE_SF_SF_EESJ_SZ_SK_SL_SM_EUlSZ_E0_NS1_11comp_targetILNS1_3genE5ELNS1_11target_archE942ELNS1_3gpuE9ELNS1_3repE0EEENS1_38merge_mergepath_config_static_selectorELNS0_4arch9wavefront6targetE0EEEvSL_,@function
_ZN7rocprim17ROCPRIM_400000_NS6detail17trampoline_kernelINS0_14default_configENS1_38merge_sort_block_merge_config_selectorIiNS0_10empty_typeEEEZZNS1_27merge_sort_block_merge_implIS3_N6thrust23THRUST_200600_302600_NS6detail15normal_iteratorINS9_10device_ptrIiEEEEPS5_jNS1_19radix_merge_compareILb1ELb0EiNS0_19identity_decomposerEEEEE10hipError_tT0_T1_T2_jT3_P12ihipStream_tbPNSt15iterator_traitsISK_E10value_typeEPNSQ_ISL_E10value_typeEPSM_NS1_7vsmem_tEENKUlT_SK_SL_SM_E_clIPiSE_SF_SF_EESJ_SZ_SK_SL_SM_EUlSZ_E0_NS1_11comp_targetILNS1_3genE5ELNS1_11target_archE942ELNS1_3gpuE9ELNS1_3repE0EEENS1_38merge_mergepath_config_static_selectorELNS0_4arch9wavefront6targetE0EEEvSL_: ; @_ZN7rocprim17ROCPRIM_400000_NS6detail17trampoline_kernelINS0_14default_configENS1_38merge_sort_block_merge_config_selectorIiNS0_10empty_typeEEEZZNS1_27merge_sort_block_merge_implIS3_N6thrust23THRUST_200600_302600_NS6detail15normal_iteratorINS9_10device_ptrIiEEEEPS5_jNS1_19radix_merge_compareILb1ELb0EiNS0_19identity_decomposerEEEEE10hipError_tT0_T1_T2_jT3_P12ihipStream_tbPNSt15iterator_traitsISK_E10value_typeEPNSQ_ISL_E10value_typeEPSM_NS1_7vsmem_tEENKUlT_SK_SL_SM_E_clIPiSE_SF_SF_EESJ_SZ_SK_SL_SM_EUlSZ_E0_NS1_11comp_targetILNS1_3genE5ELNS1_11target_archE942ELNS1_3gpuE9ELNS1_3repE0EEENS1_38merge_mergepath_config_static_selectorELNS0_4arch9wavefront6targetE0EEEvSL_
; %bb.0:
	.section	.rodata,"a",@progbits
	.p2align	6, 0x0
	.amdhsa_kernel _ZN7rocprim17ROCPRIM_400000_NS6detail17trampoline_kernelINS0_14default_configENS1_38merge_sort_block_merge_config_selectorIiNS0_10empty_typeEEEZZNS1_27merge_sort_block_merge_implIS3_N6thrust23THRUST_200600_302600_NS6detail15normal_iteratorINS9_10device_ptrIiEEEEPS5_jNS1_19radix_merge_compareILb1ELb0EiNS0_19identity_decomposerEEEEE10hipError_tT0_T1_T2_jT3_P12ihipStream_tbPNSt15iterator_traitsISK_E10value_typeEPNSQ_ISL_E10value_typeEPSM_NS1_7vsmem_tEENKUlT_SK_SL_SM_E_clIPiSE_SF_SF_EESJ_SZ_SK_SL_SM_EUlSZ_E0_NS1_11comp_targetILNS1_3genE5ELNS1_11target_archE942ELNS1_3gpuE9ELNS1_3repE0EEENS1_38merge_mergepath_config_static_selectorELNS0_4arch9wavefront6targetE0EEEvSL_
		.amdhsa_group_segment_fixed_size 0
		.amdhsa_private_segment_fixed_size 0
		.amdhsa_kernarg_size 64
		.amdhsa_user_sgpr_count 6
		.amdhsa_user_sgpr_private_segment_buffer 1
		.amdhsa_user_sgpr_dispatch_ptr 0
		.amdhsa_user_sgpr_queue_ptr 0
		.amdhsa_user_sgpr_kernarg_segment_ptr 1
		.amdhsa_user_sgpr_dispatch_id 0
		.amdhsa_user_sgpr_flat_scratch_init 0
		.amdhsa_user_sgpr_private_segment_size 0
		.amdhsa_wavefront_size32 1
		.amdhsa_uses_dynamic_stack 0
		.amdhsa_system_sgpr_private_segment_wavefront_offset 0
		.amdhsa_system_sgpr_workgroup_id_x 1
		.amdhsa_system_sgpr_workgroup_id_y 0
		.amdhsa_system_sgpr_workgroup_id_z 0
		.amdhsa_system_sgpr_workgroup_info 0
		.amdhsa_system_vgpr_workitem_id 0
		.amdhsa_next_free_vgpr 1
		.amdhsa_next_free_sgpr 1
		.amdhsa_reserve_vcc 0
		.amdhsa_reserve_flat_scratch 0
		.amdhsa_float_round_mode_32 0
		.amdhsa_float_round_mode_16_64 0
		.amdhsa_float_denorm_mode_32 3
		.amdhsa_float_denorm_mode_16_64 3
		.amdhsa_dx10_clamp 1
		.amdhsa_ieee_mode 1
		.amdhsa_fp16_overflow 0
		.amdhsa_workgroup_processor_mode 1
		.amdhsa_memory_ordered 1
		.amdhsa_forward_progress 1
		.amdhsa_shared_vgpr_count 0
		.amdhsa_exception_fp_ieee_invalid_op 0
		.amdhsa_exception_fp_denorm_src 0
		.amdhsa_exception_fp_ieee_div_zero 0
		.amdhsa_exception_fp_ieee_overflow 0
		.amdhsa_exception_fp_ieee_underflow 0
		.amdhsa_exception_fp_ieee_inexact 0
		.amdhsa_exception_int_div_zero 0
	.end_amdhsa_kernel
	.section	.text._ZN7rocprim17ROCPRIM_400000_NS6detail17trampoline_kernelINS0_14default_configENS1_38merge_sort_block_merge_config_selectorIiNS0_10empty_typeEEEZZNS1_27merge_sort_block_merge_implIS3_N6thrust23THRUST_200600_302600_NS6detail15normal_iteratorINS9_10device_ptrIiEEEEPS5_jNS1_19radix_merge_compareILb1ELb0EiNS0_19identity_decomposerEEEEE10hipError_tT0_T1_T2_jT3_P12ihipStream_tbPNSt15iterator_traitsISK_E10value_typeEPNSQ_ISL_E10value_typeEPSM_NS1_7vsmem_tEENKUlT_SK_SL_SM_E_clIPiSE_SF_SF_EESJ_SZ_SK_SL_SM_EUlSZ_E0_NS1_11comp_targetILNS1_3genE5ELNS1_11target_archE942ELNS1_3gpuE9ELNS1_3repE0EEENS1_38merge_mergepath_config_static_selectorELNS0_4arch9wavefront6targetE0EEEvSL_,"axG",@progbits,_ZN7rocprim17ROCPRIM_400000_NS6detail17trampoline_kernelINS0_14default_configENS1_38merge_sort_block_merge_config_selectorIiNS0_10empty_typeEEEZZNS1_27merge_sort_block_merge_implIS3_N6thrust23THRUST_200600_302600_NS6detail15normal_iteratorINS9_10device_ptrIiEEEEPS5_jNS1_19radix_merge_compareILb1ELb0EiNS0_19identity_decomposerEEEEE10hipError_tT0_T1_T2_jT3_P12ihipStream_tbPNSt15iterator_traitsISK_E10value_typeEPNSQ_ISL_E10value_typeEPSM_NS1_7vsmem_tEENKUlT_SK_SL_SM_E_clIPiSE_SF_SF_EESJ_SZ_SK_SL_SM_EUlSZ_E0_NS1_11comp_targetILNS1_3genE5ELNS1_11target_archE942ELNS1_3gpuE9ELNS1_3repE0EEENS1_38merge_mergepath_config_static_selectorELNS0_4arch9wavefront6targetE0EEEvSL_,comdat
.Lfunc_end232:
	.size	_ZN7rocprim17ROCPRIM_400000_NS6detail17trampoline_kernelINS0_14default_configENS1_38merge_sort_block_merge_config_selectorIiNS0_10empty_typeEEEZZNS1_27merge_sort_block_merge_implIS3_N6thrust23THRUST_200600_302600_NS6detail15normal_iteratorINS9_10device_ptrIiEEEEPS5_jNS1_19radix_merge_compareILb1ELb0EiNS0_19identity_decomposerEEEEE10hipError_tT0_T1_T2_jT3_P12ihipStream_tbPNSt15iterator_traitsISK_E10value_typeEPNSQ_ISL_E10value_typeEPSM_NS1_7vsmem_tEENKUlT_SK_SL_SM_E_clIPiSE_SF_SF_EESJ_SZ_SK_SL_SM_EUlSZ_E0_NS1_11comp_targetILNS1_3genE5ELNS1_11target_archE942ELNS1_3gpuE9ELNS1_3repE0EEENS1_38merge_mergepath_config_static_selectorELNS0_4arch9wavefront6targetE0EEEvSL_, .Lfunc_end232-_ZN7rocprim17ROCPRIM_400000_NS6detail17trampoline_kernelINS0_14default_configENS1_38merge_sort_block_merge_config_selectorIiNS0_10empty_typeEEEZZNS1_27merge_sort_block_merge_implIS3_N6thrust23THRUST_200600_302600_NS6detail15normal_iteratorINS9_10device_ptrIiEEEEPS5_jNS1_19radix_merge_compareILb1ELb0EiNS0_19identity_decomposerEEEEE10hipError_tT0_T1_T2_jT3_P12ihipStream_tbPNSt15iterator_traitsISK_E10value_typeEPNSQ_ISL_E10value_typeEPSM_NS1_7vsmem_tEENKUlT_SK_SL_SM_E_clIPiSE_SF_SF_EESJ_SZ_SK_SL_SM_EUlSZ_E0_NS1_11comp_targetILNS1_3genE5ELNS1_11target_archE942ELNS1_3gpuE9ELNS1_3repE0EEENS1_38merge_mergepath_config_static_selectorELNS0_4arch9wavefront6targetE0EEEvSL_
                                        ; -- End function
	.set _ZN7rocprim17ROCPRIM_400000_NS6detail17trampoline_kernelINS0_14default_configENS1_38merge_sort_block_merge_config_selectorIiNS0_10empty_typeEEEZZNS1_27merge_sort_block_merge_implIS3_N6thrust23THRUST_200600_302600_NS6detail15normal_iteratorINS9_10device_ptrIiEEEEPS5_jNS1_19radix_merge_compareILb1ELb0EiNS0_19identity_decomposerEEEEE10hipError_tT0_T1_T2_jT3_P12ihipStream_tbPNSt15iterator_traitsISK_E10value_typeEPNSQ_ISL_E10value_typeEPSM_NS1_7vsmem_tEENKUlT_SK_SL_SM_E_clIPiSE_SF_SF_EESJ_SZ_SK_SL_SM_EUlSZ_E0_NS1_11comp_targetILNS1_3genE5ELNS1_11target_archE942ELNS1_3gpuE9ELNS1_3repE0EEENS1_38merge_mergepath_config_static_selectorELNS0_4arch9wavefront6targetE0EEEvSL_.num_vgpr, 0
	.set _ZN7rocprim17ROCPRIM_400000_NS6detail17trampoline_kernelINS0_14default_configENS1_38merge_sort_block_merge_config_selectorIiNS0_10empty_typeEEEZZNS1_27merge_sort_block_merge_implIS3_N6thrust23THRUST_200600_302600_NS6detail15normal_iteratorINS9_10device_ptrIiEEEEPS5_jNS1_19radix_merge_compareILb1ELb0EiNS0_19identity_decomposerEEEEE10hipError_tT0_T1_T2_jT3_P12ihipStream_tbPNSt15iterator_traitsISK_E10value_typeEPNSQ_ISL_E10value_typeEPSM_NS1_7vsmem_tEENKUlT_SK_SL_SM_E_clIPiSE_SF_SF_EESJ_SZ_SK_SL_SM_EUlSZ_E0_NS1_11comp_targetILNS1_3genE5ELNS1_11target_archE942ELNS1_3gpuE9ELNS1_3repE0EEENS1_38merge_mergepath_config_static_selectorELNS0_4arch9wavefront6targetE0EEEvSL_.num_agpr, 0
	.set _ZN7rocprim17ROCPRIM_400000_NS6detail17trampoline_kernelINS0_14default_configENS1_38merge_sort_block_merge_config_selectorIiNS0_10empty_typeEEEZZNS1_27merge_sort_block_merge_implIS3_N6thrust23THRUST_200600_302600_NS6detail15normal_iteratorINS9_10device_ptrIiEEEEPS5_jNS1_19radix_merge_compareILb1ELb0EiNS0_19identity_decomposerEEEEE10hipError_tT0_T1_T2_jT3_P12ihipStream_tbPNSt15iterator_traitsISK_E10value_typeEPNSQ_ISL_E10value_typeEPSM_NS1_7vsmem_tEENKUlT_SK_SL_SM_E_clIPiSE_SF_SF_EESJ_SZ_SK_SL_SM_EUlSZ_E0_NS1_11comp_targetILNS1_3genE5ELNS1_11target_archE942ELNS1_3gpuE9ELNS1_3repE0EEENS1_38merge_mergepath_config_static_selectorELNS0_4arch9wavefront6targetE0EEEvSL_.numbered_sgpr, 0
	.set _ZN7rocprim17ROCPRIM_400000_NS6detail17trampoline_kernelINS0_14default_configENS1_38merge_sort_block_merge_config_selectorIiNS0_10empty_typeEEEZZNS1_27merge_sort_block_merge_implIS3_N6thrust23THRUST_200600_302600_NS6detail15normal_iteratorINS9_10device_ptrIiEEEEPS5_jNS1_19radix_merge_compareILb1ELb0EiNS0_19identity_decomposerEEEEE10hipError_tT0_T1_T2_jT3_P12ihipStream_tbPNSt15iterator_traitsISK_E10value_typeEPNSQ_ISL_E10value_typeEPSM_NS1_7vsmem_tEENKUlT_SK_SL_SM_E_clIPiSE_SF_SF_EESJ_SZ_SK_SL_SM_EUlSZ_E0_NS1_11comp_targetILNS1_3genE5ELNS1_11target_archE942ELNS1_3gpuE9ELNS1_3repE0EEENS1_38merge_mergepath_config_static_selectorELNS0_4arch9wavefront6targetE0EEEvSL_.num_named_barrier, 0
	.set _ZN7rocprim17ROCPRIM_400000_NS6detail17trampoline_kernelINS0_14default_configENS1_38merge_sort_block_merge_config_selectorIiNS0_10empty_typeEEEZZNS1_27merge_sort_block_merge_implIS3_N6thrust23THRUST_200600_302600_NS6detail15normal_iteratorINS9_10device_ptrIiEEEEPS5_jNS1_19radix_merge_compareILb1ELb0EiNS0_19identity_decomposerEEEEE10hipError_tT0_T1_T2_jT3_P12ihipStream_tbPNSt15iterator_traitsISK_E10value_typeEPNSQ_ISL_E10value_typeEPSM_NS1_7vsmem_tEENKUlT_SK_SL_SM_E_clIPiSE_SF_SF_EESJ_SZ_SK_SL_SM_EUlSZ_E0_NS1_11comp_targetILNS1_3genE5ELNS1_11target_archE942ELNS1_3gpuE9ELNS1_3repE0EEENS1_38merge_mergepath_config_static_selectorELNS0_4arch9wavefront6targetE0EEEvSL_.private_seg_size, 0
	.set _ZN7rocprim17ROCPRIM_400000_NS6detail17trampoline_kernelINS0_14default_configENS1_38merge_sort_block_merge_config_selectorIiNS0_10empty_typeEEEZZNS1_27merge_sort_block_merge_implIS3_N6thrust23THRUST_200600_302600_NS6detail15normal_iteratorINS9_10device_ptrIiEEEEPS5_jNS1_19radix_merge_compareILb1ELb0EiNS0_19identity_decomposerEEEEE10hipError_tT0_T1_T2_jT3_P12ihipStream_tbPNSt15iterator_traitsISK_E10value_typeEPNSQ_ISL_E10value_typeEPSM_NS1_7vsmem_tEENKUlT_SK_SL_SM_E_clIPiSE_SF_SF_EESJ_SZ_SK_SL_SM_EUlSZ_E0_NS1_11comp_targetILNS1_3genE5ELNS1_11target_archE942ELNS1_3gpuE9ELNS1_3repE0EEENS1_38merge_mergepath_config_static_selectorELNS0_4arch9wavefront6targetE0EEEvSL_.uses_vcc, 0
	.set _ZN7rocprim17ROCPRIM_400000_NS6detail17trampoline_kernelINS0_14default_configENS1_38merge_sort_block_merge_config_selectorIiNS0_10empty_typeEEEZZNS1_27merge_sort_block_merge_implIS3_N6thrust23THRUST_200600_302600_NS6detail15normal_iteratorINS9_10device_ptrIiEEEEPS5_jNS1_19radix_merge_compareILb1ELb0EiNS0_19identity_decomposerEEEEE10hipError_tT0_T1_T2_jT3_P12ihipStream_tbPNSt15iterator_traitsISK_E10value_typeEPNSQ_ISL_E10value_typeEPSM_NS1_7vsmem_tEENKUlT_SK_SL_SM_E_clIPiSE_SF_SF_EESJ_SZ_SK_SL_SM_EUlSZ_E0_NS1_11comp_targetILNS1_3genE5ELNS1_11target_archE942ELNS1_3gpuE9ELNS1_3repE0EEENS1_38merge_mergepath_config_static_selectorELNS0_4arch9wavefront6targetE0EEEvSL_.uses_flat_scratch, 0
	.set _ZN7rocprim17ROCPRIM_400000_NS6detail17trampoline_kernelINS0_14default_configENS1_38merge_sort_block_merge_config_selectorIiNS0_10empty_typeEEEZZNS1_27merge_sort_block_merge_implIS3_N6thrust23THRUST_200600_302600_NS6detail15normal_iteratorINS9_10device_ptrIiEEEEPS5_jNS1_19radix_merge_compareILb1ELb0EiNS0_19identity_decomposerEEEEE10hipError_tT0_T1_T2_jT3_P12ihipStream_tbPNSt15iterator_traitsISK_E10value_typeEPNSQ_ISL_E10value_typeEPSM_NS1_7vsmem_tEENKUlT_SK_SL_SM_E_clIPiSE_SF_SF_EESJ_SZ_SK_SL_SM_EUlSZ_E0_NS1_11comp_targetILNS1_3genE5ELNS1_11target_archE942ELNS1_3gpuE9ELNS1_3repE0EEENS1_38merge_mergepath_config_static_selectorELNS0_4arch9wavefront6targetE0EEEvSL_.has_dyn_sized_stack, 0
	.set _ZN7rocprim17ROCPRIM_400000_NS6detail17trampoline_kernelINS0_14default_configENS1_38merge_sort_block_merge_config_selectorIiNS0_10empty_typeEEEZZNS1_27merge_sort_block_merge_implIS3_N6thrust23THRUST_200600_302600_NS6detail15normal_iteratorINS9_10device_ptrIiEEEEPS5_jNS1_19radix_merge_compareILb1ELb0EiNS0_19identity_decomposerEEEEE10hipError_tT0_T1_T2_jT3_P12ihipStream_tbPNSt15iterator_traitsISK_E10value_typeEPNSQ_ISL_E10value_typeEPSM_NS1_7vsmem_tEENKUlT_SK_SL_SM_E_clIPiSE_SF_SF_EESJ_SZ_SK_SL_SM_EUlSZ_E0_NS1_11comp_targetILNS1_3genE5ELNS1_11target_archE942ELNS1_3gpuE9ELNS1_3repE0EEENS1_38merge_mergepath_config_static_selectorELNS0_4arch9wavefront6targetE0EEEvSL_.has_recursion, 0
	.set _ZN7rocprim17ROCPRIM_400000_NS6detail17trampoline_kernelINS0_14default_configENS1_38merge_sort_block_merge_config_selectorIiNS0_10empty_typeEEEZZNS1_27merge_sort_block_merge_implIS3_N6thrust23THRUST_200600_302600_NS6detail15normal_iteratorINS9_10device_ptrIiEEEEPS5_jNS1_19radix_merge_compareILb1ELb0EiNS0_19identity_decomposerEEEEE10hipError_tT0_T1_T2_jT3_P12ihipStream_tbPNSt15iterator_traitsISK_E10value_typeEPNSQ_ISL_E10value_typeEPSM_NS1_7vsmem_tEENKUlT_SK_SL_SM_E_clIPiSE_SF_SF_EESJ_SZ_SK_SL_SM_EUlSZ_E0_NS1_11comp_targetILNS1_3genE5ELNS1_11target_archE942ELNS1_3gpuE9ELNS1_3repE0EEENS1_38merge_mergepath_config_static_selectorELNS0_4arch9wavefront6targetE0EEEvSL_.has_indirect_call, 0
	.section	.AMDGPU.csdata,"",@progbits
; Kernel info:
; codeLenInByte = 0
; TotalNumSgprs: 0
; NumVgprs: 0
; ScratchSize: 0
; MemoryBound: 0
; FloatMode: 240
; IeeeMode: 1
; LDSByteSize: 0 bytes/workgroup (compile time only)
; SGPRBlocks: 0
; VGPRBlocks: 0
; NumSGPRsForWavesPerEU: 1
; NumVGPRsForWavesPerEU: 1
; Occupancy: 16
; WaveLimiterHint : 0
; COMPUTE_PGM_RSRC2:SCRATCH_EN: 0
; COMPUTE_PGM_RSRC2:USER_SGPR: 6
; COMPUTE_PGM_RSRC2:TRAP_HANDLER: 0
; COMPUTE_PGM_RSRC2:TGID_X_EN: 1
; COMPUTE_PGM_RSRC2:TGID_Y_EN: 0
; COMPUTE_PGM_RSRC2:TGID_Z_EN: 0
; COMPUTE_PGM_RSRC2:TIDIG_COMP_CNT: 0
	.section	.text._ZN7rocprim17ROCPRIM_400000_NS6detail17trampoline_kernelINS0_14default_configENS1_38merge_sort_block_merge_config_selectorIiNS0_10empty_typeEEEZZNS1_27merge_sort_block_merge_implIS3_N6thrust23THRUST_200600_302600_NS6detail15normal_iteratorINS9_10device_ptrIiEEEEPS5_jNS1_19radix_merge_compareILb1ELb0EiNS0_19identity_decomposerEEEEE10hipError_tT0_T1_T2_jT3_P12ihipStream_tbPNSt15iterator_traitsISK_E10value_typeEPNSQ_ISL_E10value_typeEPSM_NS1_7vsmem_tEENKUlT_SK_SL_SM_E_clIPiSE_SF_SF_EESJ_SZ_SK_SL_SM_EUlSZ_E0_NS1_11comp_targetILNS1_3genE4ELNS1_11target_archE910ELNS1_3gpuE8ELNS1_3repE0EEENS1_38merge_mergepath_config_static_selectorELNS0_4arch9wavefront6targetE0EEEvSL_,"axG",@progbits,_ZN7rocprim17ROCPRIM_400000_NS6detail17trampoline_kernelINS0_14default_configENS1_38merge_sort_block_merge_config_selectorIiNS0_10empty_typeEEEZZNS1_27merge_sort_block_merge_implIS3_N6thrust23THRUST_200600_302600_NS6detail15normal_iteratorINS9_10device_ptrIiEEEEPS5_jNS1_19radix_merge_compareILb1ELb0EiNS0_19identity_decomposerEEEEE10hipError_tT0_T1_T2_jT3_P12ihipStream_tbPNSt15iterator_traitsISK_E10value_typeEPNSQ_ISL_E10value_typeEPSM_NS1_7vsmem_tEENKUlT_SK_SL_SM_E_clIPiSE_SF_SF_EESJ_SZ_SK_SL_SM_EUlSZ_E0_NS1_11comp_targetILNS1_3genE4ELNS1_11target_archE910ELNS1_3gpuE8ELNS1_3repE0EEENS1_38merge_mergepath_config_static_selectorELNS0_4arch9wavefront6targetE0EEEvSL_,comdat
	.protected	_ZN7rocprim17ROCPRIM_400000_NS6detail17trampoline_kernelINS0_14default_configENS1_38merge_sort_block_merge_config_selectorIiNS0_10empty_typeEEEZZNS1_27merge_sort_block_merge_implIS3_N6thrust23THRUST_200600_302600_NS6detail15normal_iteratorINS9_10device_ptrIiEEEEPS5_jNS1_19radix_merge_compareILb1ELb0EiNS0_19identity_decomposerEEEEE10hipError_tT0_T1_T2_jT3_P12ihipStream_tbPNSt15iterator_traitsISK_E10value_typeEPNSQ_ISL_E10value_typeEPSM_NS1_7vsmem_tEENKUlT_SK_SL_SM_E_clIPiSE_SF_SF_EESJ_SZ_SK_SL_SM_EUlSZ_E0_NS1_11comp_targetILNS1_3genE4ELNS1_11target_archE910ELNS1_3gpuE8ELNS1_3repE0EEENS1_38merge_mergepath_config_static_selectorELNS0_4arch9wavefront6targetE0EEEvSL_ ; -- Begin function _ZN7rocprim17ROCPRIM_400000_NS6detail17trampoline_kernelINS0_14default_configENS1_38merge_sort_block_merge_config_selectorIiNS0_10empty_typeEEEZZNS1_27merge_sort_block_merge_implIS3_N6thrust23THRUST_200600_302600_NS6detail15normal_iteratorINS9_10device_ptrIiEEEEPS5_jNS1_19radix_merge_compareILb1ELb0EiNS0_19identity_decomposerEEEEE10hipError_tT0_T1_T2_jT3_P12ihipStream_tbPNSt15iterator_traitsISK_E10value_typeEPNSQ_ISL_E10value_typeEPSM_NS1_7vsmem_tEENKUlT_SK_SL_SM_E_clIPiSE_SF_SF_EESJ_SZ_SK_SL_SM_EUlSZ_E0_NS1_11comp_targetILNS1_3genE4ELNS1_11target_archE910ELNS1_3gpuE8ELNS1_3repE0EEENS1_38merge_mergepath_config_static_selectorELNS0_4arch9wavefront6targetE0EEEvSL_
	.globl	_ZN7rocprim17ROCPRIM_400000_NS6detail17trampoline_kernelINS0_14default_configENS1_38merge_sort_block_merge_config_selectorIiNS0_10empty_typeEEEZZNS1_27merge_sort_block_merge_implIS3_N6thrust23THRUST_200600_302600_NS6detail15normal_iteratorINS9_10device_ptrIiEEEEPS5_jNS1_19radix_merge_compareILb1ELb0EiNS0_19identity_decomposerEEEEE10hipError_tT0_T1_T2_jT3_P12ihipStream_tbPNSt15iterator_traitsISK_E10value_typeEPNSQ_ISL_E10value_typeEPSM_NS1_7vsmem_tEENKUlT_SK_SL_SM_E_clIPiSE_SF_SF_EESJ_SZ_SK_SL_SM_EUlSZ_E0_NS1_11comp_targetILNS1_3genE4ELNS1_11target_archE910ELNS1_3gpuE8ELNS1_3repE0EEENS1_38merge_mergepath_config_static_selectorELNS0_4arch9wavefront6targetE0EEEvSL_
	.p2align	8
	.type	_ZN7rocprim17ROCPRIM_400000_NS6detail17trampoline_kernelINS0_14default_configENS1_38merge_sort_block_merge_config_selectorIiNS0_10empty_typeEEEZZNS1_27merge_sort_block_merge_implIS3_N6thrust23THRUST_200600_302600_NS6detail15normal_iteratorINS9_10device_ptrIiEEEEPS5_jNS1_19radix_merge_compareILb1ELb0EiNS0_19identity_decomposerEEEEE10hipError_tT0_T1_T2_jT3_P12ihipStream_tbPNSt15iterator_traitsISK_E10value_typeEPNSQ_ISL_E10value_typeEPSM_NS1_7vsmem_tEENKUlT_SK_SL_SM_E_clIPiSE_SF_SF_EESJ_SZ_SK_SL_SM_EUlSZ_E0_NS1_11comp_targetILNS1_3genE4ELNS1_11target_archE910ELNS1_3gpuE8ELNS1_3repE0EEENS1_38merge_mergepath_config_static_selectorELNS0_4arch9wavefront6targetE0EEEvSL_,@function
_ZN7rocprim17ROCPRIM_400000_NS6detail17trampoline_kernelINS0_14default_configENS1_38merge_sort_block_merge_config_selectorIiNS0_10empty_typeEEEZZNS1_27merge_sort_block_merge_implIS3_N6thrust23THRUST_200600_302600_NS6detail15normal_iteratorINS9_10device_ptrIiEEEEPS5_jNS1_19radix_merge_compareILb1ELb0EiNS0_19identity_decomposerEEEEE10hipError_tT0_T1_T2_jT3_P12ihipStream_tbPNSt15iterator_traitsISK_E10value_typeEPNSQ_ISL_E10value_typeEPSM_NS1_7vsmem_tEENKUlT_SK_SL_SM_E_clIPiSE_SF_SF_EESJ_SZ_SK_SL_SM_EUlSZ_E0_NS1_11comp_targetILNS1_3genE4ELNS1_11target_archE910ELNS1_3gpuE8ELNS1_3repE0EEENS1_38merge_mergepath_config_static_selectorELNS0_4arch9wavefront6targetE0EEEvSL_: ; @_ZN7rocprim17ROCPRIM_400000_NS6detail17trampoline_kernelINS0_14default_configENS1_38merge_sort_block_merge_config_selectorIiNS0_10empty_typeEEEZZNS1_27merge_sort_block_merge_implIS3_N6thrust23THRUST_200600_302600_NS6detail15normal_iteratorINS9_10device_ptrIiEEEEPS5_jNS1_19radix_merge_compareILb1ELb0EiNS0_19identity_decomposerEEEEE10hipError_tT0_T1_T2_jT3_P12ihipStream_tbPNSt15iterator_traitsISK_E10value_typeEPNSQ_ISL_E10value_typeEPSM_NS1_7vsmem_tEENKUlT_SK_SL_SM_E_clIPiSE_SF_SF_EESJ_SZ_SK_SL_SM_EUlSZ_E0_NS1_11comp_targetILNS1_3genE4ELNS1_11target_archE910ELNS1_3gpuE8ELNS1_3repE0EEENS1_38merge_mergepath_config_static_selectorELNS0_4arch9wavefront6targetE0EEEvSL_
; %bb.0:
	.section	.rodata,"a",@progbits
	.p2align	6, 0x0
	.amdhsa_kernel _ZN7rocprim17ROCPRIM_400000_NS6detail17trampoline_kernelINS0_14default_configENS1_38merge_sort_block_merge_config_selectorIiNS0_10empty_typeEEEZZNS1_27merge_sort_block_merge_implIS3_N6thrust23THRUST_200600_302600_NS6detail15normal_iteratorINS9_10device_ptrIiEEEEPS5_jNS1_19radix_merge_compareILb1ELb0EiNS0_19identity_decomposerEEEEE10hipError_tT0_T1_T2_jT3_P12ihipStream_tbPNSt15iterator_traitsISK_E10value_typeEPNSQ_ISL_E10value_typeEPSM_NS1_7vsmem_tEENKUlT_SK_SL_SM_E_clIPiSE_SF_SF_EESJ_SZ_SK_SL_SM_EUlSZ_E0_NS1_11comp_targetILNS1_3genE4ELNS1_11target_archE910ELNS1_3gpuE8ELNS1_3repE0EEENS1_38merge_mergepath_config_static_selectorELNS0_4arch9wavefront6targetE0EEEvSL_
		.amdhsa_group_segment_fixed_size 0
		.amdhsa_private_segment_fixed_size 0
		.amdhsa_kernarg_size 64
		.amdhsa_user_sgpr_count 6
		.amdhsa_user_sgpr_private_segment_buffer 1
		.amdhsa_user_sgpr_dispatch_ptr 0
		.amdhsa_user_sgpr_queue_ptr 0
		.amdhsa_user_sgpr_kernarg_segment_ptr 1
		.amdhsa_user_sgpr_dispatch_id 0
		.amdhsa_user_sgpr_flat_scratch_init 0
		.amdhsa_user_sgpr_private_segment_size 0
		.amdhsa_wavefront_size32 1
		.amdhsa_uses_dynamic_stack 0
		.amdhsa_system_sgpr_private_segment_wavefront_offset 0
		.amdhsa_system_sgpr_workgroup_id_x 1
		.amdhsa_system_sgpr_workgroup_id_y 0
		.amdhsa_system_sgpr_workgroup_id_z 0
		.amdhsa_system_sgpr_workgroup_info 0
		.amdhsa_system_vgpr_workitem_id 0
		.amdhsa_next_free_vgpr 1
		.amdhsa_next_free_sgpr 1
		.amdhsa_reserve_vcc 0
		.amdhsa_reserve_flat_scratch 0
		.amdhsa_float_round_mode_32 0
		.amdhsa_float_round_mode_16_64 0
		.amdhsa_float_denorm_mode_32 3
		.amdhsa_float_denorm_mode_16_64 3
		.amdhsa_dx10_clamp 1
		.amdhsa_ieee_mode 1
		.amdhsa_fp16_overflow 0
		.amdhsa_workgroup_processor_mode 1
		.amdhsa_memory_ordered 1
		.amdhsa_forward_progress 1
		.amdhsa_shared_vgpr_count 0
		.amdhsa_exception_fp_ieee_invalid_op 0
		.amdhsa_exception_fp_denorm_src 0
		.amdhsa_exception_fp_ieee_div_zero 0
		.amdhsa_exception_fp_ieee_overflow 0
		.amdhsa_exception_fp_ieee_underflow 0
		.amdhsa_exception_fp_ieee_inexact 0
		.amdhsa_exception_int_div_zero 0
	.end_amdhsa_kernel
	.section	.text._ZN7rocprim17ROCPRIM_400000_NS6detail17trampoline_kernelINS0_14default_configENS1_38merge_sort_block_merge_config_selectorIiNS0_10empty_typeEEEZZNS1_27merge_sort_block_merge_implIS3_N6thrust23THRUST_200600_302600_NS6detail15normal_iteratorINS9_10device_ptrIiEEEEPS5_jNS1_19radix_merge_compareILb1ELb0EiNS0_19identity_decomposerEEEEE10hipError_tT0_T1_T2_jT3_P12ihipStream_tbPNSt15iterator_traitsISK_E10value_typeEPNSQ_ISL_E10value_typeEPSM_NS1_7vsmem_tEENKUlT_SK_SL_SM_E_clIPiSE_SF_SF_EESJ_SZ_SK_SL_SM_EUlSZ_E0_NS1_11comp_targetILNS1_3genE4ELNS1_11target_archE910ELNS1_3gpuE8ELNS1_3repE0EEENS1_38merge_mergepath_config_static_selectorELNS0_4arch9wavefront6targetE0EEEvSL_,"axG",@progbits,_ZN7rocprim17ROCPRIM_400000_NS6detail17trampoline_kernelINS0_14default_configENS1_38merge_sort_block_merge_config_selectorIiNS0_10empty_typeEEEZZNS1_27merge_sort_block_merge_implIS3_N6thrust23THRUST_200600_302600_NS6detail15normal_iteratorINS9_10device_ptrIiEEEEPS5_jNS1_19radix_merge_compareILb1ELb0EiNS0_19identity_decomposerEEEEE10hipError_tT0_T1_T2_jT3_P12ihipStream_tbPNSt15iterator_traitsISK_E10value_typeEPNSQ_ISL_E10value_typeEPSM_NS1_7vsmem_tEENKUlT_SK_SL_SM_E_clIPiSE_SF_SF_EESJ_SZ_SK_SL_SM_EUlSZ_E0_NS1_11comp_targetILNS1_3genE4ELNS1_11target_archE910ELNS1_3gpuE8ELNS1_3repE0EEENS1_38merge_mergepath_config_static_selectorELNS0_4arch9wavefront6targetE0EEEvSL_,comdat
.Lfunc_end233:
	.size	_ZN7rocprim17ROCPRIM_400000_NS6detail17trampoline_kernelINS0_14default_configENS1_38merge_sort_block_merge_config_selectorIiNS0_10empty_typeEEEZZNS1_27merge_sort_block_merge_implIS3_N6thrust23THRUST_200600_302600_NS6detail15normal_iteratorINS9_10device_ptrIiEEEEPS5_jNS1_19radix_merge_compareILb1ELb0EiNS0_19identity_decomposerEEEEE10hipError_tT0_T1_T2_jT3_P12ihipStream_tbPNSt15iterator_traitsISK_E10value_typeEPNSQ_ISL_E10value_typeEPSM_NS1_7vsmem_tEENKUlT_SK_SL_SM_E_clIPiSE_SF_SF_EESJ_SZ_SK_SL_SM_EUlSZ_E0_NS1_11comp_targetILNS1_3genE4ELNS1_11target_archE910ELNS1_3gpuE8ELNS1_3repE0EEENS1_38merge_mergepath_config_static_selectorELNS0_4arch9wavefront6targetE0EEEvSL_, .Lfunc_end233-_ZN7rocprim17ROCPRIM_400000_NS6detail17trampoline_kernelINS0_14default_configENS1_38merge_sort_block_merge_config_selectorIiNS0_10empty_typeEEEZZNS1_27merge_sort_block_merge_implIS3_N6thrust23THRUST_200600_302600_NS6detail15normal_iteratorINS9_10device_ptrIiEEEEPS5_jNS1_19radix_merge_compareILb1ELb0EiNS0_19identity_decomposerEEEEE10hipError_tT0_T1_T2_jT3_P12ihipStream_tbPNSt15iterator_traitsISK_E10value_typeEPNSQ_ISL_E10value_typeEPSM_NS1_7vsmem_tEENKUlT_SK_SL_SM_E_clIPiSE_SF_SF_EESJ_SZ_SK_SL_SM_EUlSZ_E0_NS1_11comp_targetILNS1_3genE4ELNS1_11target_archE910ELNS1_3gpuE8ELNS1_3repE0EEENS1_38merge_mergepath_config_static_selectorELNS0_4arch9wavefront6targetE0EEEvSL_
                                        ; -- End function
	.set _ZN7rocprim17ROCPRIM_400000_NS6detail17trampoline_kernelINS0_14default_configENS1_38merge_sort_block_merge_config_selectorIiNS0_10empty_typeEEEZZNS1_27merge_sort_block_merge_implIS3_N6thrust23THRUST_200600_302600_NS6detail15normal_iteratorINS9_10device_ptrIiEEEEPS5_jNS1_19radix_merge_compareILb1ELb0EiNS0_19identity_decomposerEEEEE10hipError_tT0_T1_T2_jT3_P12ihipStream_tbPNSt15iterator_traitsISK_E10value_typeEPNSQ_ISL_E10value_typeEPSM_NS1_7vsmem_tEENKUlT_SK_SL_SM_E_clIPiSE_SF_SF_EESJ_SZ_SK_SL_SM_EUlSZ_E0_NS1_11comp_targetILNS1_3genE4ELNS1_11target_archE910ELNS1_3gpuE8ELNS1_3repE0EEENS1_38merge_mergepath_config_static_selectorELNS0_4arch9wavefront6targetE0EEEvSL_.num_vgpr, 0
	.set _ZN7rocprim17ROCPRIM_400000_NS6detail17trampoline_kernelINS0_14default_configENS1_38merge_sort_block_merge_config_selectorIiNS0_10empty_typeEEEZZNS1_27merge_sort_block_merge_implIS3_N6thrust23THRUST_200600_302600_NS6detail15normal_iteratorINS9_10device_ptrIiEEEEPS5_jNS1_19radix_merge_compareILb1ELb0EiNS0_19identity_decomposerEEEEE10hipError_tT0_T1_T2_jT3_P12ihipStream_tbPNSt15iterator_traitsISK_E10value_typeEPNSQ_ISL_E10value_typeEPSM_NS1_7vsmem_tEENKUlT_SK_SL_SM_E_clIPiSE_SF_SF_EESJ_SZ_SK_SL_SM_EUlSZ_E0_NS1_11comp_targetILNS1_3genE4ELNS1_11target_archE910ELNS1_3gpuE8ELNS1_3repE0EEENS1_38merge_mergepath_config_static_selectorELNS0_4arch9wavefront6targetE0EEEvSL_.num_agpr, 0
	.set _ZN7rocprim17ROCPRIM_400000_NS6detail17trampoline_kernelINS0_14default_configENS1_38merge_sort_block_merge_config_selectorIiNS0_10empty_typeEEEZZNS1_27merge_sort_block_merge_implIS3_N6thrust23THRUST_200600_302600_NS6detail15normal_iteratorINS9_10device_ptrIiEEEEPS5_jNS1_19radix_merge_compareILb1ELb0EiNS0_19identity_decomposerEEEEE10hipError_tT0_T1_T2_jT3_P12ihipStream_tbPNSt15iterator_traitsISK_E10value_typeEPNSQ_ISL_E10value_typeEPSM_NS1_7vsmem_tEENKUlT_SK_SL_SM_E_clIPiSE_SF_SF_EESJ_SZ_SK_SL_SM_EUlSZ_E0_NS1_11comp_targetILNS1_3genE4ELNS1_11target_archE910ELNS1_3gpuE8ELNS1_3repE0EEENS1_38merge_mergepath_config_static_selectorELNS0_4arch9wavefront6targetE0EEEvSL_.numbered_sgpr, 0
	.set _ZN7rocprim17ROCPRIM_400000_NS6detail17trampoline_kernelINS0_14default_configENS1_38merge_sort_block_merge_config_selectorIiNS0_10empty_typeEEEZZNS1_27merge_sort_block_merge_implIS3_N6thrust23THRUST_200600_302600_NS6detail15normal_iteratorINS9_10device_ptrIiEEEEPS5_jNS1_19radix_merge_compareILb1ELb0EiNS0_19identity_decomposerEEEEE10hipError_tT0_T1_T2_jT3_P12ihipStream_tbPNSt15iterator_traitsISK_E10value_typeEPNSQ_ISL_E10value_typeEPSM_NS1_7vsmem_tEENKUlT_SK_SL_SM_E_clIPiSE_SF_SF_EESJ_SZ_SK_SL_SM_EUlSZ_E0_NS1_11comp_targetILNS1_3genE4ELNS1_11target_archE910ELNS1_3gpuE8ELNS1_3repE0EEENS1_38merge_mergepath_config_static_selectorELNS0_4arch9wavefront6targetE0EEEvSL_.num_named_barrier, 0
	.set _ZN7rocprim17ROCPRIM_400000_NS6detail17trampoline_kernelINS0_14default_configENS1_38merge_sort_block_merge_config_selectorIiNS0_10empty_typeEEEZZNS1_27merge_sort_block_merge_implIS3_N6thrust23THRUST_200600_302600_NS6detail15normal_iteratorINS9_10device_ptrIiEEEEPS5_jNS1_19radix_merge_compareILb1ELb0EiNS0_19identity_decomposerEEEEE10hipError_tT0_T1_T2_jT3_P12ihipStream_tbPNSt15iterator_traitsISK_E10value_typeEPNSQ_ISL_E10value_typeEPSM_NS1_7vsmem_tEENKUlT_SK_SL_SM_E_clIPiSE_SF_SF_EESJ_SZ_SK_SL_SM_EUlSZ_E0_NS1_11comp_targetILNS1_3genE4ELNS1_11target_archE910ELNS1_3gpuE8ELNS1_3repE0EEENS1_38merge_mergepath_config_static_selectorELNS0_4arch9wavefront6targetE0EEEvSL_.private_seg_size, 0
	.set _ZN7rocprim17ROCPRIM_400000_NS6detail17trampoline_kernelINS0_14default_configENS1_38merge_sort_block_merge_config_selectorIiNS0_10empty_typeEEEZZNS1_27merge_sort_block_merge_implIS3_N6thrust23THRUST_200600_302600_NS6detail15normal_iteratorINS9_10device_ptrIiEEEEPS5_jNS1_19radix_merge_compareILb1ELb0EiNS0_19identity_decomposerEEEEE10hipError_tT0_T1_T2_jT3_P12ihipStream_tbPNSt15iterator_traitsISK_E10value_typeEPNSQ_ISL_E10value_typeEPSM_NS1_7vsmem_tEENKUlT_SK_SL_SM_E_clIPiSE_SF_SF_EESJ_SZ_SK_SL_SM_EUlSZ_E0_NS1_11comp_targetILNS1_3genE4ELNS1_11target_archE910ELNS1_3gpuE8ELNS1_3repE0EEENS1_38merge_mergepath_config_static_selectorELNS0_4arch9wavefront6targetE0EEEvSL_.uses_vcc, 0
	.set _ZN7rocprim17ROCPRIM_400000_NS6detail17trampoline_kernelINS0_14default_configENS1_38merge_sort_block_merge_config_selectorIiNS0_10empty_typeEEEZZNS1_27merge_sort_block_merge_implIS3_N6thrust23THRUST_200600_302600_NS6detail15normal_iteratorINS9_10device_ptrIiEEEEPS5_jNS1_19radix_merge_compareILb1ELb0EiNS0_19identity_decomposerEEEEE10hipError_tT0_T1_T2_jT3_P12ihipStream_tbPNSt15iterator_traitsISK_E10value_typeEPNSQ_ISL_E10value_typeEPSM_NS1_7vsmem_tEENKUlT_SK_SL_SM_E_clIPiSE_SF_SF_EESJ_SZ_SK_SL_SM_EUlSZ_E0_NS1_11comp_targetILNS1_3genE4ELNS1_11target_archE910ELNS1_3gpuE8ELNS1_3repE0EEENS1_38merge_mergepath_config_static_selectorELNS0_4arch9wavefront6targetE0EEEvSL_.uses_flat_scratch, 0
	.set _ZN7rocprim17ROCPRIM_400000_NS6detail17trampoline_kernelINS0_14default_configENS1_38merge_sort_block_merge_config_selectorIiNS0_10empty_typeEEEZZNS1_27merge_sort_block_merge_implIS3_N6thrust23THRUST_200600_302600_NS6detail15normal_iteratorINS9_10device_ptrIiEEEEPS5_jNS1_19radix_merge_compareILb1ELb0EiNS0_19identity_decomposerEEEEE10hipError_tT0_T1_T2_jT3_P12ihipStream_tbPNSt15iterator_traitsISK_E10value_typeEPNSQ_ISL_E10value_typeEPSM_NS1_7vsmem_tEENKUlT_SK_SL_SM_E_clIPiSE_SF_SF_EESJ_SZ_SK_SL_SM_EUlSZ_E0_NS1_11comp_targetILNS1_3genE4ELNS1_11target_archE910ELNS1_3gpuE8ELNS1_3repE0EEENS1_38merge_mergepath_config_static_selectorELNS0_4arch9wavefront6targetE0EEEvSL_.has_dyn_sized_stack, 0
	.set _ZN7rocprim17ROCPRIM_400000_NS6detail17trampoline_kernelINS0_14default_configENS1_38merge_sort_block_merge_config_selectorIiNS0_10empty_typeEEEZZNS1_27merge_sort_block_merge_implIS3_N6thrust23THRUST_200600_302600_NS6detail15normal_iteratorINS9_10device_ptrIiEEEEPS5_jNS1_19radix_merge_compareILb1ELb0EiNS0_19identity_decomposerEEEEE10hipError_tT0_T1_T2_jT3_P12ihipStream_tbPNSt15iterator_traitsISK_E10value_typeEPNSQ_ISL_E10value_typeEPSM_NS1_7vsmem_tEENKUlT_SK_SL_SM_E_clIPiSE_SF_SF_EESJ_SZ_SK_SL_SM_EUlSZ_E0_NS1_11comp_targetILNS1_3genE4ELNS1_11target_archE910ELNS1_3gpuE8ELNS1_3repE0EEENS1_38merge_mergepath_config_static_selectorELNS0_4arch9wavefront6targetE0EEEvSL_.has_recursion, 0
	.set _ZN7rocprim17ROCPRIM_400000_NS6detail17trampoline_kernelINS0_14default_configENS1_38merge_sort_block_merge_config_selectorIiNS0_10empty_typeEEEZZNS1_27merge_sort_block_merge_implIS3_N6thrust23THRUST_200600_302600_NS6detail15normal_iteratorINS9_10device_ptrIiEEEEPS5_jNS1_19radix_merge_compareILb1ELb0EiNS0_19identity_decomposerEEEEE10hipError_tT0_T1_T2_jT3_P12ihipStream_tbPNSt15iterator_traitsISK_E10value_typeEPNSQ_ISL_E10value_typeEPSM_NS1_7vsmem_tEENKUlT_SK_SL_SM_E_clIPiSE_SF_SF_EESJ_SZ_SK_SL_SM_EUlSZ_E0_NS1_11comp_targetILNS1_3genE4ELNS1_11target_archE910ELNS1_3gpuE8ELNS1_3repE0EEENS1_38merge_mergepath_config_static_selectorELNS0_4arch9wavefront6targetE0EEEvSL_.has_indirect_call, 0
	.section	.AMDGPU.csdata,"",@progbits
; Kernel info:
; codeLenInByte = 0
; TotalNumSgprs: 0
; NumVgprs: 0
; ScratchSize: 0
; MemoryBound: 0
; FloatMode: 240
; IeeeMode: 1
; LDSByteSize: 0 bytes/workgroup (compile time only)
; SGPRBlocks: 0
; VGPRBlocks: 0
; NumSGPRsForWavesPerEU: 1
; NumVGPRsForWavesPerEU: 1
; Occupancy: 16
; WaveLimiterHint : 0
; COMPUTE_PGM_RSRC2:SCRATCH_EN: 0
; COMPUTE_PGM_RSRC2:USER_SGPR: 6
; COMPUTE_PGM_RSRC2:TRAP_HANDLER: 0
; COMPUTE_PGM_RSRC2:TGID_X_EN: 1
; COMPUTE_PGM_RSRC2:TGID_Y_EN: 0
; COMPUTE_PGM_RSRC2:TGID_Z_EN: 0
; COMPUTE_PGM_RSRC2:TIDIG_COMP_CNT: 0
	.section	.text._ZN7rocprim17ROCPRIM_400000_NS6detail17trampoline_kernelINS0_14default_configENS1_38merge_sort_block_merge_config_selectorIiNS0_10empty_typeEEEZZNS1_27merge_sort_block_merge_implIS3_N6thrust23THRUST_200600_302600_NS6detail15normal_iteratorINS9_10device_ptrIiEEEEPS5_jNS1_19radix_merge_compareILb1ELb0EiNS0_19identity_decomposerEEEEE10hipError_tT0_T1_T2_jT3_P12ihipStream_tbPNSt15iterator_traitsISK_E10value_typeEPNSQ_ISL_E10value_typeEPSM_NS1_7vsmem_tEENKUlT_SK_SL_SM_E_clIPiSE_SF_SF_EESJ_SZ_SK_SL_SM_EUlSZ_E0_NS1_11comp_targetILNS1_3genE3ELNS1_11target_archE908ELNS1_3gpuE7ELNS1_3repE0EEENS1_38merge_mergepath_config_static_selectorELNS0_4arch9wavefront6targetE0EEEvSL_,"axG",@progbits,_ZN7rocprim17ROCPRIM_400000_NS6detail17trampoline_kernelINS0_14default_configENS1_38merge_sort_block_merge_config_selectorIiNS0_10empty_typeEEEZZNS1_27merge_sort_block_merge_implIS3_N6thrust23THRUST_200600_302600_NS6detail15normal_iteratorINS9_10device_ptrIiEEEEPS5_jNS1_19radix_merge_compareILb1ELb0EiNS0_19identity_decomposerEEEEE10hipError_tT0_T1_T2_jT3_P12ihipStream_tbPNSt15iterator_traitsISK_E10value_typeEPNSQ_ISL_E10value_typeEPSM_NS1_7vsmem_tEENKUlT_SK_SL_SM_E_clIPiSE_SF_SF_EESJ_SZ_SK_SL_SM_EUlSZ_E0_NS1_11comp_targetILNS1_3genE3ELNS1_11target_archE908ELNS1_3gpuE7ELNS1_3repE0EEENS1_38merge_mergepath_config_static_selectorELNS0_4arch9wavefront6targetE0EEEvSL_,comdat
	.protected	_ZN7rocprim17ROCPRIM_400000_NS6detail17trampoline_kernelINS0_14default_configENS1_38merge_sort_block_merge_config_selectorIiNS0_10empty_typeEEEZZNS1_27merge_sort_block_merge_implIS3_N6thrust23THRUST_200600_302600_NS6detail15normal_iteratorINS9_10device_ptrIiEEEEPS5_jNS1_19radix_merge_compareILb1ELb0EiNS0_19identity_decomposerEEEEE10hipError_tT0_T1_T2_jT3_P12ihipStream_tbPNSt15iterator_traitsISK_E10value_typeEPNSQ_ISL_E10value_typeEPSM_NS1_7vsmem_tEENKUlT_SK_SL_SM_E_clIPiSE_SF_SF_EESJ_SZ_SK_SL_SM_EUlSZ_E0_NS1_11comp_targetILNS1_3genE3ELNS1_11target_archE908ELNS1_3gpuE7ELNS1_3repE0EEENS1_38merge_mergepath_config_static_selectorELNS0_4arch9wavefront6targetE0EEEvSL_ ; -- Begin function _ZN7rocprim17ROCPRIM_400000_NS6detail17trampoline_kernelINS0_14default_configENS1_38merge_sort_block_merge_config_selectorIiNS0_10empty_typeEEEZZNS1_27merge_sort_block_merge_implIS3_N6thrust23THRUST_200600_302600_NS6detail15normal_iteratorINS9_10device_ptrIiEEEEPS5_jNS1_19radix_merge_compareILb1ELb0EiNS0_19identity_decomposerEEEEE10hipError_tT0_T1_T2_jT3_P12ihipStream_tbPNSt15iterator_traitsISK_E10value_typeEPNSQ_ISL_E10value_typeEPSM_NS1_7vsmem_tEENKUlT_SK_SL_SM_E_clIPiSE_SF_SF_EESJ_SZ_SK_SL_SM_EUlSZ_E0_NS1_11comp_targetILNS1_3genE3ELNS1_11target_archE908ELNS1_3gpuE7ELNS1_3repE0EEENS1_38merge_mergepath_config_static_selectorELNS0_4arch9wavefront6targetE0EEEvSL_
	.globl	_ZN7rocprim17ROCPRIM_400000_NS6detail17trampoline_kernelINS0_14default_configENS1_38merge_sort_block_merge_config_selectorIiNS0_10empty_typeEEEZZNS1_27merge_sort_block_merge_implIS3_N6thrust23THRUST_200600_302600_NS6detail15normal_iteratorINS9_10device_ptrIiEEEEPS5_jNS1_19radix_merge_compareILb1ELb0EiNS0_19identity_decomposerEEEEE10hipError_tT0_T1_T2_jT3_P12ihipStream_tbPNSt15iterator_traitsISK_E10value_typeEPNSQ_ISL_E10value_typeEPSM_NS1_7vsmem_tEENKUlT_SK_SL_SM_E_clIPiSE_SF_SF_EESJ_SZ_SK_SL_SM_EUlSZ_E0_NS1_11comp_targetILNS1_3genE3ELNS1_11target_archE908ELNS1_3gpuE7ELNS1_3repE0EEENS1_38merge_mergepath_config_static_selectorELNS0_4arch9wavefront6targetE0EEEvSL_
	.p2align	8
	.type	_ZN7rocprim17ROCPRIM_400000_NS6detail17trampoline_kernelINS0_14default_configENS1_38merge_sort_block_merge_config_selectorIiNS0_10empty_typeEEEZZNS1_27merge_sort_block_merge_implIS3_N6thrust23THRUST_200600_302600_NS6detail15normal_iteratorINS9_10device_ptrIiEEEEPS5_jNS1_19radix_merge_compareILb1ELb0EiNS0_19identity_decomposerEEEEE10hipError_tT0_T1_T2_jT3_P12ihipStream_tbPNSt15iterator_traitsISK_E10value_typeEPNSQ_ISL_E10value_typeEPSM_NS1_7vsmem_tEENKUlT_SK_SL_SM_E_clIPiSE_SF_SF_EESJ_SZ_SK_SL_SM_EUlSZ_E0_NS1_11comp_targetILNS1_3genE3ELNS1_11target_archE908ELNS1_3gpuE7ELNS1_3repE0EEENS1_38merge_mergepath_config_static_selectorELNS0_4arch9wavefront6targetE0EEEvSL_,@function
_ZN7rocprim17ROCPRIM_400000_NS6detail17trampoline_kernelINS0_14default_configENS1_38merge_sort_block_merge_config_selectorIiNS0_10empty_typeEEEZZNS1_27merge_sort_block_merge_implIS3_N6thrust23THRUST_200600_302600_NS6detail15normal_iteratorINS9_10device_ptrIiEEEEPS5_jNS1_19radix_merge_compareILb1ELb0EiNS0_19identity_decomposerEEEEE10hipError_tT0_T1_T2_jT3_P12ihipStream_tbPNSt15iterator_traitsISK_E10value_typeEPNSQ_ISL_E10value_typeEPSM_NS1_7vsmem_tEENKUlT_SK_SL_SM_E_clIPiSE_SF_SF_EESJ_SZ_SK_SL_SM_EUlSZ_E0_NS1_11comp_targetILNS1_3genE3ELNS1_11target_archE908ELNS1_3gpuE7ELNS1_3repE0EEENS1_38merge_mergepath_config_static_selectorELNS0_4arch9wavefront6targetE0EEEvSL_: ; @_ZN7rocprim17ROCPRIM_400000_NS6detail17trampoline_kernelINS0_14default_configENS1_38merge_sort_block_merge_config_selectorIiNS0_10empty_typeEEEZZNS1_27merge_sort_block_merge_implIS3_N6thrust23THRUST_200600_302600_NS6detail15normal_iteratorINS9_10device_ptrIiEEEEPS5_jNS1_19radix_merge_compareILb1ELb0EiNS0_19identity_decomposerEEEEE10hipError_tT0_T1_T2_jT3_P12ihipStream_tbPNSt15iterator_traitsISK_E10value_typeEPNSQ_ISL_E10value_typeEPSM_NS1_7vsmem_tEENKUlT_SK_SL_SM_E_clIPiSE_SF_SF_EESJ_SZ_SK_SL_SM_EUlSZ_E0_NS1_11comp_targetILNS1_3genE3ELNS1_11target_archE908ELNS1_3gpuE7ELNS1_3repE0EEENS1_38merge_mergepath_config_static_selectorELNS0_4arch9wavefront6targetE0EEEvSL_
; %bb.0:
	.section	.rodata,"a",@progbits
	.p2align	6, 0x0
	.amdhsa_kernel _ZN7rocprim17ROCPRIM_400000_NS6detail17trampoline_kernelINS0_14default_configENS1_38merge_sort_block_merge_config_selectorIiNS0_10empty_typeEEEZZNS1_27merge_sort_block_merge_implIS3_N6thrust23THRUST_200600_302600_NS6detail15normal_iteratorINS9_10device_ptrIiEEEEPS5_jNS1_19radix_merge_compareILb1ELb0EiNS0_19identity_decomposerEEEEE10hipError_tT0_T1_T2_jT3_P12ihipStream_tbPNSt15iterator_traitsISK_E10value_typeEPNSQ_ISL_E10value_typeEPSM_NS1_7vsmem_tEENKUlT_SK_SL_SM_E_clIPiSE_SF_SF_EESJ_SZ_SK_SL_SM_EUlSZ_E0_NS1_11comp_targetILNS1_3genE3ELNS1_11target_archE908ELNS1_3gpuE7ELNS1_3repE0EEENS1_38merge_mergepath_config_static_selectorELNS0_4arch9wavefront6targetE0EEEvSL_
		.amdhsa_group_segment_fixed_size 0
		.amdhsa_private_segment_fixed_size 0
		.amdhsa_kernarg_size 64
		.amdhsa_user_sgpr_count 6
		.amdhsa_user_sgpr_private_segment_buffer 1
		.amdhsa_user_sgpr_dispatch_ptr 0
		.amdhsa_user_sgpr_queue_ptr 0
		.amdhsa_user_sgpr_kernarg_segment_ptr 1
		.amdhsa_user_sgpr_dispatch_id 0
		.amdhsa_user_sgpr_flat_scratch_init 0
		.amdhsa_user_sgpr_private_segment_size 0
		.amdhsa_wavefront_size32 1
		.amdhsa_uses_dynamic_stack 0
		.amdhsa_system_sgpr_private_segment_wavefront_offset 0
		.amdhsa_system_sgpr_workgroup_id_x 1
		.amdhsa_system_sgpr_workgroup_id_y 0
		.amdhsa_system_sgpr_workgroup_id_z 0
		.amdhsa_system_sgpr_workgroup_info 0
		.amdhsa_system_vgpr_workitem_id 0
		.amdhsa_next_free_vgpr 1
		.amdhsa_next_free_sgpr 1
		.amdhsa_reserve_vcc 0
		.amdhsa_reserve_flat_scratch 0
		.amdhsa_float_round_mode_32 0
		.amdhsa_float_round_mode_16_64 0
		.amdhsa_float_denorm_mode_32 3
		.amdhsa_float_denorm_mode_16_64 3
		.amdhsa_dx10_clamp 1
		.amdhsa_ieee_mode 1
		.amdhsa_fp16_overflow 0
		.amdhsa_workgroup_processor_mode 1
		.amdhsa_memory_ordered 1
		.amdhsa_forward_progress 1
		.amdhsa_shared_vgpr_count 0
		.amdhsa_exception_fp_ieee_invalid_op 0
		.amdhsa_exception_fp_denorm_src 0
		.amdhsa_exception_fp_ieee_div_zero 0
		.amdhsa_exception_fp_ieee_overflow 0
		.amdhsa_exception_fp_ieee_underflow 0
		.amdhsa_exception_fp_ieee_inexact 0
		.amdhsa_exception_int_div_zero 0
	.end_amdhsa_kernel
	.section	.text._ZN7rocprim17ROCPRIM_400000_NS6detail17trampoline_kernelINS0_14default_configENS1_38merge_sort_block_merge_config_selectorIiNS0_10empty_typeEEEZZNS1_27merge_sort_block_merge_implIS3_N6thrust23THRUST_200600_302600_NS6detail15normal_iteratorINS9_10device_ptrIiEEEEPS5_jNS1_19radix_merge_compareILb1ELb0EiNS0_19identity_decomposerEEEEE10hipError_tT0_T1_T2_jT3_P12ihipStream_tbPNSt15iterator_traitsISK_E10value_typeEPNSQ_ISL_E10value_typeEPSM_NS1_7vsmem_tEENKUlT_SK_SL_SM_E_clIPiSE_SF_SF_EESJ_SZ_SK_SL_SM_EUlSZ_E0_NS1_11comp_targetILNS1_3genE3ELNS1_11target_archE908ELNS1_3gpuE7ELNS1_3repE0EEENS1_38merge_mergepath_config_static_selectorELNS0_4arch9wavefront6targetE0EEEvSL_,"axG",@progbits,_ZN7rocprim17ROCPRIM_400000_NS6detail17trampoline_kernelINS0_14default_configENS1_38merge_sort_block_merge_config_selectorIiNS0_10empty_typeEEEZZNS1_27merge_sort_block_merge_implIS3_N6thrust23THRUST_200600_302600_NS6detail15normal_iteratorINS9_10device_ptrIiEEEEPS5_jNS1_19radix_merge_compareILb1ELb0EiNS0_19identity_decomposerEEEEE10hipError_tT0_T1_T2_jT3_P12ihipStream_tbPNSt15iterator_traitsISK_E10value_typeEPNSQ_ISL_E10value_typeEPSM_NS1_7vsmem_tEENKUlT_SK_SL_SM_E_clIPiSE_SF_SF_EESJ_SZ_SK_SL_SM_EUlSZ_E0_NS1_11comp_targetILNS1_3genE3ELNS1_11target_archE908ELNS1_3gpuE7ELNS1_3repE0EEENS1_38merge_mergepath_config_static_selectorELNS0_4arch9wavefront6targetE0EEEvSL_,comdat
.Lfunc_end234:
	.size	_ZN7rocprim17ROCPRIM_400000_NS6detail17trampoline_kernelINS0_14default_configENS1_38merge_sort_block_merge_config_selectorIiNS0_10empty_typeEEEZZNS1_27merge_sort_block_merge_implIS3_N6thrust23THRUST_200600_302600_NS6detail15normal_iteratorINS9_10device_ptrIiEEEEPS5_jNS1_19radix_merge_compareILb1ELb0EiNS0_19identity_decomposerEEEEE10hipError_tT0_T1_T2_jT3_P12ihipStream_tbPNSt15iterator_traitsISK_E10value_typeEPNSQ_ISL_E10value_typeEPSM_NS1_7vsmem_tEENKUlT_SK_SL_SM_E_clIPiSE_SF_SF_EESJ_SZ_SK_SL_SM_EUlSZ_E0_NS1_11comp_targetILNS1_3genE3ELNS1_11target_archE908ELNS1_3gpuE7ELNS1_3repE0EEENS1_38merge_mergepath_config_static_selectorELNS0_4arch9wavefront6targetE0EEEvSL_, .Lfunc_end234-_ZN7rocprim17ROCPRIM_400000_NS6detail17trampoline_kernelINS0_14default_configENS1_38merge_sort_block_merge_config_selectorIiNS0_10empty_typeEEEZZNS1_27merge_sort_block_merge_implIS3_N6thrust23THRUST_200600_302600_NS6detail15normal_iteratorINS9_10device_ptrIiEEEEPS5_jNS1_19radix_merge_compareILb1ELb0EiNS0_19identity_decomposerEEEEE10hipError_tT0_T1_T2_jT3_P12ihipStream_tbPNSt15iterator_traitsISK_E10value_typeEPNSQ_ISL_E10value_typeEPSM_NS1_7vsmem_tEENKUlT_SK_SL_SM_E_clIPiSE_SF_SF_EESJ_SZ_SK_SL_SM_EUlSZ_E0_NS1_11comp_targetILNS1_3genE3ELNS1_11target_archE908ELNS1_3gpuE7ELNS1_3repE0EEENS1_38merge_mergepath_config_static_selectorELNS0_4arch9wavefront6targetE0EEEvSL_
                                        ; -- End function
	.set _ZN7rocprim17ROCPRIM_400000_NS6detail17trampoline_kernelINS0_14default_configENS1_38merge_sort_block_merge_config_selectorIiNS0_10empty_typeEEEZZNS1_27merge_sort_block_merge_implIS3_N6thrust23THRUST_200600_302600_NS6detail15normal_iteratorINS9_10device_ptrIiEEEEPS5_jNS1_19radix_merge_compareILb1ELb0EiNS0_19identity_decomposerEEEEE10hipError_tT0_T1_T2_jT3_P12ihipStream_tbPNSt15iterator_traitsISK_E10value_typeEPNSQ_ISL_E10value_typeEPSM_NS1_7vsmem_tEENKUlT_SK_SL_SM_E_clIPiSE_SF_SF_EESJ_SZ_SK_SL_SM_EUlSZ_E0_NS1_11comp_targetILNS1_3genE3ELNS1_11target_archE908ELNS1_3gpuE7ELNS1_3repE0EEENS1_38merge_mergepath_config_static_selectorELNS0_4arch9wavefront6targetE0EEEvSL_.num_vgpr, 0
	.set _ZN7rocprim17ROCPRIM_400000_NS6detail17trampoline_kernelINS0_14default_configENS1_38merge_sort_block_merge_config_selectorIiNS0_10empty_typeEEEZZNS1_27merge_sort_block_merge_implIS3_N6thrust23THRUST_200600_302600_NS6detail15normal_iteratorINS9_10device_ptrIiEEEEPS5_jNS1_19radix_merge_compareILb1ELb0EiNS0_19identity_decomposerEEEEE10hipError_tT0_T1_T2_jT3_P12ihipStream_tbPNSt15iterator_traitsISK_E10value_typeEPNSQ_ISL_E10value_typeEPSM_NS1_7vsmem_tEENKUlT_SK_SL_SM_E_clIPiSE_SF_SF_EESJ_SZ_SK_SL_SM_EUlSZ_E0_NS1_11comp_targetILNS1_3genE3ELNS1_11target_archE908ELNS1_3gpuE7ELNS1_3repE0EEENS1_38merge_mergepath_config_static_selectorELNS0_4arch9wavefront6targetE0EEEvSL_.num_agpr, 0
	.set _ZN7rocprim17ROCPRIM_400000_NS6detail17trampoline_kernelINS0_14default_configENS1_38merge_sort_block_merge_config_selectorIiNS0_10empty_typeEEEZZNS1_27merge_sort_block_merge_implIS3_N6thrust23THRUST_200600_302600_NS6detail15normal_iteratorINS9_10device_ptrIiEEEEPS5_jNS1_19radix_merge_compareILb1ELb0EiNS0_19identity_decomposerEEEEE10hipError_tT0_T1_T2_jT3_P12ihipStream_tbPNSt15iterator_traitsISK_E10value_typeEPNSQ_ISL_E10value_typeEPSM_NS1_7vsmem_tEENKUlT_SK_SL_SM_E_clIPiSE_SF_SF_EESJ_SZ_SK_SL_SM_EUlSZ_E0_NS1_11comp_targetILNS1_3genE3ELNS1_11target_archE908ELNS1_3gpuE7ELNS1_3repE0EEENS1_38merge_mergepath_config_static_selectorELNS0_4arch9wavefront6targetE0EEEvSL_.numbered_sgpr, 0
	.set _ZN7rocprim17ROCPRIM_400000_NS6detail17trampoline_kernelINS0_14default_configENS1_38merge_sort_block_merge_config_selectorIiNS0_10empty_typeEEEZZNS1_27merge_sort_block_merge_implIS3_N6thrust23THRUST_200600_302600_NS6detail15normal_iteratorINS9_10device_ptrIiEEEEPS5_jNS1_19radix_merge_compareILb1ELb0EiNS0_19identity_decomposerEEEEE10hipError_tT0_T1_T2_jT3_P12ihipStream_tbPNSt15iterator_traitsISK_E10value_typeEPNSQ_ISL_E10value_typeEPSM_NS1_7vsmem_tEENKUlT_SK_SL_SM_E_clIPiSE_SF_SF_EESJ_SZ_SK_SL_SM_EUlSZ_E0_NS1_11comp_targetILNS1_3genE3ELNS1_11target_archE908ELNS1_3gpuE7ELNS1_3repE0EEENS1_38merge_mergepath_config_static_selectorELNS0_4arch9wavefront6targetE0EEEvSL_.num_named_barrier, 0
	.set _ZN7rocprim17ROCPRIM_400000_NS6detail17trampoline_kernelINS0_14default_configENS1_38merge_sort_block_merge_config_selectorIiNS0_10empty_typeEEEZZNS1_27merge_sort_block_merge_implIS3_N6thrust23THRUST_200600_302600_NS6detail15normal_iteratorINS9_10device_ptrIiEEEEPS5_jNS1_19radix_merge_compareILb1ELb0EiNS0_19identity_decomposerEEEEE10hipError_tT0_T1_T2_jT3_P12ihipStream_tbPNSt15iterator_traitsISK_E10value_typeEPNSQ_ISL_E10value_typeEPSM_NS1_7vsmem_tEENKUlT_SK_SL_SM_E_clIPiSE_SF_SF_EESJ_SZ_SK_SL_SM_EUlSZ_E0_NS1_11comp_targetILNS1_3genE3ELNS1_11target_archE908ELNS1_3gpuE7ELNS1_3repE0EEENS1_38merge_mergepath_config_static_selectorELNS0_4arch9wavefront6targetE0EEEvSL_.private_seg_size, 0
	.set _ZN7rocprim17ROCPRIM_400000_NS6detail17trampoline_kernelINS0_14default_configENS1_38merge_sort_block_merge_config_selectorIiNS0_10empty_typeEEEZZNS1_27merge_sort_block_merge_implIS3_N6thrust23THRUST_200600_302600_NS6detail15normal_iteratorINS9_10device_ptrIiEEEEPS5_jNS1_19radix_merge_compareILb1ELb0EiNS0_19identity_decomposerEEEEE10hipError_tT0_T1_T2_jT3_P12ihipStream_tbPNSt15iterator_traitsISK_E10value_typeEPNSQ_ISL_E10value_typeEPSM_NS1_7vsmem_tEENKUlT_SK_SL_SM_E_clIPiSE_SF_SF_EESJ_SZ_SK_SL_SM_EUlSZ_E0_NS1_11comp_targetILNS1_3genE3ELNS1_11target_archE908ELNS1_3gpuE7ELNS1_3repE0EEENS1_38merge_mergepath_config_static_selectorELNS0_4arch9wavefront6targetE0EEEvSL_.uses_vcc, 0
	.set _ZN7rocprim17ROCPRIM_400000_NS6detail17trampoline_kernelINS0_14default_configENS1_38merge_sort_block_merge_config_selectorIiNS0_10empty_typeEEEZZNS1_27merge_sort_block_merge_implIS3_N6thrust23THRUST_200600_302600_NS6detail15normal_iteratorINS9_10device_ptrIiEEEEPS5_jNS1_19radix_merge_compareILb1ELb0EiNS0_19identity_decomposerEEEEE10hipError_tT0_T1_T2_jT3_P12ihipStream_tbPNSt15iterator_traitsISK_E10value_typeEPNSQ_ISL_E10value_typeEPSM_NS1_7vsmem_tEENKUlT_SK_SL_SM_E_clIPiSE_SF_SF_EESJ_SZ_SK_SL_SM_EUlSZ_E0_NS1_11comp_targetILNS1_3genE3ELNS1_11target_archE908ELNS1_3gpuE7ELNS1_3repE0EEENS1_38merge_mergepath_config_static_selectorELNS0_4arch9wavefront6targetE0EEEvSL_.uses_flat_scratch, 0
	.set _ZN7rocprim17ROCPRIM_400000_NS6detail17trampoline_kernelINS0_14default_configENS1_38merge_sort_block_merge_config_selectorIiNS0_10empty_typeEEEZZNS1_27merge_sort_block_merge_implIS3_N6thrust23THRUST_200600_302600_NS6detail15normal_iteratorINS9_10device_ptrIiEEEEPS5_jNS1_19radix_merge_compareILb1ELb0EiNS0_19identity_decomposerEEEEE10hipError_tT0_T1_T2_jT3_P12ihipStream_tbPNSt15iterator_traitsISK_E10value_typeEPNSQ_ISL_E10value_typeEPSM_NS1_7vsmem_tEENKUlT_SK_SL_SM_E_clIPiSE_SF_SF_EESJ_SZ_SK_SL_SM_EUlSZ_E0_NS1_11comp_targetILNS1_3genE3ELNS1_11target_archE908ELNS1_3gpuE7ELNS1_3repE0EEENS1_38merge_mergepath_config_static_selectorELNS0_4arch9wavefront6targetE0EEEvSL_.has_dyn_sized_stack, 0
	.set _ZN7rocprim17ROCPRIM_400000_NS6detail17trampoline_kernelINS0_14default_configENS1_38merge_sort_block_merge_config_selectorIiNS0_10empty_typeEEEZZNS1_27merge_sort_block_merge_implIS3_N6thrust23THRUST_200600_302600_NS6detail15normal_iteratorINS9_10device_ptrIiEEEEPS5_jNS1_19radix_merge_compareILb1ELb0EiNS0_19identity_decomposerEEEEE10hipError_tT0_T1_T2_jT3_P12ihipStream_tbPNSt15iterator_traitsISK_E10value_typeEPNSQ_ISL_E10value_typeEPSM_NS1_7vsmem_tEENKUlT_SK_SL_SM_E_clIPiSE_SF_SF_EESJ_SZ_SK_SL_SM_EUlSZ_E0_NS1_11comp_targetILNS1_3genE3ELNS1_11target_archE908ELNS1_3gpuE7ELNS1_3repE0EEENS1_38merge_mergepath_config_static_selectorELNS0_4arch9wavefront6targetE0EEEvSL_.has_recursion, 0
	.set _ZN7rocprim17ROCPRIM_400000_NS6detail17trampoline_kernelINS0_14default_configENS1_38merge_sort_block_merge_config_selectorIiNS0_10empty_typeEEEZZNS1_27merge_sort_block_merge_implIS3_N6thrust23THRUST_200600_302600_NS6detail15normal_iteratorINS9_10device_ptrIiEEEEPS5_jNS1_19radix_merge_compareILb1ELb0EiNS0_19identity_decomposerEEEEE10hipError_tT0_T1_T2_jT3_P12ihipStream_tbPNSt15iterator_traitsISK_E10value_typeEPNSQ_ISL_E10value_typeEPSM_NS1_7vsmem_tEENKUlT_SK_SL_SM_E_clIPiSE_SF_SF_EESJ_SZ_SK_SL_SM_EUlSZ_E0_NS1_11comp_targetILNS1_3genE3ELNS1_11target_archE908ELNS1_3gpuE7ELNS1_3repE0EEENS1_38merge_mergepath_config_static_selectorELNS0_4arch9wavefront6targetE0EEEvSL_.has_indirect_call, 0
	.section	.AMDGPU.csdata,"",@progbits
; Kernel info:
; codeLenInByte = 0
; TotalNumSgprs: 0
; NumVgprs: 0
; ScratchSize: 0
; MemoryBound: 0
; FloatMode: 240
; IeeeMode: 1
; LDSByteSize: 0 bytes/workgroup (compile time only)
; SGPRBlocks: 0
; VGPRBlocks: 0
; NumSGPRsForWavesPerEU: 1
; NumVGPRsForWavesPerEU: 1
; Occupancy: 16
; WaveLimiterHint : 0
; COMPUTE_PGM_RSRC2:SCRATCH_EN: 0
; COMPUTE_PGM_RSRC2:USER_SGPR: 6
; COMPUTE_PGM_RSRC2:TRAP_HANDLER: 0
; COMPUTE_PGM_RSRC2:TGID_X_EN: 1
; COMPUTE_PGM_RSRC2:TGID_Y_EN: 0
; COMPUTE_PGM_RSRC2:TGID_Z_EN: 0
; COMPUTE_PGM_RSRC2:TIDIG_COMP_CNT: 0
	.section	.text._ZN7rocprim17ROCPRIM_400000_NS6detail17trampoline_kernelINS0_14default_configENS1_38merge_sort_block_merge_config_selectorIiNS0_10empty_typeEEEZZNS1_27merge_sort_block_merge_implIS3_N6thrust23THRUST_200600_302600_NS6detail15normal_iteratorINS9_10device_ptrIiEEEEPS5_jNS1_19radix_merge_compareILb1ELb0EiNS0_19identity_decomposerEEEEE10hipError_tT0_T1_T2_jT3_P12ihipStream_tbPNSt15iterator_traitsISK_E10value_typeEPNSQ_ISL_E10value_typeEPSM_NS1_7vsmem_tEENKUlT_SK_SL_SM_E_clIPiSE_SF_SF_EESJ_SZ_SK_SL_SM_EUlSZ_E0_NS1_11comp_targetILNS1_3genE2ELNS1_11target_archE906ELNS1_3gpuE6ELNS1_3repE0EEENS1_38merge_mergepath_config_static_selectorELNS0_4arch9wavefront6targetE0EEEvSL_,"axG",@progbits,_ZN7rocprim17ROCPRIM_400000_NS6detail17trampoline_kernelINS0_14default_configENS1_38merge_sort_block_merge_config_selectorIiNS0_10empty_typeEEEZZNS1_27merge_sort_block_merge_implIS3_N6thrust23THRUST_200600_302600_NS6detail15normal_iteratorINS9_10device_ptrIiEEEEPS5_jNS1_19radix_merge_compareILb1ELb0EiNS0_19identity_decomposerEEEEE10hipError_tT0_T1_T2_jT3_P12ihipStream_tbPNSt15iterator_traitsISK_E10value_typeEPNSQ_ISL_E10value_typeEPSM_NS1_7vsmem_tEENKUlT_SK_SL_SM_E_clIPiSE_SF_SF_EESJ_SZ_SK_SL_SM_EUlSZ_E0_NS1_11comp_targetILNS1_3genE2ELNS1_11target_archE906ELNS1_3gpuE6ELNS1_3repE0EEENS1_38merge_mergepath_config_static_selectorELNS0_4arch9wavefront6targetE0EEEvSL_,comdat
	.protected	_ZN7rocprim17ROCPRIM_400000_NS6detail17trampoline_kernelINS0_14default_configENS1_38merge_sort_block_merge_config_selectorIiNS0_10empty_typeEEEZZNS1_27merge_sort_block_merge_implIS3_N6thrust23THRUST_200600_302600_NS6detail15normal_iteratorINS9_10device_ptrIiEEEEPS5_jNS1_19radix_merge_compareILb1ELb0EiNS0_19identity_decomposerEEEEE10hipError_tT0_T1_T2_jT3_P12ihipStream_tbPNSt15iterator_traitsISK_E10value_typeEPNSQ_ISL_E10value_typeEPSM_NS1_7vsmem_tEENKUlT_SK_SL_SM_E_clIPiSE_SF_SF_EESJ_SZ_SK_SL_SM_EUlSZ_E0_NS1_11comp_targetILNS1_3genE2ELNS1_11target_archE906ELNS1_3gpuE6ELNS1_3repE0EEENS1_38merge_mergepath_config_static_selectorELNS0_4arch9wavefront6targetE0EEEvSL_ ; -- Begin function _ZN7rocprim17ROCPRIM_400000_NS6detail17trampoline_kernelINS0_14default_configENS1_38merge_sort_block_merge_config_selectorIiNS0_10empty_typeEEEZZNS1_27merge_sort_block_merge_implIS3_N6thrust23THRUST_200600_302600_NS6detail15normal_iteratorINS9_10device_ptrIiEEEEPS5_jNS1_19radix_merge_compareILb1ELb0EiNS0_19identity_decomposerEEEEE10hipError_tT0_T1_T2_jT3_P12ihipStream_tbPNSt15iterator_traitsISK_E10value_typeEPNSQ_ISL_E10value_typeEPSM_NS1_7vsmem_tEENKUlT_SK_SL_SM_E_clIPiSE_SF_SF_EESJ_SZ_SK_SL_SM_EUlSZ_E0_NS1_11comp_targetILNS1_3genE2ELNS1_11target_archE906ELNS1_3gpuE6ELNS1_3repE0EEENS1_38merge_mergepath_config_static_selectorELNS0_4arch9wavefront6targetE0EEEvSL_
	.globl	_ZN7rocprim17ROCPRIM_400000_NS6detail17trampoline_kernelINS0_14default_configENS1_38merge_sort_block_merge_config_selectorIiNS0_10empty_typeEEEZZNS1_27merge_sort_block_merge_implIS3_N6thrust23THRUST_200600_302600_NS6detail15normal_iteratorINS9_10device_ptrIiEEEEPS5_jNS1_19radix_merge_compareILb1ELb0EiNS0_19identity_decomposerEEEEE10hipError_tT0_T1_T2_jT3_P12ihipStream_tbPNSt15iterator_traitsISK_E10value_typeEPNSQ_ISL_E10value_typeEPSM_NS1_7vsmem_tEENKUlT_SK_SL_SM_E_clIPiSE_SF_SF_EESJ_SZ_SK_SL_SM_EUlSZ_E0_NS1_11comp_targetILNS1_3genE2ELNS1_11target_archE906ELNS1_3gpuE6ELNS1_3repE0EEENS1_38merge_mergepath_config_static_selectorELNS0_4arch9wavefront6targetE0EEEvSL_
	.p2align	8
	.type	_ZN7rocprim17ROCPRIM_400000_NS6detail17trampoline_kernelINS0_14default_configENS1_38merge_sort_block_merge_config_selectorIiNS0_10empty_typeEEEZZNS1_27merge_sort_block_merge_implIS3_N6thrust23THRUST_200600_302600_NS6detail15normal_iteratorINS9_10device_ptrIiEEEEPS5_jNS1_19radix_merge_compareILb1ELb0EiNS0_19identity_decomposerEEEEE10hipError_tT0_T1_T2_jT3_P12ihipStream_tbPNSt15iterator_traitsISK_E10value_typeEPNSQ_ISL_E10value_typeEPSM_NS1_7vsmem_tEENKUlT_SK_SL_SM_E_clIPiSE_SF_SF_EESJ_SZ_SK_SL_SM_EUlSZ_E0_NS1_11comp_targetILNS1_3genE2ELNS1_11target_archE906ELNS1_3gpuE6ELNS1_3repE0EEENS1_38merge_mergepath_config_static_selectorELNS0_4arch9wavefront6targetE0EEEvSL_,@function
_ZN7rocprim17ROCPRIM_400000_NS6detail17trampoline_kernelINS0_14default_configENS1_38merge_sort_block_merge_config_selectorIiNS0_10empty_typeEEEZZNS1_27merge_sort_block_merge_implIS3_N6thrust23THRUST_200600_302600_NS6detail15normal_iteratorINS9_10device_ptrIiEEEEPS5_jNS1_19radix_merge_compareILb1ELb0EiNS0_19identity_decomposerEEEEE10hipError_tT0_T1_T2_jT3_P12ihipStream_tbPNSt15iterator_traitsISK_E10value_typeEPNSQ_ISL_E10value_typeEPSM_NS1_7vsmem_tEENKUlT_SK_SL_SM_E_clIPiSE_SF_SF_EESJ_SZ_SK_SL_SM_EUlSZ_E0_NS1_11comp_targetILNS1_3genE2ELNS1_11target_archE906ELNS1_3gpuE6ELNS1_3repE0EEENS1_38merge_mergepath_config_static_selectorELNS0_4arch9wavefront6targetE0EEEvSL_: ; @_ZN7rocprim17ROCPRIM_400000_NS6detail17trampoline_kernelINS0_14default_configENS1_38merge_sort_block_merge_config_selectorIiNS0_10empty_typeEEEZZNS1_27merge_sort_block_merge_implIS3_N6thrust23THRUST_200600_302600_NS6detail15normal_iteratorINS9_10device_ptrIiEEEEPS5_jNS1_19radix_merge_compareILb1ELb0EiNS0_19identity_decomposerEEEEE10hipError_tT0_T1_T2_jT3_P12ihipStream_tbPNSt15iterator_traitsISK_E10value_typeEPNSQ_ISL_E10value_typeEPSM_NS1_7vsmem_tEENKUlT_SK_SL_SM_E_clIPiSE_SF_SF_EESJ_SZ_SK_SL_SM_EUlSZ_E0_NS1_11comp_targetILNS1_3genE2ELNS1_11target_archE906ELNS1_3gpuE6ELNS1_3repE0EEENS1_38merge_mergepath_config_static_selectorELNS0_4arch9wavefront6targetE0EEEvSL_
; %bb.0:
	.section	.rodata,"a",@progbits
	.p2align	6, 0x0
	.amdhsa_kernel _ZN7rocprim17ROCPRIM_400000_NS6detail17trampoline_kernelINS0_14default_configENS1_38merge_sort_block_merge_config_selectorIiNS0_10empty_typeEEEZZNS1_27merge_sort_block_merge_implIS3_N6thrust23THRUST_200600_302600_NS6detail15normal_iteratorINS9_10device_ptrIiEEEEPS5_jNS1_19radix_merge_compareILb1ELb0EiNS0_19identity_decomposerEEEEE10hipError_tT0_T1_T2_jT3_P12ihipStream_tbPNSt15iterator_traitsISK_E10value_typeEPNSQ_ISL_E10value_typeEPSM_NS1_7vsmem_tEENKUlT_SK_SL_SM_E_clIPiSE_SF_SF_EESJ_SZ_SK_SL_SM_EUlSZ_E0_NS1_11comp_targetILNS1_3genE2ELNS1_11target_archE906ELNS1_3gpuE6ELNS1_3repE0EEENS1_38merge_mergepath_config_static_selectorELNS0_4arch9wavefront6targetE0EEEvSL_
		.amdhsa_group_segment_fixed_size 0
		.amdhsa_private_segment_fixed_size 0
		.amdhsa_kernarg_size 64
		.amdhsa_user_sgpr_count 6
		.amdhsa_user_sgpr_private_segment_buffer 1
		.amdhsa_user_sgpr_dispatch_ptr 0
		.amdhsa_user_sgpr_queue_ptr 0
		.amdhsa_user_sgpr_kernarg_segment_ptr 1
		.amdhsa_user_sgpr_dispatch_id 0
		.amdhsa_user_sgpr_flat_scratch_init 0
		.amdhsa_user_sgpr_private_segment_size 0
		.amdhsa_wavefront_size32 1
		.amdhsa_uses_dynamic_stack 0
		.amdhsa_system_sgpr_private_segment_wavefront_offset 0
		.amdhsa_system_sgpr_workgroup_id_x 1
		.amdhsa_system_sgpr_workgroup_id_y 0
		.amdhsa_system_sgpr_workgroup_id_z 0
		.amdhsa_system_sgpr_workgroup_info 0
		.amdhsa_system_vgpr_workitem_id 0
		.amdhsa_next_free_vgpr 1
		.amdhsa_next_free_sgpr 1
		.amdhsa_reserve_vcc 0
		.amdhsa_reserve_flat_scratch 0
		.amdhsa_float_round_mode_32 0
		.amdhsa_float_round_mode_16_64 0
		.amdhsa_float_denorm_mode_32 3
		.amdhsa_float_denorm_mode_16_64 3
		.amdhsa_dx10_clamp 1
		.amdhsa_ieee_mode 1
		.amdhsa_fp16_overflow 0
		.amdhsa_workgroup_processor_mode 1
		.amdhsa_memory_ordered 1
		.amdhsa_forward_progress 1
		.amdhsa_shared_vgpr_count 0
		.amdhsa_exception_fp_ieee_invalid_op 0
		.amdhsa_exception_fp_denorm_src 0
		.amdhsa_exception_fp_ieee_div_zero 0
		.amdhsa_exception_fp_ieee_overflow 0
		.amdhsa_exception_fp_ieee_underflow 0
		.amdhsa_exception_fp_ieee_inexact 0
		.amdhsa_exception_int_div_zero 0
	.end_amdhsa_kernel
	.section	.text._ZN7rocprim17ROCPRIM_400000_NS6detail17trampoline_kernelINS0_14default_configENS1_38merge_sort_block_merge_config_selectorIiNS0_10empty_typeEEEZZNS1_27merge_sort_block_merge_implIS3_N6thrust23THRUST_200600_302600_NS6detail15normal_iteratorINS9_10device_ptrIiEEEEPS5_jNS1_19radix_merge_compareILb1ELb0EiNS0_19identity_decomposerEEEEE10hipError_tT0_T1_T2_jT3_P12ihipStream_tbPNSt15iterator_traitsISK_E10value_typeEPNSQ_ISL_E10value_typeEPSM_NS1_7vsmem_tEENKUlT_SK_SL_SM_E_clIPiSE_SF_SF_EESJ_SZ_SK_SL_SM_EUlSZ_E0_NS1_11comp_targetILNS1_3genE2ELNS1_11target_archE906ELNS1_3gpuE6ELNS1_3repE0EEENS1_38merge_mergepath_config_static_selectorELNS0_4arch9wavefront6targetE0EEEvSL_,"axG",@progbits,_ZN7rocprim17ROCPRIM_400000_NS6detail17trampoline_kernelINS0_14default_configENS1_38merge_sort_block_merge_config_selectorIiNS0_10empty_typeEEEZZNS1_27merge_sort_block_merge_implIS3_N6thrust23THRUST_200600_302600_NS6detail15normal_iteratorINS9_10device_ptrIiEEEEPS5_jNS1_19radix_merge_compareILb1ELb0EiNS0_19identity_decomposerEEEEE10hipError_tT0_T1_T2_jT3_P12ihipStream_tbPNSt15iterator_traitsISK_E10value_typeEPNSQ_ISL_E10value_typeEPSM_NS1_7vsmem_tEENKUlT_SK_SL_SM_E_clIPiSE_SF_SF_EESJ_SZ_SK_SL_SM_EUlSZ_E0_NS1_11comp_targetILNS1_3genE2ELNS1_11target_archE906ELNS1_3gpuE6ELNS1_3repE0EEENS1_38merge_mergepath_config_static_selectorELNS0_4arch9wavefront6targetE0EEEvSL_,comdat
.Lfunc_end235:
	.size	_ZN7rocprim17ROCPRIM_400000_NS6detail17trampoline_kernelINS0_14default_configENS1_38merge_sort_block_merge_config_selectorIiNS0_10empty_typeEEEZZNS1_27merge_sort_block_merge_implIS3_N6thrust23THRUST_200600_302600_NS6detail15normal_iteratorINS9_10device_ptrIiEEEEPS5_jNS1_19radix_merge_compareILb1ELb0EiNS0_19identity_decomposerEEEEE10hipError_tT0_T1_T2_jT3_P12ihipStream_tbPNSt15iterator_traitsISK_E10value_typeEPNSQ_ISL_E10value_typeEPSM_NS1_7vsmem_tEENKUlT_SK_SL_SM_E_clIPiSE_SF_SF_EESJ_SZ_SK_SL_SM_EUlSZ_E0_NS1_11comp_targetILNS1_3genE2ELNS1_11target_archE906ELNS1_3gpuE6ELNS1_3repE0EEENS1_38merge_mergepath_config_static_selectorELNS0_4arch9wavefront6targetE0EEEvSL_, .Lfunc_end235-_ZN7rocprim17ROCPRIM_400000_NS6detail17trampoline_kernelINS0_14default_configENS1_38merge_sort_block_merge_config_selectorIiNS0_10empty_typeEEEZZNS1_27merge_sort_block_merge_implIS3_N6thrust23THRUST_200600_302600_NS6detail15normal_iteratorINS9_10device_ptrIiEEEEPS5_jNS1_19radix_merge_compareILb1ELb0EiNS0_19identity_decomposerEEEEE10hipError_tT0_T1_T2_jT3_P12ihipStream_tbPNSt15iterator_traitsISK_E10value_typeEPNSQ_ISL_E10value_typeEPSM_NS1_7vsmem_tEENKUlT_SK_SL_SM_E_clIPiSE_SF_SF_EESJ_SZ_SK_SL_SM_EUlSZ_E0_NS1_11comp_targetILNS1_3genE2ELNS1_11target_archE906ELNS1_3gpuE6ELNS1_3repE0EEENS1_38merge_mergepath_config_static_selectorELNS0_4arch9wavefront6targetE0EEEvSL_
                                        ; -- End function
	.set _ZN7rocprim17ROCPRIM_400000_NS6detail17trampoline_kernelINS0_14default_configENS1_38merge_sort_block_merge_config_selectorIiNS0_10empty_typeEEEZZNS1_27merge_sort_block_merge_implIS3_N6thrust23THRUST_200600_302600_NS6detail15normal_iteratorINS9_10device_ptrIiEEEEPS5_jNS1_19radix_merge_compareILb1ELb0EiNS0_19identity_decomposerEEEEE10hipError_tT0_T1_T2_jT3_P12ihipStream_tbPNSt15iterator_traitsISK_E10value_typeEPNSQ_ISL_E10value_typeEPSM_NS1_7vsmem_tEENKUlT_SK_SL_SM_E_clIPiSE_SF_SF_EESJ_SZ_SK_SL_SM_EUlSZ_E0_NS1_11comp_targetILNS1_3genE2ELNS1_11target_archE906ELNS1_3gpuE6ELNS1_3repE0EEENS1_38merge_mergepath_config_static_selectorELNS0_4arch9wavefront6targetE0EEEvSL_.num_vgpr, 0
	.set _ZN7rocprim17ROCPRIM_400000_NS6detail17trampoline_kernelINS0_14default_configENS1_38merge_sort_block_merge_config_selectorIiNS0_10empty_typeEEEZZNS1_27merge_sort_block_merge_implIS3_N6thrust23THRUST_200600_302600_NS6detail15normal_iteratorINS9_10device_ptrIiEEEEPS5_jNS1_19radix_merge_compareILb1ELb0EiNS0_19identity_decomposerEEEEE10hipError_tT0_T1_T2_jT3_P12ihipStream_tbPNSt15iterator_traitsISK_E10value_typeEPNSQ_ISL_E10value_typeEPSM_NS1_7vsmem_tEENKUlT_SK_SL_SM_E_clIPiSE_SF_SF_EESJ_SZ_SK_SL_SM_EUlSZ_E0_NS1_11comp_targetILNS1_3genE2ELNS1_11target_archE906ELNS1_3gpuE6ELNS1_3repE0EEENS1_38merge_mergepath_config_static_selectorELNS0_4arch9wavefront6targetE0EEEvSL_.num_agpr, 0
	.set _ZN7rocprim17ROCPRIM_400000_NS6detail17trampoline_kernelINS0_14default_configENS1_38merge_sort_block_merge_config_selectorIiNS0_10empty_typeEEEZZNS1_27merge_sort_block_merge_implIS3_N6thrust23THRUST_200600_302600_NS6detail15normal_iteratorINS9_10device_ptrIiEEEEPS5_jNS1_19radix_merge_compareILb1ELb0EiNS0_19identity_decomposerEEEEE10hipError_tT0_T1_T2_jT3_P12ihipStream_tbPNSt15iterator_traitsISK_E10value_typeEPNSQ_ISL_E10value_typeEPSM_NS1_7vsmem_tEENKUlT_SK_SL_SM_E_clIPiSE_SF_SF_EESJ_SZ_SK_SL_SM_EUlSZ_E0_NS1_11comp_targetILNS1_3genE2ELNS1_11target_archE906ELNS1_3gpuE6ELNS1_3repE0EEENS1_38merge_mergepath_config_static_selectorELNS0_4arch9wavefront6targetE0EEEvSL_.numbered_sgpr, 0
	.set _ZN7rocprim17ROCPRIM_400000_NS6detail17trampoline_kernelINS0_14default_configENS1_38merge_sort_block_merge_config_selectorIiNS0_10empty_typeEEEZZNS1_27merge_sort_block_merge_implIS3_N6thrust23THRUST_200600_302600_NS6detail15normal_iteratorINS9_10device_ptrIiEEEEPS5_jNS1_19radix_merge_compareILb1ELb0EiNS0_19identity_decomposerEEEEE10hipError_tT0_T1_T2_jT3_P12ihipStream_tbPNSt15iterator_traitsISK_E10value_typeEPNSQ_ISL_E10value_typeEPSM_NS1_7vsmem_tEENKUlT_SK_SL_SM_E_clIPiSE_SF_SF_EESJ_SZ_SK_SL_SM_EUlSZ_E0_NS1_11comp_targetILNS1_3genE2ELNS1_11target_archE906ELNS1_3gpuE6ELNS1_3repE0EEENS1_38merge_mergepath_config_static_selectorELNS0_4arch9wavefront6targetE0EEEvSL_.num_named_barrier, 0
	.set _ZN7rocprim17ROCPRIM_400000_NS6detail17trampoline_kernelINS0_14default_configENS1_38merge_sort_block_merge_config_selectorIiNS0_10empty_typeEEEZZNS1_27merge_sort_block_merge_implIS3_N6thrust23THRUST_200600_302600_NS6detail15normal_iteratorINS9_10device_ptrIiEEEEPS5_jNS1_19radix_merge_compareILb1ELb0EiNS0_19identity_decomposerEEEEE10hipError_tT0_T1_T2_jT3_P12ihipStream_tbPNSt15iterator_traitsISK_E10value_typeEPNSQ_ISL_E10value_typeEPSM_NS1_7vsmem_tEENKUlT_SK_SL_SM_E_clIPiSE_SF_SF_EESJ_SZ_SK_SL_SM_EUlSZ_E0_NS1_11comp_targetILNS1_3genE2ELNS1_11target_archE906ELNS1_3gpuE6ELNS1_3repE0EEENS1_38merge_mergepath_config_static_selectorELNS0_4arch9wavefront6targetE0EEEvSL_.private_seg_size, 0
	.set _ZN7rocprim17ROCPRIM_400000_NS6detail17trampoline_kernelINS0_14default_configENS1_38merge_sort_block_merge_config_selectorIiNS0_10empty_typeEEEZZNS1_27merge_sort_block_merge_implIS3_N6thrust23THRUST_200600_302600_NS6detail15normal_iteratorINS9_10device_ptrIiEEEEPS5_jNS1_19radix_merge_compareILb1ELb0EiNS0_19identity_decomposerEEEEE10hipError_tT0_T1_T2_jT3_P12ihipStream_tbPNSt15iterator_traitsISK_E10value_typeEPNSQ_ISL_E10value_typeEPSM_NS1_7vsmem_tEENKUlT_SK_SL_SM_E_clIPiSE_SF_SF_EESJ_SZ_SK_SL_SM_EUlSZ_E0_NS1_11comp_targetILNS1_3genE2ELNS1_11target_archE906ELNS1_3gpuE6ELNS1_3repE0EEENS1_38merge_mergepath_config_static_selectorELNS0_4arch9wavefront6targetE0EEEvSL_.uses_vcc, 0
	.set _ZN7rocprim17ROCPRIM_400000_NS6detail17trampoline_kernelINS0_14default_configENS1_38merge_sort_block_merge_config_selectorIiNS0_10empty_typeEEEZZNS1_27merge_sort_block_merge_implIS3_N6thrust23THRUST_200600_302600_NS6detail15normal_iteratorINS9_10device_ptrIiEEEEPS5_jNS1_19radix_merge_compareILb1ELb0EiNS0_19identity_decomposerEEEEE10hipError_tT0_T1_T2_jT3_P12ihipStream_tbPNSt15iterator_traitsISK_E10value_typeEPNSQ_ISL_E10value_typeEPSM_NS1_7vsmem_tEENKUlT_SK_SL_SM_E_clIPiSE_SF_SF_EESJ_SZ_SK_SL_SM_EUlSZ_E0_NS1_11comp_targetILNS1_3genE2ELNS1_11target_archE906ELNS1_3gpuE6ELNS1_3repE0EEENS1_38merge_mergepath_config_static_selectorELNS0_4arch9wavefront6targetE0EEEvSL_.uses_flat_scratch, 0
	.set _ZN7rocprim17ROCPRIM_400000_NS6detail17trampoline_kernelINS0_14default_configENS1_38merge_sort_block_merge_config_selectorIiNS0_10empty_typeEEEZZNS1_27merge_sort_block_merge_implIS3_N6thrust23THRUST_200600_302600_NS6detail15normal_iteratorINS9_10device_ptrIiEEEEPS5_jNS1_19radix_merge_compareILb1ELb0EiNS0_19identity_decomposerEEEEE10hipError_tT0_T1_T2_jT3_P12ihipStream_tbPNSt15iterator_traitsISK_E10value_typeEPNSQ_ISL_E10value_typeEPSM_NS1_7vsmem_tEENKUlT_SK_SL_SM_E_clIPiSE_SF_SF_EESJ_SZ_SK_SL_SM_EUlSZ_E0_NS1_11comp_targetILNS1_3genE2ELNS1_11target_archE906ELNS1_3gpuE6ELNS1_3repE0EEENS1_38merge_mergepath_config_static_selectorELNS0_4arch9wavefront6targetE0EEEvSL_.has_dyn_sized_stack, 0
	.set _ZN7rocprim17ROCPRIM_400000_NS6detail17trampoline_kernelINS0_14default_configENS1_38merge_sort_block_merge_config_selectorIiNS0_10empty_typeEEEZZNS1_27merge_sort_block_merge_implIS3_N6thrust23THRUST_200600_302600_NS6detail15normal_iteratorINS9_10device_ptrIiEEEEPS5_jNS1_19radix_merge_compareILb1ELb0EiNS0_19identity_decomposerEEEEE10hipError_tT0_T1_T2_jT3_P12ihipStream_tbPNSt15iterator_traitsISK_E10value_typeEPNSQ_ISL_E10value_typeEPSM_NS1_7vsmem_tEENKUlT_SK_SL_SM_E_clIPiSE_SF_SF_EESJ_SZ_SK_SL_SM_EUlSZ_E0_NS1_11comp_targetILNS1_3genE2ELNS1_11target_archE906ELNS1_3gpuE6ELNS1_3repE0EEENS1_38merge_mergepath_config_static_selectorELNS0_4arch9wavefront6targetE0EEEvSL_.has_recursion, 0
	.set _ZN7rocprim17ROCPRIM_400000_NS6detail17trampoline_kernelINS0_14default_configENS1_38merge_sort_block_merge_config_selectorIiNS0_10empty_typeEEEZZNS1_27merge_sort_block_merge_implIS3_N6thrust23THRUST_200600_302600_NS6detail15normal_iteratorINS9_10device_ptrIiEEEEPS5_jNS1_19radix_merge_compareILb1ELb0EiNS0_19identity_decomposerEEEEE10hipError_tT0_T1_T2_jT3_P12ihipStream_tbPNSt15iterator_traitsISK_E10value_typeEPNSQ_ISL_E10value_typeEPSM_NS1_7vsmem_tEENKUlT_SK_SL_SM_E_clIPiSE_SF_SF_EESJ_SZ_SK_SL_SM_EUlSZ_E0_NS1_11comp_targetILNS1_3genE2ELNS1_11target_archE906ELNS1_3gpuE6ELNS1_3repE0EEENS1_38merge_mergepath_config_static_selectorELNS0_4arch9wavefront6targetE0EEEvSL_.has_indirect_call, 0
	.section	.AMDGPU.csdata,"",@progbits
; Kernel info:
; codeLenInByte = 0
; TotalNumSgprs: 0
; NumVgprs: 0
; ScratchSize: 0
; MemoryBound: 0
; FloatMode: 240
; IeeeMode: 1
; LDSByteSize: 0 bytes/workgroup (compile time only)
; SGPRBlocks: 0
; VGPRBlocks: 0
; NumSGPRsForWavesPerEU: 1
; NumVGPRsForWavesPerEU: 1
; Occupancy: 16
; WaveLimiterHint : 0
; COMPUTE_PGM_RSRC2:SCRATCH_EN: 0
; COMPUTE_PGM_RSRC2:USER_SGPR: 6
; COMPUTE_PGM_RSRC2:TRAP_HANDLER: 0
; COMPUTE_PGM_RSRC2:TGID_X_EN: 1
; COMPUTE_PGM_RSRC2:TGID_Y_EN: 0
; COMPUTE_PGM_RSRC2:TGID_Z_EN: 0
; COMPUTE_PGM_RSRC2:TIDIG_COMP_CNT: 0
	.section	.text._ZN7rocprim17ROCPRIM_400000_NS6detail17trampoline_kernelINS0_14default_configENS1_38merge_sort_block_merge_config_selectorIiNS0_10empty_typeEEEZZNS1_27merge_sort_block_merge_implIS3_N6thrust23THRUST_200600_302600_NS6detail15normal_iteratorINS9_10device_ptrIiEEEEPS5_jNS1_19radix_merge_compareILb1ELb0EiNS0_19identity_decomposerEEEEE10hipError_tT0_T1_T2_jT3_P12ihipStream_tbPNSt15iterator_traitsISK_E10value_typeEPNSQ_ISL_E10value_typeEPSM_NS1_7vsmem_tEENKUlT_SK_SL_SM_E_clIPiSE_SF_SF_EESJ_SZ_SK_SL_SM_EUlSZ_E0_NS1_11comp_targetILNS1_3genE9ELNS1_11target_archE1100ELNS1_3gpuE3ELNS1_3repE0EEENS1_38merge_mergepath_config_static_selectorELNS0_4arch9wavefront6targetE0EEEvSL_,"axG",@progbits,_ZN7rocprim17ROCPRIM_400000_NS6detail17trampoline_kernelINS0_14default_configENS1_38merge_sort_block_merge_config_selectorIiNS0_10empty_typeEEEZZNS1_27merge_sort_block_merge_implIS3_N6thrust23THRUST_200600_302600_NS6detail15normal_iteratorINS9_10device_ptrIiEEEEPS5_jNS1_19radix_merge_compareILb1ELb0EiNS0_19identity_decomposerEEEEE10hipError_tT0_T1_T2_jT3_P12ihipStream_tbPNSt15iterator_traitsISK_E10value_typeEPNSQ_ISL_E10value_typeEPSM_NS1_7vsmem_tEENKUlT_SK_SL_SM_E_clIPiSE_SF_SF_EESJ_SZ_SK_SL_SM_EUlSZ_E0_NS1_11comp_targetILNS1_3genE9ELNS1_11target_archE1100ELNS1_3gpuE3ELNS1_3repE0EEENS1_38merge_mergepath_config_static_selectorELNS0_4arch9wavefront6targetE0EEEvSL_,comdat
	.protected	_ZN7rocprim17ROCPRIM_400000_NS6detail17trampoline_kernelINS0_14default_configENS1_38merge_sort_block_merge_config_selectorIiNS0_10empty_typeEEEZZNS1_27merge_sort_block_merge_implIS3_N6thrust23THRUST_200600_302600_NS6detail15normal_iteratorINS9_10device_ptrIiEEEEPS5_jNS1_19radix_merge_compareILb1ELb0EiNS0_19identity_decomposerEEEEE10hipError_tT0_T1_T2_jT3_P12ihipStream_tbPNSt15iterator_traitsISK_E10value_typeEPNSQ_ISL_E10value_typeEPSM_NS1_7vsmem_tEENKUlT_SK_SL_SM_E_clIPiSE_SF_SF_EESJ_SZ_SK_SL_SM_EUlSZ_E0_NS1_11comp_targetILNS1_3genE9ELNS1_11target_archE1100ELNS1_3gpuE3ELNS1_3repE0EEENS1_38merge_mergepath_config_static_selectorELNS0_4arch9wavefront6targetE0EEEvSL_ ; -- Begin function _ZN7rocprim17ROCPRIM_400000_NS6detail17trampoline_kernelINS0_14default_configENS1_38merge_sort_block_merge_config_selectorIiNS0_10empty_typeEEEZZNS1_27merge_sort_block_merge_implIS3_N6thrust23THRUST_200600_302600_NS6detail15normal_iteratorINS9_10device_ptrIiEEEEPS5_jNS1_19radix_merge_compareILb1ELb0EiNS0_19identity_decomposerEEEEE10hipError_tT0_T1_T2_jT3_P12ihipStream_tbPNSt15iterator_traitsISK_E10value_typeEPNSQ_ISL_E10value_typeEPSM_NS1_7vsmem_tEENKUlT_SK_SL_SM_E_clIPiSE_SF_SF_EESJ_SZ_SK_SL_SM_EUlSZ_E0_NS1_11comp_targetILNS1_3genE9ELNS1_11target_archE1100ELNS1_3gpuE3ELNS1_3repE0EEENS1_38merge_mergepath_config_static_selectorELNS0_4arch9wavefront6targetE0EEEvSL_
	.globl	_ZN7rocprim17ROCPRIM_400000_NS6detail17trampoline_kernelINS0_14default_configENS1_38merge_sort_block_merge_config_selectorIiNS0_10empty_typeEEEZZNS1_27merge_sort_block_merge_implIS3_N6thrust23THRUST_200600_302600_NS6detail15normal_iteratorINS9_10device_ptrIiEEEEPS5_jNS1_19radix_merge_compareILb1ELb0EiNS0_19identity_decomposerEEEEE10hipError_tT0_T1_T2_jT3_P12ihipStream_tbPNSt15iterator_traitsISK_E10value_typeEPNSQ_ISL_E10value_typeEPSM_NS1_7vsmem_tEENKUlT_SK_SL_SM_E_clIPiSE_SF_SF_EESJ_SZ_SK_SL_SM_EUlSZ_E0_NS1_11comp_targetILNS1_3genE9ELNS1_11target_archE1100ELNS1_3gpuE3ELNS1_3repE0EEENS1_38merge_mergepath_config_static_selectorELNS0_4arch9wavefront6targetE0EEEvSL_
	.p2align	8
	.type	_ZN7rocprim17ROCPRIM_400000_NS6detail17trampoline_kernelINS0_14default_configENS1_38merge_sort_block_merge_config_selectorIiNS0_10empty_typeEEEZZNS1_27merge_sort_block_merge_implIS3_N6thrust23THRUST_200600_302600_NS6detail15normal_iteratorINS9_10device_ptrIiEEEEPS5_jNS1_19radix_merge_compareILb1ELb0EiNS0_19identity_decomposerEEEEE10hipError_tT0_T1_T2_jT3_P12ihipStream_tbPNSt15iterator_traitsISK_E10value_typeEPNSQ_ISL_E10value_typeEPSM_NS1_7vsmem_tEENKUlT_SK_SL_SM_E_clIPiSE_SF_SF_EESJ_SZ_SK_SL_SM_EUlSZ_E0_NS1_11comp_targetILNS1_3genE9ELNS1_11target_archE1100ELNS1_3gpuE3ELNS1_3repE0EEENS1_38merge_mergepath_config_static_selectorELNS0_4arch9wavefront6targetE0EEEvSL_,@function
_ZN7rocprim17ROCPRIM_400000_NS6detail17trampoline_kernelINS0_14default_configENS1_38merge_sort_block_merge_config_selectorIiNS0_10empty_typeEEEZZNS1_27merge_sort_block_merge_implIS3_N6thrust23THRUST_200600_302600_NS6detail15normal_iteratorINS9_10device_ptrIiEEEEPS5_jNS1_19radix_merge_compareILb1ELb0EiNS0_19identity_decomposerEEEEE10hipError_tT0_T1_T2_jT3_P12ihipStream_tbPNSt15iterator_traitsISK_E10value_typeEPNSQ_ISL_E10value_typeEPSM_NS1_7vsmem_tEENKUlT_SK_SL_SM_E_clIPiSE_SF_SF_EESJ_SZ_SK_SL_SM_EUlSZ_E0_NS1_11comp_targetILNS1_3genE9ELNS1_11target_archE1100ELNS1_3gpuE3ELNS1_3repE0EEENS1_38merge_mergepath_config_static_selectorELNS0_4arch9wavefront6targetE0EEEvSL_: ; @_ZN7rocprim17ROCPRIM_400000_NS6detail17trampoline_kernelINS0_14default_configENS1_38merge_sort_block_merge_config_selectorIiNS0_10empty_typeEEEZZNS1_27merge_sort_block_merge_implIS3_N6thrust23THRUST_200600_302600_NS6detail15normal_iteratorINS9_10device_ptrIiEEEEPS5_jNS1_19radix_merge_compareILb1ELb0EiNS0_19identity_decomposerEEEEE10hipError_tT0_T1_T2_jT3_P12ihipStream_tbPNSt15iterator_traitsISK_E10value_typeEPNSQ_ISL_E10value_typeEPSM_NS1_7vsmem_tEENKUlT_SK_SL_SM_E_clIPiSE_SF_SF_EESJ_SZ_SK_SL_SM_EUlSZ_E0_NS1_11comp_targetILNS1_3genE9ELNS1_11target_archE1100ELNS1_3gpuE3ELNS1_3repE0EEENS1_38merge_mergepath_config_static_selectorELNS0_4arch9wavefront6targetE0EEEvSL_
; %bb.0:
	.section	.rodata,"a",@progbits
	.p2align	6, 0x0
	.amdhsa_kernel _ZN7rocprim17ROCPRIM_400000_NS6detail17trampoline_kernelINS0_14default_configENS1_38merge_sort_block_merge_config_selectorIiNS0_10empty_typeEEEZZNS1_27merge_sort_block_merge_implIS3_N6thrust23THRUST_200600_302600_NS6detail15normal_iteratorINS9_10device_ptrIiEEEEPS5_jNS1_19radix_merge_compareILb1ELb0EiNS0_19identity_decomposerEEEEE10hipError_tT0_T1_T2_jT3_P12ihipStream_tbPNSt15iterator_traitsISK_E10value_typeEPNSQ_ISL_E10value_typeEPSM_NS1_7vsmem_tEENKUlT_SK_SL_SM_E_clIPiSE_SF_SF_EESJ_SZ_SK_SL_SM_EUlSZ_E0_NS1_11comp_targetILNS1_3genE9ELNS1_11target_archE1100ELNS1_3gpuE3ELNS1_3repE0EEENS1_38merge_mergepath_config_static_selectorELNS0_4arch9wavefront6targetE0EEEvSL_
		.amdhsa_group_segment_fixed_size 0
		.amdhsa_private_segment_fixed_size 0
		.amdhsa_kernarg_size 64
		.amdhsa_user_sgpr_count 6
		.amdhsa_user_sgpr_private_segment_buffer 1
		.amdhsa_user_sgpr_dispatch_ptr 0
		.amdhsa_user_sgpr_queue_ptr 0
		.amdhsa_user_sgpr_kernarg_segment_ptr 1
		.amdhsa_user_sgpr_dispatch_id 0
		.amdhsa_user_sgpr_flat_scratch_init 0
		.amdhsa_user_sgpr_private_segment_size 0
		.amdhsa_wavefront_size32 1
		.amdhsa_uses_dynamic_stack 0
		.amdhsa_system_sgpr_private_segment_wavefront_offset 0
		.amdhsa_system_sgpr_workgroup_id_x 1
		.amdhsa_system_sgpr_workgroup_id_y 0
		.amdhsa_system_sgpr_workgroup_id_z 0
		.amdhsa_system_sgpr_workgroup_info 0
		.amdhsa_system_vgpr_workitem_id 0
		.amdhsa_next_free_vgpr 1
		.amdhsa_next_free_sgpr 1
		.amdhsa_reserve_vcc 0
		.amdhsa_reserve_flat_scratch 0
		.amdhsa_float_round_mode_32 0
		.amdhsa_float_round_mode_16_64 0
		.amdhsa_float_denorm_mode_32 3
		.amdhsa_float_denorm_mode_16_64 3
		.amdhsa_dx10_clamp 1
		.amdhsa_ieee_mode 1
		.amdhsa_fp16_overflow 0
		.amdhsa_workgroup_processor_mode 1
		.amdhsa_memory_ordered 1
		.amdhsa_forward_progress 1
		.amdhsa_shared_vgpr_count 0
		.amdhsa_exception_fp_ieee_invalid_op 0
		.amdhsa_exception_fp_denorm_src 0
		.amdhsa_exception_fp_ieee_div_zero 0
		.amdhsa_exception_fp_ieee_overflow 0
		.amdhsa_exception_fp_ieee_underflow 0
		.amdhsa_exception_fp_ieee_inexact 0
		.amdhsa_exception_int_div_zero 0
	.end_amdhsa_kernel
	.section	.text._ZN7rocprim17ROCPRIM_400000_NS6detail17trampoline_kernelINS0_14default_configENS1_38merge_sort_block_merge_config_selectorIiNS0_10empty_typeEEEZZNS1_27merge_sort_block_merge_implIS3_N6thrust23THRUST_200600_302600_NS6detail15normal_iteratorINS9_10device_ptrIiEEEEPS5_jNS1_19radix_merge_compareILb1ELb0EiNS0_19identity_decomposerEEEEE10hipError_tT0_T1_T2_jT3_P12ihipStream_tbPNSt15iterator_traitsISK_E10value_typeEPNSQ_ISL_E10value_typeEPSM_NS1_7vsmem_tEENKUlT_SK_SL_SM_E_clIPiSE_SF_SF_EESJ_SZ_SK_SL_SM_EUlSZ_E0_NS1_11comp_targetILNS1_3genE9ELNS1_11target_archE1100ELNS1_3gpuE3ELNS1_3repE0EEENS1_38merge_mergepath_config_static_selectorELNS0_4arch9wavefront6targetE0EEEvSL_,"axG",@progbits,_ZN7rocprim17ROCPRIM_400000_NS6detail17trampoline_kernelINS0_14default_configENS1_38merge_sort_block_merge_config_selectorIiNS0_10empty_typeEEEZZNS1_27merge_sort_block_merge_implIS3_N6thrust23THRUST_200600_302600_NS6detail15normal_iteratorINS9_10device_ptrIiEEEEPS5_jNS1_19radix_merge_compareILb1ELb0EiNS0_19identity_decomposerEEEEE10hipError_tT0_T1_T2_jT3_P12ihipStream_tbPNSt15iterator_traitsISK_E10value_typeEPNSQ_ISL_E10value_typeEPSM_NS1_7vsmem_tEENKUlT_SK_SL_SM_E_clIPiSE_SF_SF_EESJ_SZ_SK_SL_SM_EUlSZ_E0_NS1_11comp_targetILNS1_3genE9ELNS1_11target_archE1100ELNS1_3gpuE3ELNS1_3repE0EEENS1_38merge_mergepath_config_static_selectorELNS0_4arch9wavefront6targetE0EEEvSL_,comdat
.Lfunc_end236:
	.size	_ZN7rocprim17ROCPRIM_400000_NS6detail17trampoline_kernelINS0_14default_configENS1_38merge_sort_block_merge_config_selectorIiNS0_10empty_typeEEEZZNS1_27merge_sort_block_merge_implIS3_N6thrust23THRUST_200600_302600_NS6detail15normal_iteratorINS9_10device_ptrIiEEEEPS5_jNS1_19radix_merge_compareILb1ELb0EiNS0_19identity_decomposerEEEEE10hipError_tT0_T1_T2_jT3_P12ihipStream_tbPNSt15iterator_traitsISK_E10value_typeEPNSQ_ISL_E10value_typeEPSM_NS1_7vsmem_tEENKUlT_SK_SL_SM_E_clIPiSE_SF_SF_EESJ_SZ_SK_SL_SM_EUlSZ_E0_NS1_11comp_targetILNS1_3genE9ELNS1_11target_archE1100ELNS1_3gpuE3ELNS1_3repE0EEENS1_38merge_mergepath_config_static_selectorELNS0_4arch9wavefront6targetE0EEEvSL_, .Lfunc_end236-_ZN7rocprim17ROCPRIM_400000_NS6detail17trampoline_kernelINS0_14default_configENS1_38merge_sort_block_merge_config_selectorIiNS0_10empty_typeEEEZZNS1_27merge_sort_block_merge_implIS3_N6thrust23THRUST_200600_302600_NS6detail15normal_iteratorINS9_10device_ptrIiEEEEPS5_jNS1_19radix_merge_compareILb1ELb0EiNS0_19identity_decomposerEEEEE10hipError_tT0_T1_T2_jT3_P12ihipStream_tbPNSt15iterator_traitsISK_E10value_typeEPNSQ_ISL_E10value_typeEPSM_NS1_7vsmem_tEENKUlT_SK_SL_SM_E_clIPiSE_SF_SF_EESJ_SZ_SK_SL_SM_EUlSZ_E0_NS1_11comp_targetILNS1_3genE9ELNS1_11target_archE1100ELNS1_3gpuE3ELNS1_3repE0EEENS1_38merge_mergepath_config_static_selectorELNS0_4arch9wavefront6targetE0EEEvSL_
                                        ; -- End function
	.set _ZN7rocprim17ROCPRIM_400000_NS6detail17trampoline_kernelINS0_14default_configENS1_38merge_sort_block_merge_config_selectorIiNS0_10empty_typeEEEZZNS1_27merge_sort_block_merge_implIS3_N6thrust23THRUST_200600_302600_NS6detail15normal_iteratorINS9_10device_ptrIiEEEEPS5_jNS1_19radix_merge_compareILb1ELb0EiNS0_19identity_decomposerEEEEE10hipError_tT0_T1_T2_jT3_P12ihipStream_tbPNSt15iterator_traitsISK_E10value_typeEPNSQ_ISL_E10value_typeEPSM_NS1_7vsmem_tEENKUlT_SK_SL_SM_E_clIPiSE_SF_SF_EESJ_SZ_SK_SL_SM_EUlSZ_E0_NS1_11comp_targetILNS1_3genE9ELNS1_11target_archE1100ELNS1_3gpuE3ELNS1_3repE0EEENS1_38merge_mergepath_config_static_selectorELNS0_4arch9wavefront6targetE0EEEvSL_.num_vgpr, 0
	.set _ZN7rocprim17ROCPRIM_400000_NS6detail17trampoline_kernelINS0_14default_configENS1_38merge_sort_block_merge_config_selectorIiNS0_10empty_typeEEEZZNS1_27merge_sort_block_merge_implIS3_N6thrust23THRUST_200600_302600_NS6detail15normal_iteratorINS9_10device_ptrIiEEEEPS5_jNS1_19radix_merge_compareILb1ELb0EiNS0_19identity_decomposerEEEEE10hipError_tT0_T1_T2_jT3_P12ihipStream_tbPNSt15iterator_traitsISK_E10value_typeEPNSQ_ISL_E10value_typeEPSM_NS1_7vsmem_tEENKUlT_SK_SL_SM_E_clIPiSE_SF_SF_EESJ_SZ_SK_SL_SM_EUlSZ_E0_NS1_11comp_targetILNS1_3genE9ELNS1_11target_archE1100ELNS1_3gpuE3ELNS1_3repE0EEENS1_38merge_mergepath_config_static_selectorELNS0_4arch9wavefront6targetE0EEEvSL_.num_agpr, 0
	.set _ZN7rocprim17ROCPRIM_400000_NS6detail17trampoline_kernelINS0_14default_configENS1_38merge_sort_block_merge_config_selectorIiNS0_10empty_typeEEEZZNS1_27merge_sort_block_merge_implIS3_N6thrust23THRUST_200600_302600_NS6detail15normal_iteratorINS9_10device_ptrIiEEEEPS5_jNS1_19radix_merge_compareILb1ELb0EiNS0_19identity_decomposerEEEEE10hipError_tT0_T1_T2_jT3_P12ihipStream_tbPNSt15iterator_traitsISK_E10value_typeEPNSQ_ISL_E10value_typeEPSM_NS1_7vsmem_tEENKUlT_SK_SL_SM_E_clIPiSE_SF_SF_EESJ_SZ_SK_SL_SM_EUlSZ_E0_NS1_11comp_targetILNS1_3genE9ELNS1_11target_archE1100ELNS1_3gpuE3ELNS1_3repE0EEENS1_38merge_mergepath_config_static_selectorELNS0_4arch9wavefront6targetE0EEEvSL_.numbered_sgpr, 0
	.set _ZN7rocprim17ROCPRIM_400000_NS6detail17trampoline_kernelINS0_14default_configENS1_38merge_sort_block_merge_config_selectorIiNS0_10empty_typeEEEZZNS1_27merge_sort_block_merge_implIS3_N6thrust23THRUST_200600_302600_NS6detail15normal_iteratorINS9_10device_ptrIiEEEEPS5_jNS1_19radix_merge_compareILb1ELb0EiNS0_19identity_decomposerEEEEE10hipError_tT0_T1_T2_jT3_P12ihipStream_tbPNSt15iterator_traitsISK_E10value_typeEPNSQ_ISL_E10value_typeEPSM_NS1_7vsmem_tEENKUlT_SK_SL_SM_E_clIPiSE_SF_SF_EESJ_SZ_SK_SL_SM_EUlSZ_E0_NS1_11comp_targetILNS1_3genE9ELNS1_11target_archE1100ELNS1_3gpuE3ELNS1_3repE0EEENS1_38merge_mergepath_config_static_selectorELNS0_4arch9wavefront6targetE0EEEvSL_.num_named_barrier, 0
	.set _ZN7rocprim17ROCPRIM_400000_NS6detail17trampoline_kernelINS0_14default_configENS1_38merge_sort_block_merge_config_selectorIiNS0_10empty_typeEEEZZNS1_27merge_sort_block_merge_implIS3_N6thrust23THRUST_200600_302600_NS6detail15normal_iteratorINS9_10device_ptrIiEEEEPS5_jNS1_19radix_merge_compareILb1ELb0EiNS0_19identity_decomposerEEEEE10hipError_tT0_T1_T2_jT3_P12ihipStream_tbPNSt15iterator_traitsISK_E10value_typeEPNSQ_ISL_E10value_typeEPSM_NS1_7vsmem_tEENKUlT_SK_SL_SM_E_clIPiSE_SF_SF_EESJ_SZ_SK_SL_SM_EUlSZ_E0_NS1_11comp_targetILNS1_3genE9ELNS1_11target_archE1100ELNS1_3gpuE3ELNS1_3repE0EEENS1_38merge_mergepath_config_static_selectorELNS0_4arch9wavefront6targetE0EEEvSL_.private_seg_size, 0
	.set _ZN7rocprim17ROCPRIM_400000_NS6detail17trampoline_kernelINS0_14default_configENS1_38merge_sort_block_merge_config_selectorIiNS0_10empty_typeEEEZZNS1_27merge_sort_block_merge_implIS3_N6thrust23THRUST_200600_302600_NS6detail15normal_iteratorINS9_10device_ptrIiEEEEPS5_jNS1_19radix_merge_compareILb1ELb0EiNS0_19identity_decomposerEEEEE10hipError_tT0_T1_T2_jT3_P12ihipStream_tbPNSt15iterator_traitsISK_E10value_typeEPNSQ_ISL_E10value_typeEPSM_NS1_7vsmem_tEENKUlT_SK_SL_SM_E_clIPiSE_SF_SF_EESJ_SZ_SK_SL_SM_EUlSZ_E0_NS1_11comp_targetILNS1_3genE9ELNS1_11target_archE1100ELNS1_3gpuE3ELNS1_3repE0EEENS1_38merge_mergepath_config_static_selectorELNS0_4arch9wavefront6targetE0EEEvSL_.uses_vcc, 0
	.set _ZN7rocprim17ROCPRIM_400000_NS6detail17trampoline_kernelINS0_14default_configENS1_38merge_sort_block_merge_config_selectorIiNS0_10empty_typeEEEZZNS1_27merge_sort_block_merge_implIS3_N6thrust23THRUST_200600_302600_NS6detail15normal_iteratorINS9_10device_ptrIiEEEEPS5_jNS1_19radix_merge_compareILb1ELb0EiNS0_19identity_decomposerEEEEE10hipError_tT0_T1_T2_jT3_P12ihipStream_tbPNSt15iterator_traitsISK_E10value_typeEPNSQ_ISL_E10value_typeEPSM_NS1_7vsmem_tEENKUlT_SK_SL_SM_E_clIPiSE_SF_SF_EESJ_SZ_SK_SL_SM_EUlSZ_E0_NS1_11comp_targetILNS1_3genE9ELNS1_11target_archE1100ELNS1_3gpuE3ELNS1_3repE0EEENS1_38merge_mergepath_config_static_selectorELNS0_4arch9wavefront6targetE0EEEvSL_.uses_flat_scratch, 0
	.set _ZN7rocprim17ROCPRIM_400000_NS6detail17trampoline_kernelINS0_14default_configENS1_38merge_sort_block_merge_config_selectorIiNS0_10empty_typeEEEZZNS1_27merge_sort_block_merge_implIS3_N6thrust23THRUST_200600_302600_NS6detail15normal_iteratorINS9_10device_ptrIiEEEEPS5_jNS1_19radix_merge_compareILb1ELb0EiNS0_19identity_decomposerEEEEE10hipError_tT0_T1_T2_jT3_P12ihipStream_tbPNSt15iterator_traitsISK_E10value_typeEPNSQ_ISL_E10value_typeEPSM_NS1_7vsmem_tEENKUlT_SK_SL_SM_E_clIPiSE_SF_SF_EESJ_SZ_SK_SL_SM_EUlSZ_E0_NS1_11comp_targetILNS1_3genE9ELNS1_11target_archE1100ELNS1_3gpuE3ELNS1_3repE0EEENS1_38merge_mergepath_config_static_selectorELNS0_4arch9wavefront6targetE0EEEvSL_.has_dyn_sized_stack, 0
	.set _ZN7rocprim17ROCPRIM_400000_NS6detail17trampoline_kernelINS0_14default_configENS1_38merge_sort_block_merge_config_selectorIiNS0_10empty_typeEEEZZNS1_27merge_sort_block_merge_implIS3_N6thrust23THRUST_200600_302600_NS6detail15normal_iteratorINS9_10device_ptrIiEEEEPS5_jNS1_19radix_merge_compareILb1ELb0EiNS0_19identity_decomposerEEEEE10hipError_tT0_T1_T2_jT3_P12ihipStream_tbPNSt15iterator_traitsISK_E10value_typeEPNSQ_ISL_E10value_typeEPSM_NS1_7vsmem_tEENKUlT_SK_SL_SM_E_clIPiSE_SF_SF_EESJ_SZ_SK_SL_SM_EUlSZ_E0_NS1_11comp_targetILNS1_3genE9ELNS1_11target_archE1100ELNS1_3gpuE3ELNS1_3repE0EEENS1_38merge_mergepath_config_static_selectorELNS0_4arch9wavefront6targetE0EEEvSL_.has_recursion, 0
	.set _ZN7rocprim17ROCPRIM_400000_NS6detail17trampoline_kernelINS0_14default_configENS1_38merge_sort_block_merge_config_selectorIiNS0_10empty_typeEEEZZNS1_27merge_sort_block_merge_implIS3_N6thrust23THRUST_200600_302600_NS6detail15normal_iteratorINS9_10device_ptrIiEEEEPS5_jNS1_19radix_merge_compareILb1ELb0EiNS0_19identity_decomposerEEEEE10hipError_tT0_T1_T2_jT3_P12ihipStream_tbPNSt15iterator_traitsISK_E10value_typeEPNSQ_ISL_E10value_typeEPSM_NS1_7vsmem_tEENKUlT_SK_SL_SM_E_clIPiSE_SF_SF_EESJ_SZ_SK_SL_SM_EUlSZ_E0_NS1_11comp_targetILNS1_3genE9ELNS1_11target_archE1100ELNS1_3gpuE3ELNS1_3repE0EEENS1_38merge_mergepath_config_static_selectorELNS0_4arch9wavefront6targetE0EEEvSL_.has_indirect_call, 0
	.section	.AMDGPU.csdata,"",@progbits
; Kernel info:
; codeLenInByte = 0
; TotalNumSgprs: 0
; NumVgprs: 0
; ScratchSize: 0
; MemoryBound: 0
; FloatMode: 240
; IeeeMode: 1
; LDSByteSize: 0 bytes/workgroup (compile time only)
; SGPRBlocks: 0
; VGPRBlocks: 0
; NumSGPRsForWavesPerEU: 1
; NumVGPRsForWavesPerEU: 1
; Occupancy: 16
; WaveLimiterHint : 0
; COMPUTE_PGM_RSRC2:SCRATCH_EN: 0
; COMPUTE_PGM_RSRC2:USER_SGPR: 6
; COMPUTE_PGM_RSRC2:TRAP_HANDLER: 0
; COMPUTE_PGM_RSRC2:TGID_X_EN: 1
; COMPUTE_PGM_RSRC2:TGID_Y_EN: 0
; COMPUTE_PGM_RSRC2:TGID_Z_EN: 0
; COMPUTE_PGM_RSRC2:TIDIG_COMP_CNT: 0
	.section	.text._ZN7rocprim17ROCPRIM_400000_NS6detail17trampoline_kernelINS0_14default_configENS1_38merge_sort_block_merge_config_selectorIiNS0_10empty_typeEEEZZNS1_27merge_sort_block_merge_implIS3_N6thrust23THRUST_200600_302600_NS6detail15normal_iteratorINS9_10device_ptrIiEEEEPS5_jNS1_19radix_merge_compareILb1ELb0EiNS0_19identity_decomposerEEEEE10hipError_tT0_T1_T2_jT3_P12ihipStream_tbPNSt15iterator_traitsISK_E10value_typeEPNSQ_ISL_E10value_typeEPSM_NS1_7vsmem_tEENKUlT_SK_SL_SM_E_clIPiSE_SF_SF_EESJ_SZ_SK_SL_SM_EUlSZ_E0_NS1_11comp_targetILNS1_3genE8ELNS1_11target_archE1030ELNS1_3gpuE2ELNS1_3repE0EEENS1_38merge_mergepath_config_static_selectorELNS0_4arch9wavefront6targetE0EEEvSL_,"axG",@progbits,_ZN7rocprim17ROCPRIM_400000_NS6detail17trampoline_kernelINS0_14default_configENS1_38merge_sort_block_merge_config_selectorIiNS0_10empty_typeEEEZZNS1_27merge_sort_block_merge_implIS3_N6thrust23THRUST_200600_302600_NS6detail15normal_iteratorINS9_10device_ptrIiEEEEPS5_jNS1_19radix_merge_compareILb1ELb0EiNS0_19identity_decomposerEEEEE10hipError_tT0_T1_T2_jT3_P12ihipStream_tbPNSt15iterator_traitsISK_E10value_typeEPNSQ_ISL_E10value_typeEPSM_NS1_7vsmem_tEENKUlT_SK_SL_SM_E_clIPiSE_SF_SF_EESJ_SZ_SK_SL_SM_EUlSZ_E0_NS1_11comp_targetILNS1_3genE8ELNS1_11target_archE1030ELNS1_3gpuE2ELNS1_3repE0EEENS1_38merge_mergepath_config_static_selectorELNS0_4arch9wavefront6targetE0EEEvSL_,comdat
	.protected	_ZN7rocprim17ROCPRIM_400000_NS6detail17trampoline_kernelINS0_14default_configENS1_38merge_sort_block_merge_config_selectorIiNS0_10empty_typeEEEZZNS1_27merge_sort_block_merge_implIS3_N6thrust23THRUST_200600_302600_NS6detail15normal_iteratorINS9_10device_ptrIiEEEEPS5_jNS1_19radix_merge_compareILb1ELb0EiNS0_19identity_decomposerEEEEE10hipError_tT0_T1_T2_jT3_P12ihipStream_tbPNSt15iterator_traitsISK_E10value_typeEPNSQ_ISL_E10value_typeEPSM_NS1_7vsmem_tEENKUlT_SK_SL_SM_E_clIPiSE_SF_SF_EESJ_SZ_SK_SL_SM_EUlSZ_E0_NS1_11comp_targetILNS1_3genE8ELNS1_11target_archE1030ELNS1_3gpuE2ELNS1_3repE0EEENS1_38merge_mergepath_config_static_selectorELNS0_4arch9wavefront6targetE0EEEvSL_ ; -- Begin function _ZN7rocprim17ROCPRIM_400000_NS6detail17trampoline_kernelINS0_14default_configENS1_38merge_sort_block_merge_config_selectorIiNS0_10empty_typeEEEZZNS1_27merge_sort_block_merge_implIS3_N6thrust23THRUST_200600_302600_NS6detail15normal_iteratorINS9_10device_ptrIiEEEEPS5_jNS1_19radix_merge_compareILb1ELb0EiNS0_19identity_decomposerEEEEE10hipError_tT0_T1_T2_jT3_P12ihipStream_tbPNSt15iterator_traitsISK_E10value_typeEPNSQ_ISL_E10value_typeEPSM_NS1_7vsmem_tEENKUlT_SK_SL_SM_E_clIPiSE_SF_SF_EESJ_SZ_SK_SL_SM_EUlSZ_E0_NS1_11comp_targetILNS1_3genE8ELNS1_11target_archE1030ELNS1_3gpuE2ELNS1_3repE0EEENS1_38merge_mergepath_config_static_selectorELNS0_4arch9wavefront6targetE0EEEvSL_
	.globl	_ZN7rocprim17ROCPRIM_400000_NS6detail17trampoline_kernelINS0_14default_configENS1_38merge_sort_block_merge_config_selectorIiNS0_10empty_typeEEEZZNS1_27merge_sort_block_merge_implIS3_N6thrust23THRUST_200600_302600_NS6detail15normal_iteratorINS9_10device_ptrIiEEEEPS5_jNS1_19radix_merge_compareILb1ELb0EiNS0_19identity_decomposerEEEEE10hipError_tT0_T1_T2_jT3_P12ihipStream_tbPNSt15iterator_traitsISK_E10value_typeEPNSQ_ISL_E10value_typeEPSM_NS1_7vsmem_tEENKUlT_SK_SL_SM_E_clIPiSE_SF_SF_EESJ_SZ_SK_SL_SM_EUlSZ_E0_NS1_11comp_targetILNS1_3genE8ELNS1_11target_archE1030ELNS1_3gpuE2ELNS1_3repE0EEENS1_38merge_mergepath_config_static_selectorELNS0_4arch9wavefront6targetE0EEEvSL_
	.p2align	8
	.type	_ZN7rocprim17ROCPRIM_400000_NS6detail17trampoline_kernelINS0_14default_configENS1_38merge_sort_block_merge_config_selectorIiNS0_10empty_typeEEEZZNS1_27merge_sort_block_merge_implIS3_N6thrust23THRUST_200600_302600_NS6detail15normal_iteratorINS9_10device_ptrIiEEEEPS5_jNS1_19radix_merge_compareILb1ELb0EiNS0_19identity_decomposerEEEEE10hipError_tT0_T1_T2_jT3_P12ihipStream_tbPNSt15iterator_traitsISK_E10value_typeEPNSQ_ISL_E10value_typeEPSM_NS1_7vsmem_tEENKUlT_SK_SL_SM_E_clIPiSE_SF_SF_EESJ_SZ_SK_SL_SM_EUlSZ_E0_NS1_11comp_targetILNS1_3genE8ELNS1_11target_archE1030ELNS1_3gpuE2ELNS1_3repE0EEENS1_38merge_mergepath_config_static_selectorELNS0_4arch9wavefront6targetE0EEEvSL_,@function
_ZN7rocprim17ROCPRIM_400000_NS6detail17trampoline_kernelINS0_14default_configENS1_38merge_sort_block_merge_config_selectorIiNS0_10empty_typeEEEZZNS1_27merge_sort_block_merge_implIS3_N6thrust23THRUST_200600_302600_NS6detail15normal_iteratorINS9_10device_ptrIiEEEEPS5_jNS1_19radix_merge_compareILb1ELb0EiNS0_19identity_decomposerEEEEE10hipError_tT0_T1_T2_jT3_P12ihipStream_tbPNSt15iterator_traitsISK_E10value_typeEPNSQ_ISL_E10value_typeEPSM_NS1_7vsmem_tEENKUlT_SK_SL_SM_E_clIPiSE_SF_SF_EESJ_SZ_SK_SL_SM_EUlSZ_E0_NS1_11comp_targetILNS1_3genE8ELNS1_11target_archE1030ELNS1_3gpuE2ELNS1_3repE0EEENS1_38merge_mergepath_config_static_selectorELNS0_4arch9wavefront6targetE0EEEvSL_: ; @_ZN7rocprim17ROCPRIM_400000_NS6detail17trampoline_kernelINS0_14default_configENS1_38merge_sort_block_merge_config_selectorIiNS0_10empty_typeEEEZZNS1_27merge_sort_block_merge_implIS3_N6thrust23THRUST_200600_302600_NS6detail15normal_iteratorINS9_10device_ptrIiEEEEPS5_jNS1_19radix_merge_compareILb1ELb0EiNS0_19identity_decomposerEEEEE10hipError_tT0_T1_T2_jT3_P12ihipStream_tbPNSt15iterator_traitsISK_E10value_typeEPNSQ_ISL_E10value_typeEPSM_NS1_7vsmem_tEENKUlT_SK_SL_SM_E_clIPiSE_SF_SF_EESJ_SZ_SK_SL_SM_EUlSZ_E0_NS1_11comp_targetILNS1_3genE8ELNS1_11target_archE1030ELNS1_3gpuE2ELNS1_3repE0EEENS1_38merge_mergepath_config_static_selectorELNS0_4arch9wavefront6targetE0EEEvSL_
; %bb.0:
	s_clause 0x1
	s_load_dwordx2 s[12:13], s[4:5], 0x40
	s_load_dword s1, s[4:5], 0x30
	s_add_u32 s2, s4, 64
	s_addc_u32 s3, s5, 0
	s_waitcnt lgkmcnt(0)
	s_mul_i32 s0, s13, s8
	s_add_i32 s0, s0, s7
	s_mul_i32 s0, s0, s12
	s_add_i32 s0, s0, s6
	s_cmp_ge_u32 s0, s1
	s_cbranch_scc1 .LBB237_27
; %bb.1:
	s_clause 0x2
	s_load_dwordx2 s[8:9], s[4:5], 0x28
	s_load_dwordx2 s[10:11], s[4:5], 0x38
	;; [unrolled: 1-line block ×3, first 2 shown]
	s_mov_b32 s1, 0
	v_mov_b32_e32 v4, 0
	s_mov_b32 s21, s1
	v_lshlrev_b32_e32 v5, 2, v0
                                        ; implicit-def: $vgpr6
	global_load_dword v1, v4, s[2:3] offset:14
	s_waitcnt lgkmcnt(0)
	s_lshr_b32 s22, s8, 10
	s_cmp_lg_u32 s0, s22
	s_cselect_b32 s7, -1, 0
	s_lshl_b64 s[14:15], s[0:1], 2
	s_add_u32 s10, s10, s14
	s_addc_u32 s11, s11, s15
	s_load_dwordx2 s[14:15], s[10:11], 0x0
	s_lshr_b32 s10, s9, 9
	s_and_b32 s10, s10, 0x7ffffe
	s_sub_i32 s11, 0, s10
	s_lshl_b32 s10, s0, 10
	s_and_b32 s13, s0, s11
	s_or_b32 s11, s0, s11
	s_lshl_b32 s16, s13, 11
	s_lshl_b32 s13, s13, 10
	s_add_i32 s16, s16, s9
	s_sub_i32 s17, s10, s13
	s_sub_i32 s13, s16, s13
	s_add_i32 s16, s16, s17
	s_min_u32 s17, s8, s13
	s_add_i32 s13, s13, s9
	s_waitcnt lgkmcnt(0)
	s_sub_i32 s9, s16, s14
	s_sub_i32 s16, s16, s15
	s_min_u32 s20, s8, s9
	s_addk_i32 s16, 0x400
	s_cmp_eq_u32 s11, -1
	s_cselect_b32 s9, s13, s16
	s_cselect_b32 s11, s17, s15
	s_mov_b32 s15, s1
	s_min_u32 s1, s9, s8
	s_lshl_b64 s[16:17], s[14:15], 2
	s_sub_i32 s9, s11, s14
	s_sub_i32 s11, s1, s20
	s_add_u32 s15, s18, s16
	s_addc_u32 s16, s19, s17
	s_lshl_b64 s[20:21], s[20:21], 2
	s_add_u32 s13, s18, s20
	s_addc_u32 s14, s19, s21
	s_cmp_lt_u32 s6, s12
	s_cselect_b32 s1, 12, 18
	s_add_u32 s2, s2, s1
	s_addc_u32 s3, s3, 0
	s_cmp_eq_u32 s0, s22
	global_load_ushort v2, v4, s[2:3]
	s_mov_b32 s0, -1
	s_waitcnt vmcnt(1)
	v_lshrrev_b32_e32 v3, 16, v1
	v_and_b32_e32 v1, 0xffff, v1
	v_mul_lo_u32 v1, v1, v3
                                        ; implicit-def: $vgpr3
	s_waitcnt vmcnt(0)
	v_mul_lo_u32 v1, v1, v2
                                        ; implicit-def: $vgpr2
	v_add_nc_u32_e32 v1, v1, v0
	s_cbranch_scc1 .LBB237_3
; %bb.2:
	v_mov_b32_e32 v2, v4
	v_sub_co_u32 v3, vcc_lo, v0, s9
	v_add_co_u32 v10, s0, s15, v5
	v_lshlrev_b64 v[6:7], 2, v[1:2]
	v_add_co_ci_u32_e64 v11, null, s16, 0, s0
	v_lshlrev_b64 v[8:9], 2, v[3:4]
	v_add_co_u32 v6, s0, s15, v6
	v_add_co_ci_u32_e64 v7, null, s16, v7, s0
	v_sub_co_u32 v3, s0, v1, s9
	v_lshlrev_b64 v[2:3], 2, v[3:4]
	v_add_co_u32 v4, s1, s13, v8
	v_add_co_ci_u32_e64 v8, null, s14, v9, s1
	v_add_co_u32 v9, s1, s13, v2
	v_add_co_ci_u32_e64 v12, null, s14, v3, s1
	v_cndmask_b32_e32 v3, v8, v11, vcc_lo
	v_cndmask_b32_e32 v2, v4, v10, vcc_lo
	v_cndmask_b32_e64 v6, v9, v6, s0
	v_cndmask_b32_e64 v7, v12, v7, s0
	s_add_i32 s0, s11, s9
	global_load_dword v3, v[2:3], off
	global_load_dword v2, v[6:7], off
	v_mov_b32_e32 v6, s0
	s_mov_b32 s0, 0
.LBB237_3:
	s_load_dwordx2 s[4:5], s[4:5], 0x10
	s_andn2_b32 vcc_lo, exec_lo, s0
	s_cbranch_vccnz .LBB237_9
; %bb.4:
	s_waitcnt vmcnt(0)
	v_mov_b32_e32 v2, 0
	v_mov_b32_e32 v3, 0
	s_add_i32 s1, s11, s9
	s_mov_b32 s2, exec_lo
	v_cmpx_gt_u32_e64 s1, v0
	s_cbranch_execz .LBB237_6
; %bb.5:
	v_sub_co_u32 v3, vcc_lo, v0, s9
	v_mov_b32_e32 v4, 0
	v_add_co_u32 v6, s0, s15, v5
	v_add_co_ci_u32_e64 v7, null, s16, 0, s0
	v_lshlrev_b64 v[3:4], 2, v[3:4]
	v_add_co_u32 v3, s0, s13, v3
	v_add_co_ci_u32_e64 v4, null, s14, v4, s0
	v_cndmask_b32_e32 v3, v3, v6, vcc_lo
	v_cndmask_b32_e32 v4, v4, v7, vcc_lo
	global_load_dword v3, v[3:4], off
.LBB237_6:
	s_or_b32 exec_lo, exec_lo, s2
	s_mov_b32 s2, exec_lo
	v_cmpx_gt_u32_e64 s1, v1
	s_cbranch_execz .LBB237_8
; %bb.7:
	v_mov_b32_e32 v2, 0
	v_lshlrev_b64 v[6:7], 2, v[1:2]
	v_add_co_u32 v4, vcc_lo, s15, v6
	v_add_co_ci_u32_e64 v6, null, s16, v7, vcc_lo
	v_sub_co_u32 v1, vcc_lo, v1, s9
	v_lshlrev_b64 v[1:2], 2, v[1:2]
	v_add_co_u32 v1, s0, s13, v1
	v_add_co_ci_u32_e64 v2, null, s14, v2, s0
	v_cndmask_b32_e32 v1, v1, v4, vcc_lo
	v_cndmask_b32_e32 v2, v2, v6, vcc_lo
	global_load_dword v2, v[1:2], off
.LBB237_8:
	s_or_b32 exec_lo, exec_lo, s2
	v_mov_b32_e32 v6, s1
.LBB237_9:
	v_lshlrev_b32_e32 v1, 1, v0
	s_mov_b32 s0, exec_lo
	s_waitcnt vmcnt(0)
	ds_write2st64_b32 v5, v3, v2 offset1:8
	s_waitcnt lgkmcnt(0)
	s_barrier
	v_min_u32_e32 v7, v6, v1
	buffer_gl0_inv
	v_sub_nc_u32_e64 v4, v7, s11 clamp
	v_min_u32_e32 v8, s9, v7
	v_cmpx_lt_u32_e64 v4, v8
	s_cbranch_execz .LBB237_13
; %bb.10:
	v_lshlrev_b32_e32 v9, 2, v7
	s_mov_b32 s1, 0
	v_lshl_add_u32 v9, s9, 2, v9
	.p2align	6
.LBB237_11:                             ; =>This Inner Loop Header: Depth=1
	v_add_nc_u32_e32 v10, v8, v4
	v_lshrrev_b32_e32 v10, 1, v10
	v_not_b32_e32 v11, v10
	v_lshlrev_b32_e32 v12, 2, v10
	v_add_nc_u32_e32 v13, 1, v10
	v_lshl_add_u32 v11, v11, 2, v9
	ds_read_b32 v12, v12
	ds_read_b32 v11, v11
	s_waitcnt lgkmcnt(0)
	v_cmp_gt_i32_e32 vcc_lo, v11, v12
	v_cndmask_b32_e32 v8, v8, v10, vcc_lo
	v_cndmask_b32_e32 v4, v13, v4, vcc_lo
	v_cmp_ge_u32_e32 vcc_lo, v4, v8
	s_or_b32 s1, vcc_lo, s1
	s_andn2_b32 exec_lo, exec_lo, s1
	s_cbranch_execnz .LBB237_11
; %bb.12:
	s_or_b32 exec_lo, exec_lo, s1
.LBB237_13:
	s_or_b32 exec_lo, exec_lo, s0
	v_sub_nc_u32_e32 v7, v7, v4
	v_cmp_ge_u32_e32 vcc_lo, s9, v4
	v_add_nc_u32_e32 v7, s9, v7
	v_cmp_le_u32_e64 s0, v7, v6
	s_or_b32 s0, vcc_lo, s0
	s_and_saveexec_b32 s3, s0
	s_cbranch_execz .LBB237_19
; %bb.14:
	v_cmp_gt_u32_e32 vcc_lo, s9, v4
                                        ; implicit-def: $vgpr2
	s_and_saveexec_b32 s0, vcc_lo
; %bb.15:
	v_lshlrev_b32_e32 v2, 2, v4
	ds_read_b32 v2, v2
; %bb.16:
	s_or_b32 exec_lo, exec_lo, s0
	v_cmp_ge_u32_e64 s0, v7, v6
	s_mov_b32 s2, exec_lo
                                        ; implicit-def: $vgpr3
	v_cmpx_lt_u32_e64 v7, v6
; %bb.17:
	v_lshlrev_b32_e32 v3, 2, v7
	ds_read_b32 v3, v3
; %bb.18:
	s_or_b32 exec_lo, exec_lo, s2
	s_waitcnt lgkmcnt(0)
	v_cmp_le_i32_e64 s1, v3, v2
	s_and_b32 s1, vcc_lo, s1
	s_or_b32 vcc_lo, s0, s1
	v_cndmask_b32_e32 v8, v7, v4, vcc_lo
	v_cndmask_b32_e64 v9, v6, s9, vcc_lo
	v_add_nc_u32_e32 v8, 1, v8
	v_add_nc_u32_e32 v9, -1, v9
	v_cndmask_b32_e32 v4, v4, v8, vcc_lo
	v_min_u32_e32 v9, v8, v9
	v_cndmask_b32_e32 v7, v8, v7, vcc_lo
	v_cmp_gt_u32_e64 s0, s9, v4
	v_lshlrev_b32_e32 v9, 2, v9
	v_cmp_ge_u32_e64 s2, v7, v6
	ds_read_b32 v9, v9
	s_waitcnt lgkmcnt(0)
	v_cndmask_b32_e32 v10, v9, v3, vcc_lo
	v_cndmask_b32_e32 v9, v2, v9, vcc_lo
	v_cndmask_b32_e32 v3, v3, v2, vcc_lo
	v_cmp_le_i32_e64 s1, v10, v9
	s_and_b32 s0, s0, s1
	s_or_b32 vcc_lo, s2, s0
	v_cndmask_b32_e32 v2, v10, v9, vcc_lo
.LBB237_19:
	s_or_b32 exec_lo, exec_lo, s3
	v_lshrrev_b32_e32 v6, 2, v0
	v_or_b32_e32 v4, 0x200, v0
	v_lshrrev_b32_e32 v7, 3, v0
	s_mov_b32 s11, 0
	v_and_b32_e32 v6, 0x7c, v6
	v_lshrrev_b32_e32 v8, 3, v4
	s_lshl_b64 s[0:1], s[10:11], 2
	s_barrier
	s_add_u32 s0, s4, s0
	v_lshl_add_u32 v1, v1, 2, v6
	v_and_b32_e32 v6, 60, v7
	v_and_b32_e32 v7, 0x7c, v8
	buffer_gl0_inv
	s_barrier
	buffer_gl0_inv
	s_addc_u32 s1, s5, s1
	ds_write2_b32 v1, v3, v2 offset1:1
	v_add_co_u32 v1, s0, s0, v5
	v_add_nc_u32_e32 v6, v6, v5
	v_add_nc_u32_e32 v7, v7, v5
	v_add_co_ci_u32_e64 v2, null, s1, 0, s0
	s_and_b32 vcc_lo, exec_lo, s7
	s_waitcnt lgkmcnt(0)
	s_cbranch_vccz .LBB237_21
; %bb.20:
	s_barrier
	buffer_gl0_inv
	ds_read_b32 v5, v6
	ds_read_b32 v3, v7 offset:2048
	s_mov_b32 s11, -1
	s_waitcnt lgkmcnt(1)
	global_store_dword v[1:2], v5, off
	s_cbranch_execz .LBB237_22
	s_branch .LBB237_25
.LBB237_21:
                                        ; implicit-def: $vgpr3
.LBB237_22:
	s_barrier
	s_waitcnt lgkmcnt(0)
	s_waitcnt_vscnt null, 0x0
	buffer_gl0_inv
	ds_read_b32 v3, v7 offset:2048
	s_sub_i32 s0, s8, s10
	s_mov_b32 s1, exec_lo
	v_cmpx_gt_u32_e64 s0, v0
	s_cbranch_execz .LBB237_24
; %bb.23:
	ds_read_b32 v0, v6
	s_waitcnt lgkmcnt(0)
	global_store_dword v[1:2], v0, off
.LBB237_24:
	s_or_b32 exec_lo, exec_lo, s1
	v_cmp_gt_u32_e64 s11, s0, v4
.LBB237_25:
	s_and_saveexec_b32 s0, s11
	s_cbranch_execz .LBB237_27
; %bb.26:
	v_add_co_u32 v0, vcc_lo, 0x800, v1
	v_add_co_ci_u32_e64 v1, null, 0, v2, vcc_lo
	s_waitcnt lgkmcnt(0)
	global_store_dword v[0:1], v3, off
.LBB237_27:
	s_endpgm
	.section	.rodata,"a",@progbits
	.p2align	6, 0x0
	.amdhsa_kernel _ZN7rocprim17ROCPRIM_400000_NS6detail17trampoline_kernelINS0_14default_configENS1_38merge_sort_block_merge_config_selectorIiNS0_10empty_typeEEEZZNS1_27merge_sort_block_merge_implIS3_N6thrust23THRUST_200600_302600_NS6detail15normal_iteratorINS9_10device_ptrIiEEEEPS5_jNS1_19radix_merge_compareILb1ELb0EiNS0_19identity_decomposerEEEEE10hipError_tT0_T1_T2_jT3_P12ihipStream_tbPNSt15iterator_traitsISK_E10value_typeEPNSQ_ISL_E10value_typeEPSM_NS1_7vsmem_tEENKUlT_SK_SL_SM_E_clIPiSE_SF_SF_EESJ_SZ_SK_SL_SM_EUlSZ_E0_NS1_11comp_targetILNS1_3genE8ELNS1_11target_archE1030ELNS1_3gpuE2ELNS1_3repE0EEENS1_38merge_mergepath_config_static_selectorELNS0_4arch9wavefront6targetE0EEEvSL_
		.amdhsa_group_segment_fixed_size 4224
		.amdhsa_private_segment_fixed_size 0
		.amdhsa_kernarg_size 320
		.amdhsa_user_sgpr_count 6
		.amdhsa_user_sgpr_private_segment_buffer 1
		.amdhsa_user_sgpr_dispatch_ptr 0
		.amdhsa_user_sgpr_queue_ptr 0
		.amdhsa_user_sgpr_kernarg_segment_ptr 1
		.amdhsa_user_sgpr_dispatch_id 0
		.amdhsa_user_sgpr_flat_scratch_init 0
		.amdhsa_user_sgpr_private_segment_size 0
		.amdhsa_wavefront_size32 1
		.amdhsa_uses_dynamic_stack 0
		.amdhsa_system_sgpr_private_segment_wavefront_offset 0
		.amdhsa_system_sgpr_workgroup_id_x 1
		.amdhsa_system_sgpr_workgroup_id_y 1
		.amdhsa_system_sgpr_workgroup_id_z 1
		.amdhsa_system_sgpr_workgroup_info 0
		.amdhsa_system_vgpr_workitem_id 0
		.amdhsa_next_free_vgpr 14
		.amdhsa_next_free_sgpr 23
		.amdhsa_reserve_vcc 1
		.amdhsa_reserve_flat_scratch 0
		.amdhsa_float_round_mode_32 0
		.amdhsa_float_round_mode_16_64 0
		.amdhsa_float_denorm_mode_32 3
		.amdhsa_float_denorm_mode_16_64 3
		.amdhsa_dx10_clamp 1
		.amdhsa_ieee_mode 1
		.amdhsa_fp16_overflow 0
		.amdhsa_workgroup_processor_mode 1
		.amdhsa_memory_ordered 1
		.amdhsa_forward_progress 1
		.amdhsa_shared_vgpr_count 0
		.amdhsa_exception_fp_ieee_invalid_op 0
		.amdhsa_exception_fp_denorm_src 0
		.amdhsa_exception_fp_ieee_div_zero 0
		.amdhsa_exception_fp_ieee_overflow 0
		.amdhsa_exception_fp_ieee_underflow 0
		.amdhsa_exception_fp_ieee_inexact 0
		.amdhsa_exception_int_div_zero 0
	.end_amdhsa_kernel
	.section	.text._ZN7rocprim17ROCPRIM_400000_NS6detail17trampoline_kernelINS0_14default_configENS1_38merge_sort_block_merge_config_selectorIiNS0_10empty_typeEEEZZNS1_27merge_sort_block_merge_implIS3_N6thrust23THRUST_200600_302600_NS6detail15normal_iteratorINS9_10device_ptrIiEEEEPS5_jNS1_19radix_merge_compareILb1ELb0EiNS0_19identity_decomposerEEEEE10hipError_tT0_T1_T2_jT3_P12ihipStream_tbPNSt15iterator_traitsISK_E10value_typeEPNSQ_ISL_E10value_typeEPSM_NS1_7vsmem_tEENKUlT_SK_SL_SM_E_clIPiSE_SF_SF_EESJ_SZ_SK_SL_SM_EUlSZ_E0_NS1_11comp_targetILNS1_3genE8ELNS1_11target_archE1030ELNS1_3gpuE2ELNS1_3repE0EEENS1_38merge_mergepath_config_static_selectorELNS0_4arch9wavefront6targetE0EEEvSL_,"axG",@progbits,_ZN7rocprim17ROCPRIM_400000_NS6detail17trampoline_kernelINS0_14default_configENS1_38merge_sort_block_merge_config_selectorIiNS0_10empty_typeEEEZZNS1_27merge_sort_block_merge_implIS3_N6thrust23THRUST_200600_302600_NS6detail15normal_iteratorINS9_10device_ptrIiEEEEPS5_jNS1_19radix_merge_compareILb1ELb0EiNS0_19identity_decomposerEEEEE10hipError_tT0_T1_T2_jT3_P12ihipStream_tbPNSt15iterator_traitsISK_E10value_typeEPNSQ_ISL_E10value_typeEPSM_NS1_7vsmem_tEENKUlT_SK_SL_SM_E_clIPiSE_SF_SF_EESJ_SZ_SK_SL_SM_EUlSZ_E0_NS1_11comp_targetILNS1_3genE8ELNS1_11target_archE1030ELNS1_3gpuE2ELNS1_3repE0EEENS1_38merge_mergepath_config_static_selectorELNS0_4arch9wavefront6targetE0EEEvSL_,comdat
.Lfunc_end237:
	.size	_ZN7rocprim17ROCPRIM_400000_NS6detail17trampoline_kernelINS0_14default_configENS1_38merge_sort_block_merge_config_selectorIiNS0_10empty_typeEEEZZNS1_27merge_sort_block_merge_implIS3_N6thrust23THRUST_200600_302600_NS6detail15normal_iteratorINS9_10device_ptrIiEEEEPS5_jNS1_19radix_merge_compareILb1ELb0EiNS0_19identity_decomposerEEEEE10hipError_tT0_T1_T2_jT3_P12ihipStream_tbPNSt15iterator_traitsISK_E10value_typeEPNSQ_ISL_E10value_typeEPSM_NS1_7vsmem_tEENKUlT_SK_SL_SM_E_clIPiSE_SF_SF_EESJ_SZ_SK_SL_SM_EUlSZ_E0_NS1_11comp_targetILNS1_3genE8ELNS1_11target_archE1030ELNS1_3gpuE2ELNS1_3repE0EEENS1_38merge_mergepath_config_static_selectorELNS0_4arch9wavefront6targetE0EEEvSL_, .Lfunc_end237-_ZN7rocprim17ROCPRIM_400000_NS6detail17trampoline_kernelINS0_14default_configENS1_38merge_sort_block_merge_config_selectorIiNS0_10empty_typeEEEZZNS1_27merge_sort_block_merge_implIS3_N6thrust23THRUST_200600_302600_NS6detail15normal_iteratorINS9_10device_ptrIiEEEEPS5_jNS1_19radix_merge_compareILb1ELb0EiNS0_19identity_decomposerEEEEE10hipError_tT0_T1_T2_jT3_P12ihipStream_tbPNSt15iterator_traitsISK_E10value_typeEPNSQ_ISL_E10value_typeEPSM_NS1_7vsmem_tEENKUlT_SK_SL_SM_E_clIPiSE_SF_SF_EESJ_SZ_SK_SL_SM_EUlSZ_E0_NS1_11comp_targetILNS1_3genE8ELNS1_11target_archE1030ELNS1_3gpuE2ELNS1_3repE0EEENS1_38merge_mergepath_config_static_selectorELNS0_4arch9wavefront6targetE0EEEvSL_
                                        ; -- End function
	.set _ZN7rocprim17ROCPRIM_400000_NS6detail17trampoline_kernelINS0_14default_configENS1_38merge_sort_block_merge_config_selectorIiNS0_10empty_typeEEEZZNS1_27merge_sort_block_merge_implIS3_N6thrust23THRUST_200600_302600_NS6detail15normal_iteratorINS9_10device_ptrIiEEEEPS5_jNS1_19radix_merge_compareILb1ELb0EiNS0_19identity_decomposerEEEEE10hipError_tT0_T1_T2_jT3_P12ihipStream_tbPNSt15iterator_traitsISK_E10value_typeEPNSQ_ISL_E10value_typeEPSM_NS1_7vsmem_tEENKUlT_SK_SL_SM_E_clIPiSE_SF_SF_EESJ_SZ_SK_SL_SM_EUlSZ_E0_NS1_11comp_targetILNS1_3genE8ELNS1_11target_archE1030ELNS1_3gpuE2ELNS1_3repE0EEENS1_38merge_mergepath_config_static_selectorELNS0_4arch9wavefront6targetE0EEEvSL_.num_vgpr, 14
	.set _ZN7rocprim17ROCPRIM_400000_NS6detail17trampoline_kernelINS0_14default_configENS1_38merge_sort_block_merge_config_selectorIiNS0_10empty_typeEEEZZNS1_27merge_sort_block_merge_implIS3_N6thrust23THRUST_200600_302600_NS6detail15normal_iteratorINS9_10device_ptrIiEEEEPS5_jNS1_19radix_merge_compareILb1ELb0EiNS0_19identity_decomposerEEEEE10hipError_tT0_T1_T2_jT3_P12ihipStream_tbPNSt15iterator_traitsISK_E10value_typeEPNSQ_ISL_E10value_typeEPSM_NS1_7vsmem_tEENKUlT_SK_SL_SM_E_clIPiSE_SF_SF_EESJ_SZ_SK_SL_SM_EUlSZ_E0_NS1_11comp_targetILNS1_3genE8ELNS1_11target_archE1030ELNS1_3gpuE2ELNS1_3repE0EEENS1_38merge_mergepath_config_static_selectorELNS0_4arch9wavefront6targetE0EEEvSL_.num_agpr, 0
	.set _ZN7rocprim17ROCPRIM_400000_NS6detail17trampoline_kernelINS0_14default_configENS1_38merge_sort_block_merge_config_selectorIiNS0_10empty_typeEEEZZNS1_27merge_sort_block_merge_implIS3_N6thrust23THRUST_200600_302600_NS6detail15normal_iteratorINS9_10device_ptrIiEEEEPS5_jNS1_19radix_merge_compareILb1ELb0EiNS0_19identity_decomposerEEEEE10hipError_tT0_T1_T2_jT3_P12ihipStream_tbPNSt15iterator_traitsISK_E10value_typeEPNSQ_ISL_E10value_typeEPSM_NS1_7vsmem_tEENKUlT_SK_SL_SM_E_clIPiSE_SF_SF_EESJ_SZ_SK_SL_SM_EUlSZ_E0_NS1_11comp_targetILNS1_3genE8ELNS1_11target_archE1030ELNS1_3gpuE2ELNS1_3repE0EEENS1_38merge_mergepath_config_static_selectorELNS0_4arch9wavefront6targetE0EEEvSL_.numbered_sgpr, 23
	.set _ZN7rocprim17ROCPRIM_400000_NS6detail17trampoline_kernelINS0_14default_configENS1_38merge_sort_block_merge_config_selectorIiNS0_10empty_typeEEEZZNS1_27merge_sort_block_merge_implIS3_N6thrust23THRUST_200600_302600_NS6detail15normal_iteratorINS9_10device_ptrIiEEEEPS5_jNS1_19radix_merge_compareILb1ELb0EiNS0_19identity_decomposerEEEEE10hipError_tT0_T1_T2_jT3_P12ihipStream_tbPNSt15iterator_traitsISK_E10value_typeEPNSQ_ISL_E10value_typeEPSM_NS1_7vsmem_tEENKUlT_SK_SL_SM_E_clIPiSE_SF_SF_EESJ_SZ_SK_SL_SM_EUlSZ_E0_NS1_11comp_targetILNS1_3genE8ELNS1_11target_archE1030ELNS1_3gpuE2ELNS1_3repE0EEENS1_38merge_mergepath_config_static_selectorELNS0_4arch9wavefront6targetE0EEEvSL_.num_named_barrier, 0
	.set _ZN7rocprim17ROCPRIM_400000_NS6detail17trampoline_kernelINS0_14default_configENS1_38merge_sort_block_merge_config_selectorIiNS0_10empty_typeEEEZZNS1_27merge_sort_block_merge_implIS3_N6thrust23THRUST_200600_302600_NS6detail15normal_iteratorINS9_10device_ptrIiEEEEPS5_jNS1_19radix_merge_compareILb1ELb0EiNS0_19identity_decomposerEEEEE10hipError_tT0_T1_T2_jT3_P12ihipStream_tbPNSt15iterator_traitsISK_E10value_typeEPNSQ_ISL_E10value_typeEPSM_NS1_7vsmem_tEENKUlT_SK_SL_SM_E_clIPiSE_SF_SF_EESJ_SZ_SK_SL_SM_EUlSZ_E0_NS1_11comp_targetILNS1_3genE8ELNS1_11target_archE1030ELNS1_3gpuE2ELNS1_3repE0EEENS1_38merge_mergepath_config_static_selectorELNS0_4arch9wavefront6targetE0EEEvSL_.private_seg_size, 0
	.set _ZN7rocprim17ROCPRIM_400000_NS6detail17trampoline_kernelINS0_14default_configENS1_38merge_sort_block_merge_config_selectorIiNS0_10empty_typeEEEZZNS1_27merge_sort_block_merge_implIS3_N6thrust23THRUST_200600_302600_NS6detail15normal_iteratorINS9_10device_ptrIiEEEEPS5_jNS1_19radix_merge_compareILb1ELb0EiNS0_19identity_decomposerEEEEE10hipError_tT0_T1_T2_jT3_P12ihipStream_tbPNSt15iterator_traitsISK_E10value_typeEPNSQ_ISL_E10value_typeEPSM_NS1_7vsmem_tEENKUlT_SK_SL_SM_E_clIPiSE_SF_SF_EESJ_SZ_SK_SL_SM_EUlSZ_E0_NS1_11comp_targetILNS1_3genE8ELNS1_11target_archE1030ELNS1_3gpuE2ELNS1_3repE0EEENS1_38merge_mergepath_config_static_selectorELNS0_4arch9wavefront6targetE0EEEvSL_.uses_vcc, 1
	.set _ZN7rocprim17ROCPRIM_400000_NS6detail17trampoline_kernelINS0_14default_configENS1_38merge_sort_block_merge_config_selectorIiNS0_10empty_typeEEEZZNS1_27merge_sort_block_merge_implIS3_N6thrust23THRUST_200600_302600_NS6detail15normal_iteratorINS9_10device_ptrIiEEEEPS5_jNS1_19radix_merge_compareILb1ELb0EiNS0_19identity_decomposerEEEEE10hipError_tT0_T1_T2_jT3_P12ihipStream_tbPNSt15iterator_traitsISK_E10value_typeEPNSQ_ISL_E10value_typeEPSM_NS1_7vsmem_tEENKUlT_SK_SL_SM_E_clIPiSE_SF_SF_EESJ_SZ_SK_SL_SM_EUlSZ_E0_NS1_11comp_targetILNS1_3genE8ELNS1_11target_archE1030ELNS1_3gpuE2ELNS1_3repE0EEENS1_38merge_mergepath_config_static_selectorELNS0_4arch9wavefront6targetE0EEEvSL_.uses_flat_scratch, 0
	.set _ZN7rocprim17ROCPRIM_400000_NS6detail17trampoline_kernelINS0_14default_configENS1_38merge_sort_block_merge_config_selectorIiNS0_10empty_typeEEEZZNS1_27merge_sort_block_merge_implIS3_N6thrust23THRUST_200600_302600_NS6detail15normal_iteratorINS9_10device_ptrIiEEEEPS5_jNS1_19radix_merge_compareILb1ELb0EiNS0_19identity_decomposerEEEEE10hipError_tT0_T1_T2_jT3_P12ihipStream_tbPNSt15iterator_traitsISK_E10value_typeEPNSQ_ISL_E10value_typeEPSM_NS1_7vsmem_tEENKUlT_SK_SL_SM_E_clIPiSE_SF_SF_EESJ_SZ_SK_SL_SM_EUlSZ_E0_NS1_11comp_targetILNS1_3genE8ELNS1_11target_archE1030ELNS1_3gpuE2ELNS1_3repE0EEENS1_38merge_mergepath_config_static_selectorELNS0_4arch9wavefront6targetE0EEEvSL_.has_dyn_sized_stack, 0
	.set _ZN7rocprim17ROCPRIM_400000_NS6detail17trampoline_kernelINS0_14default_configENS1_38merge_sort_block_merge_config_selectorIiNS0_10empty_typeEEEZZNS1_27merge_sort_block_merge_implIS3_N6thrust23THRUST_200600_302600_NS6detail15normal_iteratorINS9_10device_ptrIiEEEEPS5_jNS1_19radix_merge_compareILb1ELb0EiNS0_19identity_decomposerEEEEE10hipError_tT0_T1_T2_jT3_P12ihipStream_tbPNSt15iterator_traitsISK_E10value_typeEPNSQ_ISL_E10value_typeEPSM_NS1_7vsmem_tEENKUlT_SK_SL_SM_E_clIPiSE_SF_SF_EESJ_SZ_SK_SL_SM_EUlSZ_E0_NS1_11comp_targetILNS1_3genE8ELNS1_11target_archE1030ELNS1_3gpuE2ELNS1_3repE0EEENS1_38merge_mergepath_config_static_selectorELNS0_4arch9wavefront6targetE0EEEvSL_.has_recursion, 0
	.set _ZN7rocprim17ROCPRIM_400000_NS6detail17trampoline_kernelINS0_14default_configENS1_38merge_sort_block_merge_config_selectorIiNS0_10empty_typeEEEZZNS1_27merge_sort_block_merge_implIS3_N6thrust23THRUST_200600_302600_NS6detail15normal_iteratorINS9_10device_ptrIiEEEEPS5_jNS1_19radix_merge_compareILb1ELb0EiNS0_19identity_decomposerEEEEE10hipError_tT0_T1_T2_jT3_P12ihipStream_tbPNSt15iterator_traitsISK_E10value_typeEPNSQ_ISL_E10value_typeEPSM_NS1_7vsmem_tEENKUlT_SK_SL_SM_E_clIPiSE_SF_SF_EESJ_SZ_SK_SL_SM_EUlSZ_E0_NS1_11comp_targetILNS1_3genE8ELNS1_11target_archE1030ELNS1_3gpuE2ELNS1_3repE0EEENS1_38merge_mergepath_config_static_selectorELNS0_4arch9wavefront6targetE0EEEvSL_.has_indirect_call, 0
	.section	.AMDGPU.csdata,"",@progbits
; Kernel info:
; codeLenInByte = 1436
; TotalNumSgprs: 25
; NumVgprs: 14
; ScratchSize: 0
; MemoryBound: 0
; FloatMode: 240
; IeeeMode: 1
; LDSByteSize: 4224 bytes/workgroup (compile time only)
; SGPRBlocks: 0
; VGPRBlocks: 1
; NumSGPRsForWavesPerEU: 25
; NumVGPRsForWavesPerEU: 14
; Occupancy: 16
; WaveLimiterHint : 1
; COMPUTE_PGM_RSRC2:SCRATCH_EN: 0
; COMPUTE_PGM_RSRC2:USER_SGPR: 6
; COMPUTE_PGM_RSRC2:TRAP_HANDLER: 0
; COMPUTE_PGM_RSRC2:TGID_X_EN: 1
; COMPUTE_PGM_RSRC2:TGID_Y_EN: 1
; COMPUTE_PGM_RSRC2:TGID_Z_EN: 1
; COMPUTE_PGM_RSRC2:TIDIG_COMP_CNT: 0
	.section	.text._ZN7rocprim17ROCPRIM_400000_NS6detail17trampoline_kernelINS0_14default_configENS1_38merge_sort_block_merge_config_selectorIiNS0_10empty_typeEEEZZNS1_27merge_sort_block_merge_implIS3_N6thrust23THRUST_200600_302600_NS6detail15normal_iteratorINS9_10device_ptrIiEEEEPS5_jNS1_19radix_merge_compareILb1ELb0EiNS0_19identity_decomposerEEEEE10hipError_tT0_T1_T2_jT3_P12ihipStream_tbPNSt15iterator_traitsISK_E10value_typeEPNSQ_ISL_E10value_typeEPSM_NS1_7vsmem_tEENKUlT_SK_SL_SM_E_clIPiSE_SF_SF_EESJ_SZ_SK_SL_SM_EUlSZ_E1_NS1_11comp_targetILNS1_3genE0ELNS1_11target_archE4294967295ELNS1_3gpuE0ELNS1_3repE0EEENS1_36merge_oddeven_config_static_selectorELNS0_4arch9wavefront6targetE0EEEvSL_,"axG",@progbits,_ZN7rocprim17ROCPRIM_400000_NS6detail17trampoline_kernelINS0_14default_configENS1_38merge_sort_block_merge_config_selectorIiNS0_10empty_typeEEEZZNS1_27merge_sort_block_merge_implIS3_N6thrust23THRUST_200600_302600_NS6detail15normal_iteratorINS9_10device_ptrIiEEEEPS5_jNS1_19radix_merge_compareILb1ELb0EiNS0_19identity_decomposerEEEEE10hipError_tT0_T1_T2_jT3_P12ihipStream_tbPNSt15iterator_traitsISK_E10value_typeEPNSQ_ISL_E10value_typeEPSM_NS1_7vsmem_tEENKUlT_SK_SL_SM_E_clIPiSE_SF_SF_EESJ_SZ_SK_SL_SM_EUlSZ_E1_NS1_11comp_targetILNS1_3genE0ELNS1_11target_archE4294967295ELNS1_3gpuE0ELNS1_3repE0EEENS1_36merge_oddeven_config_static_selectorELNS0_4arch9wavefront6targetE0EEEvSL_,comdat
	.protected	_ZN7rocprim17ROCPRIM_400000_NS6detail17trampoline_kernelINS0_14default_configENS1_38merge_sort_block_merge_config_selectorIiNS0_10empty_typeEEEZZNS1_27merge_sort_block_merge_implIS3_N6thrust23THRUST_200600_302600_NS6detail15normal_iteratorINS9_10device_ptrIiEEEEPS5_jNS1_19radix_merge_compareILb1ELb0EiNS0_19identity_decomposerEEEEE10hipError_tT0_T1_T2_jT3_P12ihipStream_tbPNSt15iterator_traitsISK_E10value_typeEPNSQ_ISL_E10value_typeEPSM_NS1_7vsmem_tEENKUlT_SK_SL_SM_E_clIPiSE_SF_SF_EESJ_SZ_SK_SL_SM_EUlSZ_E1_NS1_11comp_targetILNS1_3genE0ELNS1_11target_archE4294967295ELNS1_3gpuE0ELNS1_3repE0EEENS1_36merge_oddeven_config_static_selectorELNS0_4arch9wavefront6targetE0EEEvSL_ ; -- Begin function _ZN7rocprim17ROCPRIM_400000_NS6detail17trampoline_kernelINS0_14default_configENS1_38merge_sort_block_merge_config_selectorIiNS0_10empty_typeEEEZZNS1_27merge_sort_block_merge_implIS3_N6thrust23THRUST_200600_302600_NS6detail15normal_iteratorINS9_10device_ptrIiEEEEPS5_jNS1_19radix_merge_compareILb1ELb0EiNS0_19identity_decomposerEEEEE10hipError_tT0_T1_T2_jT3_P12ihipStream_tbPNSt15iterator_traitsISK_E10value_typeEPNSQ_ISL_E10value_typeEPSM_NS1_7vsmem_tEENKUlT_SK_SL_SM_E_clIPiSE_SF_SF_EESJ_SZ_SK_SL_SM_EUlSZ_E1_NS1_11comp_targetILNS1_3genE0ELNS1_11target_archE4294967295ELNS1_3gpuE0ELNS1_3repE0EEENS1_36merge_oddeven_config_static_selectorELNS0_4arch9wavefront6targetE0EEEvSL_
	.globl	_ZN7rocprim17ROCPRIM_400000_NS6detail17trampoline_kernelINS0_14default_configENS1_38merge_sort_block_merge_config_selectorIiNS0_10empty_typeEEEZZNS1_27merge_sort_block_merge_implIS3_N6thrust23THRUST_200600_302600_NS6detail15normal_iteratorINS9_10device_ptrIiEEEEPS5_jNS1_19radix_merge_compareILb1ELb0EiNS0_19identity_decomposerEEEEE10hipError_tT0_T1_T2_jT3_P12ihipStream_tbPNSt15iterator_traitsISK_E10value_typeEPNSQ_ISL_E10value_typeEPSM_NS1_7vsmem_tEENKUlT_SK_SL_SM_E_clIPiSE_SF_SF_EESJ_SZ_SK_SL_SM_EUlSZ_E1_NS1_11comp_targetILNS1_3genE0ELNS1_11target_archE4294967295ELNS1_3gpuE0ELNS1_3repE0EEENS1_36merge_oddeven_config_static_selectorELNS0_4arch9wavefront6targetE0EEEvSL_
	.p2align	8
	.type	_ZN7rocprim17ROCPRIM_400000_NS6detail17trampoline_kernelINS0_14default_configENS1_38merge_sort_block_merge_config_selectorIiNS0_10empty_typeEEEZZNS1_27merge_sort_block_merge_implIS3_N6thrust23THRUST_200600_302600_NS6detail15normal_iteratorINS9_10device_ptrIiEEEEPS5_jNS1_19radix_merge_compareILb1ELb0EiNS0_19identity_decomposerEEEEE10hipError_tT0_T1_T2_jT3_P12ihipStream_tbPNSt15iterator_traitsISK_E10value_typeEPNSQ_ISL_E10value_typeEPSM_NS1_7vsmem_tEENKUlT_SK_SL_SM_E_clIPiSE_SF_SF_EESJ_SZ_SK_SL_SM_EUlSZ_E1_NS1_11comp_targetILNS1_3genE0ELNS1_11target_archE4294967295ELNS1_3gpuE0ELNS1_3repE0EEENS1_36merge_oddeven_config_static_selectorELNS0_4arch9wavefront6targetE0EEEvSL_,@function
_ZN7rocprim17ROCPRIM_400000_NS6detail17trampoline_kernelINS0_14default_configENS1_38merge_sort_block_merge_config_selectorIiNS0_10empty_typeEEEZZNS1_27merge_sort_block_merge_implIS3_N6thrust23THRUST_200600_302600_NS6detail15normal_iteratorINS9_10device_ptrIiEEEEPS5_jNS1_19radix_merge_compareILb1ELb0EiNS0_19identity_decomposerEEEEE10hipError_tT0_T1_T2_jT3_P12ihipStream_tbPNSt15iterator_traitsISK_E10value_typeEPNSQ_ISL_E10value_typeEPSM_NS1_7vsmem_tEENKUlT_SK_SL_SM_E_clIPiSE_SF_SF_EESJ_SZ_SK_SL_SM_EUlSZ_E1_NS1_11comp_targetILNS1_3genE0ELNS1_11target_archE4294967295ELNS1_3gpuE0ELNS1_3repE0EEENS1_36merge_oddeven_config_static_selectorELNS0_4arch9wavefront6targetE0EEEvSL_: ; @_ZN7rocprim17ROCPRIM_400000_NS6detail17trampoline_kernelINS0_14default_configENS1_38merge_sort_block_merge_config_selectorIiNS0_10empty_typeEEEZZNS1_27merge_sort_block_merge_implIS3_N6thrust23THRUST_200600_302600_NS6detail15normal_iteratorINS9_10device_ptrIiEEEEPS5_jNS1_19radix_merge_compareILb1ELb0EiNS0_19identity_decomposerEEEEE10hipError_tT0_T1_T2_jT3_P12ihipStream_tbPNSt15iterator_traitsISK_E10value_typeEPNSQ_ISL_E10value_typeEPSM_NS1_7vsmem_tEENKUlT_SK_SL_SM_E_clIPiSE_SF_SF_EESJ_SZ_SK_SL_SM_EUlSZ_E1_NS1_11comp_targetILNS1_3genE0ELNS1_11target_archE4294967295ELNS1_3gpuE0ELNS1_3repE0EEENS1_36merge_oddeven_config_static_selectorELNS0_4arch9wavefront6targetE0EEEvSL_
; %bb.0:
	.section	.rodata,"a",@progbits
	.p2align	6, 0x0
	.amdhsa_kernel _ZN7rocprim17ROCPRIM_400000_NS6detail17trampoline_kernelINS0_14default_configENS1_38merge_sort_block_merge_config_selectorIiNS0_10empty_typeEEEZZNS1_27merge_sort_block_merge_implIS3_N6thrust23THRUST_200600_302600_NS6detail15normal_iteratorINS9_10device_ptrIiEEEEPS5_jNS1_19radix_merge_compareILb1ELb0EiNS0_19identity_decomposerEEEEE10hipError_tT0_T1_T2_jT3_P12ihipStream_tbPNSt15iterator_traitsISK_E10value_typeEPNSQ_ISL_E10value_typeEPSM_NS1_7vsmem_tEENKUlT_SK_SL_SM_E_clIPiSE_SF_SF_EESJ_SZ_SK_SL_SM_EUlSZ_E1_NS1_11comp_targetILNS1_3genE0ELNS1_11target_archE4294967295ELNS1_3gpuE0ELNS1_3repE0EEENS1_36merge_oddeven_config_static_selectorELNS0_4arch9wavefront6targetE0EEEvSL_
		.amdhsa_group_segment_fixed_size 0
		.amdhsa_private_segment_fixed_size 0
		.amdhsa_kernarg_size 48
		.amdhsa_user_sgpr_count 6
		.amdhsa_user_sgpr_private_segment_buffer 1
		.amdhsa_user_sgpr_dispatch_ptr 0
		.amdhsa_user_sgpr_queue_ptr 0
		.amdhsa_user_sgpr_kernarg_segment_ptr 1
		.amdhsa_user_sgpr_dispatch_id 0
		.amdhsa_user_sgpr_flat_scratch_init 0
		.amdhsa_user_sgpr_private_segment_size 0
		.amdhsa_wavefront_size32 1
		.amdhsa_uses_dynamic_stack 0
		.amdhsa_system_sgpr_private_segment_wavefront_offset 0
		.amdhsa_system_sgpr_workgroup_id_x 1
		.amdhsa_system_sgpr_workgroup_id_y 0
		.amdhsa_system_sgpr_workgroup_id_z 0
		.amdhsa_system_sgpr_workgroup_info 0
		.amdhsa_system_vgpr_workitem_id 0
		.amdhsa_next_free_vgpr 1
		.amdhsa_next_free_sgpr 1
		.amdhsa_reserve_vcc 0
		.amdhsa_reserve_flat_scratch 0
		.amdhsa_float_round_mode_32 0
		.amdhsa_float_round_mode_16_64 0
		.amdhsa_float_denorm_mode_32 3
		.amdhsa_float_denorm_mode_16_64 3
		.amdhsa_dx10_clamp 1
		.amdhsa_ieee_mode 1
		.amdhsa_fp16_overflow 0
		.amdhsa_workgroup_processor_mode 1
		.amdhsa_memory_ordered 1
		.amdhsa_forward_progress 1
		.amdhsa_shared_vgpr_count 0
		.amdhsa_exception_fp_ieee_invalid_op 0
		.amdhsa_exception_fp_denorm_src 0
		.amdhsa_exception_fp_ieee_div_zero 0
		.amdhsa_exception_fp_ieee_overflow 0
		.amdhsa_exception_fp_ieee_underflow 0
		.amdhsa_exception_fp_ieee_inexact 0
		.amdhsa_exception_int_div_zero 0
	.end_amdhsa_kernel
	.section	.text._ZN7rocprim17ROCPRIM_400000_NS6detail17trampoline_kernelINS0_14default_configENS1_38merge_sort_block_merge_config_selectorIiNS0_10empty_typeEEEZZNS1_27merge_sort_block_merge_implIS3_N6thrust23THRUST_200600_302600_NS6detail15normal_iteratorINS9_10device_ptrIiEEEEPS5_jNS1_19radix_merge_compareILb1ELb0EiNS0_19identity_decomposerEEEEE10hipError_tT0_T1_T2_jT3_P12ihipStream_tbPNSt15iterator_traitsISK_E10value_typeEPNSQ_ISL_E10value_typeEPSM_NS1_7vsmem_tEENKUlT_SK_SL_SM_E_clIPiSE_SF_SF_EESJ_SZ_SK_SL_SM_EUlSZ_E1_NS1_11comp_targetILNS1_3genE0ELNS1_11target_archE4294967295ELNS1_3gpuE0ELNS1_3repE0EEENS1_36merge_oddeven_config_static_selectorELNS0_4arch9wavefront6targetE0EEEvSL_,"axG",@progbits,_ZN7rocprim17ROCPRIM_400000_NS6detail17trampoline_kernelINS0_14default_configENS1_38merge_sort_block_merge_config_selectorIiNS0_10empty_typeEEEZZNS1_27merge_sort_block_merge_implIS3_N6thrust23THRUST_200600_302600_NS6detail15normal_iteratorINS9_10device_ptrIiEEEEPS5_jNS1_19radix_merge_compareILb1ELb0EiNS0_19identity_decomposerEEEEE10hipError_tT0_T1_T2_jT3_P12ihipStream_tbPNSt15iterator_traitsISK_E10value_typeEPNSQ_ISL_E10value_typeEPSM_NS1_7vsmem_tEENKUlT_SK_SL_SM_E_clIPiSE_SF_SF_EESJ_SZ_SK_SL_SM_EUlSZ_E1_NS1_11comp_targetILNS1_3genE0ELNS1_11target_archE4294967295ELNS1_3gpuE0ELNS1_3repE0EEENS1_36merge_oddeven_config_static_selectorELNS0_4arch9wavefront6targetE0EEEvSL_,comdat
.Lfunc_end238:
	.size	_ZN7rocprim17ROCPRIM_400000_NS6detail17trampoline_kernelINS0_14default_configENS1_38merge_sort_block_merge_config_selectorIiNS0_10empty_typeEEEZZNS1_27merge_sort_block_merge_implIS3_N6thrust23THRUST_200600_302600_NS6detail15normal_iteratorINS9_10device_ptrIiEEEEPS5_jNS1_19radix_merge_compareILb1ELb0EiNS0_19identity_decomposerEEEEE10hipError_tT0_T1_T2_jT3_P12ihipStream_tbPNSt15iterator_traitsISK_E10value_typeEPNSQ_ISL_E10value_typeEPSM_NS1_7vsmem_tEENKUlT_SK_SL_SM_E_clIPiSE_SF_SF_EESJ_SZ_SK_SL_SM_EUlSZ_E1_NS1_11comp_targetILNS1_3genE0ELNS1_11target_archE4294967295ELNS1_3gpuE0ELNS1_3repE0EEENS1_36merge_oddeven_config_static_selectorELNS0_4arch9wavefront6targetE0EEEvSL_, .Lfunc_end238-_ZN7rocprim17ROCPRIM_400000_NS6detail17trampoline_kernelINS0_14default_configENS1_38merge_sort_block_merge_config_selectorIiNS0_10empty_typeEEEZZNS1_27merge_sort_block_merge_implIS3_N6thrust23THRUST_200600_302600_NS6detail15normal_iteratorINS9_10device_ptrIiEEEEPS5_jNS1_19radix_merge_compareILb1ELb0EiNS0_19identity_decomposerEEEEE10hipError_tT0_T1_T2_jT3_P12ihipStream_tbPNSt15iterator_traitsISK_E10value_typeEPNSQ_ISL_E10value_typeEPSM_NS1_7vsmem_tEENKUlT_SK_SL_SM_E_clIPiSE_SF_SF_EESJ_SZ_SK_SL_SM_EUlSZ_E1_NS1_11comp_targetILNS1_3genE0ELNS1_11target_archE4294967295ELNS1_3gpuE0ELNS1_3repE0EEENS1_36merge_oddeven_config_static_selectorELNS0_4arch9wavefront6targetE0EEEvSL_
                                        ; -- End function
	.set _ZN7rocprim17ROCPRIM_400000_NS6detail17trampoline_kernelINS0_14default_configENS1_38merge_sort_block_merge_config_selectorIiNS0_10empty_typeEEEZZNS1_27merge_sort_block_merge_implIS3_N6thrust23THRUST_200600_302600_NS6detail15normal_iteratorINS9_10device_ptrIiEEEEPS5_jNS1_19radix_merge_compareILb1ELb0EiNS0_19identity_decomposerEEEEE10hipError_tT0_T1_T2_jT3_P12ihipStream_tbPNSt15iterator_traitsISK_E10value_typeEPNSQ_ISL_E10value_typeEPSM_NS1_7vsmem_tEENKUlT_SK_SL_SM_E_clIPiSE_SF_SF_EESJ_SZ_SK_SL_SM_EUlSZ_E1_NS1_11comp_targetILNS1_3genE0ELNS1_11target_archE4294967295ELNS1_3gpuE0ELNS1_3repE0EEENS1_36merge_oddeven_config_static_selectorELNS0_4arch9wavefront6targetE0EEEvSL_.num_vgpr, 0
	.set _ZN7rocprim17ROCPRIM_400000_NS6detail17trampoline_kernelINS0_14default_configENS1_38merge_sort_block_merge_config_selectorIiNS0_10empty_typeEEEZZNS1_27merge_sort_block_merge_implIS3_N6thrust23THRUST_200600_302600_NS6detail15normal_iteratorINS9_10device_ptrIiEEEEPS5_jNS1_19radix_merge_compareILb1ELb0EiNS0_19identity_decomposerEEEEE10hipError_tT0_T1_T2_jT3_P12ihipStream_tbPNSt15iterator_traitsISK_E10value_typeEPNSQ_ISL_E10value_typeEPSM_NS1_7vsmem_tEENKUlT_SK_SL_SM_E_clIPiSE_SF_SF_EESJ_SZ_SK_SL_SM_EUlSZ_E1_NS1_11comp_targetILNS1_3genE0ELNS1_11target_archE4294967295ELNS1_3gpuE0ELNS1_3repE0EEENS1_36merge_oddeven_config_static_selectorELNS0_4arch9wavefront6targetE0EEEvSL_.num_agpr, 0
	.set _ZN7rocprim17ROCPRIM_400000_NS6detail17trampoline_kernelINS0_14default_configENS1_38merge_sort_block_merge_config_selectorIiNS0_10empty_typeEEEZZNS1_27merge_sort_block_merge_implIS3_N6thrust23THRUST_200600_302600_NS6detail15normal_iteratorINS9_10device_ptrIiEEEEPS5_jNS1_19radix_merge_compareILb1ELb0EiNS0_19identity_decomposerEEEEE10hipError_tT0_T1_T2_jT3_P12ihipStream_tbPNSt15iterator_traitsISK_E10value_typeEPNSQ_ISL_E10value_typeEPSM_NS1_7vsmem_tEENKUlT_SK_SL_SM_E_clIPiSE_SF_SF_EESJ_SZ_SK_SL_SM_EUlSZ_E1_NS1_11comp_targetILNS1_3genE0ELNS1_11target_archE4294967295ELNS1_3gpuE0ELNS1_3repE0EEENS1_36merge_oddeven_config_static_selectorELNS0_4arch9wavefront6targetE0EEEvSL_.numbered_sgpr, 0
	.set _ZN7rocprim17ROCPRIM_400000_NS6detail17trampoline_kernelINS0_14default_configENS1_38merge_sort_block_merge_config_selectorIiNS0_10empty_typeEEEZZNS1_27merge_sort_block_merge_implIS3_N6thrust23THRUST_200600_302600_NS6detail15normal_iteratorINS9_10device_ptrIiEEEEPS5_jNS1_19radix_merge_compareILb1ELb0EiNS0_19identity_decomposerEEEEE10hipError_tT0_T1_T2_jT3_P12ihipStream_tbPNSt15iterator_traitsISK_E10value_typeEPNSQ_ISL_E10value_typeEPSM_NS1_7vsmem_tEENKUlT_SK_SL_SM_E_clIPiSE_SF_SF_EESJ_SZ_SK_SL_SM_EUlSZ_E1_NS1_11comp_targetILNS1_3genE0ELNS1_11target_archE4294967295ELNS1_3gpuE0ELNS1_3repE0EEENS1_36merge_oddeven_config_static_selectorELNS0_4arch9wavefront6targetE0EEEvSL_.num_named_barrier, 0
	.set _ZN7rocprim17ROCPRIM_400000_NS6detail17trampoline_kernelINS0_14default_configENS1_38merge_sort_block_merge_config_selectorIiNS0_10empty_typeEEEZZNS1_27merge_sort_block_merge_implIS3_N6thrust23THRUST_200600_302600_NS6detail15normal_iteratorINS9_10device_ptrIiEEEEPS5_jNS1_19radix_merge_compareILb1ELb0EiNS0_19identity_decomposerEEEEE10hipError_tT0_T1_T2_jT3_P12ihipStream_tbPNSt15iterator_traitsISK_E10value_typeEPNSQ_ISL_E10value_typeEPSM_NS1_7vsmem_tEENKUlT_SK_SL_SM_E_clIPiSE_SF_SF_EESJ_SZ_SK_SL_SM_EUlSZ_E1_NS1_11comp_targetILNS1_3genE0ELNS1_11target_archE4294967295ELNS1_3gpuE0ELNS1_3repE0EEENS1_36merge_oddeven_config_static_selectorELNS0_4arch9wavefront6targetE0EEEvSL_.private_seg_size, 0
	.set _ZN7rocprim17ROCPRIM_400000_NS6detail17trampoline_kernelINS0_14default_configENS1_38merge_sort_block_merge_config_selectorIiNS0_10empty_typeEEEZZNS1_27merge_sort_block_merge_implIS3_N6thrust23THRUST_200600_302600_NS6detail15normal_iteratorINS9_10device_ptrIiEEEEPS5_jNS1_19radix_merge_compareILb1ELb0EiNS0_19identity_decomposerEEEEE10hipError_tT0_T1_T2_jT3_P12ihipStream_tbPNSt15iterator_traitsISK_E10value_typeEPNSQ_ISL_E10value_typeEPSM_NS1_7vsmem_tEENKUlT_SK_SL_SM_E_clIPiSE_SF_SF_EESJ_SZ_SK_SL_SM_EUlSZ_E1_NS1_11comp_targetILNS1_3genE0ELNS1_11target_archE4294967295ELNS1_3gpuE0ELNS1_3repE0EEENS1_36merge_oddeven_config_static_selectorELNS0_4arch9wavefront6targetE0EEEvSL_.uses_vcc, 0
	.set _ZN7rocprim17ROCPRIM_400000_NS6detail17trampoline_kernelINS0_14default_configENS1_38merge_sort_block_merge_config_selectorIiNS0_10empty_typeEEEZZNS1_27merge_sort_block_merge_implIS3_N6thrust23THRUST_200600_302600_NS6detail15normal_iteratorINS9_10device_ptrIiEEEEPS5_jNS1_19radix_merge_compareILb1ELb0EiNS0_19identity_decomposerEEEEE10hipError_tT0_T1_T2_jT3_P12ihipStream_tbPNSt15iterator_traitsISK_E10value_typeEPNSQ_ISL_E10value_typeEPSM_NS1_7vsmem_tEENKUlT_SK_SL_SM_E_clIPiSE_SF_SF_EESJ_SZ_SK_SL_SM_EUlSZ_E1_NS1_11comp_targetILNS1_3genE0ELNS1_11target_archE4294967295ELNS1_3gpuE0ELNS1_3repE0EEENS1_36merge_oddeven_config_static_selectorELNS0_4arch9wavefront6targetE0EEEvSL_.uses_flat_scratch, 0
	.set _ZN7rocprim17ROCPRIM_400000_NS6detail17trampoline_kernelINS0_14default_configENS1_38merge_sort_block_merge_config_selectorIiNS0_10empty_typeEEEZZNS1_27merge_sort_block_merge_implIS3_N6thrust23THRUST_200600_302600_NS6detail15normal_iteratorINS9_10device_ptrIiEEEEPS5_jNS1_19radix_merge_compareILb1ELb0EiNS0_19identity_decomposerEEEEE10hipError_tT0_T1_T2_jT3_P12ihipStream_tbPNSt15iterator_traitsISK_E10value_typeEPNSQ_ISL_E10value_typeEPSM_NS1_7vsmem_tEENKUlT_SK_SL_SM_E_clIPiSE_SF_SF_EESJ_SZ_SK_SL_SM_EUlSZ_E1_NS1_11comp_targetILNS1_3genE0ELNS1_11target_archE4294967295ELNS1_3gpuE0ELNS1_3repE0EEENS1_36merge_oddeven_config_static_selectorELNS0_4arch9wavefront6targetE0EEEvSL_.has_dyn_sized_stack, 0
	.set _ZN7rocprim17ROCPRIM_400000_NS6detail17trampoline_kernelINS0_14default_configENS1_38merge_sort_block_merge_config_selectorIiNS0_10empty_typeEEEZZNS1_27merge_sort_block_merge_implIS3_N6thrust23THRUST_200600_302600_NS6detail15normal_iteratorINS9_10device_ptrIiEEEEPS5_jNS1_19radix_merge_compareILb1ELb0EiNS0_19identity_decomposerEEEEE10hipError_tT0_T1_T2_jT3_P12ihipStream_tbPNSt15iterator_traitsISK_E10value_typeEPNSQ_ISL_E10value_typeEPSM_NS1_7vsmem_tEENKUlT_SK_SL_SM_E_clIPiSE_SF_SF_EESJ_SZ_SK_SL_SM_EUlSZ_E1_NS1_11comp_targetILNS1_3genE0ELNS1_11target_archE4294967295ELNS1_3gpuE0ELNS1_3repE0EEENS1_36merge_oddeven_config_static_selectorELNS0_4arch9wavefront6targetE0EEEvSL_.has_recursion, 0
	.set _ZN7rocprim17ROCPRIM_400000_NS6detail17trampoline_kernelINS0_14default_configENS1_38merge_sort_block_merge_config_selectorIiNS0_10empty_typeEEEZZNS1_27merge_sort_block_merge_implIS3_N6thrust23THRUST_200600_302600_NS6detail15normal_iteratorINS9_10device_ptrIiEEEEPS5_jNS1_19radix_merge_compareILb1ELb0EiNS0_19identity_decomposerEEEEE10hipError_tT0_T1_T2_jT3_P12ihipStream_tbPNSt15iterator_traitsISK_E10value_typeEPNSQ_ISL_E10value_typeEPSM_NS1_7vsmem_tEENKUlT_SK_SL_SM_E_clIPiSE_SF_SF_EESJ_SZ_SK_SL_SM_EUlSZ_E1_NS1_11comp_targetILNS1_3genE0ELNS1_11target_archE4294967295ELNS1_3gpuE0ELNS1_3repE0EEENS1_36merge_oddeven_config_static_selectorELNS0_4arch9wavefront6targetE0EEEvSL_.has_indirect_call, 0
	.section	.AMDGPU.csdata,"",@progbits
; Kernel info:
; codeLenInByte = 0
; TotalNumSgprs: 0
; NumVgprs: 0
; ScratchSize: 0
; MemoryBound: 0
; FloatMode: 240
; IeeeMode: 1
; LDSByteSize: 0 bytes/workgroup (compile time only)
; SGPRBlocks: 0
; VGPRBlocks: 0
; NumSGPRsForWavesPerEU: 1
; NumVGPRsForWavesPerEU: 1
; Occupancy: 16
; WaveLimiterHint : 0
; COMPUTE_PGM_RSRC2:SCRATCH_EN: 0
; COMPUTE_PGM_RSRC2:USER_SGPR: 6
; COMPUTE_PGM_RSRC2:TRAP_HANDLER: 0
; COMPUTE_PGM_RSRC2:TGID_X_EN: 1
; COMPUTE_PGM_RSRC2:TGID_Y_EN: 0
; COMPUTE_PGM_RSRC2:TGID_Z_EN: 0
; COMPUTE_PGM_RSRC2:TIDIG_COMP_CNT: 0
	.section	.text._ZN7rocprim17ROCPRIM_400000_NS6detail17trampoline_kernelINS0_14default_configENS1_38merge_sort_block_merge_config_selectorIiNS0_10empty_typeEEEZZNS1_27merge_sort_block_merge_implIS3_N6thrust23THRUST_200600_302600_NS6detail15normal_iteratorINS9_10device_ptrIiEEEEPS5_jNS1_19radix_merge_compareILb1ELb0EiNS0_19identity_decomposerEEEEE10hipError_tT0_T1_T2_jT3_P12ihipStream_tbPNSt15iterator_traitsISK_E10value_typeEPNSQ_ISL_E10value_typeEPSM_NS1_7vsmem_tEENKUlT_SK_SL_SM_E_clIPiSE_SF_SF_EESJ_SZ_SK_SL_SM_EUlSZ_E1_NS1_11comp_targetILNS1_3genE10ELNS1_11target_archE1201ELNS1_3gpuE5ELNS1_3repE0EEENS1_36merge_oddeven_config_static_selectorELNS0_4arch9wavefront6targetE0EEEvSL_,"axG",@progbits,_ZN7rocprim17ROCPRIM_400000_NS6detail17trampoline_kernelINS0_14default_configENS1_38merge_sort_block_merge_config_selectorIiNS0_10empty_typeEEEZZNS1_27merge_sort_block_merge_implIS3_N6thrust23THRUST_200600_302600_NS6detail15normal_iteratorINS9_10device_ptrIiEEEEPS5_jNS1_19radix_merge_compareILb1ELb0EiNS0_19identity_decomposerEEEEE10hipError_tT0_T1_T2_jT3_P12ihipStream_tbPNSt15iterator_traitsISK_E10value_typeEPNSQ_ISL_E10value_typeEPSM_NS1_7vsmem_tEENKUlT_SK_SL_SM_E_clIPiSE_SF_SF_EESJ_SZ_SK_SL_SM_EUlSZ_E1_NS1_11comp_targetILNS1_3genE10ELNS1_11target_archE1201ELNS1_3gpuE5ELNS1_3repE0EEENS1_36merge_oddeven_config_static_selectorELNS0_4arch9wavefront6targetE0EEEvSL_,comdat
	.protected	_ZN7rocprim17ROCPRIM_400000_NS6detail17trampoline_kernelINS0_14default_configENS1_38merge_sort_block_merge_config_selectorIiNS0_10empty_typeEEEZZNS1_27merge_sort_block_merge_implIS3_N6thrust23THRUST_200600_302600_NS6detail15normal_iteratorINS9_10device_ptrIiEEEEPS5_jNS1_19radix_merge_compareILb1ELb0EiNS0_19identity_decomposerEEEEE10hipError_tT0_T1_T2_jT3_P12ihipStream_tbPNSt15iterator_traitsISK_E10value_typeEPNSQ_ISL_E10value_typeEPSM_NS1_7vsmem_tEENKUlT_SK_SL_SM_E_clIPiSE_SF_SF_EESJ_SZ_SK_SL_SM_EUlSZ_E1_NS1_11comp_targetILNS1_3genE10ELNS1_11target_archE1201ELNS1_3gpuE5ELNS1_3repE0EEENS1_36merge_oddeven_config_static_selectorELNS0_4arch9wavefront6targetE0EEEvSL_ ; -- Begin function _ZN7rocprim17ROCPRIM_400000_NS6detail17trampoline_kernelINS0_14default_configENS1_38merge_sort_block_merge_config_selectorIiNS0_10empty_typeEEEZZNS1_27merge_sort_block_merge_implIS3_N6thrust23THRUST_200600_302600_NS6detail15normal_iteratorINS9_10device_ptrIiEEEEPS5_jNS1_19radix_merge_compareILb1ELb0EiNS0_19identity_decomposerEEEEE10hipError_tT0_T1_T2_jT3_P12ihipStream_tbPNSt15iterator_traitsISK_E10value_typeEPNSQ_ISL_E10value_typeEPSM_NS1_7vsmem_tEENKUlT_SK_SL_SM_E_clIPiSE_SF_SF_EESJ_SZ_SK_SL_SM_EUlSZ_E1_NS1_11comp_targetILNS1_3genE10ELNS1_11target_archE1201ELNS1_3gpuE5ELNS1_3repE0EEENS1_36merge_oddeven_config_static_selectorELNS0_4arch9wavefront6targetE0EEEvSL_
	.globl	_ZN7rocprim17ROCPRIM_400000_NS6detail17trampoline_kernelINS0_14default_configENS1_38merge_sort_block_merge_config_selectorIiNS0_10empty_typeEEEZZNS1_27merge_sort_block_merge_implIS3_N6thrust23THRUST_200600_302600_NS6detail15normal_iteratorINS9_10device_ptrIiEEEEPS5_jNS1_19radix_merge_compareILb1ELb0EiNS0_19identity_decomposerEEEEE10hipError_tT0_T1_T2_jT3_P12ihipStream_tbPNSt15iterator_traitsISK_E10value_typeEPNSQ_ISL_E10value_typeEPSM_NS1_7vsmem_tEENKUlT_SK_SL_SM_E_clIPiSE_SF_SF_EESJ_SZ_SK_SL_SM_EUlSZ_E1_NS1_11comp_targetILNS1_3genE10ELNS1_11target_archE1201ELNS1_3gpuE5ELNS1_3repE0EEENS1_36merge_oddeven_config_static_selectorELNS0_4arch9wavefront6targetE0EEEvSL_
	.p2align	8
	.type	_ZN7rocprim17ROCPRIM_400000_NS6detail17trampoline_kernelINS0_14default_configENS1_38merge_sort_block_merge_config_selectorIiNS0_10empty_typeEEEZZNS1_27merge_sort_block_merge_implIS3_N6thrust23THRUST_200600_302600_NS6detail15normal_iteratorINS9_10device_ptrIiEEEEPS5_jNS1_19radix_merge_compareILb1ELb0EiNS0_19identity_decomposerEEEEE10hipError_tT0_T1_T2_jT3_P12ihipStream_tbPNSt15iterator_traitsISK_E10value_typeEPNSQ_ISL_E10value_typeEPSM_NS1_7vsmem_tEENKUlT_SK_SL_SM_E_clIPiSE_SF_SF_EESJ_SZ_SK_SL_SM_EUlSZ_E1_NS1_11comp_targetILNS1_3genE10ELNS1_11target_archE1201ELNS1_3gpuE5ELNS1_3repE0EEENS1_36merge_oddeven_config_static_selectorELNS0_4arch9wavefront6targetE0EEEvSL_,@function
_ZN7rocprim17ROCPRIM_400000_NS6detail17trampoline_kernelINS0_14default_configENS1_38merge_sort_block_merge_config_selectorIiNS0_10empty_typeEEEZZNS1_27merge_sort_block_merge_implIS3_N6thrust23THRUST_200600_302600_NS6detail15normal_iteratorINS9_10device_ptrIiEEEEPS5_jNS1_19radix_merge_compareILb1ELb0EiNS0_19identity_decomposerEEEEE10hipError_tT0_T1_T2_jT3_P12ihipStream_tbPNSt15iterator_traitsISK_E10value_typeEPNSQ_ISL_E10value_typeEPSM_NS1_7vsmem_tEENKUlT_SK_SL_SM_E_clIPiSE_SF_SF_EESJ_SZ_SK_SL_SM_EUlSZ_E1_NS1_11comp_targetILNS1_3genE10ELNS1_11target_archE1201ELNS1_3gpuE5ELNS1_3repE0EEENS1_36merge_oddeven_config_static_selectorELNS0_4arch9wavefront6targetE0EEEvSL_: ; @_ZN7rocprim17ROCPRIM_400000_NS6detail17trampoline_kernelINS0_14default_configENS1_38merge_sort_block_merge_config_selectorIiNS0_10empty_typeEEEZZNS1_27merge_sort_block_merge_implIS3_N6thrust23THRUST_200600_302600_NS6detail15normal_iteratorINS9_10device_ptrIiEEEEPS5_jNS1_19radix_merge_compareILb1ELb0EiNS0_19identity_decomposerEEEEE10hipError_tT0_T1_T2_jT3_P12ihipStream_tbPNSt15iterator_traitsISK_E10value_typeEPNSQ_ISL_E10value_typeEPSM_NS1_7vsmem_tEENKUlT_SK_SL_SM_E_clIPiSE_SF_SF_EESJ_SZ_SK_SL_SM_EUlSZ_E1_NS1_11comp_targetILNS1_3genE10ELNS1_11target_archE1201ELNS1_3gpuE5ELNS1_3repE0EEENS1_36merge_oddeven_config_static_selectorELNS0_4arch9wavefront6targetE0EEEvSL_
; %bb.0:
	.section	.rodata,"a",@progbits
	.p2align	6, 0x0
	.amdhsa_kernel _ZN7rocprim17ROCPRIM_400000_NS6detail17trampoline_kernelINS0_14default_configENS1_38merge_sort_block_merge_config_selectorIiNS0_10empty_typeEEEZZNS1_27merge_sort_block_merge_implIS3_N6thrust23THRUST_200600_302600_NS6detail15normal_iteratorINS9_10device_ptrIiEEEEPS5_jNS1_19radix_merge_compareILb1ELb0EiNS0_19identity_decomposerEEEEE10hipError_tT0_T1_T2_jT3_P12ihipStream_tbPNSt15iterator_traitsISK_E10value_typeEPNSQ_ISL_E10value_typeEPSM_NS1_7vsmem_tEENKUlT_SK_SL_SM_E_clIPiSE_SF_SF_EESJ_SZ_SK_SL_SM_EUlSZ_E1_NS1_11comp_targetILNS1_3genE10ELNS1_11target_archE1201ELNS1_3gpuE5ELNS1_3repE0EEENS1_36merge_oddeven_config_static_selectorELNS0_4arch9wavefront6targetE0EEEvSL_
		.amdhsa_group_segment_fixed_size 0
		.amdhsa_private_segment_fixed_size 0
		.amdhsa_kernarg_size 48
		.amdhsa_user_sgpr_count 6
		.amdhsa_user_sgpr_private_segment_buffer 1
		.amdhsa_user_sgpr_dispatch_ptr 0
		.amdhsa_user_sgpr_queue_ptr 0
		.amdhsa_user_sgpr_kernarg_segment_ptr 1
		.amdhsa_user_sgpr_dispatch_id 0
		.amdhsa_user_sgpr_flat_scratch_init 0
		.amdhsa_user_sgpr_private_segment_size 0
		.amdhsa_wavefront_size32 1
		.amdhsa_uses_dynamic_stack 0
		.amdhsa_system_sgpr_private_segment_wavefront_offset 0
		.amdhsa_system_sgpr_workgroup_id_x 1
		.amdhsa_system_sgpr_workgroup_id_y 0
		.amdhsa_system_sgpr_workgroup_id_z 0
		.amdhsa_system_sgpr_workgroup_info 0
		.amdhsa_system_vgpr_workitem_id 0
		.amdhsa_next_free_vgpr 1
		.amdhsa_next_free_sgpr 1
		.amdhsa_reserve_vcc 0
		.amdhsa_reserve_flat_scratch 0
		.amdhsa_float_round_mode_32 0
		.amdhsa_float_round_mode_16_64 0
		.amdhsa_float_denorm_mode_32 3
		.amdhsa_float_denorm_mode_16_64 3
		.amdhsa_dx10_clamp 1
		.amdhsa_ieee_mode 1
		.amdhsa_fp16_overflow 0
		.amdhsa_workgroup_processor_mode 1
		.amdhsa_memory_ordered 1
		.amdhsa_forward_progress 1
		.amdhsa_shared_vgpr_count 0
		.amdhsa_exception_fp_ieee_invalid_op 0
		.amdhsa_exception_fp_denorm_src 0
		.amdhsa_exception_fp_ieee_div_zero 0
		.amdhsa_exception_fp_ieee_overflow 0
		.amdhsa_exception_fp_ieee_underflow 0
		.amdhsa_exception_fp_ieee_inexact 0
		.amdhsa_exception_int_div_zero 0
	.end_amdhsa_kernel
	.section	.text._ZN7rocprim17ROCPRIM_400000_NS6detail17trampoline_kernelINS0_14default_configENS1_38merge_sort_block_merge_config_selectorIiNS0_10empty_typeEEEZZNS1_27merge_sort_block_merge_implIS3_N6thrust23THRUST_200600_302600_NS6detail15normal_iteratorINS9_10device_ptrIiEEEEPS5_jNS1_19radix_merge_compareILb1ELb0EiNS0_19identity_decomposerEEEEE10hipError_tT0_T1_T2_jT3_P12ihipStream_tbPNSt15iterator_traitsISK_E10value_typeEPNSQ_ISL_E10value_typeEPSM_NS1_7vsmem_tEENKUlT_SK_SL_SM_E_clIPiSE_SF_SF_EESJ_SZ_SK_SL_SM_EUlSZ_E1_NS1_11comp_targetILNS1_3genE10ELNS1_11target_archE1201ELNS1_3gpuE5ELNS1_3repE0EEENS1_36merge_oddeven_config_static_selectorELNS0_4arch9wavefront6targetE0EEEvSL_,"axG",@progbits,_ZN7rocprim17ROCPRIM_400000_NS6detail17trampoline_kernelINS0_14default_configENS1_38merge_sort_block_merge_config_selectorIiNS0_10empty_typeEEEZZNS1_27merge_sort_block_merge_implIS3_N6thrust23THRUST_200600_302600_NS6detail15normal_iteratorINS9_10device_ptrIiEEEEPS5_jNS1_19radix_merge_compareILb1ELb0EiNS0_19identity_decomposerEEEEE10hipError_tT0_T1_T2_jT3_P12ihipStream_tbPNSt15iterator_traitsISK_E10value_typeEPNSQ_ISL_E10value_typeEPSM_NS1_7vsmem_tEENKUlT_SK_SL_SM_E_clIPiSE_SF_SF_EESJ_SZ_SK_SL_SM_EUlSZ_E1_NS1_11comp_targetILNS1_3genE10ELNS1_11target_archE1201ELNS1_3gpuE5ELNS1_3repE0EEENS1_36merge_oddeven_config_static_selectorELNS0_4arch9wavefront6targetE0EEEvSL_,comdat
.Lfunc_end239:
	.size	_ZN7rocprim17ROCPRIM_400000_NS6detail17trampoline_kernelINS0_14default_configENS1_38merge_sort_block_merge_config_selectorIiNS0_10empty_typeEEEZZNS1_27merge_sort_block_merge_implIS3_N6thrust23THRUST_200600_302600_NS6detail15normal_iteratorINS9_10device_ptrIiEEEEPS5_jNS1_19radix_merge_compareILb1ELb0EiNS0_19identity_decomposerEEEEE10hipError_tT0_T1_T2_jT3_P12ihipStream_tbPNSt15iterator_traitsISK_E10value_typeEPNSQ_ISL_E10value_typeEPSM_NS1_7vsmem_tEENKUlT_SK_SL_SM_E_clIPiSE_SF_SF_EESJ_SZ_SK_SL_SM_EUlSZ_E1_NS1_11comp_targetILNS1_3genE10ELNS1_11target_archE1201ELNS1_3gpuE5ELNS1_3repE0EEENS1_36merge_oddeven_config_static_selectorELNS0_4arch9wavefront6targetE0EEEvSL_, .Lfunc_end239-_ZN7rocprim17ROCPRIM_400000_NS6detail17trampoline_kernelINS0_14default_configENS1_38merge_sort_block_merge_config_selectorIiNS0_10empty_typeEEEZZNS1_27merge_sort_block_merge_implIS3_N6thrust23THRUST_200600_302600_NS6detail15normal_iteratorINS9_10device_ptrIiEEEEPS5_jNS1_19radix_merge_compareILb1ELb0EiNS0_19identity_decomposerEEEEE10hipError_tT0_T1_T2_jT3_P12ihipStream_tbPNSt15iterator_traitsISK_E10value_typeEPNSQ_ISL_E10value_typeEPSM_NS1_7vsmem_tEENKUlT_SK_SL_SM_E_clIPiSE_SF_SF_EESJ_SZ_SK_SL_SM_EUlSZ_E1_NS1_11comp_targetILNS1_3genE10ELNS1_11target_archE1201ELNS1_3gpuE5ELNS1_3repE0EEENS1_36merge_oddeven_config_static_selectorELNS0_4arch9wavefront6targetE0EEEvSL_
                                        ; -- End function
	.set _ZN7rocprim17ROCPRIM_400000_NS6detail17trampoline_kernelINS0_14default_configENS1_38merge_sort_block_merge_config_selectorIiNS0_10empty_typeEEEZZNS1_27merge_sort_block_merge_implIS3_N6thrust23THRUST_200600_302600_NS6detail15normal_iteratorINS9_10device_ptrIiEEEEPS5_jNS1_19radix_merge_compareILb1ELb0EiNS0_19identity_decomposerEEEEE10hipError_tT0_T1_T2_jT3_P12ihipStream_tbPNSt15iterator_traitsISK_E10value_typeEPNSQ_ISL_E10value_typeEPSM_NS1_7vsmem_tEENKUlT_SK_SL_SM_E_clIPiSE_SF_SF_EESJ_SZ_SK_SL_SM_EUlSZ_E1_NS1_11comp_targetILNS1_3genE10ELNS1_11target_archE1201ELNS1_3gpuE5ELNS1_3repE0EEENS1_36merge_oddeven_config_static_selectorELNS0_4arch9wavefront6targetE0EEEvSL_.num_vgpr, 0
	.set _ZN7rocprim17ROCPRIM_400000_NS6detail17trampoline_kernelINS0_14default_configENS1_38merge_sort_block_merge_config_selectorIiNS0_10empty_typeEEEZZNS1_27merge_sort_block_merge_implIS3_N6thrust23THRUST_200600_302600_NS6detail15normal_iteratorINS9_10device_ptrIiEEEEPS5_jNS1_19radix_merge_compareILb1ELb0EiNS0_19identity_decomposerEEEEE10hipError_tT0_T1_T2_jT3_P12ihipStream_tbPNSt15iterator_traitsISK_E10value_typeEPNSQ_ISL_E10value_typeEPSM_NS1_7vsmem_tEENKUlT_SK_SL_SM_E_clIPiSE_SF_SF_EESJ_SZ_SK_SL_SM_EUlSZ_E1_NS1_11comp_targetILNS1_3genE10ELNS1_11target_archE1201ELNS1_3gpuE5ELNS1_3repE0EEENS1_36merge_oddeven_config_static_selectorELNS0_4arch9wavefront6targetE0EEEvSL_.num_agpr, 0
	.set _ZN7rocprim17ROCPRIM_400000_NS6detail17trampoline_kernelINS0_14default_configENS1_38merge_sort_block_merge_config_selectorIiNS0_10empty_typeEEEZZNS1_27merge_sort_block_merge_implIS3_N6thrust23THRUST_200600_302600_NS6detail15normal_iteratorINS9_10device_ptrIiEEEEPS5_jNS1_19radix_merge_compareILb1ELb0EiNS0_19identity_decomposerEEEEE10hipError_tT0_T1_T2_jT3_P12ihipStream_tbPNSt15iterator_traitsISK_E10value_typeEPNSQ_ISL_E10value_typeEPSM_NS1_7vsmem_tEENKUlT_SK_SL_SM_E_clIPiSE_SF_SF_EESJ_SZ_SK_SL_SM_EUlSZ_E1_NS1_11comp_targetILNS1_3genE10ELNS1_11target_archE1201ELNS1_3gpuE5ELNS1_3repE0EEENS1_36merge_oddeven_config_static_selectorELNS0_4arch9wavefront6targetE0EEEvSL_.numbered_sgpr, 0
	.set _ZN7rocprim17ROCPRIM_400000_NS6detail17trampoline_kernelINS0_14default_configENS1_38merge_sort_block_merge_config_selectorIiNS0_10empty_typeEEEZZNS1_27merge_sort_block_merge_implIS3_N6thrust23THRUST_200600_302600_NS6detail15normal_iteratorINS9_10device_ptrIiEEEEPS5_jNS1_19radix_merge_compareILb1ELb0EiNS0_19identity_decomposerEEEEE10hipError_tT0_T1_T2_jT3_P12ihipStream_tbPNSt15iterator_traitsISK_E10value_typeEPNSQ_ISL_E10value_typeEPSM_NS1_7vsmem_tEENKUlT_SK_SL_SM_E_clIPiSE_SF_SF_EESJ_SZ_SK_SL_SM_EUlSZ_E1_NS1_11comp_targetILNS1_3genE10ELNS1_11target_archE1201ELNS1_3gpuE5ELNS1_3repE0EEENS1_36merge_oddeven_config_static_selectorELNS0_4arch9wavefront6targetE0EEEvSL_.num_named_barrier, 0
	.set _ZN7rocprim17ROCPRIM_400000_NS6detail17trampoline_kernelINS0_14default_configENS1_38merge_sort_block_merge_config_selectorIiNS0_10empty_typeEEEZZNS1_27merge_sort_block_merge_implIS3_N6thrust23THRUST_200600_302600_NS6detail15normal_iteratorINS9_10device_ptrIiEEEEPS5_jNS1_19radix_merge_compareILb1ELb0EiNS0_19identity_decomposerEEEEE10hipError_tT0_T1_T2_jT3_P12ihipStream_tbPNSt15iterator_traitsISK_E10value_typeEPNSQ_ISL_E10value_typeEPSM_NS1_7vsmem_tEENKUlT_SK_SL_SM_E_clIPiSE_SF_SF_EESJ_SZ_SK_SL_SM_EUlSZ_E1_NS1_11comp_targetILNS1_3genE10ELNS1_11target_archE1201ELNS1_3gpuE5ELNS1_3repE0EEENS1_36merge_oddeven_config_static_selectorELNS0_4arch9wavefront6targetE0EEEvSL_.private_seg_size, 0
	.set _ZN7rocprim17ROCPRIM_400000_NS6detail17trampoline_kernelINS0_14default_configENS1_38merge_sort_block_merge_config_selectorIiNS0_10empty_typeEEEZZNS1_27merge_sort_block_merge_implIS3_N6thrust23THRUST_200600_302600_NS6detail15normal_iteratorINS9_10device_ptrIiEEEEPS5_jNS1_19radix_merge_compareILb1ELb0EiNS0_19identity_decomposerEEEEE10hipError_tT0_T1_T2_jT3_P12ihipStream_tbPNSt15iterator_traitsISK_E10value_typeEPNSQ_ISL_E10value_typeEPSM_NS1_7vsmem_tEENKUlT_SK_SL_SM_E_clIPiSE_SF_SF_EESJ_SZ_SK_SL_SM_EUlSZ_E1_NS1_11comp_targetILNS1_3genE10ELNS1_11target_archE1201ELNS1_3gpuE5ELNS1_3repE0EEENS1_36merge_oddeven_config_static_selectorELNS0_4arch9wavefront6targetE0EEEvSL_.uses_vcc, 0
	.set _ZN7rocprim17ROCPRIM_400000_NS6detail17trampoline_kernelINS0_14default_configENS1_38merge_sort_block_merge_config_selectorIiNS0_10empty_typeEEEZZNS1_27merge_sort_block_merge_implIS3_N6thrust23THRUST_200600_302600_NS6detail15normal_iteratorINS9_10device_ptrIiEEEEPS5_jNS1_19radix_merge_compareILb1ELb0EiNS0_19identity_decomposerEEEEE10hipError_tT0_T1_T2_jT3_P12ihipStream_tbPNSt15iterator_traitsISK_E10value_typeEPNSQ_ISL_E10value_typeEPSM_NS1_7vsmem_tEENKUlT_SK_SL_SM_E_clIPiSE_SF_SF_EESJ_SZ_SK_SL_SM_EUlSZ_E1_NS1_11comp_targetILNS1_3genE10ELNS1_11target_archE1201ELNS1_3gpuE5ELNS1_3repE0EEENS1_36merge_oddeven_config_static_selectorELNS0_4arch9wavefront6targetE0EEEvSL_.uses_flat_scratch, 0
	.set _ZN7rocprim17ROCPRIM_400000_NS6detail17trampoline_kernelINS0_14default_configENS1_38merge_sort_block_merge_config_selectorIiNS0_10empty_typeEEEZZNS1_27merge_sort_block_merge_implIS3_N6thrust23THRUST_200600_302600_NS6detail15normal_iteratorINS9_10device_ptrIiEEEEPS5_jNS1_19radix_merge_compareILb1ELb0EiNS0_19identity_decomposerEEEEE10hipError_tT0_T1_T2_jT3_P12ihipStream_tbPNSt15iterator_traitsISK_E10value_typeEPNSQ_ISL_E10value_typeEPSM_NS1_7vsmem_tEENKUlT_SK_SL_SM_E_clIPiSE_SF_SF_EESJ_SZ_SK_SL_SM_EUlSZ_E1_NS1_11comp_targetILNS1_3genE10ELNS1_11target_archE1201ELNS1_3gpuE5ELNS1_3repE0EEENS1_36merge_oddeven_config_static_selectorELNS0_4arch9wavefront6targetE0EEEvSL_.has_dyn_sized_stack, 0
	.set _ZN7rocprim17ROCPRIM_400000_NS6detail17trampoline_kernelINS0_14default_configENS1_38merge_sort_block_merge_config_selectorIiNS0_10empty_typeEEEZZNS1_27merge_sort_block_merge_implIS3_N6thrust23THRUST_200600_302600_NS6detail15normal_iteratorINS9_10device_ptrIiEEEEPS5_jNS1_19radix_merge_compareILb1ELb0EiNS0_19identity_decomposerEEEEE10hipError_tT0_T1_T2_jT3_P12ihipStream_tbPNSt15iterator_traitsISK_E10value_typeEPNSQ_ISL_E10value_typeEPSM_NS1_7vsmem_tEENKUlT_SK_SL_SM_E_clIPiSE_SF_SF_EESJ_SZ_SK_SL_SM_EUlSZ_E1_NS1_11comp_targetILNS1_3genE10ELNS1_11target_archE1201ELNS1_3gpuE5ELNS1_3repE0EEENS1_36merge_oddeven_config_static_selectorELNS0_4arch9wavefront6targetE0EEEvSL_.has_recursion, 0
	.set _ZN7rocprim17ROCPRIM_400000_NS6detail17trampoline_kernelINS0_14default_configENS1_38merge_sort_block_merge_config_selectorIiNS0_10empty_typeEEEZZNS1_27merge_sort_block_merge_implIS3_N6thrust23THRUST_200600_302600_NS6detail15normal_iteratorINS9_10device_ptrIiEEEEPS5_jNS1_19radix_merge_compareILb1ELb0EiNS0_19identity_decomposerEEEEE10hipError_tT0_T1_T2_jT3_P12ihipStream_tbPNSt15iterator_traitsISK_E10value_typeEPNSQ_ISL_E10value_typeEPSM_NS1_7vsmem_tEENKUlT_SK_SL_SM_E_clIPiSE_SF_SF_EESJ_SZ_SK_SL_SM_EUlSZ_E1_NS1_11comp_targetILNS1_3genE10ELNS1_11target_archE1201ELNS1_3gpuE5ELNS1_3repE0EEENS1_36merge_oddeven_config_static_selectorELNS0_4arch9wavefront6targetE0EEEvSL_.has_indirect_call, 0
	.section	.AMDGPU.csdata,"",@progbits
; Kernel info:
; codeLenInByte = 0
; TotalNumSgprs: 0
; NumVgprs: 0
; ScratchSize: 0
; MemoryBound: 0
; FloatMode: 240
; IeeeMode: 1
; LDSByteSize: 0 bytes/workgroup (compile time only)
; SGPRBlocks: 0
; VGPRBlocks: 0
; NumSGPRsForWavesPerEU: 1
; NumVGPRsForWavesPerEU: 1
; Occupancy: 16
; WaveLimiterHint : 0
; COMPUTE_PGM_RSRC2:SCRATCH_EN: 0
; COMPUTE_PGM_RSRC2:USER_SGPR: 6
; COMPUTE_PGM_RSRC2:TRAP_HANDLER: 0
; COMPUTE_PGM_RSRC2:TGID_X_EN: 1
; COMPUTE_PGM_RSRC2:TGID_Y_EN: 0
; COMPUTE_PGM_RSRC2:TGID_Z_EN: 0
; COMPUTE_PGM_RSRC2:TIDIG_COMP_CNT: 0
	.section	.text._ZN7rocprim17ROCPRIM_400000_NS6detail17trampoline_kernelINS0_14default_configENS1_38merge_sort_block_merge_config_selectorIiNS0_10empty_typeEEEZZNS1_27merge_sort_block_merge_implIS3_N6thrust23THRUST_200600_302600_NS6detail15normal_iteratorINS9_10device_ptrIiEEEEPS5_jNS1_19radix_merge_compareILb1ELb0EiNS0_19identity_decomposerEEEEE10hipError_tT0_T1_T2_jT3_P12ihipStream_tbPNSt15iterator_traitsISK_E10value_typeEPNSQ_ISL_E10value_typeEPSM_NS1_7vsmem_tEENKUlT_SK_SL_SM_E_clIPiSE_SF_SF_EESJ_SZ_SK_SL_SM_EUlSZ_E1_NS1_11comp_targetILNS1_3genE5ELNS1_11target_archE942ELNS1_3gpuE9ELNS1_3repE0EEENS1_36merge_oddeven_config_static_selectorELNS0_4arch9wavefront6targetE0EEEvSL_,"axG",@progbits,_ZN7rocprim17ROCPRIM_400000_NS6detail17trampoline_kernelINS0_14default_configENS1_38merge_sort_block_merge_config_selectorIiNS0_10empty_typeEEEZZNS1_27merge_sort_block_merge_implIS3_N6thrust23THRUST_200600_302600_NS6detail15normal_iteratorINS9_10device_ptrIiEEEEPS5_jNS1_19radix_merge_compareILb1ELb0EiNS0_19identity_decomposerEEEEE10hipError_tT0_T1_T2_jT3_P12ihipStream_tbPNSt15iterator_traitsISK_E10value_typeEPNSQ_ISL_E10value_typeEPSM_NS1_7vsmem_tEENKUlT_SK_SL_SM_E_clIPiSE_SF_SF_EESJ_SZ_SK_SL_SM_EUlSZ_E1_NS1_11comp_targetILNS1_3genE5ELNS1_11target_archE942ELNS1_3gpuE9ELNS1_3repE0EEENS1_36merge_oddeven_config_static_selectorELNS0_4arch9wavefront6targetE0EEEvSL_,comdat
	.protected	_ZN7rocprim17ROCPRIM_400000_NS6detail17trampoline_kernelINS0_14default_configENS1_38merge_sort_block_merge_config_selectorIiNS0_10empty_typeEEEZZNS1_27merge_sort_block_merge_implIS3_N6thrust23THRUST_200600_302600_NS6detail15normal_iteratorINS9_10device_ptrIiEEEEPS5_jNS1_19radix_merge_compareILb1ELb0EiNS0_19identity_decomposerEEEEE10hipError_tT0_T1_T2_jT3_P12ihipStream_tbPNSt15iterator_traitsISK_E10value_typeEPNSQ_ISL_E10value_typeEPSM_NS1_7vsmem_tEENKUlT_SK_SL_SM_E_clIPiSE_SF_SF_EESJ_SZ_SK_SL_SM_EUlSZ_E1_NS1_11comp_targetILNS1_3genE5ELNS1_11target_archE942ELNS1_3gpuE9ELNS1_3repE0EEENS1_36merge_oddeven_config_static_selectorELNS0_4arch9wavefront6targetE0EEEvSL_ ; -- Begin function _ZN7rocprim17ROCPRIM_400000_NS6detail17trampoline_kernelINS0_14default_configENS1_38merge_sort_block_merge_config_selectorIiNS0_10empty_typeEEEZZNS1_27merge_sort_block_merge_implIS3_N6thrust23THRUST_200600_302600_NS6detail15normal_iteratorINS9_10device_ptrIiEEEEPS5_jNS1_19radix_merge_compareILb1ELb0EiNS0_19identity_decomposerEEEEE10hipError_tT0_T1_T2_jT3_P12ihipStream_tbPNSt15iterator_traitsISK_E10value_typeEPNSQ_ISL_E10value_typeEPSM_NS1_7vsmem_tEENKUlT_SK_SL_SM_E_clIPiSE_SF_SF_EESJ_SZ_SK_SL_SM_EUlSZ_E1_NS1_11comp_targetILNS1_3genE5ELNS1_11target_archE942ELNS1_3gpuE9ELNS1_3repE0EEENS1_36merge_oddeven_config_static_selectorELNS0_4arch9wavefront6targetE0EEEvSL_
	.globl	_ZN7rocprim17ROCPRIM_400000_NS6detail17trampoline_kernelINS0_14default_configENS1_38merge_sort_block_merge_config_selectorIiNS0_10empty_typeEEEZZNS1_27merge_sort_block_merge_implIS3_N6thrust23THRUST_200600_302600_NS6detail15normal_iteratorINS9_10device_ptrIiEEEEPS5_jNS1_19radix_merge_compareILb1ELb0EiNS0_19identity_decomposerEEEEE10hipError_tT0_T1_T2_jT3_P12ihipStream_tbPNSt15iterator_traitsISK_E10value_typeEPNSQ_ISL_E10value_typeEPSM_NS1_7vsmem_tEENKUlT_SK_SL_SM_E_clIPiSE_SF_SF_EESJ_SZ_SK_SL_SM_EUlSZ_E1_NS1_11comp_targetILNS1_3genE5ELNS1_11target_archE942ELNS1_3gpuE9ELNS1_3repE0EEENS1_36merge_oddeven_config_static_selectorELNS0_4arch9wavefront6targetE0EEEvSL_
	.p2align	8
	.type	_ZN7rocprim17ROCPRIM_400000_NS6detail17trampoline_kernelINS0_14default_configENS1_38merge_sort_block_merge_config_selectorIiNS0_10empty_typeEEEZZNS1_27merge_sort_block_merge_implIS3_N6thrust23THRUST_200600_302600_NS6detail15normal_iteratorINS9_10device_ptrIiEEEEPS5_jNS1_19radix_merge_compareILb1ELb0EiNS0_19identity_decomposerEEEEE10hipError_tT0_T1_T2_jT3_P12ihipStream_tbPNSt15iterator_traitsISK_E10value_typeEPNSQ_ISL_E10value_typeEPSM_NS1_7vsmem_tEENKUlT_SK_SL_SM_E_clIPiSE_SF_SF_EESJ_SZ_SK_SL_SM_EUlSZ_E1_NS1_11comp_targetILNS1_3genE5ELNS1_11target_archE942ELNS1_3gpuE9ELNS1_3repE0EEENS1_36merge_oddeven_config_static_selectorELNS0_4arch9wavefront6targetE0EEEvSL_,@function
_ZN7rocprim17ROCPRIM_400000_NS6detail17trampoline_kernelINS0_14default_configENS1_38merge_sort_block_merge_config_selectorIiNS0_10empty_typeEEEZZNS1_27merge_sort_block_merge_implIS3_N6thrust23THRUST_200600_302600_NS6detail15normal_iteratorINS9_10device_ptrIiEEEEPS5_jNS1_19radix_merge_compareILb1ELb0EiNS0_19identity_decomposerEEEEE10hipError_tT0_T1_T2_jT3_P12ihipStream_tbPNSt15iterator_traitsISK_E10value_typeEPNSQ_ISL_E10value_typeEPSM_NS1_7vsmem_tEENKUlT_SK_SL_SM_E_clIPiSE_SF_SF_EESJ_SZ_SK_SL_SM_EUlSZ_E1_NS1_11comp_targetILNS1_3genE5ELNS1_11target_archE942ELNS1_3gpuE9ELNS1_3repE0EEENS1_36merge_oddeven_config_static_selectorELNS0_4arch9wavefront6targetE0EEEvSL_: ; @_ZN7rocprim17ROCPRIM_400000_NS6detail17trampoline_kernelINS0_14default_configENS1_38merge_sort_block_merge_config_selectorIiNS0_10empty_typeEEEZZNS1_27merge_sort_block_merge_implIS3_N6thrust23THRUST_200600_302600_NS6detail15normal_iteratorINS9_10device_ptrIiEEEEPS5_jNS1_19radix_merge_compareILb1ELb0EiNS0_19identity_decomposerEEEEE10hipError_tT0_T1_T2_jT3_P12ihipStream_tbPNSt15iterator_traitsISK_E10value_typeEPNSQ_ISL_E10value_typeEPSM_NS1_7vsmem_tEENKUlT_SK_SL_SM_E_clIPiSE_SF_SF_EESJ_SZ_SK_SL_SM_EUlSZ_E1_NS1_11comp_targetILNS1_3genE5ELNS1_11target_archE942ELNS1_3gpuE9ELNS1_3repE0EEENS1_36merge_oddeven_config_static_selectorELNS0_4arch9wavefront6targetE0EEEvSL_
; %bb.0:
	.section	.rodata,"a",@progbits
	.p2align	6, 0x0
	.amdhsa_kernel _ZN7rocprim17ROCPRIM_400000_NS6detail17trampoline_kernelINS0_14default_configENS1_38merge_sort_block_merge_config_selectorIiNS0_10empty_typeEEEZZNS1_27merge_sort_block_merge_implIS3_N6thrust23THRUST_200600_302600_NS6detail15normal_iteratorINS9_10device_ptrIiEEEEPS5_jNS1_19radix_merge_compareILb1ELb0EiNS0_19identity_decomposerEEEEE10hipError_tT0_T1_T2_jT3_P12ihipStream_tbPNSt15iterator_traitsISK_E10value_typeEPNSQ_ISL_E10value_typeEPSM_NS1_7vsmem_tEENKUlT_SK_SL_SM_E_clIPiSE_SF_SF_EESJ_SZ_SK_SL_SM_EUlSZ_E1_NS1_11comp_targetILNS1_3genE5ELNS1_11target_archE942ELNS1_3gpuE9ELNS1_3repE0EEENS1_36merge_oddeven_config_static_selectorELNS0_4arch9wavefront6targetE0EEEvSL_
		.amdhsa_group_segment_fixed_size 0
		.amdhsa_private_segment_fixed_size 0
		.amdhsa_kernarg_size 48
		.amdhsa_user_sgpr_count 6
		.amdhsa_user_sgpr_private_segment_buffer 1
		.amdhsa_user_sgpr_dispatch_ptr 0
		.amdhsa_user_sgpr_queue_ptr 0
		.amdhsa_user_sgpr_kernarg_segment_ptr 1
		.amdhsa_user_sgpr_dispatch_id 0
		.amdhsa_user_sgpr_flat_scratch_init 0
		.amdhsa_user_sgpr_private_segment_size 0
		.amdhsa_wavefront_size32 1
		.amdhsa_uses_dynamic_stack 0
		.amdhsa_system_sgpr_private_segment_wavefront_offset 0
		.amdhsa_system_sgpr_workgroup_id_x 1
		.amdhsa_system_sgpr_workgroup_id_y 0
		.amdhsa_system_sgpr_workgroup_id_z 0
		.amdhsa_system_sgpr_workgroup_info 0
		.amdhsa_system_vgpr_workitem_id 0
		.amdhsa_next_free_vgpr 1
		.amdhsa_next_free_sgpr 1
		.amdhsa_reserve_vcc 0
		.amdhsa_reserve_flat_scratch 0
		.amdhsa_float_round_mode_32 0
		.amdhsa_float_round_mode_16_64 0
		.amdhsa_float_denorm_mode_32 3
		.amdhsa_float_denorm_mode_16_64 3
		.amdhsa_dx10_clamp 1
		.amdhsa_ieee_mode 1
		.amdhsa_fp16_overflow 0
		.amdhsa_workgroup_processor_mode 1
		.amdhsa_memory_ordered 1
		.amdhsa_forward_progress 1
		.amdhsa_shared_vgpr_count 0
		.amdhsa_exception_fp_ieee_invalid_op 0
		.amdhsa_exception_fp_denorm_src 0
		.amdhsa_exception_fp_ieee_div_zero 0
		.amdhsa_exception_fp_ieee_overflow 0
		.amdhsa_exception_fp_ieee_underflow 0
		.amdhsa_exception_fp_ieee_inexact 0
		.amdhsa_exception_int_div_zero 0
	.end_amdhsa_kernel
	.section	.text._ZN7rocprim17ROCPRIM_400000_NS6detail17trampoline_kernelINS0_14default_configENS1_38merge_sort_block_merge_config_selectorIiNS0_10empty_typeEEEZZNS1_27merge_sort_block_merge_implIS3_N6thrust23THRUST_200600_302600_NS6detail15normal_iteratorINS9_10device_ptrIiEEEEPS5_jNS1_19radix_merge_compareILb1ELb0EiNS0_19identity_decomposerEEEEE10hipError_tT0_T1_T2_jT3_P12ihipStream_tbPNSt15iterator_traitsISK_E10value_typeEPNSQ_ISL_E10value_typeEPSM_NS1_7vsmem_tEENKUlT_SK_SL_SM_E_clIPiSE_SF_SF_EESJ_SZ_SK_SL_SM_EUlSZ_E1_NS1_11comp_targetILNS1_3genE5ELNS1_11target_archE942ELNS1_3gpuE9ELNS1_3repE0EEENS1_36merge_oddeven_config_static_selectorELNS0_4arch9wavefront6targetE0EEEvSL_,"axG",@progbits,_ZN7rocprim17ROCPRIM_400000_NS6detail17trampoline_kernelINS0_14default_configENS1_38merge_sort_block_merge_config_selectorIiNS0_10empty_typeEEEZZNS1_27merge_sort_block_merge_implIS3_N6thrust23THRUST_200600_302600_NS6detail15normal_iteratorINS9_10device_ptrIiEEEEPS5_jNS1_19radix_merge_compareILb1ELb0EiNS0_19identity_decomposerEEEEE10hipError_tT0_T1_T2_jT3_P12ihipStream_tbPNSt15iterator_traitsISK_E10value_typeEPNSQ_ISL_E10value_typeEPSM_NS1_7vsmem_tEENKUlT_SK_SL_SM_E_clIPiSE_SF_SF_EESJ_SZ_SK_SL_SM_EUlSZ_E1_NS1_11comp_targetILNS1_3genE5ELNS1_11target_archE942ELNS1_3gpuE9ELNS1_3repE0EEENS1_36merge_oddeven_config_static_selectorELNS0_4arch9wavefront6targetE0EEEvSL_,comdat
.Lfunc_end240:
	.size	_ZN7rocprim17ROCPRIM_400000_NS6detail17trampoline_kernelINS0_14default_configENS1_38merge_sort_block_merge_config_selectorIiNS0_10empty_typeEEEZZNS1_27merge_sort_block_merge_implIS3_N6thrust23THRUST_200600_302600_NS6detail15normal_iteratorINS9_10device_ptrIiEEEEPS5_jNS1_19radix_merge_compareILb1ELb0EiNS0_19identity_decomposerEEEEE10hipError_tT0_T1_T2_jT3_P12ihipStream_tbPNSt15iterator_traitsISK_E10value_typeEPNSQ_ISL_E10value_typeEPSM_NS1_7vsmem_tEENKUlT_SK_SL_SM_E_clIPiSE_SF_SF_EESJ_SZ_SK_SL_SM_EUlSZ_E1_NS1_11comp_targetILNS1_3genE5ELNS1_11target_archE942ELNS1_3gpuE9ELNS1_3repE0EEENS1_36merge_oddeven_config_static_selectorELNS0_4arch9wavefront6targetE0EEEvSL_, .Lfunc_end240-_ZN7rocprim17ROCPRIM_400000_NS6detail17trampoline_kernelINS0_14default_configENS1_38merge_sort_block_merge_config_selectorIiNS0_10empty_typeEEEZZNS1_27merge_sort_block_merge_implIS3_N6thrust23THRUST_200600_302600_NS6detail15normal_iteratorINS9_10device_ptrIiEEEEPS5_jNS1_19radix_merge_compareILb1ELb0EiNS0_19identity_decomposerEEEEE10hipError_tT0_T1_T2_jT3_P12ihipStream_tbPNSt15iterator_traitsISK_E10value_typeEPNSQ_ISL_E10value_typeEPSM_NS1_7vsmem_tEENKUlT_SK_SL_SM_E_clIPiSE_SF_SF_EESJ_SZ_SK_SL_SM_EUlSZ_E1_NS1_11comp_targetILNS1_3genE5ELNS1_11target_archE942ELNS1_3gpuE9ELNS1_3repE0EEENS1_36merge_oddeven_config_static_selectorELNS0_4arch9wavefront6targetE0EEEvSL_
                                        ; -- End function
	.set _ZN7rocprim17ROCPRIM_400000_NS6detail17trampoline_kernelINS0_14default_configENS1_38merge_sort_block_merge_config_selectorIiNS0_10empty_typeEEEZZNS1_27merge_sort_block_merge_implIS3_N6thrust23THRUST_200600_302600_NS6detail15normal_iteratorINS9_10device_ptrIiEEEEPS5_jNS1_19radix_merge_compareILb1ELb0EiNS0_19identity_decomposerEEEEE10hipError_tT0_T1_T2_jT3_P12ihipStream_tbPNSt15iterator_traitsISK_E10value_typeEPNSQ_ISL_E10value_typeEPSM_NS1_7vsmem_tEENKUlT_SK_SL_SM_E_clIPiSE_SF_SF_EESJ_SZ_SK_SL_SM_EUlSZ_E1_NS1_11comp_targetILNS1_3genE5ELNS1_11target_archE942ELNS1_3gpuE9ELNS1_3repE0EEENS1_36merge_oddeven_config_static_selectorELNS0_4arch9wavefront6targetE0EEEvSL_.num_vgpr, 0
	.set _ZN7rocprim17ROCPRIM_400000_NS6detail17trampoline_kernelINS0_14default_configENS1_38merge_sort_block_merge_config_selectorIiNS0_10empty_typeEEEZZNS1_27merge_sort_block_merge_implIS3_N6thrust23THRUST_200600_302600_NS6detail15normal_iteratorINS9_10device_ptrIiEEEEPS5_jNS1_19radix_merge_compareILb1ELb0EiNS0_19identity_decomposerEEEEE10hipError_tT0_T1_T2_jT3_P12ihipStream_tbPNSt15iterator_traitsISK_E10value_typeEPNSQ_ISL_E10value_typeEPSM_NS1_7vsmem_tEENKUlT_SK_SL_SM_E_clIPiSE_SF_SF_EESJ_SZ_SK_SL_SM_EUlSZ_E1_NS1_11comp_targetILNS1_3genE5ELNS1_11target_archE942ELNS1_3gpuE9ELNS1_3repE0EEENS1_36merge_oddeven_config_static_selectorELNS0_4arch9wavefront6targetE0EEEvSL_.num_agpr, 0
	.set _ZN7rocprim17ROCPRIM_400000_NS6detail17trampoline_kernelINS0_14default_configENS1_38merge_sort_block_merge_config_selectorIiNS0_10empty_typeEEEZZNS1_27merge_sort_block_merge_implIS3_N6thrust23THRUST_200600_302600_NS6detail15normal_iteratorINS9_10device_ptrIiEEEEPS5_jNS1_19radix_merge_compareILb1ELb0EiNS0_19identity_decomposerEEEEE10hipError_tT0_T1_T2_jT3_P12ihipStream_tbPNSt15iterator_traitsISK_E10value_typeEPNSQ_ISL_E10value_typeEPSM_NS1_7vsmem_tEENKUlT_SK_SL_SM_E_clIPiSE_SF_SF_EESJ_SZ_SK_SL_SM_EUlSZ_E1_NS1_11comp_targetILNS1_3genE5ELNS1_11target_archE942ELNS1_3gpuE9ELNS1_3repE0EEENS1_36merge_oddeven_config_static_selectorELNS0_4arch9wavefront6targetE0EEEvSL_.numbered_sgpr, 0
	.set _ZN7rocprim17ROCPRIM_400000_NS6detail17trampoline_kernelINS0_14default_configENS1_38merge_sort_block_merge_config_selectorIiNS0_10empty_typeEEEZZNS1_27merge_sort_block_merge_implIS3_N6thrust23THRUST_200600_302600_NS6detail15normal_iteratorINS9_10device_ptrIiEEEEPS5_jNS1_19radix_merge_compareILb1ELb0EiNS0_19identity_decomposerEEEEE10hipError_tT0_T1_T2_jT3_P12ihipStream_tbPNSt15iterator_traitsISK_E10value_typeEPNSQ_ISL_E10value_typeEPSM_NS1_7vsmem_tEENKUlT_SK_SL_SM_E_clIPiSE_SF_SF_EESJ_SZ_SK_SL_SM_EUlSZ_E1_NS1_11comp_targetILNS1_3genE5ELNS1_11target_archE942ELNS1_3gpuE9ELNS1_3repE0EEENS1_36merge_oddeven_config_static_selectorELNS0_4arch9wavefront6targetE0EEEvSL_.num_named_barrier, 0
	.set _ZN7rocprim17ROCPRIM_400000_NS6detail17trampoline_kernelINS0_14default_configENS1_38merge_sort_block_merge_config_selectorIiNS0_10empty_typeEEEZZNS1_27merge_sort_block_merge_implIS3_N6thrust23THRUST_200600_302600_NS6detail15normal_iteratorINS9_10device_ptrIiEEEEPS5_jNS1_19radix_merge_compareILb1ELb0EiNS0_19identity_decomposerEEEEE10hipError_tT0_T1_T2_jT3_P12ihipStream_tbPNSt15iterator_traitsISK_E10value_typeEPNSQ_ISL_E10value_typeEPSM_NS1_7vsmem_tEENKUlT_SK_SL_SM_E_clIPiSE_SF_SF_EESJ_SZ_SK_SL_SM_EUlSZ_E1_NS1_11comp_targetILNS1_3genE5ELNS1_11target_archE942ELNS1_3gpuE9ELNS1_3repE0EEENS1_36merge_oddeven_config_static_selectorELNS0_4arch9wavefront6targetE0EEEvSL_.private_seg_size, 0
	.set _ZN7rocprim17ROCPRIM_400000_NS6detail17trampoline_kernelINS0_14default_configENS1_38merge_sort_block_merge_config_selectorIiNS0_10empty_typeEEEZZNS1_27merge_sort_block_merge_implIS3_N6thrust23THRUST_200600_302600_NS6detail15normal_iteratorINS9_10device_ptrIiEEEEPS5_jNS1_19radix_merge_compareILb1ELb0EiNS0_19identity_decomposerEEEEE10hipError_tT0_T1_T2_jT3_P12ihipStream_tbPNSt15iterator_traitsISK_E10value_typeEPNSQ_ISL_E10value_typeEPSM_NS1_7vsmem_tEENKUlT_SK_SL_SM_E_clIPiSE_SF_SF_EESJ_SZ_SK_SL_SM_EUlSZ_E1_NS1_11comp_targetILNS1_3genE5ELNS1_11target_archE942ELNS1_3gpuE9ELNS1_3repE0EEENS1_36merge_oddeven_config_static_selectorELNS0_4arch9wavefront6targetE0EEEvSL_.uses_vcc, 0
	.set _ZN7rocprim17ROCPRIM_400000_NS6detail17trampoline_kernelINS0_14default_configENS1_38merge_sort_block_merge_config_selectorIiNS0_10empty_typeEEEZZNS1_27merge_sort_block_merge_implIS3_N6thrust23THRUST_200600_302600_NS6detail15normal_iteratorINS9_10device_ptrIiEEEEPS5_jNS1_19radix_merge_compareILb1ELb0EiNS0_19identity_decomposerEEEEE10hipError_tT0_T1_T2_jT3_P12ihipStream_tbPNSt15iterator_traitsISK_E10value_typeEPNSQ_ISL_E10value_typeEPSM_NS1_7vsmem_tEENKUlT_SK_SL_SM_E_clIPiSE_SF_SF_EESJ_SZ_SK_SL_SM_EUlSZ_E1_NS1_11comp_targetILNS1_3genE5ELNS1_11target_archE942ELNS1_3gpuE9ELNS1_3repE0EEENS1_36merge_oddeven_config_static_selectorELNS0_4arch9wavefront6targetE0EEEvSL_.uses_flat_scratch, 0
	.set _ZN7rocprim17ROCPRIM_400000_NS6detail17trampoline_kernelINS0_14default_configENS1_38merge_sort_block_merge_config_selectorIiNS0_10empty_typeEEEZZNS1_27merge_sort_block_merge_implIS3_N6thrust23THRUST_200600_302600_NS6detail15normal_iteratorINS9_10device_ptrIiEEEEPS5_jNS1_19radix_merge_compareILb1ELb0EiNS0_19identity_decomposerEEEEE10hipError_tT0_T1_T2_jT3_P12ihipStream_tbPNSt15iterator_traitsISK_E10value_typeEPNSQ_ISL_E10value_typeEPSM_NS1_7vsmem_tEENKUlT_SK_SL_SM_E_clIPiSE_SF_SF_EESJ_SZ_SK_SL_SM_EUlSZ_E1_NS1_11comp_targetILNS1_3genE5ELNS1_11target_archE942ELNS1_3gpuE9ELNS1_3repE0EEENS1_36merge_oddeven_config_static_selectorELNS0_4arch9wavefront6targetE0EEEvSL_.has_dyn_sized_stack, 0
	.set _ZN7rocprim17ROCPRIM_400000_NS6detail17trampoline_kernelINS0_14default_configENS1_38merge_sort_block_merge_config_selectorIiNS0_10empty_typeEEEZZNS1_27merge_sort_block_merge_implIS3_N6thrust23THRUST_200600_302600_NS6detail15normal_iteratorINS9_10device_ptrIiEEEEPS5_jNS1_19radix_merge_compareILb1ELb0EiNS0_19identity_decomposerEEEEE10hipError_tT0_T1_T2_jT3_P12ihipStream_tbPNSt15iterator_traitsISK_E10value_typeEPNSQ_ISL_E10value_typeEPSM_NS1_7vsmem_tEENKUlT_SK_SL_SM_E_clIPiSE_SF_SF_EESJ_SZ_SK_SL_SM_EUlSZ_E1_NS1_11comp_targetILNS1_3genE5ELNS1_11target_archE942ELNS1_3gpuE9ELNS1_3repE0EEENS1_36merge_oddeven_config_static_selectorELNS0_4arch9wavefront6targetE0EEEvSL_.has_recursion, 0
	.set _ZN7rocprim17ROCPRIM_400000_NS6detail17trampoline_kernelINS0_14default_configENS1_38merge_sort_block_merge_config_selectorIiNS0_10empty_typeEEEZZNS1_27merge_sort_block_merge_implIS3_N6thrust23THRUST_200600_302600_NS6detail15normal_iteratorINS9_10device_ptrIiEEEEPS5_jNS1_19radix_merge_compareILb1ELb0EiNS0_19identity_decomposerEEEEE10hipError_tT0_T1_T2_jT3_P12ihipStream_tbPNSt15iterator_traitsISK_E10value_typeEPNSQ_ISL_E10value_typeEPSM_NS1_7vsmem_tEENKUlT_SK_SL_SM_E_clIPiSE_SF_SF_EESJ_SZ_SK_SL_SM_EUlSZ_E1_NS1_11comp_targetILNS1_3genE5ELNS1_11target_archE942ELNS1_3gpuE9ELNS1_3repE0EEENS1_36merge_oddeven_config_static_selectorELNS0_4arch9wavefront6targetE0EEEvSL_.has_indirect_call, 0
	.section	.AMDGPU.csdata,"",@progbits
; Kernel info:
; codeLenInByte = 0
; TotalNumSgprs: 0
; NumVgprs: 0
; ScratchSize: 0
; MemoryBound: 0
; FloatMode: 240
; IeeeMode: 1
; LDSByteSize: 0 bytes/workgroup (compile time only)
; SGPRBlocks: 0
; VGPRBlocks: 0
; NumSGPRsForWavesPerEU: 1
; NumVGPRsForWavesPerEU: 1
; Occupancy: 16
; WaveLimiterHint : 0
; COMPUTE_PGM_RSRC2:SCRATCH_EN: 0
; COMPUTE_PGM_RSRC2:USER_SGPR: 6
; COMPUTE_PGM_RSRC2:TRAP_HANDLER: 0
; COMPUTE_PGM_RSRC2:TGID_X_EN: 1
; COMPUTE_PGM_RSRC2:TGID_Y_EN: 0
; COMPUTE_PGM_RSRC2:TGID_Z_EN: 0
; COMPUTE_PGM_RSRC2:TIDIG_COMP_CNT: 0
	.section	.text._ZN7rocprim17ROCPRIM_400000_NS6detail17trampoline_kernelINS0_14default_configENS1_38merge_sort_block_merge_config_selectorIiNS0_10empty_typeEEEZZNS1_27merge_sort_block_merge_implIS3_N6thrust23THRUST_200600_302600_NS6detail15normal_iteratorINS9_10device_ptrIiEEEEPS5_jNS1_19radix_merge_compareILb1ELb0EiNS0_19identity_decomposerEEEEE10hipError_tT0_T1_T2_jT3_P12ihipStream_tbPNSt15iterator_traitsISK_E10value_typeEPNSQ_ISL_E10value_typeEPSM_NS1_7vsmem_tEENKUlT_SK_SL_SM_E_clIPiSE_SF_SF_EESJ_SZ_SK_SL_SM_EUlSZ_E1_NS1_11comp_targetILNS1_3genE4ELNS1_11target_archE910ELNS1_3gpuE8ELNS1_3repE0EEENS1_36merge_oddeven_config_static_selectorELNS0_4arch9wavefront6targetE0EEEvSL_,"axG",@progbits,_ZN7rocprim17ROCPRIM_400000_NS6detail17trampoline_kernelINS0_14default_configENS1_38merge_sort_block_merge_config_selectorIiNS0_10empty_typeEEEZZNS1_27merge_sort_block_merge_implIS3_N6thrust23THRUST_200600_302600_NS6detail15normal_iteratorINS9_10device_ptrIiEEEEPS5_jNS1_19radix_merge_compareILb1ELb0EiNS0_19identity_decomposerEEEEE10hipError_tT0_T1_T2_jT3_P12ihipStream_tbPNSt15iterator_traitsISK_E10value_typeEPNSQ_ISL_E10value_typeEPSM_NS1_7vsmem_tEENKUlT_SK_SL_SM_E_clIPiSE_SF_SF_EESJ_SZ_SK_SL_SM_EUlSZ_E1_NS1_11comp_targetILNS1_3genE4ELNS1_11target_archE910ELNS1_3gpuE8ELNS1_3repE0EEENS1_36merge_oddeven_config_static_selectorELNS0_4arch9wavefront6targetE0EEEvSL_,comdat
	.protected	_ZN7rocprim17ROCPRIM_400000_NS6detail17trampoline_kernelINS0_14default_configENS1_38merge_sort_block_merge_config_selectorIiNS0_10empty_typeEEEZZNS1_27merge_sort_block_merge_implIS3_N6thrust23THRUST_200600_302600_NS6detail15normal_iteratorINS9_10device_ptrIiEEEEPS5_jNS1_19radix_merge_compareILb1ELb0EiNS0_19identity_decomposerEEEEE10hipError_tT0_T1_T2_jT3_P12ihipStream_tbPNSt15iterator_traitsISK_E10value_typeEPNSQ_ISL_E10value_typeEPSM_NS1_7vsmem_tEENKUlT_SK_SL_SM_E_clIPiSE_SF_SF_EESJ_SZ_SK_SL_SM_EUlSZ_E1_NS1_11comp_targetILNS1_3genE4ELNS1_11target_archE910ELNS1_3gpuE8ELNS1_3repE0EEENS1_36merge_oddeven_config_static_selectorELNS0_4arch9wavefront6targetE0EEEvSL_ ; -- Begin function _ZN7rocprim17ROCPRIM_400000_NS6detail17trampoline_kernelINS0_14default_configENS1_38merge_sort_block_merge_config_selectorIiNS0_10empty_typeEEEZZNS1_27merge_sort_block_merge_implIS3_N6thrust23THRUST_200600_302600_NS6detail15normal_iteratorINS9_10device_ptrIiEEEEPS5_jNS1_19radix_merge_compareILb1ELb0EiNS0_19identity_decomposerEEEEE10hipError_tT0_T1_T2_jT3_P12ihipStream_tbPNSt15iterator_traitsISK_E10value_typeEPNSQ_ISL_E10value_typeEPSM_NS1_7vsmem_tEENKUlT_SK_SL_SM_E_clIPiSE_SF_SF_EESJ_SZ_SK_SL_SM_EUlSZ_E1_NS1_11comp_targetILNS1_3genE4ELNS1_11target_archE910ELNS1_3gpuE8ELNS1_3repE0EEENS1_36merge_oddeven_config_static_selectorELNS0_4arch9wavefront6targetE0EEEvSL_
	.globl	_ZN7rocprim17ROCPRIM_400000_NS6detail17trampoline_kernelINS0_14default_configENS1_38merge_sort_block_merge_config_selectorIiNS0_10empty_typeEEEZZNS1_27merge_sort_block_merge_implIS3_N6thrust23THRUST_200600_302600_NS6detail15normal_iteratorINS9_10device_ptrIiEEEEPS5_jNS1_19radix_merge_compareILb1ELb0EiNS0_19identity_decomposerEEEEE10hipError_tT0_T1_T2_jT3_P12ihipStream_tbPNSt15iterator_traitsISK_E10value_typeEPNSQ_ISL_E10value_typeEPSM_NS1_7vsmem_tEENKUlT_SK_SL_SM_E_clIPiSE_SF_SF_EESJ_SZ_SK_SL_SM_EUlSZ_E1_NS1_11comp_targetILNS1_3genE4ELNS1_11target_archE910ELNS1_3gpuE8ELNS1_3repE0EEENS1_36merge_oddeven_config_static_selectorELNS0_4arch9wavefront6targetE0EEEvSL_
	.p2align	8
	.type	_ZN7rocprim17ROCPRIM_400000_NS6detail17trampoline_kernelINS0_14default_configENS1_38merge_sort_block_merge_config_selectorIiNS0_10empty_typeEEEZZNS1_27merge_sort_block_merge_implIS3_N6thrust23THRUST_200600_302600_NS6detail15normal_iteratorINS9_10device_ptrIiEEEEPS5_jNS1_19radix_merge_compareILb1ELb0EiNS0_19identity_decomposerEEEEE10hipError_tT0_T1_T2_jT3_P12ihipStream_tbPNSt15iterator_traitsISK_E10value_typeEPNSQ_ISL_E10value_typeEPSM_NS1_7vsmem_tEENKUlT_SK_SL_SM_E_clIPiSE_SF_SF_EESJ_SZ_SK_SL_SM_EUlSZ_E1_NS1_11comp_targetILNS1_3genE4ELNS1_11target_archE910ELNS1_3gpuE8ELNS1_3repE0EEENS1_36merge_oddeven_config_static_selectorELNS0_4arch9wavefront6targetE0EEEvSL_,@function
_ZN7rocprim17ROCPRIM_400000_NS6detail17trampoline_kernelINS0_14default_configENS1_38merge_sort_block_merge_config_selectorIiNS0_10empty_typeEEEZZNS1_27merge_sort_block_merge_implIS3_N6thrust23THRUST_200600_302600_NS6detail15normal_iteratorINS9_10device_ptrIiEEEEPS5_jNS1_19radix_merge_compareILb1ELb0EiNS0_19identity_decomposerEEEEE10hipError_tT0_T1_T2_jT3_P12ihipStream_tbPNSt15iterator_traitsISK_E10value_typeEPNSQ_ISL_E10value_typeEPSM_NS1_7vsmem_tEENKUlT_SK_SL_SM_E_clIPiSE_SF_SF_EESJ_SZ_SK_SL_SM_EUlSZ_E1_NS1_11comp_targetILNS1_3genE4ELNS1_11target_archE910ELNS1_3gpuE8ELNS1_3repE0EEENS1_36merge_oddeven_config_static_selectorELNS0_4arch9wavefront6targetE0EEEvSL_: ; @_ZN7rocprim17ROCPRIM_400000_NS6detail17trampoline_kernelINS0_14default_configENS1_38merge_sort_block_merge_config_selectorIiNS0_10empty_typeEEEZZNS1_27merge_sort_block_merge_implIS3_N6thrust23THRUST_200600_302600_NS6detail15normal_iteratorINS9_10device_ptrIiEEEEPS5_jNS1_19radix_merge_compareILb1ELb0EiNS0_19identity_decomposerEEEEE10hipError_tT0_T1_T2_jT3_P12ihipStream_tbPNSt15iterator_traitsISK_E10value_typeEPNSQ_ISL_E10value_typeEPSM_NS1_7vsmem_tEENKUlT_SK_SL_SM_E_clIPiSE_SF_SF_EESJ_SZ_SK_SL_SM_EUlSZ_E1_NS1_11comp_targetILNS1_3genE4ELNS1_11target_archE910ELNS1_3gpuE8ELNS1_3repE0EEENS1_36merge_oddeven_config_static_selectorELNS0_4arch9wavefront6targetE0EEEvSL_
; %bb.0:
	.section	.rodata,"a",@progbits
	.p2align	6, 0x0
	.amdhsa_kernel _ZN7rocprim17ROCPRIM_400000_NS6detail17trampoline_kernelINS0_14default_configENS1_38merge_sort_block_merge_config_selectorIiNS0_10empty_typeEEEZZNS1_27merge_sort_block_merge_implIS3_N6thrust23THRUST_200600_302600_NS6detail15normal_iteratorINS9_10device_ptrIiEEEEPS5_jNS1_19radix_merge_compareILb1ELb0EiNS0_19identity_decomposerEEEEE10hipError_tT0_T1_T2_jT3_P12ihipStream_tbPNSt15iterator_traitsISK_E10value_typeEPNSQ_ISL_E10value_typeEPSM_NS1_7vsmem_tEENKUlT_SK_SL_SM_E_clIPiSE_SF_SF_EESJ_SZ_SK_SL_SM_EUlSZ_E1_NS1_11comp_targetILNS1_3genE4ELNS1_11target_archE910ELNS1_3gpuE8ELNS1_3repE0EEENS1_36merge_oddeven_config_static_selectorELNS0_4arch9wavefront6targetE0EEEvSL_
		.amdhsa_group_segment_fixed_size 0
		.amdhsa_private_segment_fixed_size 0
		.amdhsa_kernarg_size 48
		.amdhsa_user_sgpr_count 6
		.amdhsa_user_sgpr_private_segment_buffer 1
		.amdhsa_user_sgpr_dispatch_ptr 0
		.amdhsa_user_sgpr_queue_ptr 0
		.amdhsa_user_sgpr_kernarg_segment_ptr 1
		.amdhsa_user_sgpr_dispatch_id 0
		.amdhsa_user_sgpr_flat_scratch_init 0
		.amdhsa_user_sgpr_private_segment_size 0
		.amdhsa_wavefront_size32 1
		.amdhsa_uses_dynamic_stack 0
		.amdhsa_system_sgpr_private_segment_wavefront_offset 0
		.amdhsa_system_sgpr_workgroup_id_x 1
		.amdhsa_system_sgpr_workgroup_id_y 0
		.amdhsa_system_sgpr_workgroup_id_z 0
		.amdhsa_system_sgpr_workgroup_info 0
		.amdhsa_system_vgpr_workitem_id 0
		.amdhsa_next_free_vgpr 1
		.amdhsa_next_free_sgpr 1
		.amdhsa_reserve_vcc 0
		.amdhsa_reserve_flat_scratch 0
		.amdhsa_float_round_mode_32 0
		.amdhsa_float_round_mode_16_64 0
		.amdhsa_float_denorm_mode_32 3
		.amdhsa_float_denorm_mode_16_64 3
		.amdhsa_dx10_clamp 1
		.amdhsa_ieee_mode 1
		.amdhsa_fp16_overflow 0
		.amdhsa_workgroup_processor_mode 1
		.amdhsa_memory_ordered 1
		.amdhsa_forward_progress 1
		.amdhsa_shared_vgpr_count 0
		.amdhsa_exception_fp_ieee_invalid_op 0
		.amdhsa_exception_fp_denorm_src 0
		.amdhsa_exception_fp_ieee_div_zero 0
		.amdhsa_exception_fp_ieee_overflow 0
		.amdhsa_exception_fp_ieee_underflow 0
		.amdhsa_exception_fp_ieee_inexact 0
		.amdhsa_exception_int_div_zero 0
	.end_amdhsa_kernel
	.section	.text._ZN7rocprim17ROCPRIM_400000_NS6detail17trampoline_kernelINS0_14default_configENS1_38merge_sort_block_merge_config_selectorIiNS0_10empty_typeEEEZZNS1_27merge_sort_block_merge_implIS3_N6thrust23THRUST_200600_302600_NS6detail15normal_iteratorINS9_10device_ptrIiEEEEPS5_jNS1_19radix_merge_compareILb1ELb0EiNS0_19identity_decomposerEEEEE10hipError_tT0_T1_T2_jT3_P12ihipStream_tbPNSt15iterator_traitsISK_E10value_typeEPNSQ_ISL_E10value_typeEPSM_NS1_7vsmem_tEENKUlT_SK_SL_SM_E_clIPiSE_SF_SF_EESJ_SZ_SK_SL_SM_EUlSZ_E1_NS1_11comp_targetILNS1_3genE4ELNS1_11target_archE910ELNS1_3gpuE8ELNS1_3repE0EEENS1_36merge_oddeven_config_static_selectorELNS0_4arch9wavefront6targetE0EEEvSL_,"axG",@progbits,_ZN7rocprim17ROCPRIM_400000_NS6detail17trampoline_kernelINS0_14default_configENS1_38merge_sort_block_merge_config_selectorIiNS0_10empty_typeEEEZZNS1_27merge_sort_block_merge_implIS3_N6thrust23THRUST_200600_302600_NS6detail15normal_iteratorINS9_10device_ptrIiEEEEPS5_jNS1_19radix_merge_compareILb1ELb0EiNS0_19identity_decomposerEEEEE10hipError_tT0_T1_T2_jT3_P12ihipStream_tbPNSt15iterator_traitsISK_E10value_typeEPNSQ_ISL_E10value_typeEPSM_NS1_7vsmem_tEENKUlT_SK_SL_SM_E_clIPiSE_SF_SF_EESJ_SZ_SK_SL_SM_EUlSZ_E1_NS1_11comp_targetILNS1_3genE4ELNS1_11target_archE910ELNS1_3gpuE8ELNS1_3repE0EEENS1_36merge_oddeven_config_static_selectorELNS0_4arch9wavefront6targetE0EEEvSL_,comdat
.Lfunc_end241:
	.size	_ZN7rocprim17ROCPRIM_400000_NS6detail17trampoline_kernelINS0_14default_configENS1_38merge_sort_block_merge_config_selectorIiNS0_10empty_typeEEEZZNS1_27merge_sort_block_merge_implIS3_N6thrust23THRUST_200600_302600_NS6detail15normal_iteratorINS9_10device_ptrIiEEEEPS5_jNS1_19radix_merge_compareILb1ELb0EiNS0_19identity_decomposerEEEEE10hipError_tT0_T1_T2_jT3_P12ihipStream_tbPNSt15iterator_traitsISK_E10value_typeEPNSQ_ISL_E10value_typeEPSM_NS1_7vsmem_tEENKUlT_SK_SL_SM_E_clIPiSE_SF_SF_EESJ_SZ_SK_SL_SM_EUlSZ_E1_NS1_11comp_targetILNS1_3genE4ELNS1_11target_archE910ELNS1_3gpuE8ELNS1_3repE0EEENS1_36merge_oddeven_config_static_selectorELNS0_4arch9wavefront6targetE0EEEvSL_, .Lfunc_end241-_ZN7rocprim17ROCPRIM_400000_NS6detail17trampoline_kernelINS0_14default_configENS1_38merge_sort_block_merge_config_selectorIiNS0_10empty_typeEEEZZNS1_27merge_sort_block_merge_implIS3_N6thrust23THRUST_200600_302600_NS6detail15normal_iteratorINS9_10device_ptrIiEEEEPS5_jNS1_19radix_merge_compareILb1ELb0EiNS0_19identity_decomposerEEEEE10hipError_tT0_T1_T2_jT3_P12ihipStream_tbPNSt15iterator_traitsISK_E10value_typeEPNSQ_ISL_E10value_typeEPSM_NS1_7vsmem_tEENKUlT_SK_SL_SM_E_clIPiSE_SF_SF_EESJ_SZ_SK_SL_SM_EUlSZ_E1_NS1_11comp_targetILNS1_3genE4ELNS1_11target_archE910ELNS1_3gpuE8ELNS1_3repE0EEENS1_36merge_oddeven_config_static_selectorELNS0_4arch9wavefront6targetE0EEEvSL_
                                        ; -- End function
	.set _ZN7rocprim17ROCPRIM_400000_NS6detail17trampoline_kernelINS0_14default_configENS1_38merge_sort_block_merge_config_selectorIiNS0_10empty_typeEEEZZNS1_27merge_sort_block_merge_implIS3_N6thrust23THRUST_200600_302600_NS6detail15normal_iteratorINS9_10device_ptrIiEEEEPS5_jNS1_19radix_merge_compareILb1ELb0EiNS0_19identity_decomposerEEEEE10hipError_tT0_T1_T2_jT3_P12ihipStream_tbPNSt15iterator_traitsISK_E10value_typeEPNSQ_ISL_E10value_typeEPSM_NS1_7vsmem_tEENKUlT_SK_SL_SM_E_clIPiSE_SF_SF_EESJ_SZ_SK_SL_SM_EUlSZ_E1_NS1_11comp_targetILNS1_3genE4ELNS1_11target_archE910ELNS1_3gpuE8ELNS1_3repE0EEENS1_36merge_oddeven_config_static_selectorELNS0_4arch9wavefront6targetE0EEEvSL_.num_vgpr, 0
	.set _ZN7rocprim17ROCPRIM_400000_NS6detail17trampoline_kernelINS0_14default_configENS1_38merge_sort_block_merge_config_selectorIiNS0_10empty_typeEEEZZNS1_27merge_sort_block_merge_implIS3_N6thrust23THRUST_200600_302600_NS6detail15normal_iteratorINS9_10device_ptrIiEEEEPS5_jNS1_19radix_merge_compareILb1ELb0EiNS0_19identity_decomposerEEEEE10hipError_tT0_T1_T2_jT3_P12ihipStream_tbPNSt15iterator_traitsISK_E10value_typeEPNSQ_ISL_E10value_typeEPSM_NS1_7vsmem_tEENKUlT_SK_SL_SM_E_clIPiSE_SF_SF_EESJ_SZ_SK_SL_SM_EUlSZ_E1_NS1_11comp_targetILNS1_3genE4ELNS1_11target_archE910ELNS1_3gpuE8ELNS1_3repE0EEENS1_36merge_oddeven_config_static_selectorELNS0_4arch9wavefront6targetE0EEEvSL_.num_agpr, 0
	.set _ZN7rocprim17ROCPRIM_400000_NS6detail17trampoline_kernelINS0_14default_configENS1_38merge_sort_block_merge_config_selectorIiNS0_10empty_typeEEEZZNS1_27merge_sort_block_merge_implIS3_N6thrust23THRUST_200600_302600_NS6detail15normal_iteratorINS9_10device_ptrIiEEEEPS5_jNS1_19radix_merge_compareILb1ELb0EiNS0_19identity_decomposerEEEEE10hipError_tT0_T1_T2_jT3_P12ihipStream_tbPNSt15iterator_traitsISK_E10value_typeEPNSQ_ISL_E10value_typeEPSM_NS1_7vsmem_tEENKUlT_SK_SL_SM_E_clIPiSE_SF_SF_EESJ_SZ_SK_SL_SM_EUlSZ_E1_NS1_11comp_targetILNS1_3genE4ELNS1_11target_archE910ELNS1_3gpuE8ELNS1_3repE0EEENS1_36merge_oddeven_config_static_selectorELNS0_4arch9wavefront6targetE0EEEvSL_.numbered_sgpr, 0
	.set _ZN7rocprim17ROCPRIM_400000_NS6detail17trampoline_kernelINS0_14default_configENS1_38merge_sort_block_merge_config_selectorIiNS0_10empty_typeEEEZZNS1_27merge_sort_block_merge_implIS3_N6thrust23THRUST_200600_302600_NS6detail15normal_iteratorINS9_10device_ptrIiEEEEPS5_jNS1_19radix_merge_compareILb1ELb0EiNS0_19identity_decomposerEEEEE10hipError_tT0_T1_T2_jT3_P12ihipStream_tbPNSt15iterator_traitsISK_E10value_typeEPNSQ_ISL_E10value_typeEPSM_NS1_7vsmem_tEENKUlT_SK_SL_SM_E_clIPiSE_SF_SF_EESJ_SZ_SK_SL_SM_EUlSZ_E1_NS1_11comp_targetILNS1_3genE4ELNS1_11target_archE910ELNS1_3gpuE8ELNS1_3repE0EEENS1_36merge_oddeven_config_static_selectorELNS0_4arch9wavefront6targetE0EEEvSL_.num_named_barrier, 0
	.set _ZN7rocprim17ROCPRIM_400000_NS6detail17trampoline_kernelINS0_14default_configENS1_38merge_sort_block_merge_config_selectorIiNS0_10empty_typeEEEZZNS1_27merge_sort_block_merge_implIS3_N6thrust23THRUST_200600_302600_NS6detail15normal_iteratorINS9_10device_ptrIiEEEEPS5_jNS1_19radix_merge_compareILb1ELb0EiNS0_19identity_decomposerEEEEE10hipError_tT0_T1_T2_jT3_P12ihipStream_tbPNSt15iterator_traitsISK_E10value_typeEPNSQ_ISL_E10value_typeEPSM_NS1_7vsmem_tEENKUlT_SK_SL_SM_E_clIPiSE_SF_SF_EESJ_SZ_SK_SL_SM_EUlSZ_E1_NS1_11comp_targetILNS1_3genE4ELNS1_11target_archE910ELNS1_3gpuE8ELNS1_3repE0EEENS1_36merge_oddeven_config_static_selectorELNS0_4arch9wavefront6targetE0EEEvSL_.private_seg_size, 0
	.set _ZN7rocprim17ROCPRIM_400000_NS6detail17trampoline_kernelINS0_14default_configENS1_38merge_sort_block_merge_config_selectorIiNS0_10empty_typeEEEZZNS1_27merge_sort_block_merge_implIS3_N6thrust23THRUST_200600_302600_NS6detail15normal_iteratorINS9_10device_ptrIiEEEEPS5_jNS1_19radix_merge_compareILb1ELb0EiNS0_19identity_decomposerEEEEE10hipError_tT0_T1_T2_jT3_P12ihipStream_tbPNSt15iterator_traitsISK_E10value_typeEPNSQ_ISL_E10value_typeEPSM_NS1_7vsmem_tEENKUlT_SK_SL_SM_E_clIPiSE_SF_SF_EESJ_SZ_SK_SL_SM_EUlSZ_E1_NS1_11comp_targetILNS1_3genE4ELNS1_11target_archE910ELNS1_3gpuE8ELNS1_3repE0EEENS1_36merge_oddeven_config_static_selectorELNS0_4arch9wavefront6targetE0EEEvSL_.uses_vcc, 0
	.set _ZN7rocprim17ROCPRIM_400000_NS6detail17trampoline_kernelINS0_14default_configENS1_38merge_sort_block_merge_config_selectorIiNS0_10empty_typeEEEZZNS1_27merge_sort_block_merge_implIS3_N6thrust23THRUST_200600_302600_NS6detail15normal_iteratorINS9_10device_ptrIiEEEEPS5_jNS1_19radix_merge_compareILb1ELb0EiNS0_19identity_decomposerEEEEE10hipError_tT0_T1_T2_jT3_P12ihipStream_tbPNSt15iterator_traitsISK_E10value_typeEPNSQ_ISL_E10value_typeEPSM_NS1_7vsmem_tEENKUlT_SK_SL_SM_E_clIPiSE_SF_SF_EESJ_SZ_SK_SL_SM_EUlSZ_E1_NS1_11comp_targetILNS1_3genE4ELNS1_11target_archE910ELNS1_3gpuE8ELNS1_3repE0EEENS1_36merge_oddeven_config_static_selectorELNS0_4arch9wavefront6targetE0EEEvSL_.uses_flat_scratch, 0
	.set _ZN7rocprim17ROCPRIM_400000_NS6detail17trampoline_kernelINS0_14default_configENS1_38merge_sort_block_merge_config_selectorIiNS0_10empty_typeEEEZZNS1_27merge_sort_block_merge_implIS3_N6thrust23THRUST_200600_302600_NS6detail15normal_iteratorINS9_10device_ptrIiEEEEPS5_jNS1_19radix_merge_compareILb1ELb0EiNS0_19identity_decomposerEEEEE10hipError_tT0_T1_T2_jT3_P12ihipStream_tbPNSt15iterator_traitsISK_E10value_typeEPNSQ_ISL_E10value_typeEPSM_NS1_7vsmem_tEENKUlT_SK_SL_SM_E_clIPiSE_SF_SF_EESJ_SZ_SK_SL_SM_EUlSZ_E1_NS1_11comp_targetILNS1_3genE4ELNS1_11target_archE910ELNS1_3gpuE8ELNS1_3repE0EEENS1_36merge_oddeven_config_static_selectorELNS0_4arch9wavefront6targetE0EEEvSL_.has_dyn_sized_stack, 0
	.set _ZN7rocprim17ROCPRIM_400000_NS6detail17trampoline_kernelINS0_14default_configENS1_38merge_sort_block_merge_config_selectorIiNS0_10empty_typeEEEZZNS1_27merge_sort_block_merge_implIS3_N6thrust23THRUST_200600_302600_NS6detail15normal_iteratorINS9_10device_ptrIiEEEEPS5_jNS1_19radix_merge_compareILb1ELb0EiNS0_19identity_decomposerEEEEE10hipError_tT0_T1_T2_jT3_P12ihipStream_tbPNSt15iterator_traitsISK_E10value_typeEPNSQ_ISL_E10value_typeEPSM_NS1_7vsmem_tEENKUlT_SK_SL_SM_E_clIPiSE_SF_SF_EESJ_SZ_SK_SL_SM_EUlSZ_E1_NS1_11comp_targetILNS1_3genE4ELNS1_11target_archE910ELNS1_3gpuE8ELNS1_3repE0EEENS1_36merge_oddeven_config_static_selectorELNS0_4arch9wavefront6targetE0EEEvSL_.has_recursion, 0
	.set _ZN7rocprim17ROCPRIM_400000_NS6detail17trampoline_kernelINS0_14default_configENS1_38merge_sort_block_merge_config_selectorIiNS0_10empty_typeEEEZZNS1_27merge_sort_block_merge_implIS3_N6thrust23THRUST_200600_302600_NS6detail15normal_iteratorINS9_10device_ptrIiEEEEPS5_jNS1_19radix_merge_compareILb1ELb0EiNS0_19identity_decomposerEEEEE10hipError_tT0_T1_T2_jT3_P12ihipStream_tbPNSt15iterator_traitsISK_E10value_typeEPNSQ_ISL_E10value_typeEPSM_NS1_7vsmem_tEENKUlT_SK_SL_SM_E_clIPiSE_SF_SF_EESJ_SZ_SK_SL_SM_EUlSZ_E1_NS1_11comp_targetILNS1_3genE4ELNS1_11target_archE910ELNS1_3gpuE8ELNS1_3repE0EEENS1_36merge_oddeven_config_static_selectorELNS0_4arch9wavefront6targetE0EEEvSL_.has_indirect_call, 0
	.section	.AMDGPU.csdata,"",@progbits
; Kernel info:
; codeLenInByte = 0
; TotalNumSgprs: 0
; NumVgprs: 0
; ScratchSize: 0
; MemoryBound: 0
; FloatMode: 240
; IeeeMode: 1
; LDSByteSize: 0 bytes/workgroup (compile time only)
; SGPRBlocks: 0
; VGPRBlocks: 0
; NumSGPRsForWavesPerEU: 1
; NumVGPRsForWavesPerEU: 1
; Occupancy: 16
; WaveLimiterHint : 0
; COMPUTE_PGM_RSRC2:SCRATCH_EN: 0
; COMPUTE_PGM_RSRC2:USER_SGPR: 6
; COMPUTE_PGM_RSRC2:TRAP_HANDLER: 0
; COMPUTE_PGM_RSRC2:TGID_X_EN: 1
; COMPUTE_PGM_RSRC2:TGID_Y_EN: 0
; COMPUTE_PGM_RSRC2:TGID_Z_EN: 0
; COMPUTE_PGM_RSRC2:TIDIG_COMP_CNT: 0
	.section	.text._ZN7rocprim17ROCPRIM_400000_NS6detail17trampoline_kernelINS0_14default_configENS1_38merge_sort_block_merge_config_selectorIiNS0_10empty_typeEEEZZNS1_27merge_sort_block_merge_implIS3_N6thrust23THRUST_200600_302600_NS6detail15normal_iteratorINS9_10device_ptrIiEEEEPS5_jNS1_19radix_merge_compareILb1ELb0EiNS0_19identity_decomposerEEEEE10hipError_tT0_T1_T2_jT3_P12ihipStream_tbPNSt15iterator_traitsISK_E10value_typeEPNSQ_ISL_E10value_typeEPSM_NS1_7vsmem_tEENKUlT_SK_SL_SM_E_clIPiSE_SF_SF_EESJ_SZ_SK_SL_SM_EUlSZ_E1_NS1_11comp_targetILNS1_3genE3ELNS1_11target_archE908ELNS1_3gpuE7ELNS1_3repE0EEENS1_36merge_oddeven_config_static_selectorELNS0_4arch9wavefront6targetE0EEEvSL_,"axG",@progbits,_ZN7rocprim17ROCPRIM_400000_NS6detail17trampoline_kernelINS0_14default_configENS1_38merge_sort_block_merge_config_selectorIiNS0_10empty_typeEEEZZNS1_27merge_sort_block_merge_implIS3_N6thrust23THRUST_200600_302600_NS6detail15normal_iteratorINS9_10device_ptrIiEEEEPS5_jNS1_19radix_merge_compareILb1ELb0EiNS0_19identity_decomposerEEEEE10hipError_tT0_T1_T2_jT3_P12ihipStream_tbPNSt15iterator_traitsISK_E10value_typeEPNSQ_ISL_E10value_typeEPSM_NS1_7vsmem_tEENKUlT_SK_SL_SM_E_clIPiSE_SF_SF_EESJ_SZ_SK_SL_SM_EUlSZ_E1_NS1_11comp_targetILNS1_3genE3ELNS1_11target_archE908ELNS1_3gpuE7ELNS1_3repE0EEENS1_36merge_oddeven_config_static_selectorELNS0_4arch9wavefront6targetE0EEEvSL_,comdat
	.protected	_ZN7rocprim17ROCPRIM_400000_NS6detail17trampoline_kernelINS0_14default_configENS1_38merge_sort_block_merge_config_selectorIiNS0_10empty_typeEEEZZNS1_27merge_sort_block_merge_implIS3_N6thrust23THRUST_200600_302600_NS6detail15normal_iteratorINS9_10device_ptrIiEEEEPS5_jNS1_19radix_merge_compareILb1ELb0EiNS0_19identity_decomposerEEEEE10hipError_tT0_T1_T2_jT3_P12ihipStream_tbPNSt15iterator_traitsISK_E10value_typeEPNSQ_ISL_E10value_typeEPSM_NS1_7vsmem_tEENKUlT_SK_SL_SM_E_clIPiSE_SF_SF_EESJ_SZ_SK_SL_SM_EUlSZ_E1_NS1_11comp_targetILNS1_3genE3ELNS1_11target_archE908ELNS1_3gpuE7ELNS1_3repE0EEENS1_36merge_oddeven_config_static_selectorELNS0_4arch9wavefront6targetE0EEEvSL_ ; -- Begin function _ZN7rocprim17ROCPRIM_400000_NS6detail17trampoline_kernelINS0_14default_configENS1_38merge_sort_block_merge_config_selectorIiNS0_10empty_typeEEEZZNS1_27merge_sort_block_merge_implIS3_N6thrust23THRUST_200600_302600_NS6detail15normal_iteratorINS9_10device_ptrIiEEEEPS5_jNS1_19radix_merge_compareILb1ELb0EiNS0_19identity_decomposerEEEEE10hipError_tT0_T1_T2_jT3_P12ihipStream_tbPNSt15iterator_traitsISK_E10value_typeEPNSQ_ISL_E10value_typeEPSM_NS1_7vsmem_tEENKUlT_SK_SL_SM_E_clIPiSE_SF_SF_EESJ_SZ_SK_SL_SM_EUlSZ_E1_NS1_11comp_targetILNS1_3genE3ELNS1_11target_archE908ELNS1_3gpuE7ELNS1_3repE0EEENS1_36merge_oddeven_config_static_selectorELNS0_4arch9wavefront6targetE0EEEvSL_
	.globl	_ZN7rocprim17ROCPRIM_400000_NS6detail17trampoline_kernelINS0_14default_configENS1_38merge_sort_block_merge_config_selectorIiNS0_10empty_typeEEEZZNS1_27merge_sort_block_merge_implIS3_N6thrust23THRUST_200600_302600_NS6detail15normal_iteratorINS9_10device_ptrIiEEEEPS5_jNS1_19radix_merge_compareILb1ELb0EiNS0_19identity_decomposerEEEEE10hipError_tT0_T1_T2_jT3_P12ihipStream_tbPNSt15iterator_traitsISK_E10value_typeEPNSQ_ISL_E10value_typeEPSM_NS1_7vsmem_tEENKUlT_SK_SL_SM_E_clIPiSE_SF_SF_EESJ_SZ_SK_SL_SM_EUlSZ_E1_NS1_11comp_targetILNS1_3genE3ELNS1_11target_archE908ELNS1_3gpuE7ELNS1_3repE0EEENS1_36merge_oddeven_config_static_selectorELNS0_4arch9wavefront6targetE0EEEvSL_
	.p2align	8
	.type	_ZN7rocprim17ROCPRIM_400000_NS6detail17trampoline_kernelINS0_14default_configENS1_38merge_sort_block_merge_config_selectorIiNS0_10empty_typeEEEZZNS1_27merge_sort_block_merge_implIS3_N6thrust23THRUST_200600_302600_NS6detail15normal_iteratorINS9_10device_ptrIiEEEEPS5_jNS1_19radix_merge_compareILb1ELb0EiNS0_19identity_decomposerEEEEE10hipError_tT0_T1_T2_jT3_P12ihipStream_tbPNSt15iterator_traitsISK_E10value_typeEPNSQ_ISL_E10value_typeEPSM_NS1_7vsmem_tEENKUlT_SK_SL_SM_E_clIPiSE_SF_SF_EESJ_SZ_SK_SL_SM_EUlSZ_E1_NS1_11comp_targetILNS1_3genE3ELNS1_11target_archE908ELNS1_3gpuE7ELNS1_3repE0EEENS1_36merge_oddeven_config_static_selectorELNS0_4arch9wavefront6targetE0EEEvSL_,@function
_ZN7rocprim17ROCPRIM_400000_NS6detail17trampoline_kernelINS0_14default_configENS1_38merge_sort_block_merge_config_selectorIiNS0_10empty_typeEEEZZNS1_27merge_sort_block_merge_implIS3_N6thrust23THRUST_200600_302600_NS6detail15normal_iteratorINS9_10device_ptrIiEEEEPS5_jNS1_19radix_merge_compareILb1ELb0EiNS0_19identity_decomposerEEEEE10hipError_tT0_T1_T2_jT3_P12ihipStream_tbPNSt15iterator_traitsISK_E10value_typeEPNSQ_ISL_E10value_typeEPSM_NS1_7vsmem_tEENKUlT_SK_SL_SM_E_clIPiSE_SF_SF_EESJ_SZ_SK_SL_SM_EUlSZ_E1_NS1_11comp_targetILNS1_3genE3ELNS1_11target_archE908ELNS1_3gpuE7ELNS1_3repE0EEENS1_36merge_oddeven_config_static_selectorELNS0_4arch9wavefront6targetE0EEEvSL_: ; @_ZN7rocprim17ROCPRIM_400000_NS6detail17trampoline_kernelINS0_14default_configENS1_38merge_sort_block_merge_config_selectorIiNS0_10empty_typeEEEZZNS1_27merge_sort_block_merge_implIS3_N6thrust23THRUST_200600_302600_NS6detail15normal_iteratorINS9_10device_ptrIiEEEEPS5_jNS1_19radix_merge_compareILb1ELb0EiNS0_19identity_decomposerEEEEE10hipError_tT0_T1_T2_jT3_P12ihipStream_tbPNSt15iterator_traitsISK_E10value_typeEPNSQ_ISL_E10value_typeEPSM_NS1_7vsmem_tEENKUlT_SK_SL_SM_E_clIPiSE_SF_SF_EESJ_SZ_SK_SL_SM_EUlSZ_E1_NS1_11comp_targetILNS1_3genE3ELNS1_11target_archE908ELNS1_3gpuE7ELNS1_3repE0EEENS1_36merge_oddeven_config_static_selectorELNS0_4arch9wavefront6targetE0EEEvSL_
; %bb.0:
	.section	.rodata,"a",@progbits
	.p2align	6, 0x0
	.amdhsa_kernel _ZN7rocprim17ROCPRIM_400000_NS6detail17trampoline_kernelINS0_14default_configENS1_38merge_sort_block_merge_config_selectorIiNS0_10empty_typeEEEZZNS1_27merge_sort_block_merge_implIS3_N6thrust23THRUST_200600_302600_NS6detail15normal_iteratorINS9_10device_ptrIiEEEEPS5_jNS1_19radix_merge_compareILb1ELb0EiNS0_19identity_decomposerEEEEE10hipError_tT0_T1_T2_jT3_P12ihipStream_tbPNSt15iterator_traitsISK_E10value_typeEPNSQ_ISL_E10value_typeEPSM_NS1_7vsmem_tEENKUlT_SK_SL_SM_E_clIPiSE_SF_SF_EESJ_SZ_SK_SL_SM_EUlSZ_E1_NS1_11comp_targetILNS1_3genE3ELNS1_11target_archE908ELNS1_3gpuE7ELNS1_3repE0EEENS1_36merge_oddeven_config_static_selectorELNS0_4arch9wavefront6targetE0EEEvSL_
		.amdhsa_group_segment_fixed_size 0
		.amdhsa_private_segment_fixed_size 0
		.amdhsa_kernarg_size 48
		.amdhsa_user_sgpr_count 6
		.amdhsa_user_sgpr_private_segment_buffer 1
		.amdhsa_user_sgpr_dispatch_ptr 0
		.amdhsa_user_sgpr_queue_ptr 0
		.amdhsa_user_sgpr_kernarg_segment_ptr 1
		.amdhsa_user_sgpr_dispatch_id 0
		.amdhsa_user_sgpr_flat_scratch_init 0
		.amdhsa_user_sgpr_private_segment_size 0
		.amdhsa_wavefront_size32 1
		.amdhsa_uses_dynamic_stack 0
		.amdhsa_system_sgpr_private_segment_wavefront_offset 0
		.amdhsa_system_sgpr_workgroup_id_x 1
		.amdhsa_system_sgpr_workgroup_id_y 0
		.amdhsa_system_sgpr_workgroup_id_z 0
		.amdhsa_system_sgpr_workgroup_info 0
		.amdhsa_system_vgpr_workitem_id 0
		.amdhsa_next_free_vgpr 1
		.amdhsa_next_free_sgpr 1
		.amdhsa_reserve_vcc 0
		.amdhsa_reserve_flat_scratch 0
		.amdhsa_float_round_mode_32 0
		.amdhsa_float_round_mode_16_64 0
		.amdhsa_float_denorm_mode_32 3
		.amdhsa_float_denorm_mode_16_64 3
		.amdhsa_dx10_clamp 1
		.amdhsa_ieee_mode 1
		.amdhsa_fp16_overflow 0
		.amdhsa_workgroup_processor_mode 1
		.amdhsa_memory_ordered 1
		.amdhsa_forward_progress 1
		.amdhsa_shared_vgpr_count 0
		.amdhsa_exception_fp_ieee_invalid_op 0
		.amdhsa_exception_fp_denorm_src 0
		.amdhsa_exception_fp_ieee_div_zero 0
		.amdhsa_exception_fp_ieee_overflow 0
		.amdhsa_exception_fp_ieee_underflow 0
		.amdhsa_exception_fp_ieee_inexact 0
		.amdhsa_exception_int_div_zero 0
	.end_amdhsa_kernel
	.section	.text._ZN7rocprim17ROCPRIM_400000_NS6detail17trampoline_kernelINS0_14default_configENS1_38merge_sort_block_merge_config_selectorIiNS0_10empty_typeEEEZZNS1_27merge_sort_block_merge_implIS3_N6thrust23THRUST_200600_302600_NS6detail15normal_iteratorINS9_10device_ptrIiEEEEPS5_jNS1_19radix_merge_compareILb1ELb0EiNS0_19identity_decomposerEEEEE10hipError_tT0_T1_T2_jT3_P12ihipStream_tbPNSt15iterator_traitsISK_E10value_typeEPNSQ_ISL_E10value_typeEPSM_NS1_7vsmem_tEENKUlT_SK_SL_SM_E_clIPiSE_SF_SF_EESJ_SZ_SK_SL_SM_EUlSZ_E1_NS1_11comp_targetILNS1_3genE3ELNS1_11target_archE908ELNS1_3gpuE7ELNS1_3repE0EEENS1_36merge_oddeven_config_static_selectorELNS0_4arch9wavefront6targetE0EEEvSL_,"axG",@progbits,_ZN7rocprim17ROCPRIM_400000_NS6detail17trampoline_kernelINS0_14default_configENS1_38merge_sort_block_merge_config_selectorIiNS0_10empty_typeEEEZZNS1_27merge_sort_block_merge_implIS3_N6thrust23THRUST_200600_302600_NS6detail15normal_iteratorINS9_10device_ptrIiEEEEPS5_jNS1_19radix_merge_compareILb1ELb0EiNS0_19identity_decomposerEEEEE10hipError_tT0_T1_T2_jT3_P12ihipStream_tbPNSt15iterator_traitsISK_E10value_typeEPNSQ_ISL_E10value_typeEPSM_NS1_7vsmem_tEENKUlT_SK_SL_SM_E_clIPiSE_SF_SF_EESJ_SZ_SK_SL_SM_EUlSZ_E1_NS1_11comp_targetILNS1_3genE3ELNS1_11target_archE908ELNS1_3gpuE7ELNS1_3repE0EEENS1_36merge_oddeven_config_static_selectorELNS0_4arch9wavefront6targetE0EEEvSL_,comdat
.Lfunc_end242:
	.size	_ZN7rocprim17ROCPRIM_400000_NS6detail17trampoline_kernelINS0_14default_configENS1_38merge_sort_block_merge_config_selectorIiNS0_10empty_typeEEEZZNS1_27merge_sort_block_merge_implIS3_N6thrust23THRUST_200600_302600_NS6detail15normal_iteratorINS9_10device_ptrIiEEEEPS5_jNS1_19radix_merge_compareILb1ELb0EiNS0_19identity_decomposerEEEEE10hipError_tT0_T1_T2_jT3_P12ihipStream_tbPNSt15iterator_traitsISK_E10value_typeEPNSQ_ISL_E10value_typeEPSM_NS1_7vsmem_tEENKUlT_SK_SL_SM_E_clIPiSE_SF_SF_EESJ_SZ_SK_SL_SM_EUlSZ_E1_NS1_11comp_targetILNS1_3genE3ELNS1_11target_archE908ELNS1_3gpuE7ELNS1_3repE0EEENS1_36merge_oddeven_config_static_selectorELNS0_4arch9wavefront6targetE0EEEvSL_, .Lfunc_end242-_ZN7rocprim17ROCPRIM_400000_NS6detail17trampoline_kernelINS0_14default_configENS1_38merge_sort_block_merge_config_selectorIiNS0_10empty_typeEEEZZNS1_27merge_sort_block_merge_implIS3_N6thrust23THRUST_200600_302600_NS6detail15normal_iteratorINS9_10device_ptrIiEEEEPS5_jNS1_19radix_merge_compareILb1ELb0EiNS0_19identity_decomposerEEEEE10hipError_tT0_T1_T2_jT3_P12ihipStream_tbPNSt15iterator_traitsISK_E10value_typeEPNSQ_ISL_E10value_typeEPSM_NS1_7vsmem_tEENKUlT_SK_SL_SM_E_clIPiSE_SF_SF_EESJ_SZ_SK_SL_SM_EUlSZ_E1_NS1_11comp_targetILNS1_3genE3ELNS1_11target_archE908ELNS1_3gpuE7ELNS1_3repE0EEENS1_36merge_oddeven_config_static_selectorELNS0_4arch9wavefront6targetE0EEEvSL_
                                        ; -- End function
	.set _ZN7rocprim17ROCPRIM_400000_NS6detail17trampoline_kernelINS0_14default_configENS1_38merge_sort_block_merge_config_selectorIiNS0_10empty_typeEEEZZNS1_27merge_sort_block_merge_implIS3_N6thrust23THRUST_200600_302600_NS6detail15normal_iteratorINS9_10device_ptrIiEEEEPS5_jNS1_19radix_merge_compareILb1ELb0EiNS0_19identity_decomposerEEEEE10hipError_tT0_T1_T2_jT3_P12ihipStream_tbPNSt15iterator_traitsISK_E10value_typeEPNSQ_ISL_E10value_typeEPSM_NS1_7vsmem_tEENKUlT_SK_SL_SM_E_clIPiSE_SF_SF_EESJ_SZ_SK_SL_SM_EUlSZ_E1_NS1_11comp_targetILNS1_3genE3ELNS1_11target_archE908ELNS1_3gpuE7ELNS1_3repE0EEENS1_36merge_oddeven_config_static_selectorELNS0_4arch9wavefront6targetE0EEEvSL_.num_vgpr, 0
	.set _ZN7rocprim17ROCPRIM_400000_NS6detail17trampoline_kernelINS0_14default_configENS1_38merge_sort_block_merge_config_selectorIiNS0_10empty_typeEEEZZNS1_27merge_sort_block_merge_implIS3_N6thrust23THRUST_200600_302600_NS6detail15normal_iteratorINS9_10device_ptrIiEEEEPS5_jNS1_19radix_merge_compareILb1ELb0EiNS0_19identity_decomposerEEEEE10hipError_tT0_T1_T2_jT3_P12ihipStream_tbPNSt15iterator_traitsISK_E10value_typeEPNSQ_ISL_E10value_typeEPSM_NS1_7vsmem_tEENKUlT_SK_SL_SM_E_clIPiSE_SF_SF_EESJ_SZ_SK_SL_SM_EUlSZ_E1_NS1_11comp_targetILNS1_3genE3ELNS1_11target_archE908ELNS1_3gpuE7ELNS1_3repE0EEENS1_36merge_oddeven_config_static_selectorELNS0_4arch9wavefront6targetE0EEEvSL_.num_agpr, 0
	.set _ZN7rocprim17ROCPRIM_400000_NS6detail17trampoline_kernelINS0_14default_configENS1_38merge_sort_block_merge_config_selectorIiNS0_10empty_typeEEEZZNS1_27merge_sort_block_merge_implIS3_N6thrust23THRUST_200600_302600_NS6detail15normal_iteratorINS9_10device_ptrIiEEEEPS5_jNS1_19radix_merge_compareILb1ELb0EiNS0_19identity_decomposerEEEEE10hipError_tT0_T1_T2_jT3_P12ihipStream_tbPNSt15iterator_traitsISK_E10value_typeEPNSQ_ISL_E10value_typeEPSM_NS1_7vsmem_tEENKUlT_SK_SL_SM_E_clIPiSE_SF_SF_EESJ_SZ_SK_SL_SM_EUlSZ_E1_NS1_11comp_targetILNS1_3genE3ELNS1_11target_archE908ELNS1_3gpuE7ELNS1_3repE0EEENS1_36merge_oddeven_config_static_selectorELNS0_4arch9wavefront6targetE0EEEvSL_.numbered_sgpr, 0
	.set _ZN7rocprim17ROCPRIM_400000_NS6detail17trampoline_kernelINS0_14default_configENS1_38merge_sort_block_merge_config_selectorIiNS0_10empty_typeEEEZZNS1_27merge_sort_block_merge_implIS3_N6thrust23THRUST_200600_302600_NS6detail15normal_iteratorINS9_10device_ptrIiEEEEPS5_jNS1_19radix_merge_compareILb1ELb0EiNS0_19identity_decomposerEEEEE10hipError_tT0_T1_T2_jT3_P12ihipStream_tbPNSt15iterator_traitsISK_E10value_typeEPNSQ_ISL_E10value_typeEPSM_NS1_7vsmem_tEENKUlT_SK_SL_SM_E_clIPiSE_SF_SF_EESJ_SZ_SK_SL_SM_EUlSZ_E1_NS1_11comp_targetILNS1_3genE3ELNS1_11target_archE908ELNS1_3gpuE7ELNS1_3repE0EEENS1_36merge_oddeven_config_static_selectorELNS0_4arch9wavefront6targetE0EEEvSL_.num_named_barrier, 0
	.set _ZN7rocprim17ROCPRIM_400000_NS6detail17trampoline_kernelINS0_14default_configENS1_38merge_sort_block_merge_config_selectorIiNS0_10empty_typeEEEZZNS1_27merge_sort_block_merge_implIS3_N6thrust23THRUST_200600_302600_NS6detail15normal_iteratorINS9_10device_ptrIiEEEEPS5_jNS1_19radix_merge_compareILb1ELb0EiNS0_19identity_decomposerEEEEE10hipError_tT0_T1_T2_jT3_P12ihipStream_tbPNSt15iterator_traitsISK_E10value_typeEPNSQ_ISL_E10value_typeEPSM_NS1_7vsmem_tEENKUlT_SK_SL_SM_E_clIPiSE_SF_SF_EESJ_SZ_SK_SL_SM_EUlSZ_E1_NS1_11comp_targetILNS1_3genE3ELNS1_11target_archE908ELNS1_3gpuE7ELNS1_3repE0EEENS1_36merge_oddeven_config_static_selectorELNS0_4arch9wavefront6targetE0EEEvSL_.private_seg_size, 0
	.set _ZN7rocprim17ROCPRIM_400000_NS6detail17trampoline_kernelINS0_14default_configENS1_38merge_sort_block_merge_config_selectorIiNS0_10empty_typeEEEZZNS1_27merge_sort_block_merge_implIS3_N6thrust23THRUST_200600_302600_NS6detail15normal_iteratorINS9_10device_ptrIiEEEEPS5_jNS1_19radix_merge_compareILb1ELb0EiNS0_19identity_decomposerEEEEE10hipError_tT0_T1_T2_jT3_P12ihipStream_tbPNSt15iterator_traitsISK_E10value_typeEPNSQ_ISL_E10value_typeEPSM_NS1_7vsmem_tEENKUlT_SK_SL_SM_E_clIPiSE_SF_SF_EESJ_SZ_SK_SL_SM_EUlSZ_E1_NS1_11comp_targetILNS1_3genE3ELNS1_11target_archE908ELNS1_3gpuE7ELNS1_3repE0EEENS1_36merge_oddeven_config_static_selectorELNS0_4arch9wavefront6targetE0EEEvSL_.uses_vcc, 0
	.set _ZN7rocprim17ROCPRIM_400000_NS6detail17trampoline_kernelINS0_14default_configENS1_38merge_sort_block_merge_config_selectorIiNS0_10empty_typeEEEZZNS1_27merge_sort_block_merge_implIS3_N6thrust23THRUST_200600_302600_NS6detail15normal_iteratorINS9_10device_ptrIiEEEEPS5_jNS1_19radix_merge_compareILb1ELb0EiNS0_19identity_decomposerEEEEE10hipError_tT0_T1_T2_jT3_P12ihipStream_tbPNSt15iterator_traitsISK_E10value_typeEPNSQ_ISL_E10value_typeEPSM_NS1_7vsmem_tEENKUlT_SK_SL_SM_E_clIPiSE_SF_SF_EESJ_SZ_SK_SL_SM_EUlSZ_E1_NS1_11comp_targetILNS1_3genE3ELNS1_11target_archE908ELNS1_3gpuE7ELNS1_3repE0EEENS1_36merge_oddeven_config_static_selectorELNS0_4arch9wavefront6targetE0EEEvSL_.uses_flat_scratch, 0
	.set _ZN7rocprim17ROCPRIM_400000_NS6detail17trampoline_kernelINS0_14default_configENS1_38merge_sort_block_merge_config_selectorIiNS0_10empty_typeEEEZZNS1_27merge_sort_block_merge_implIS3_N6thrust23THRUST_200600_302600_NS6detail15normal_iteratorINS9_10device_ptrIiEEEEPS5_jNS1_19radix_merge_compareILb1ELb0EiNS0_19identity_decomposerEEEEE10hipError_tT0_T1_T2_jT3_P12ihipStream_tbPNSt15iterator_traitsISK_E10value_typeEPNSQ_ISL_E10value_typeEPSM_NS1_7vsmem_tEENKUlT_SK_SL_SM_E_clIPiSE_SF_SF_EESJ_SZ_SK_SL_SM_EUlSZ_E1_NS1_11comp_targetILNS1_3genE3ELNS1_11target_archE908ELNS1_3gpuE7ELNS1_3repE0EEENS1_36merge_oddeven_config_static_selectorELNS0_4arch9wavefront6targetE0EEEvSL_.has_dyn_sized_stack, 0
	.set _ZN7rocprim17ROCPRIM_400000_NS6detail17trampoline_kernelINS0_14default_configENS1_38merge_sort_block_merge_config_selectorIiNS0_10empty_typeEEEZZNS1_27merge_sort_block_merge_implIS3_N6thrust23THRUST_200600_302600_NS6detail15normal_iteratorINS9_10device_ptrIiEEEEPS5_jNS1_19radix_merge_compareILb1ELb0EiNS0_19identity_decomposerEEEEE10hipError_tT0_T1_T2_jT3_P12ihipStream_tbPNSt15iterator_traitsISK_E10value_typeEPNSQ_ISL_E10value_typeEPSM_NS1_7vsmem_tEENKUlT_SK_SL_SM_E_clIPiSE_SF_SF_EESJ_SZ_SK_SL_SM_EUlSZ_E1_NS1_11comp_targetILNS1_3genE3ELNS1_11target_archE908ELNS1_3gpuE7ELNS1_3repE0EEENS1_36merge_oddeven_config_static_selectorELNS0_4arch9wavefront6targetE0EEEvSL_.has_recursion, 0
	.set _ZN7rocprim17ROCPRIM_400000_NS6detail17trampoline_kernelINS0_14default_configENS1_38merge_sort_block_merge_config_selectorIiNS0_10empty_typeEEEZZNS1_27merge_sort_block_merge_implIS3_N6thrust23THRUST_200600_302600_NS6detail15normal_iteratorINS9_10device_ptrIiEEEEPS5_jNS1_19radix_merge_compareILb1ELb0EiNS0_19identity_decomposerEEEEE10hipError_tT0_T1_T2_jT3_P12ihipStream_tbPNSt15iterator_traitsISK_E10value_typeEPNSQ_ISL_E10value_typeEPSM_NS1_7vsmem_tEENKUlT_SK_SL_SM_E_clIPiSE_SF_SF_EESJ_SZ_SK_SL_SM_EUlSZ_E1_NS1_11comp_targetILNS1_3genE3ELNS1_11target_archE908ELNS1_3gpuE7ELNS1_3repE0EEENS1_36merge_oddeven_config_static_selectorELNS0_4arch9wavefront6targetE0EEEvSL_.has_indirect_call, 0
	.section	.AMDGPU.csdata,"",@progbits
; Kernel info:
; codeLenInByte = 0
; TotalNumSgprs: 0
; NumVgprs: 0
; ScratchSize: 0
; MemoryBound: 0
; FloatMode: 240
; IeeeMode: 1
; LDSByteSize: 0 bytes/workgroup (compile time only)
; SGPRBlocks: 0
; VGPRBlocks: 0
; NumSGPRsForWavesPerEU: 1
; NumVGPRsForWavesPerEU: 1
; Occupancy: 16
; WaveLimiterHint : 0
; COMPUTE_PGM_RSRC2:SCRATCH_EN: 0
; COMPUTE_PGM_RSRC2:USER_SGPR: 6
; COMPUTE_PGM_RSRC2:TRAP_HANDLER: 0
; COMPUTE_PGM_RSRC2:TGID_X_EN: 1
; COMPUTE_PGM_RSRC2:TGID_Y_EN: 0
; COMPUTE_PGM_RSRC2:TGID_Z_EN: 0
; COMPUTE_PGM_RSRC2:TIDIG_COMP_CNT: 0
	.section	.text._ZN7rocprim17ROCPRIM_400000_NS6detail17trampoline_kernelINS0_14default_configENS1_38merge_sort_block_merge_config_selectorIiNS0_10empty_typeEEEZZNS1_27merge_sort_block_merge_implIS3_N6thrust23THRUST_200600_302600_NS6detail15normal_iteratorINS9_10device_ptrIiEEEEPS5_jNS1_19radix_merge_compareILb1ELb0EiNS0_19identity_decomposerEEEEE10hipError_tT0_T1_T2_jT3_P12ihipStream_tbPNSt15iterator_traitsISK_E10value_typeEPNSQ_ISL_E10value_typeEPSM_NS1_7vsmem_tEENKUlT_SK_SL_SM_E_clIPiSE_SF_SF_EESJ_SZ_SK_SL_SM_EUlSZ_E1_NS1_11comp_targetILNS1_3genE2ELNS1_11target_archE906ELNS1_3gpuE6ELNS1_3repE0EEENS1_36merge_oddeven_config_static_selectorELNS0_4arch9wavefront6targetE0EEEvSL_,"axG",@progbits,_ZN7rocprim17ROCPRIM_400000_NS6detail17trampoline_kernelINS0_14default_configENS1_38merge_sort_block_merge_config_selectorIiNS0_10empty_typeEEEZZNS1_27merge_sort_block_merge_implIS3_N6thrust23THRUST_200600_302600_NS6detail15normal_iteratorINS9_10device_ptrIiEEEEPS5_jNS1_19radix_merge_compareILb1ELb0EiNS0_19identity_decomposerEEEEE10hipError_tT0_T1_T2_jT3_P12ihipStream_tbPNSt15iterator_traitsISK_E10value_typeEPNSQ_ISL_E10value_typeEPSM_NS1_7vsmem_tEENKUlT_SK_SL_SM_E_clIPiSE_SF_SF_EESJ_SZ_SK_SL_SM_EUlSZ_E1_NS1_11comp_targetILNS1_3genE2ELNS1_11target_archE906ELNS1_3gpuE6ELNS1_3repE0EEENS1_36merge_oddeven_config_static_selectorELNS0_4arch9wavefront6targetE0EEEvSL_,comdat
	.protected	_ZN7rocprim17ROCPRIM_400000_NS6detail17trampoline_kernelINS0_14default_configENS1_38merge_sort_block_merge_config_selectorIiNS0_10empty_typeEEEZZNS1_27merge_sort_block_merge_implIS3_N6thrust23THRUST_200600_302600_NS6detail15normal_iteratorINS9_10device_ptrIiEEEEPS5_jNS1_19radix_merge_compareILb1ELb0EiNS0_19identity_decomposerEEEEE10hipError_tT0_T1_T2_jT3_P12ihipStream_tbPNSt15iterator_traitsISK_E10value_typeEPNSQ_ISL_E10value_typeEPSM_NS1_7vsmem_tEENKUlT_SK_SL_SM_E_clIPiSE_SF_SF_EESJ_SZ_SK_SL_SM_EUlSZ_E1_NS1_11comp_targetILNS1_3genE2ELNS1_11target_archE906ELNS1_3gpuE6ELNS1_3repE0EEENS1_36merge_oddeven_config_static_selectorELNS0_4arch9wavefront6targetE0EEEvSL_ ; -- Begin function _ZN7rocprim17ROCPRIM_400000_NS6detail17trampoline_kernelINS0_14default_configENS1_38merge_sort_block_merge_config_selectorIiNS0_10empty_typeEEEZZNS1_27merge_sort_block_merge_implIS3_N6thrust23THRUST_200600_302600_NS6detail15normal_iteratorINS9_10device_ptrIiEEEEPS5_jNS1_19radix_merge_compareILb1ELb0EiNS0_19identity_decomposerEEEEE10hipError_tT0_T1_T2_jT3_P12ihipStream_tbPNSt15iterator_traitsISK_E10value_typeEPNSQ_ISL_E10value_typeEPSM_NS1_7vsmem_tEENKUlT_SK_SL_SM_E_clIPiSE_SF_SF_EESJ_SZ_SK_SL_SM_EUlSZ_E1_NS1_11comp_targetILNS1_3genE2ELNS1_11target_archE906ELNS1_3gpuE6ELNS1_3repE0EEENS1_36merge_oddeven_config_static_selectorELNS0_4arch9wavefront6targetE0EEEvSL_
	.globl	_ZN7rocprim17ROCPRIM_400000_NS6detail17trampoline_kernelINS0_14default_configENS1_38merge_sort_block_merge_config_selectorIiNS0_10empty_typeEEEZZNS1_27merge_sort_block_merge_implIS3_N6thrust23THRUST_200600_302600_NS6detail15normal_iteratorINS9_10device_ptrIiEEEEPS5_jNS1_19radix_merge_compareILb1ELb0EiNS0_19identity_decomposerEEEEE10hipError_tT0_T1_T2_jT3_P12ihipStream_tbPNSt15iterator_traitsISK_E10value_typeEPNSQ_ISL_E10value_typeEPSM_NS1_7vsmem_tEENKUlT_SK_SL_SM_E_clIPiSE_SF_SF_EESJ_SZ_SK_SL_SM_EUlSZ_E1_NS1_11comp_targetILNS1_3genE2ELNS1_11target_archE906ELNS1_3gpuE6ELNS1_3repE0EEENS1_36merge_oddeven_config_static_selectorELNS0_4arch9wavefront6targetE0EEEvSL_
	.p2align	8
	.type	_ZN7rocprim17ROCPRIM_400000_NS6detail17trampoline_kernelINS0_14default_configENS1_38merge_sort_block_merge_config_selectorIiNS0_10empty_typeEEEZZNS1_27merge_sort_block_merge_implIS3_N6thrust23THRUST_200600_302600_NS6detail15normal_iteratorINS9_10device_ptrIiEEEEPS5_jNS1_19radix_merge_compareILb1ELb0EiNS0_19identity_decomposerEEEEE10hipError_tT0_T1_T2_jT3_P12ihipStream_tbPNSt15iterator_traitsISK_E10value_typeEPNSQ_ISL_E10value_typeEPSM_NS1_7vsmem_tEENKUlT_SK_SL_SM_E_clIPiSE_SF_SF_EESJ_SZ_SK_SL_SM_EUlSZ_E1_NS1_11comp_targetILNS1_3genE2ELNS1_11target_archE906ELNS1_3gpuE6ELNS1_3repE0EEENS1_36merge_oddeven_config_static_selectorELNS0_4arch9wavefront6targetE0EEEvSL_,@function
_ZN7rocprim17ROCPRIM_400000_NS6detail17trampoline_kernelINS0_14default_configENS1_38merge_sort_block_merge_config_selectorIiNS0_10empty_typeEEEZZNS1_27merge_sort_block_merge_implIS3_N6thrust23THRUST_200600_302600_NS6detail15normal_iteratorINS9_10device_ptrIiEEEEPS5_jNS1_19radix_merge_compareILb1ELb0EiNS0_19identity_decomposerEEEEE10hipError_tT0_T1_T2_jT3_P12ihipStream_tbPNSt15iterator_traitsISK_E10value_typeEPNSQ_ISL_E10value_typeEPSM_NS1_7vsmem_tEENKUlT_SK_SL_SM_E_clIPiSE_SF_SF_EESJ_SZ_SK_SL_SM_EUlSZ_E1_NS1_11comp_targetILNS1_3genE2ELNS1_11target_archE906ELNS1_3gpuE6ELNS1_3repE0EEENS1_36merge_oddeven_config_static_selectorELNS0_4arch9wavefront6targetE0EEEvSL_: ; @_ZN7rocprim17ROCPRIM_400000_NS6detail17trampoline_kernelINS0_14default_configENS1_38merge_sort_block_merge_config_selectorIiNS0_10empty_typeEEEZZNS1_27merge_sort_block_merge_implIS3_N6thrust23THRUST_200600_302600_NS6detail15normal_iteratorINS9_10device_ptrIiEEEEPS5_jNS1_19radix_merge_compareILb1ELb0EiNS0_19identity_decomposerEEEEE10hipError_tT0_T1_T2_jT3_P12ihipStream_tbPNSt15iterator_traitsISK_E10value_typeEPNSQ_ISL_E10value_typeEPSM_NS1_7vsmem_tEENKUlT_SK_SL_SM_E_clIPiSE_SF_SF_EESJ_SZ_SK_SL_SM_EUlSZ_E1_NS1_11comp_targetILNS1_3genE2ELNS1_11target_archE906ELNS1_3gpuE6ELNS1_3repE0EEENS1_36merge_oddeven_config_static_selectorELNS0_4arch9wavefront6targetE0EEEvSL_
; %bb.0:
	.section	.rodata,"a",@progbits
	.p2align	6, 0x0
	.amdhsa_kernel _ZN7rocprim17ROCPRIM_400000_NS6detail17trampoline_kernelINS0_14default_configENS1_38merge_sort_block_merge_config_selectorIiNS0_10empty_typeEEEZZNS1_27merge_sort_block_merge_implIS3_N6thrust23THRUST_200600_302600_NS6detail15normal_iteratorINS9_10device_ptrIiEEEEPS5_jNS1_19radix_merge_compareILb1ELb0EiNS0_19identity_decomposerEEEEE10hipError_tT0_T1_T2_jT3_P12ihipStream_tbPNSt15iterator_traitsISK_E10value_typeEPNSQ_ISL_E10value_typeEPSM_NS1_7vsmem_tEENKUlT_SK_SL_SM_E_clIPiSE_SF_SF_EESJ_SZ_SK_SL_SM_EUlSZ_E1_NS1_11comp_targetILNS1_3genE2ELNS1_11target_archE906ELNS1_3gpuE6ELNS1_3repE0EEENS1_36merge_oddeven_config_static_selectorELNS0_4arch9wavefront6targetE0EEEvSL_
		.amdhsa_group_segment_fixed_size 0
		.amdhsa_private_segment_fixed_size 0
		.amdhsa_kernarg_size 48
		.amdhsa_user_sgpr_count 6
		.amdhsa_user_sgpr_private_segment_buffer 1
		.amdhsa_user_sgpr_dispatch_ptr 0
		.amdhsa_user_sgpr_queue_ptr 0
		.amdhsa_user_sgpr_kernarg_segment_ptr 1
		.amdhsa_user_sgpr_dispatch_id 0
		.amdhsa_user_sgpr_flat_scratch_init 0
		.amdhsa_user_sgpr_private_segment_size 0
		.amdhsa_wavefront_size32 1
		.amdhsa_uses_dynamic_stack 0
		.amdhsa_system_sgpr_private_segment_wavefront_offset 0
		.amdhsa_system_sgpr_workgroup_id_x 1
		.amdhsa_system_sgpr_workgroup_id_y 0
		.amdhsa_system_sgpr_workgroup_id_z 0
		.amdhsa_system_sgpr_workgroup_info 0
		.amdhsa_system_vgpr_workitem_id 0
		.amdhsa_next_free_vgpr 1
		.amdhsa_next_free_sgpr 1
		.amdhsa_reserve_vcc 0
		.amdhsa_reserve_flat_scratch 0
		.amdhsa_float_round_mode_32 0
		.amdhsa_float_round_mode_16_64 0
		.amdhsa_float_denorm_mode_32 3
		.amdhsa_float_denorm_mode_16_64 3
		.amdhsa_dx10_clamp 1
		.amdhsa_ieee_mode 1
		.amdhsa_fp16_overflow 0
		.amdhsa_workgroup_processor_mode 1
		.amdhsa_memory_ordered 1
		.amdhsa_forward_progress 1
		.amdhsa_shared_vgpr_count 0
		.amdhsa_exception_fp_ieee_invalid_op 0
		.amdhsa_exception_fp_denorm_src 0
		.amdhsa_exception_fp_ieee_div_zero 0
		.amdhsa_exception_fp_ieee_overflow 0
		.amdhsa_exception_fp_ieee_underflow 0
		.amdhsa_exception_fp_ieee_inexact 0
		.amdhsa_exception_int_div_zero 0
	.end_amdhsa_kernel
	.section	.text._ZN7rocprim17ROCPRIM_400000_NS6detail17trampoline_kernelINS0_14default_configENS1_38merge_sort_block_merge_config_selectorIiNS0_10empty_typeEEEZZNS1_27merge_sort_block_merge_implIS3_N6thrust23THRUST_200600_302600_NS6detail15normal_iteratorINS9_10device_ptrIiEEEEPS5_jNS1_19radix_merge_compareILb1ELb0EiNS0_19identity_decomposerEEEEE10hipError_tT0_T1_T2_jT3_P12ihipStream_tbPNSt15iterator_traitsISK_E10value_typeEPNSQ_ISL_E10value_typeEPSM_NS1_7vsmem_tEENKUlT_SK_SL_SM_E_clIPiSE_SF_SF_EESJ_SZ_SK_SL_SM_EUlSZ_E1_NS1_11comp_targetILNS1_3genE2ELNS1_11target_archE906ELNS1_3gpuE6ELNS1_3repE0EEENS1_36merge_oddeven_config_static_selectorELNS0_4arch9wavefront6targetE0EEEvSL_,"axG",@progbits,_ZN7rocprim17ROCPRIM_400000_NS6detail17trampoline_kernelINS0_14default_configENS1_38merge_sort_block_merge_config_selectorIiNS0_10empty_typeEEEZZNS1_27merge_sort_block_merge_implIS3_N6thrust23THRUST_200600_302600_NS6detail15normal_iteratorINS9_10device_ptrIiEEEEPS5_jNS1_19radix_merge_compareILb1ELb0EiNS0_19identity_decomposerEEEEE10hipError_tT0_T1_T2_jT3_P12ihipStream_tbPNSt15iterator_traitsISK_E10value_typeEPNSQ_ISL_E10value_typeEPSM_NS1_7vsmem_tEENKUlT_SK_SL_SM_E_clIPiSE_SF_SF_EESJ_SZ_SK_SL_SM_EUlSZ_E1_NS1_11comp_targetILNS1_3genE2ELNS1_11target_archE906ELNS1_3gpuE6ELNS1_3repE0EEENS1_36merge_oddeven_config_static_selectorELNS0_4arch9wavefront6targetE0EEEvSL_,comdat
.Lfunc_end243:
	.size	_ZN7rocprim17ROCPRIM_400000_NS6detail17trampoline_kernelINS0_14default_configENS1_38merge_sort_block_merge_config_selectorIiNS0_10empty_typeEEEZZNS1_27merge_sort_block_merge_implIS3_N6thrust23THRUST_200600_302600_NS6detail15normal_iteratorINS9_10device_ptrIiEEEEPS5_jNS1_19radix_merge_compareILb1ELb0EiNS0_19identity_decomposerEEEEE10hipError_tT0_T1_T2_jT3_P12ihipStream_tbPNSt15iterator_traitsISK_E10value_typeEPNSQ_ISL_E10value_typeEPSM_NS1_7vsmem_tEENKUlT_SK_SL_SM_E_clIPiSE_SF_SF_EESJ_SZ_SK_SL_SM_EUlSZ_E1_NS1_11comp_targetILNS1_3genE2ELNS1_11target_archE906ELNS1_3gpuE6ELNS1_3repE0EEENS1_36merge_oddeven_config_static_selectorELNS0_4arch9wavefront6targetE0EEEvSL_, .Lfunc_end243-_ZN7rocprim17ROCPRIM_400000_NS6detail17trampoline_kernelINS0_14default_configENS1_38merge_sort_block_merge_config_selectorIiNS0_10empty_typeEEEZZNS1_27merge_sort_block_merge_implIS3_N6thrust23THRUST_200600_302600_NS6detail15normal_iteratorINS9_10device_ptrIiEEEEPS5_jNS1_19radix_merge_compareILb1ELb0EiNS0_19identity_decomposerEEEEE10hipError_tT0_T1_T2_jT3_P12ihipStream_tbPNSt15iterator_traitsISK_E10value_typeEPNSQ_ISL_E10value_typeEPSM_NS1_7vsmem_tEENKUlT_SK_SL_SM_E_clIPiSE_SF_SF_EESJ_SZ_SK_SL_SM_EUlSZ_E1_NS1_11comp_targetILNS1_3genE2ELNS1_11target_archE906ELNS1_3gpuE6ELNS1_3repE0EEENS1_36merge_oddeven_config_static_selectorELNS0_4arch9wavefront6targetE0EEEvSL_
                                        ; -- End function
	.set _ZN7rocprim17ROCPRIM_400000_NS6detail17trampoline_kernelINS0_14default_configENS1_38merge_sort_block_merge_config_selectorIiNS0_10empty_typeEEEZZNS1_27merge_sort_block_merge_implIS3_N6thrust23THRUST_200600_302600_NS6detail15normal_iteratorINS9_10device_ptrIiEEEEPS5_jNS1_19radix_merge_compareILb1ELb0EiNS0_19identity_decomposerEEEEE10hipError_tT0_T1_T2_jT3_P12ihipStream_tbPNSt15iterator_traitsISK_E10value_typeEPNSQ_ISL_E10value_typeEPSM_NS1_7vsmem_tEENKUlT_SK_SL_SM_E_clIPiSE_SF_SF_EESJ_SZ_SK_SL_SM_EUlSZ_E1_NS1_11comp_targetILNS1_3genE2ELNS1_11target_archE906ELNS1_3gpuE6ELNS1_3repE0EEENS1_36merge_oddeven_config_static_selectorELNS0_4arch9wavefront6targetE0EEEvSL_.num_vgpr, 0
	.set _ZN7rocprim17ROCPRIM_400000_NS6detail17trampoline_kernelINS0_14default_configENS1_38merge_sort_block_merge_config_selectorIiNS0_10empty_typeEEEZZNS1_27merge_sort_block_merge_implIS3_N6thrust23THRUST_200600_302600_NS6detail15normal_iteratorINS9_10device_ptrIiEEEEPS5_jNS1_19radix_merge_compareILb1ELb0EiNS0_19identity_decomposerEEEEE10hipError_tT0_T1_T2_jT3_P12ihipStream_tbPNSt15iterator_traitsISK_E10value_typeEPNSQ_ISL_E10value_typeEPSM_NS1_7vsmem_tEENKUlT_SK_SL_SM_E_clIPiSE_SF_SF_EESJ_SZ_SK_SL_SM_EUlSZ_E1_NS1_11comp_targetILNS1_3genE2ELNS1_11target_archE906ELNS1_3gpuE6ELNS1_3repE0EEENS1_36merge_oddeven_config_static_selectorELNS0_4arch9wavefront6targetE0EEEvSL_.num_agpr, 0
	.set _ZN7rocprim17ROCPRIM_400000_NS6detail17trampoline_kernelINS0_14default_configENS1_38merge_sort_block_merge_config_selectorIiNS0_10empty_typeEEEZZNS1_27merge_sort_block_merge_implIS3_N6thrust23THRUST_200600_302600_NS6detail15normal_iteratorINS9_10device_ptrIiEEEEPS5_jNS1_19radix_merge_compareILb1ELb0EiNS0_19identity_decomposerEEEEE10hipError_tT0_T1_T2_jT3_P12ihipStream_tbPNSt15iterator_traitsISK_E10value_typeEPNSQ_ISL_E10value_typeEPSM_NS1_7vsmem_tEENKUlT_SK_SL_SM_E_clIPiSE_SF_SF_EESJ_SZ_SK_SL_SM_EUlSZ_E1_NS1_11comp_targetILNS1_3genE2ELNS1_11target_archE906ELNS1_3gpuE6ELNS1_3repE0EEENS1_36merge_oddeven_config_static_selectorELNS0_4arch9wavefront6targetE0EEEvSL_.numbered_sgpr, 0
	.set _ZN7rocprim17ROCPRIM_400000_NS6detail17trampoline_kernelINS0_14default_configENS1_38merge_sort_block_merge_config_selectorIiNS0_10empty_typeEEEZZNS1_27merge_sort_block_merge_implIS3_N6thrust23THRUST_200600_302600_NS6detail15normal_iteratorINS9_10device_ptrIiEEEEPS5_jNS1_19radix_merge_compareILb1ELb0EiNS0_19identity_decomposerEEEEE10hipError_tT0_T1_T2_jT3_P12ihipStream_tbPNSt15iterator_traitsISK_E10value_typeEPNSQ_ISL_E10value_typeEPSM_NS1_7vsmem_tEENKUlT_SK_SL_SM_E_clIPiSE_SF_SF_EESJ_SZ_SK_SL_SM_EUlSZ_E1_NS1_11comp_targetILNS1_3genE2ELNS1_11target_archE906ELNS1_3gpuE6ELNS1_3repE0EEENS1_36merge_oddeven_config_static_selectorELNS0_4arch9wavefront6targetE0EEEvSL_.num_named_barrier, 0
	.set _ZN7rocprim17ROCPRIM_400000_NS6detail17trampoline_kernelINS0_14default_configENS1_38merge_sort_block_merge_config_selectorIiNS0_10empty_typeEEEZZNS1_27merge_sort_block_merge_implIS3_N6thrust23THRUST_200600_302600_NS6detail15normal_iteratorINS9_10device_ptrIiEEEEPS5_jNS1_19radix_merge_compareILb1ELb0EiNS0_19identity_decomposerEEEEE10hipError_tT0_T1_T2_jT3_P12ihipStream_tbPNSt15iterator_traitsISK_E10value_typeEPNSQ_ISL_E10value_typeEPSM_NS1_7vsmem_tEENKUlT_SK_SL_SM_E_clIPiSE_SF_SF_EESJ_SZ_SK_SL_SM_EUlSZ_E1_NS1_11comp_targetILNS1_3genE2ELNS1_11target_archE906ELNS1_3gpuE6ELNS1_3repE0EEENS1_36merge_oddeven_config_static_selectorELNS0_4arch9wavefront6targetE0EEEvSL_.private_seg_size, 0
	.set _ZN7rocprim17ROCPRIM_400000_NS6detail17trampoline_kernelINS0_14default_configENS1_38merge_sort_block_merge_config_selectorIiNS0_10empty_typeEEEZZNS1_27merge_sort_block_merge_implIS3_N6thrust23THRUST_200600_302600_NS6detail15normal_iteratorINS9_10device_ptrIiEEEEPS5_jNS1_19radix_merge_compareILb1ELb0EiNS0_19identity_decomposerEEEEE10hipError_tT0_T1_T2_jT3_P12ihipStream_tbPNSt15iterator_traitsISK_E10value_typeEPNSQ_ISL_E10value_typeEPSM_NS1_7vsmem_tEENKUlT_SK_SL_SM_E_clIPiSE_SF_SF_EESJ_SZ_SK_SL_SM_EUlSZ_E1_NS1_11comp_targetILNS1_3genE2ELNS1_11target_archE906ELNS1_3gpuE6ELNS1_3repE0EEENS1_36merge_oddeven_config_static_selectorELNS0_4arch9wavefront6targetE0EEEvSL_.uses_vcc, 0
	.set _ZN7rocprim17ROCPRIM_400000_NS6detail17trampoline_kernelINS0_14default_configENS1_38merge_sort_block_merge_config_selectorIiNS0_10empty_typeEEEZZNS1_27merge_sort_block_merge_implIS3_N6thrust23THRUST_200600_302600_NS6detail15normal_iteratorINS9_10device_ptrIiEEEEPS5_jNS1_19radix_merge_compareILb1ELb0EiNS0_19identity_decomposerEEEEE10hipError_tT0_T1_T2_jT3_P12ihipStream_tbPNSt15iterator_traitsISK_E10value_typeEPNSQ_ISL_E10value_typeEPSM_NS1_7vsmem_tEENKUlT_SK_SL_SM_E_clIPiSE_SF_SF_EESJ_SZ_SK_SL_SM_EUlSZ_E1_NS1_11comp_targetILNS1_3genE2ELNS1_11target_archE906ELNS1_3gpuE6ELNS1_3repE0EEENS1_36merge_oddeven_config_static_selectorELNS0_4arch9wavefront6targetE0EEEvSL_.uses_flat_scratch, 0
	.set _ZN7rocprim17ROCPRIM_400000_NS6detail17trampoline_kernelINS0_14default_configENS1_38merge_sort_block_merge_config_selectorIiNS0_10empty_typeEEEZZNS1_27merge_sort_block_merge_implIS3_N6thrust23THRUST_200600_302600_NS6detail15normal_iteratorINS9_10device_ptrIiEEEEPS5_jNS1_19radix_merge_compareILb1ELb0EiNS0_19identity_decomposerEEEEE10hipError_tT0_T1_T2_jT3_P12ihipStream_tbPNSt15iterator_traitsISK_E10value_typeEPNSQ_ISL_E10value_typeEPSM_NS1_7vsmem_tEENKUlT_SK_SL_SM_E_clIPiSE_SF_SF_EESJ_SZ_SK_SL_SM_EUlSZ_E1_NS1_11comp_targetILNS1_3genE2ELNS1_11target_archE906ELNS1_3gpuE6ELNS1_3repE0EEENS1_36merge_oddeven_config_static_selectorELNS0_4arch9wavefront6targetE0EEEvSL_.has_dyn_sized_stack, 0
	.set _ZN7rocprim17ROCPRIM_400000_NS6detail17trampoline_kernelINS0_14default_configENS1_38merge_sort_block_merge_config_selectorIiNS0_10empty_typeEEEZZNS1_27merge_sort_block_merge_implIS3_N6thrust23THRUST_200600_302600_NS6detail15normal_iteratorINS9_10device_ptrIiEEEEPS5_jNS1_19radix_merge_compareILb1ELb0EiNS0_19identity_decomposerEEEEE10hipError_tT0_T1_T2_jT3_P12ihipStream_tbPNSt15iterator_traitsISK_E10value_typeEPNSQ_ISL_E10value_typeEPSM_NS1_7vsmem_tEENKUlT_SK_SL_SM_E_clIPiSE_SF_SF_EESJ_SZ_SK_SL_SM_EUlSZ_E1_NS1_11comp_targetILNS1_3genE2ELNS1_11target_archE906ELNS1_3gpuE6ELNS1_3repE0EEENS1_36merge_oddeven_config_static_selectorELNS0_4arch9wavefront6targetE0EEEvSL_.has_recursion, 0
	.set _ZN7rocprim17ROCPRIM_400000_NS6detail17trampoline_kernelINS0_14default_configENS1_38merge_sort_block_merge_config_selectorIiNS0_10empty_typeEEEZZNS1_27merge_sort_block_merge_implIS3_N6thrust23THRUST_200600_302600_NS6detail15normal_iteratorINS9_10device_ptrIiEEEEPS5_jNS1_19radix_merge_compareILb1ELb0EiNS0_19identity_decomposerEEEEE10hipError_tT0_T1_T2_jT3_P12ihipStream_tbPNSt15iterator_traitsISK_E10value_typeEPNSQ_ISL_E10value_typeEPSM_NS1_7vsmem_tEENKUlT_SK_SL_SM_E_clIPiSE_SF_SF_EESJ_SZ_SK_SL_SM_EUlSZ_E1_NS1_11comp_targetILNS1_3genE2ELNS1_11target_archE906ELNS1_3gpuE6ELNS1_3repE0EEENS1_36merge_oddeven_config_static_selectorELNS0_4arch9wavefront6targetE0EEEvSL_.has_indirect_call, 0
	.section	.AMDGPU.csdata,"",@progbits
; Kernel info:
; codeLenInByte = 0
; TotalNumSgprs: 0
; NumVgprs: 0
; ScratchSize: 0
; MemoryBound: 0
; FloatMode: 240
; IeeeMode: 1
; LDSByteSize: 0 bytes/workgroup (compile time only)
; SGPRBlocks: 0
; VGPRBlocks: 0
; NumSGPRsForWavesPerEU: 1
; NumVGPRsForWavesPerEU: 1
; Occupancy: 16
; WaveLimiterHint : 0
; COMPUTE_PGM_RSRC2:SCRATCH_EN: 0
; COMPUTE_PGM_RSRC2:USER_SGPR: 6
; COMPUTE_PGM_RSRC2:TRAP_HANDLER: 0
; COMPUTE_PGM_RSRC2:TGID_X_EN: 1
; COMPUTE_PGM_RSRC2:TGID_Y_EN: 0
; COMPUTE_PGM_RSRC2:TGID_Z_EN: 0
; COMPUTE_PGM_RSRC2:TIDIG_COMP_CNT: 0
	.section	.text._ZN7rocprim17ROCPRIM_400000_NS6detail17trampoline_kernelINS0_14default_configENS1_38merge_sort_block_merge_config_selectorIiNS0_10empty_typeEEEZZNS1_27merge_sort_block_merge_implIS3_N6thrust23THRUST_200600_302600_NS6detail15normal_iteratorINS9_10device_ptrIiEEEEPS5_jNS1_19radix_merge_compareILb1ELb0EiNS0_19identity_decomposerEEEEE10hipError_tT0_T1_T2_jT3_P12ihipStream_tbPNSt15iterator_traitsISK_E10value_typeEPNSQ_ISL_E10value_typeEPSM_NS1_7vsmem_tEENKUlT_SK_SL_SM_E_clIPiSE_SF_SF_EESJ_SZ_SK_SL_SM_EUlSZ_E1_NS1_11comp_targetILNS1_3genE9ELNS1_11target_archE1100ELNS1_3gpuE3ELNS1_3repE0EEENS1_36merge_oddeven_config_static_selectorELNS0_4arch9wavefront6targetE0EEEvSL_,"axG",@progbits,_ZN7rocprim17ROCPRIM_400000_NS6detail17trampoline_kernelINS0_14default_configENS1_38merge_sort_block_merge_config_selectorIiNS0_10empty_typeEEEZZNS1_27merge_sort_block_merge_implIS3_N6thrust23THRUST_200600_302600_NS6detail15normal_iteratorINS9_10device_ptrIiEEEEPS5_jNS1_19radix_merge_compareILb1ELb0EiNS0_19identity_decomposerEEEEE10hipError_tT0_T1_T2_jT3_P12ihipStream_tbPNSt15iterator_traitsISK_E10value_typeEPNSQ_ISL_E10value_typeEPSM_NS1_7vsmem_tEENKUlT_SK_SL_SM_E_clIPiSE_SF_SF_EESJ_SZ_SK_SL_SM_EUlSZ_E1_NS1_11comp_targetILNS1_3genE9ELNS1_11target_archE1100ELNS1_3gpuE3ELNS1_3repE0EEENS1_36merge_oddeven_config_static_selectorELNS0_4arch9wavefront6targetE0EEEvSL_,comdat
	.protected	_ZN7rocprim17ROCPRIM_400000_NS6detail17trampoline_kernelINS0_14default_configENS1_38merge_sort_block_merge_config_selectorIiNS0_10empty_typeEEEZZNS1_27merge_sort_block_merge_implIS3_N6thrust23THRUST_200600_302600_NS6detail15normal_iteratorINS9_10device_ptrIiEEEEPS5_jNS1_19radix_merge_compareILb1ELb0EiNS0_19identity_decomposerEEEEE10hipError_tT0_T1_T2_jT3_P12ihipStream_tbPNSt15iterator_traitsISK_E10value_typeEPNSQ_ISL_E10value_typeEPSM_NS1_7vsmem_tEENKUlT_SK_SL_SM_E_clIPiSE_SF_SF_EESJ_SZ_SK_SL_SM_EUlSZ_E1_NS1_11comp_targetILNS1_3genE9ELNS1_11target_archE1100ELNS1_3gpuE3ELNS1_3repE0EEENS1_36merge_oddeven_config_static_selectorELNS0_4arch9wavefront6targetE0EEEvSL_ ; -- Begin function _ZN7rocprim17ROCPRIM_400000_NS6detail17trampoline_kernelINS0_14default_configENS1_38merge_sort_block_merge_config_selectorIiNS0_10empty_typeEEEZZNS1_27merge_sort_block_merge_implIS3_N6thrust23THRUST_200600_302600_NS6detail15normal_iteratorINS9_10device_ptrIiEEEEPS5_jNS1_19radix_merge_compareILb1ELb0EiNS0_19identity_decomposerEEEEE10hipError_tT0_T1_T2_jT3_P12ihipStream_tbPNSt15iterator_traitsISK_E10value_typeEPNSQ_ISL_E10value_typeEPSM_NS1_7vsmem_tEENKUlT_SK_SL_SM_E_clIPiSE_SF_SF_EESJ_SZ_SK_SL_SM_EUlSZ_E1_NS1_11comp_targetILNS1_3genE9ELNS1_11target_archE1100ELNS1_3gpuE3ELNS1_3repE0EEENS1_36merge_oddeven_config_static_selectorELNS0_4arch9wavefront6targetE0EEEvSL_
	.globl	_ZN7rocprim17ROCPRIM_400000_NS6detail17trampoline_kernelINS0_14default_configENS1_38merge_sort_block_merge_config_selectorIiNS0_10empty_typeEEEZZNS1_27merge_sort_block_merge_implIS3_N6thrust23THRUST_200600_302600_NS6detail15normal_iteratorINS9_10device_ptrIiEEEEPS5_jNS1_19radix_merge_compareILb1ELb0EiNS0_19identity_decomposerEEEEE10hipError_tT0_T1_T2_jT3_P12ihipStream_tbPNSt15iterator_traitsISK_E10value_typeEPNSQ_ISL_E10value_typeEPSM_NS1_7vsmem_tEENKUlT_SK_SL_SM_E_clIPiSE_SF_SF_EESJ_SZ_SK_SL_SM_EUlSZ_E1_NS1_11comp_targetILNS1_3genE9ELNS1_11target_archE1100ELNS1_3gpuE3ELNS1_3repE0EEENS1_36merge_oddeven_config_static_selectorELNS0_4arch9wavefront6targetE0EEEvSL_
	.p2align	8
	.type	_ZN7rocprim17ROCPRIM_400000_NS6detail17trampoline_kernelINS0_14default_configENS1_38merge_sort_block_merge_config_selectorIiNS0_10empty_typeEEEZZNS1_27merge_sort_block_merge_implIS3_N6thrust23THRUST_200600_302600_NS6detail15normal_iteratorINS9_10device_ptrIiEEEEPS5_jNS1_19radix_merge_compareILb1ELb0EiNS0_19identity_decomposerEEEEE10hipError_tT0_T1_T2_jT3_P12ihipStream_tbPNSt15iterator_traitsISK_E10value_typeEPNSQ_ISL_E10value_typeEPSM_NS1_7vsmem_tEENKUlT_SK_SL_SM_E_clIPiSE_SF_SF_EESJ_SZ_SK_SL_SM_EUlSZ_E1_NS1_11comp_targetILNS1_3genE9ELNS1_11target_archE1100ELNS1_3gpuE3ELNS1_3repE0EEENS1_36merge_oddeven_config_static_selectorELNS0_4arch9wavefront6targetE0EEEvSL_,@function
_ZN7rocprim17ROCPRIM_400000_NS6detail17trampoline_kernelINS0_14default_configENS1_38merge_sort_block_merge_config_selectorIiNS0_10empty_typeEEEZZNS1_27merge_sort_block_merge_implIS3_N6thrust23THRUST_200600_302600_NS6detail15normal_iteratorINS9_10device_ptrIiEEEEPS5_jNS1_19radix_merge_compareILb1ELb0EiNS0_19identity_decomposerEEEEE10hipError_tT0_T1_T2_jT3_P12ihipStream_tbPNSt15iterator_traitsISK_E10value_typeEPNSQ_ISL_E10value_typeEPSM_NS1_7vsmem_tEENKUlT_SK_SL_SM_E_clIPiSE_SF_SF_EESJ_SZ_SK_SL_SM_EUlSZ_E1_NS1_11comp_targetILNS1_3genE9ELNS1_11target_archE1100ELNS1_3gpuE3ELNS1_3repE0EEENS1_36merge_oddeven_config_static_selectorELNS0_4arch9wavefront6targetE0EEEvSL_: ; @_ZN7rocprim17ROCPRIM_400000_NS6detail17trampoline_kernelINS0_14default_configENS1_38merge_sort_block_merge_config_selectorIiNS0_10empty_typeEEEZZNS1_27merge_sort_block_merge_implIS3_N6thrust23THRUST_200600_302600_NS6detail15normal_iteratorINS9_10device_ptrIiEEEEPS5_jNS1_19radix_merge_compareILb1ELb0EiNS0_19identity_decomposerEEEEE10hipError_tT0_T1_T2_jT3_P12ihipStream_tbPNSt15iterator_traitsISK_E10value_typeEPNSQ_ISL_E10value_typeEPSM_NS1_7vsmem_tEENKUlT_SK_SL_SM_E_clIPiSE_SF_SF_EESJ_SZ_SK_SL_SM_EUlSZ_E1_NS1_11comp_targetILNS1_3genE9ELNS1_11target_archE1100ELNS1_3gpuE3ELNS1_3repE0EEENS1_36merge_oddeven_config_static_selectorELNS0_4arch9wavefront6targetE0EEEvSL_
; %bb.0:
	.section	.rodata,"a",@progbits
	.p2align	6, 0x0
	.amdhsa_kernel _ZN7rocprim17ROCPRIM_400000_NS6detail17trampoline_kernelINS0_14default_configENS1_38merge_sort_block_merge_config_selectorIiNS0_10empty_typeEEEZZNS1_27merge_sort_block_merge_implIS3_N6thrust23THRUST_200600_302600_NS6detail15normal_iteratorINS9_10device_ptrIiEEEEPS5_jNS1_19radix_merge_compareILb1ELb0EiNS0_19identity_decomposerEEEEE10hipError_tT0_T1_T2_jT3_P12ihipStream_tbPNSt15iterator_traitsISK_E10value_typeEPNSQ_ISL_E10value_typeEPSM_NS1_7vsmem_tEENKUlT_SK_SL_SM_E_clIPiSE_SF_SF_EESJ_SZ_SK_SL_SM_EUlSZ_E1_NS1_11comp_targetILNS1_3genE9ELNS1_11target_archE1100ELNS1_3gpuE3ELNS1_3repE0EEENS1_36merge_oddeven_config_static_selectorELNS0_4arch9wavefront6targetE0EEEvSL_
		.amdhsa_group_segment_fixed_size 0
		.amdhsa_private_segment_fixed_size 0
		.amdhsa_kernarg_size 48
		.amdhsa_user_sgpr_count 6
		.amdhsa_user_sgpr_private_segment_buffer 1
		.amdhsa_user_sgpr_dispatch_ptr 0
		.amdhsa_user_sgpr_queue_ptr 0
		.amdhsa_user_sgpr_kernarg_segment_ptr 1
		.amdhsa_user_sgpr_dispatch_id 0
		.amdhsa_user_sgpr_flat_scratch_init 0
		.amdhsa_user_sgpr_private_segment_size 0
		.amdhsa_wavefront_size32 1
		.amdhsa_uses_dynamic_stack 0
		.amdhsa_system_sgpr_private_segment_wavefront_offset 0
		.amdhsa_system_sgpr_workgroup_id_x 1
		.amdhsa_system_sgpr_workgroup_id_y 0
		.amdhsa_system_sgpr_workgroup_id_z 0
		.amdhsa_system_sgpr_workgroup_info 0
		.amdhsa_system_vgpr_workitem_id 0
		.amdhsa_next_free_vgpr 1
		.amdhsa_next_free_sgpr 1
		.amdhsa_reserve_vcc 0
		.amdhsa_reserve_flat_scratch 0
		.amdhsa_float_round_mode_32 0
		.amdhsa_float_round_mode_16_64 0
		.amdhsa_float_denorm_mode_32 3
		.amdhsa_float_denorm_mode_16_64 3
		.amdhsa_dx10_clamp 1
		.amdhsa_ieee_mode 1
		.amdhsa_fp16_overflow 0
		.amdhsa_workgroup_processor_mode 1
		.amdhsa_memory_ordered 1
		.amdhsa_forward_progress 1
		.amdhsa_shared_vgpr_count 0
		.amdhsa_exception_fp_ieee_invalid_op 0
		.amdhsa_exception_fp_denorm_src 0
		.amdhsa_exception_fp_ieee_div_zero 0
		.amdhsa_exception_fp_ieee_overflow 0
		.amdhsa_exception_fp_ieee_underflow 0
		.amdhsa_exception_fp_ieee_inexact 0
		.amdhsa_exception_int_div_zero 0
	.end_amdhsa_kernel
	.section	.text._ZN7rocprim17ROCPRIM_400000_NS6detail17trampoline_kernelINS0_14default_configENS1_38merge_sort_block_merge_config_selectorIiNS0_10empty_typeEEEZZNS1_27merge_sort_block_merge_implIS3_N6thrust23THRUST_200600_302600_NS6detail15normal_iteratorINS9_10device_ptrIiEEEEPS5_jNS1_19radix_merge_compareILb1ELb0EiNS0_19identity_decomposerEEEEE10hipError_tT0_T1_T2_jT3_P12ihipStream_tbPNSt15iterator_traitsISK_E10value_typeEPNSQ_ISL_E10value_typeEPSM_NS1_7vsmem_tEENKUlT_SK_SL_SM_E_clIPiSE_SF_SF_EESJ_SZ_SK_SL_SM_EUlSZ_E1_NS1_11comp_targetILNS1_3genE9ELNS1_11target_archE1100ELNS1_3gpuE3ELNS1_3repE0EEENS1_36merge_oddeven_config_static_selectorELNS0_4arch9wavefront6targetE0EEEvSL_,"axG",@progbits,_ZN7rocprim17ROCPRIM_400000_NS6detail17trampoline_kernelINS0_14default_configENS1_38merge_sort_block_merge_config_selectorIiNS0_10empty_typeEEEZZNS1_27merge_sort_block_merge_implIS3_N6thrust23THRUST_200600_302600_NS6detail15normal_iteratorINS9_10device_ptrIiEEEEPS5_jNS1_19radix_merge_compareILb1ELb0EiNS0_19identity_decomposerEEEEE10hipError_tT0_T1_T2_jT3_P12ihipStream_tbPNSt15iterator_traitsISK_E10value_typeEPNSQ_ISL_E10value_typeEPSM_NS1_7vsmem_tEENKUlT_SK_SL_SM_E_clIPiSE_SF_SF_EESJ_SZ_SK_SL_SM_EUlSZ_E1_NS1_11comp_targetILNS1_3genE9ELNS1_11target_archE1100ELNS1_3gpuE3ELNS1_3repE0EEENS1_36merge_oddeven_config_static_selectorELNS0_4arch9wavefront6targetE0EEEvSL_,comdat
.Lfunc_end244:
	.size	_ZN7rocprim17ROCPRIM_400000_NS6detail17trampoline_kernelINS0_14default_configENS1_38merge_sort_block_merge_config_selectorIiNS0_10empty_typeEEEZZNS1_27merge_sort_block_merge_implIS3_N6thrust23THRUST_200600_302600_NS6detail15normal_iteratorINS9_10device_ptrIiEEEEPS5_jNS1_19radix_merge_compareILb1ELb0EiNS0_19identity_decomposerEEEEE10hipError_tT0_T1_T2_jT3_P12ihipStream_tbPNSt15iterator_traitsISK_E10value_typeEPNSQ_ISL_E10value_typeEPSM_NS1_7vsmem_tEENKUlT_SK_SL_SM_E_clIPiSE_SF_SF_EESJ_SZ_SK_SL_SM_EUlSZ_E1_NS1_11comp_targetILNS1_3genE9ELNS1_11target_archE1100ELNS1_3gpuE3ELNS1_3repE0EEENS1_36merge_oddeven_config_static_selectorELNS0_4arch9wavefront6targetE0EEEvSL_, .Lfunc_end244-_ZN7rocprim17ROCPRIM_400000_NS6detail17trampoline_kernelINS0_14default_configENS1_38merge_sort_block_merge_config_selectorIiNS0_10empty_typeEEEZZNS1_27merge_sort_block_merge_implIS3_N6thrust23THRUST_200600_302600_NS6detail15normal_iteratorINS9_10device_ptrIiEEEEPS5_jNS1_19radix_merge_compareILb1ELb0EiNS0_19identity_decomposerEEEEE10hipError_tT0_T1_T2_jT3_P12ihipStream_tbPNSt15iterator_traitsISK_E10value_typeEPNSQ_ISL_E10value_typeEPSM_NS1_7vsmem_tEENKUlT_SK_SL_SM_E_clIPiSE_SF_SF_EESJ_SZ_SK_SL_SM_EUlSZ_E1_NS1_11comp_targetILNS1_3genE9ELNS1_11target_archE1100ELNS1_3gpuE3ELNS1_3repE0EEENS1_36merge_oddeven_config_static_selectorELNS0_4arch9wavefront6targetE0EEEvSL_
                                        ; -- End function
	.set _ZN7rocprim17ROCPRIM_400000_NS6detail17trampoline_kernelINS0_14default_configENS1_38merge_sort_block_merge_config_selectorIiNS0_10empty_typeEEEZZNS1_27merge_sort_block_merge_implIS3_N6thrust23THRUST_200600_302600_NS6detail15normal_iteratorINS9_10device_ptrIiEEEEPS5_jNS1_19radix_merge_compareILb1ELb0EiNS0_19identity_decomposerEEEEE10hipError_tT0_T1_T2_jT3_P12ihipStream_tbPNSt15iterator_traitsISK_E10value_typeEPNSQ_ISL_E10value_typeEPSM_NS1_7vsmem_tEENKUlT_SK_SL_SM_E_clIPiSE_SF_SF_EESJ_SZ_SK_SL_SM_EUlSZ_E1_NS1_11comp_targetILNS1_3genE9ELNS1_11target_archE1100ELNS1_3gpuE3ELNS1_3repE0EEENS1_36merge_oddeven_config_static_selectorELNS0_4arch9wavefront6targetE0EEEvSL_.num_vgpr, 0
	.set _ZN7rocprim17ROCPRIM_400000_NS6detail17trampoline_kernelINS0_14default_configENS1_38merge_sort_block_merge_config_selectorIiNS0_10empty_typeEEEZZNS1_27merge_sort_block_merge_implIS3_N6thrust23THRUST_200600_302600_NS6detail15normal_iteratorINS9_10device_ptrIiEEEEPS5_jNS1_19radix_merge_compareILb1ELb0EiNS0_19identity_decomposerEEEEE10hipError_tT0_T1_T2_jT3_P12ihipStream_tbPNSt15iterator_traitsISK_E10value_typeEPNSQ_ISL_E10value_typeEPSM_NS1_7vsmem_tEENKUlT_SK_SL_SM_E_clIPiSE_SF_SF_EESJ_SZ_SK_SL_SM_EUlSZ_E1_NS1_11comp_targetILNS1_3genE9ELNS1_11target_archE1100ELNS1_3gpuE3ELNS1_3repE0EEENS1_36merge_oddeven_config_static_selectorELNS0_4arch9wavefront6targetE0EEEvSL_.num_agpr, 0
	.set _ZN7rocprim17ROCPRIM_400000_NS6detail17trampoline_kernelINS0_14default_configENS1_38merge_sort_block_merge_config_selectorIiNS0_10empty_typeEEEZZNS1_27merge_sort_block_merge_implIS3_N6thrust23THRUST_200600_302600_NS6detail15normal_iteratorINS9_10device_ptrIiEEEEPS5_jNS1_19radix_merge_compareILb1ELb0EiNS0_19identity_decomposerEEEEE10hipError_tT0_T1_T2_jT3_P12ihipStream_tbPNSt15iterator_traitsISK_E10value_typeEPNSQ_ISL_E10value_typeEPSM_NS1_7vsmem_tEENKUlT_SK_SL_SM_E_clIPiSE_SF_SF_EESJ_SZ_SK_SL_SM_EUlSZ_E1_NS1_11comp_targetILNS1_3genE9ELNS1_11target_archE1100ELNS1_3gpuE3ELNS1_3repE0EEENS1_36merge_oddeven_config_static_selectorELNS0_4arch9wavefront6targetE0EEEvSL_.numbered_sgpr, 0
	.set _ZN7rocprim17ROCPRIM_400000_NS6detail17trampoline_kernelINS0_14default_configENS1_38merge_sort_block_merge_config_selectorIiNS0_10empty_typeEEEZZNS1_27merge_sort_block_merge_implIS3_N6thrust23THRUST_200600_302600_NS6detail15normal_iteratorINS9_10device_ptrIiEEEEPS5_jNS1_19radix_merge_compareILb1ELb0EiNS0_19identity_decomposerEEEEE10hipError_tT0_T1_T2_jT3_P12ihipStream_tbPNSt15iterator_traitsISK_E10value_typeEPNSQ_ISL_E10value_typeEPSM_NS1_7vsmem_tEENKUlT_SK_SL_SM_E_clIPiSE_SF_SF_EESJ_SZ_SK_SL_SM_EUlSZ_E1_NS1_11comp_targetILNS1_3genE9ELNS1_11target_archE1100ELNS1_3gpuE3ELNS1_3repE0EEENS1_36merge_oddeven_config_static_selectorELNS0_4arch9wavefront6targetE0EEEvSL_.num_named_barrier, 0
	.set _ZN7rocprim17ROCPRIM_400000_NS6detail17trampoline_kernelINS0_14default_configENS1_38merge_sort_block_merge_config_selectorIiNS0_10empty_typeEEEZZNS1_27merge_sort_block_merge_implIS3_N6thrust23THRUST_200600_302600_NS6detail15normal_iteratorINS9_10device_ptrIiEEEEPS5_jNS1_19radix_merge_compareILb1ELb0EiNS0_19identity_decomposerEEEEE10hipError_tT0_T1_T2_jT3_P12ihipStream_tbPNSt15iterator_traitsISK_E10value_typeEPNSQ_ISL_E10value_typeEPSM_NS1_7vsmem_tEENKUlT_SK_SL_SM_E_clIPiSE_SF_SF_EESJ_SZ_SK_SL_SM_EUlSZ_E1_NS1_11comp_targetILNS1_3genE9ELNS1_11target_archE1100ELNS1_3gpuE3ELNS1_3repE0EEENS1_36merge_oddeven_config_static_selectorELNS0_4arch9wavefront6targetE0EEEvSL_.private_seg_size, 0
	.set _ZN7rocprim17ROCPRIM_400000_NS6detail17trampoline_kernelINS0_14default_configENS1_38merge_sort_block_merge_config_selectorIiNS0_10empty_typeEEEZZNS1_27merge_sort_block_merge_implIS3_N6thrust23THRUST_200600_302600_NS6detail15normal_iteratorINS9_10device_ptrIiEEEEPS5_jNS1_19radix_merge_compareILb1ELb0EiNS0_19identity_decomposerEEEEE10hipError_tT0_T1_T2_jT3_P12ihipStream_tbPNSt15iterator_traitsISK_E10value_typeEPNSQ_ISL_E10value_typeEPSM_NS1_7vsmem_tEENKUlT_SK_SL_SM_E_clIPiSE_SF_SF_EESJ_SZ_SK_SL_SM_EUlSZ_E1_NS1_11comp_targetILNS1_3genE9ELNS1_11target_archE1100ELNS1_3gpuE3ELNS1_3repE0EEENS1_36merge_oddeven_config_static_selectorELNS0_4arch9wavefront6targetE0EEEvSL_.uses_vcc, 0
	.set _ZN7rocprim17ROCPRIM_400000_NS6detail17trampoline_kernelINS0_14default_configENS1_38merge_sort_block_merge_config_selectorIiNS0_10empty_typeEEEZZNS1_27merge_sort_block_merge_implIS3_N6thrust23THRUST_200600_302600_NS6detail15normal_iteratorINS9_10device_ptrIiEEEEPS5_jNS1_19radix_merge_compareILb1ELb0EiNS0_19identity_decomposerEEEEE10hipError_tT0_T1_T2_jT3_P12ihipStream_tbPNSt15iterator_traitsISK_E10value_typeEPNSQ_ISL_E10value_typeEPSM_NS1_7vsmem_tEENKUlT_SK_SL_SM_E_clIPiSE_SF_SF_EESJ_SZ_SK_SL_SM_EUlSZ_E1_NS1_11comp_targetILNS1_3genE9ELNS1_11target_archE1100ELNS1_3gpuE3ELNS1_3repE0EEENS1_36merge_oddeven_config_static_selectorELNS0_4arch9wavefront6targetE0EEEvSL_.uses_flat_scratch, 0
	.set _ZN7rocprim17ROCPRIM_400000_NS6detail17trampoline_kernelINS0_14default_configENS1_38merge_sort_block_merge_config_selectorIiNS0_10empty_typeEEEZZNS1_27merge_sort_block_merge_implIS3_N6thrust23THRUST_200600_302600_NS6detail15normal_iteratorINS9_10device_ptrIiEEEEPS5_jNS1_19radix_merge_compareILb1ELb0EiNS0_19identity_decomposerEEEEE10hipError_tT0_T1_T2_jT3_P12ihipStream_tbPNSt15iterator_traitsISK_E10value_typeEPNSQ_ISL_E10value_typeEPSM_NS1_7vsmem_tEENKUlT_SK_SL_SM_E_clIPiSE_SF_SF_EESJ_SZ_SK_SL_SM_EUlSZ_E1_NS1_11comp_targetILNS1_3genE9ELNS1_11target_archE1100ELNS1_3gpuE3ELNS1_3repE0EEENS1_36merge_oddeven_config_static_selectorELNS0_4arch9wavefront6targetE0EEEvSL_.has_dyn_sized_stack, 0
	.set _ZN7rocprim17ROCPRIM_400000_NS6detail17trampoline_kernelINS0_14default_configENS1_38merge_sort_block_merge_config_selectorIiNS0_10empty_typeEEEZZNS1_27merge_sort_block_merge_implIS3_N6thrust23THRUST_200600_302600_NS6detail15normal_iteratorINS9_10device_ptrIiEEEEPS5_jNS1_19radix_merge_compareILb1ELb0EiNS0_19identity_decomposerEEEEE10hipError_tT0_T1_T2_jT3_P12ihipStream_tbPNSt15iterator_traitsISK_E10value_typeEPNSQ_ISL_E10value_typeEPSM_NS1_7vsmem_tEENKUlT_SK_SL_SM_E_clIPiSE_SF_SF_EESJ_SZ_SK_SL_SM_EUlSZ_E1_NS1_11comp_targetILNS1_3genE9ELNS1_11target_archE1100ELNS1_3gpuE3ELNS1_3repE0EEENS1_36merge_oddeven_config_static_selectorELNS0_4arch9wavefront6targetE0EEEvSL_.has_recursion, 0
	.set _ZN7rocprim17ROCPRIM_400000_NS6detail17trampoline_kernelINS0_14default_configENS1_38merge_sort_block_merge_config_selectorIiNS0_10empty_typeEEEZZNS1_27merge_sort_block_merge_implIS3_N6thrust23THRUST_200600_302600_NS6detail15normal_iteratorINS9_10device_ptrIiEEEEPS5_jNS1_19radix_merge_compareILb1ELb0EiNS0_19identity_decomposerEEEEE10hipError_tT0_T1_T2_jT3_P12ihipStream_tbPNSt15iterator_traitsISK_E10value_typeEPNSQ_ISL_E10value_typeEPSM_NS1_7vsmem_tEENKUlT_SK_SL_SM_E_clIPiSE_SF_SF_EESJ_SZ_SK_SL_SM_EUlSZ_E1_NS1_11comp_targetILNS1_3genE9ELNS1_11target_archE1100ELNS1_3gpuE3ELNS1_3repE0EEENS1_36merge_oddeven_config_static_selectorELNS0_4arch9wavefront6targetE0EEEvSL_.has_indirect_call, 0
	.section	.AMDGPU.csdata,"",@progbits
; Kernel info:
; codeLenInByte = 0
; TotalNumSgprs: 0
; NumVgprs: 0
; ScratchSize: 0
; MemoryBound: 0
; FloatMode: 240
; IeeeMode: 1
; LDSByteSize: 0 bytes/workgroup (compile time only)
; SGPRBlocks: 0
; VGPRBlocks: 0
; NumSGPRsForWavesPerEU: 1
; NumVGPRsForWavesPerEU: 1
; Occupancy: 16
; WaveLimiterHint : 0
; COMPUTE_PGM_RSRC2:SCRATCH_EN: 0
; COMPUTE_PGM_RSRC2:USER_SGPR: 6
; COMPUTE_PGM_RSRC2:TRAP_HANDLER: 0
; COMPUTE_PGM_RSRC2:TGID_X_EN: 1
; COMPUTE_PGM_RSRC2:TGID_Y_EN: 0
; COMPUTE_PGM_RSRC2:TGID_Z_EN: 0
; COMPUTE_PGM_RSRC2:TIDIG_COMP_CNT: 0
	.section	.text._ZN7rocprim17ROCPRIM_400000_NS6detail17trampoline_kernelINS0_14default_configENS1_38merge_sort_block_merge_config_selectorIiNS0_10empty_typeEEEZZNS1_27merge_sort_block_merge_implIS3_N6thrust23THRUST_200600_302600_NS6detail15normal_iteratorINS9_10device_ptrIiEEEEPS5_jNS1_19radix_merge_compareILb1ELb0EiNS0_19identity_decomposerEEEEE10hipError_tT0_T1_T2_jT3_P12ihipStream_tbPNSt15iterator_traitsISK_E10value_typeEPNSQ_ISL_E10value_typeEPSM_NS1_7vsmem_tEENKUlT_SK_SL_SM_E_clIPiSE_SF_SF_EESJ_SZ_SK_SL_SM_EUlSZ_E1_NS1_11comp_targetILNS1_3genE8ELNS1_11target_archE1030ELNS1_3gpuE2ELNS1_3repE0EEENS1_36merge_oddeven_config_static_selectorELNS0_4arch9wavefront6targetE0EEEvSL_,"axG",@progbits,_ZN7rocprim17ROCPRIM_400000_NS6detail17trampoline_kernelINS0_14default_configENS1_38merge_sort_block_merge_config_selectorIiNS0_10empty_typeEEEZZNS1_27merge_sort_block_merge_implIS3_N6thrust23THRUST_200600_302600_NS6detail15normal_iteratorINS9_10device_ptrIiEEEEPS5_jNS1_19radix_merge_compareILb1ELb0EiNS0_19identity_decomposerEEEEE10hipError_tT0_T1_T2_jT3_P12ihipStream_tbPNSt15iterator_traitsISK_E10value_typeEPNSQ_ISL_E10value_typeEPSM_NS1_7vsmem_tEENKUlT_SK_SL_SM_E_clIPiSE_SF_SF_EESJ_SZ_SK_SL_SM_EUlSZ_E1_NS1_11comp_targetILNS1_3genE8ELNS1_11target_archE1030ELNS1_3gpuE2ELNS1_3repE0EEENS1_36merge_oddeven_config_static_selectorELNS0_4arch9wavefront6targetE0EEEvSL_,comdat
	.protected	_ZN7rocprim17ROCPRIM_400000_NS6detail17trampoline_kernelINS0_14default_configENS1_38merge_sort_block_merge_config_selectorIiNS0_10empty_typeEEEZZNS1_27merge_sort_block_merge_implIS3_N6thrust23THRUST_200600_302600_NS6detail15normal_iteratorINS9_10device_ptrIiEEEEPS5_jNS1_19radix_merge_compareILb1ELb0EiNS0_19identity_decomposerEEEEE10hipError_tT0_T1_T2_jT3_P12ihipStream_tbPNSt15iterator_traitsISK_E10value_typeEPNSQ_ISL_E10value_typeEPSM_NS1_7vsmem_tEENKUlT_SK_SL_SM_E_clIPiSE_SF_SF_EESJ_SZ_SK_SL_SM_EUlSZ_E1_NS1_11comp_targetILNS1_3genE8ELNS1_11target_archE1030ELNS1_3gpuE2ELNS1_3repE0EEENS1_36merge_oddeven_config_static_selectorELNS0_4arch9wavefront6targetE0EEEvSL_ ; -- Begin function _ZN7rocprim17ROCPRIM_400000_NS6detail17trampoline_kernelINS0_14default_configENS1_38merge_sort_block_merge_config_selectorIiNS0_10empty_typeEEEZZNS1_27merge_sort_block_merge_implIS3_N6thrust23THRUST_200600_302600_NS6detail15normal_iteratorINS9_10device_ptrIiEEEEPS5_jNS1_19radix_merge_compareILb1ELb0EiNS0_19identity_decomposerEEEEE10hipError_tT0_T1_T2_jT3_P12ihipStream_tbPNSt15iterator_traitsISK_E10value_typeEPNSQ_ISL_E10value_typeEPSM_NS1_7vsmem_tEENKUlT_SK_SL_SM_E_clIPiSE_SF_SF_EESJ_SZ_SK_SL_SM_EUlSZ_E1_NS1_11comp_targetILNS1_3genE8ELNS1_11target_archE1030ELNS1_3gpuE2ELNS1_3repE0EEENS1_36merge_oddeven_config_static_selectorELNS0_4arch9wavefront6targetE0EEEvSL_
	.globl	_ZN7rocprim17ROCPRIM_400000_NS6detail17trampoline_kernelINS0_14default_configENS1_38merge_sort_block_merge_config_selectorIiNS0_10empty_typeEEEZZNS1_27merge_sort_block_merge_implIS3_N6thrust23THRUST_200600_302600_NS6detail15normal_iteratorINS9_10device_ptrIiEEEEPS5_jNS1_19radix_merge_compareILb1ELb0EiNS0_19identity_decomposerEEEEE10hipError_tT0_T1_T2_jT3_P12ihipStream_tbPNSt15iterator_traitsISK_E10value_typeEPNSQ_ISL_E10value_typeEPSM_NS1_7vsmem_tEENKUlT_SK_SL_SM_E_clIPiSE_SF_SF_EESJ_SZ_SK_SL_SM_EUlSZ_E1_NS1_11comp_targetILNS1_3genE8ELNS1_11target_archE1030ELNS1_3gpuE2ELNS1_3repE0EEENS1_36merge_oddeven_config_static_selectorELNS0_4arch9wavefront6targetE0EEEvSL_
	.p2align	8
	.type	_ZN7rocprim17ROCPRIM_400000_NS6detail17trampoline_kernelINS0_14default_configENS1_38merge_sort_block_merge_config_selectorIiNS0_10empty_typeEEEZZNS1_27merge_sort_block_merge_implIS3_N6thrust23THRUST_200600_302600_NS6detail15normal_iteratorINS9_10device_ptrIiEEEEPS5_jNS1_19radix_merge_compareILb1ELb0EiNS0_19identity_decomposerEEEEE10hipError_tT0_T1_T2_jT3_P12ihipStream_tbPNSt15iterator_traitsISK_E10value_typeEPNSQ_ISL_E10value_typeEPSM_NS1_7vsmem_tEENKUlT_SK_SL_SM_E_clIPiSE_SF_SF_EESJ_SZ_SK_SL_SM_EUlSZ_E1_NS1_11comp_targetILNS1_3genE8ELNS1_11target_archE1030ELNS1_3gpuE2ELNS1_3repE0EEENS1_36merge_oddeven_config_static_selectorELNS0_4arch9wavefront6targetE0EEEvSL_,@function
_ZN7rocprim17ROCPRIM_400000_NS6detail17trampoline_kernelINS0_14default_configENS1_38merge_sort_block_merge_config_selectorIiNS0_10empty_typeEEEZZNS1_27merge_sort_block_merge_implIS3_N6thrust23THRUST_200600_302600_NS6detail15normal_iteratorINS9_10device_ptrIiEEEEPS5_jNS1_19radix_merge_compareILb1ELb0EiNS0_19identity_decomposerEEEEE10hipError_tT0_T1_T2_jT3_P12ihipStream_tbPNSt15iterator_traitsISK_E10value_typeEPNSQ_ISL_E10value_typeEPSM_NS1_7vsmem_tEENKUlT_SK_SL_SM_E_clIPiSE_SF_SF_EESJ_SZ_SK_SL_SM_EUlSZ_E1_NS1_11comp_targetILNS1_3genE8ELNS1_11target_archE1030ELNS1_3gpuE2ELNS1_3repE0EEENS1_36merge_oddeven_config_static_selectorELNS0_4arch9wavefront6targetE0EEEvSL_: ; @_ZN7rocprim17ROCPRIM_400000_NS6detail17trampoline_kernelINS0_14default_configENS1_38merge_sort_block_merge_config_selectorIiNS0_10empty_typeEEEZZNS1_27merge_sort_block_merge_implIS3_N6thrust23THRUST_200600_302600_NS6detail15normal_iteratorINS9_10device_ptrIiEEEEPS5_jNS1_19radix_merge_compareILb1ELb0EiNS0_19identity_decomposerEEEEE10hipError_tT0_T1_T2_jT3_P12ihipStream_tbPNSt15iterator_traitsISK_E10value_typeEPNSQ_ISL_E10value_typeEPSM_NS1_7vsmem_tEENKUlT_SK_SL_SM_E_clIPiSE_SF_SF_EESJ_SZ_SK_SL_SM_EUlSZ_E1_NS1_11comp_targetILNS1_3genE8ELNS1_11target_archE1030ELNS1_3gpuE2ELNS1_3repE0EEENS1_36merge_oddeven_config_static_selectorELNS0_4arch9wavefront6targetE0EEEvSL_
; %bb.0:
	s_load_dword s7, s[4:5], 0x20
	s_waitcnt lgkmcnt(0)
	s_lshr_b32 s0, s7, 8
	s_cmp_lg_u32 s6, s0
	s_cselect_b32 s13, -1, 0
	s_cmp_eq_u32 s6, s0
	s_cselect_b32 s12, -1, 0
	s_lshl_b32 s2, s6, 8
	s_sub_i32 s0, s7, s2
	v_cmp_gt_u32_e64 s1, s0, v0
	s_or_b32 s0, s13, s1
	s_and_saveexec_b32 s3, s0
	s_cbranch_execz .LBB245_20
; %bb.1:
	s_load_dwordx4 s[8:11], s[4:5], 0x0
	s_mov_b32 s3, 0
	v_lshlrev_b32_e32 v1, 2, v0
	s_lshl_b64 s[14:15], s[2:3], 2
	s_load_dword s5, s[4:5], 0x24
	v_add_nc_u32_e32 v0, s2, v0
	s_waitcnt lgkmcnt(0)
	s_add_u32 s14, s8, s14
	s_addc_u32 s15, s9, s15
	global_load_dword v2, v1, s[14:15]
	s_lshr_b32 s0, s5, 8
	s_sub_i32 s4, 0, s0
	s_and_b32 s4, s6, s4
	s_and_b32 s0, s4, s0
	s_lshl_b32 s6, s4, 8
	s_sub_i32 s4, 0, s5
	s_cmp_eq_u32 s0, 0
	s_cselect_b32 s0, -1, 0
	s_and_b32 s14, s0, exec_lo
	s_cselect_b32 s4, s5, s4
	s_add_i32 s4, s4, s6
	s_cmp_gt_u32 s7, s4
	s_cbranch_scc1 .LBB245_3
; %bb.2:
	v_cmp_gt_u32_e32 vcc_lo, s7, v0
	s_or_b32 s3, vcc_lo, s13
	s_and_b32 s3, s3, exec_lo
	s_cbranch_execz .LBB245_4
	s_branch .LBB245_18
.LBB245_3:
.LBB245_4:
	s_min_u32 s2, s4, s7
	s_and_b32 vcc_lo, exec_lo, s12
	s_add_i32 s13, s6, s2
	s_min_u32 s6, s6, s2
	v_subrev_nc_u32_e32 v0, s13, v0
	s_add_i32 s5, s2, s5
	s_min_u32 s5, s5, s7
	v_add_nc_u32_e32 v3, s6, v0
	s_cbranch_vccz .LBB245_12
; %bb.5:
                                        ; implicit-def: $vgpr0
	s_and_saveexec_b32 s6, s1
	s_cbranch_execz .LBB245_11
; %bb.6:
	v_mov_b32_e32 v4, s2
	s_cmp_ge_u32 s4, s5
	s_cbranch_scc1 .LBB245_10
; %bb.7:
	v_mov_b32_e32 v5, s5
	v_mov_b32_e32 v4, s2
	;; [unrolled: 1-line block ×3, first 2 shown]
	s_mov_b32 s1, 0
	.p2align	6
.LBB245_8:                              ; =>This Inner Loop Header: Depth=1
	v_add_nc_u32_e32 v0, v4, v5
	v_lshrrev_b32_e32 v0, 1, v0
	v_lshlrev_b64 v[6:7], 2, v[0:1]
	v_add_co_u32 v6, vcc_lo, s8, v6
	v_add_co_ci_u32_e64 v7, null, s9, v7, vcc_lo
	global_load_dword v6, v[6:7], off
	s_waitcnt vmcnt(0)
	v_cmp_gt_i32_e32 vcc_lo, v6, v2
	v_cndmask_b32_e64 v7, 0, 1, vcc_lo
	v_cmp_le_i32_e32 vcc_lo, v2, v6
	v_cndmask_b32_e64 v6, 0, 1, vcc_lo
	v_cndmask_b32_e64 v6, v6, v7, s0
	v_add_nc_u32_e32 v7, 1, v0
	v_and_b32_e32 v6, 1, v6
	v_cmp_eq_u32_e32 vcc_lo, 1, v6
	v_cndmask_b32_e32 v5, v0, v5, vcc_lo
	v_cndmask_b32_e32 v4, v4, v7, vcc_lo
	v_cmp_ge_u32_e32 vcc_lo, v4, v5
	s_or_b32 s1, vcc_lo, s1
	s_andn2_b32 exec_lo, exec_lo, s1
	s_cbranch_execnz .LBB245_8
; %bb.9:
	s_or_b32 exec_lo, exec_lo, s1
.LBB245_10:
	v_add_nc_u32_e32 v0, v4, v3
	s_or_b32 s3, s3, exec_lo
.LBB245_11:
	s_or_b32 exec_lo, exec_lo, s6
	s_branch .LBB245_18
.LBB245_12:
                                        ; implicit-def: $vgpr0
	s_cbranch_execz .LBB245_18
; %bb.13:
	v_mov_b32_e32 v4, s2
	s_cmp_ge_u32 s4, s5
	s_cbranch_scc1 .LBB245_17
; %bb.14:
	v_mov_b32_e32 v5, s5
	v_mov_b32_e32 v4, s2
	;; [unrolled: 1-line block ×3, first 2 shown]
	s_mov_b32 s1, 0
	.p2align	6
.LBB245_15:                             ; =>This Inner Loop Header: Depth=1
	v_add_nc_u32_e32 v0, v4, v5
	v_lshrrev_b32_e32 v0, 1, v0
	v_lshlrev_b64 v[6:7], 2, v[0:1]
	v_add_co_u32 v6, vcc_lo, s8, v6
	v_add_co_ci_u32_e64 v7, null, s9, v7, vcc_lo
	global_load_dword v6, v[6:7], off
	s_waitcnt vmcnt(0)
	v_cmp_gt_i32_e32 vcc_lo, v6, v2
	v_cndmask_b32_e64 v7, 0, 1, vcc_lo
	v_cmp_le_i32_e32 vcc_lo, v2, v6
	v_cndmask_b32_e64 v6, 0, 1, vcc_lo
	v_cndmask_b32_e64 v6, v6, v7, s0
	v_add_nc_u32_e32 v7, 1, v0
	v_and_b32_e32 v6, 1, v6
	v_cmp_eq_u32_e32 vcc_lo, 1, v6
	v_cndmask_b32_e32 v5, v0, v5, vcc_lo
	v_cndmask_b32_e32 v4, v4, v7, vcc_lo
	v_cmp_ge_u32_e32 vcc_lo, v4, v5
	s_or_b32 s1, vcc_lo, s1
	s_andn2_b32 exec_lo, exec_lo, s1
	s_cbranch_execnz .LBB245_15
; %bb.16:
	s_or_b32 exec_lo, exec_lo, s1
.LBB245_17:
	v_add_nc_u32_e32 v0, v4, v3
	s_mov_b32 s3, -1
.LBB245_18:
	s_and_b32 exec_lo, exec_lo, s3
	s_cbranch_execz .LBB245_20
; %bb.19:
	v_mov_b32_e32 v1, 0
	v_lshlrev_b64 v[0:1], 2, v[0:1]
	v_add_co_u32 v0, vcc_lo, s10, v0
	v_add_co_ci_u32_e64 v1, null, s11, v1, vcc_lo
	s_waitcnt vmcnt(0)
	global_store_dword v[0:1], v2, off
.LBB245_20:
	s_endpgm
	.section	.rodata,"a",@progbits
	.p2align	6, 0x0
	.amdhsa_kernel _ZN7rocprim17ROCPRIM_400000_NS6detail17trampoline_kernelINS0_14default_configENS1_38merge_sort_block_merge_config_selectorIiNS0_10empty_typeEEEZZNS1_27merge_sort_block_merge_implIS3_N6thrust23THRUST_200600_302600_NS6detail15normal_iteratorINS9_10device_ptrIiEEEEPS5_jNS1_19radix_merge_compareILb1ELb0EiNS0_19identity_decomposerEEEEE10hipError_tT0_T1_T2_jT3_P12ihipStream_tbPNSt15iterator_traitsISK_E10value_typeEPNSQ_ISL_E10value_typeEPSM_NS1_7vsmem_tEENKUlT_SK_SL_SM_E_clIPiSE_SF_SF_EESJ_SZ_SK_SL_SM_EUlSZ_E1_NS1_11comp_targetILNS1_3genE8ELNS1_11target_archE1030ELNS1_3gpuE2ELNS1_3repE0EEENS1_36merge_oddeven_config_static_selectorELNS0_4arch9wavefront6targetE0EEEvSL_
		.amdhsa_group_segment_fixed_size 0
		.amdhsa_private_segment_fixed_size 0
		.amdhsa_kernarg_size 48
		.amdhsa_user_sgpr_count 6
		.amdhsa_user_sgpr_private_segment_buffer 1
		.amdhsa_user_sgpr_dispatch_ptr 0
		.amdhsa_user_sgpr_queue_ptr 0
		.amdhsa_user_sgpr_kernarg_segment_ptr 1
		.amdhsa_user_sgpr_dispatch_id 0
		.amdhsa_user_sgpr_flat_scratch_init 0
		.amdhsa_user_sgpr_private_segment_size 0
		.amdhsa_wavefront_size32 1
		.amdhsa_uses_dynamic_stack 0
		.amdhsa_system_sgpr_private_segment_wavefront_offset 0
		.amdhsa_system_sgpr_workgroup_id_x 1
		.amdhsa_system_sgpr_workgroup_id_y 0
		.amdhsa_system_sgpr_workgroup_id_z 0
		.amdhsa_system_sgpr_workgroup_info 0
		.amdhsa_system_vgpr_workitem_id 0
		.amdhsa_next_free_vgpr 8
		.amdhsa_next_free_sgpr 16
		.amdhsa_reserve_vcc 1
		.amdhsa_reserve_flat_scratch 0
		.amdhsa_float_round_mode_32 0
		.amdhsa_float_round_mode_16_64 0
		.amdhsa_float_denorm_mode_32 3
		.amdhsa_float_denorm_mode_16_64 3
		.amdhsa_dx10_clamp 1
		.amdhsa_ieee_mode 1
		.amdhsa_fp16_overflow 0
		.amdhsa_workgroup_processor_mode 1
		.amdhsa_memory_ordered 1
		.amdhsa_forward_progress 1
		.amdhsa_shared_vgpr_count 0
		.amdhsa_exception_fp_ieee_invalid_op 0
		.amdhsa_exception_fp_denorm_src 0
		.amdhsa_exception_fp_ieee_div_zero 0
		.amdhsa_exception_fp_ieee_overflow 0
		.amdhsa_exception_fp_ieee_underflow 0
		.amdhsa_exception_fp_ieee_inexact 0
		.amdhsa_exception_int_div_zero 0
	.end_amdhsa_kernel
	.section	.text._ZN7rocprim17ROCPRIM_400000_NS6detail17trampoline_kernelINS0_14default_configENS1_38merge_sort_block_merge_config_selectorIiNS0_10empty_typeEEEZZNS1_27merge_sort_block_merge_implIS3_N6thrust23THRUST_200600_302600_NS6detail15normal_iteratorINS9_10device_ptrIiEEEEPS5_jNS1_19radix_merge_compareILb1ELb0EiNS0_19identity_decomposerEEEEE10hipError_tT0_T1_T2_jT3_P12ihipStream_tbPNSt15iterator_traitsISK_E10value_typeEPNSQ_ISL_E10value_typeEPSM_NS1_7vsmem_tEENKUlT_SK_SL_SM_E_clIPiSE_SF_SF_EESJ_SZ_SK_SL_SM_EUlSZ_E1_NS1_11comp_targetILNS1_3genE8ELNS1_11target_archE1030ELNS1_3gpuE2ELNS1_3repE0EEENS1_36merge_oddeven_config_static_selectorELNS0_4arch9wavefront6targetE0EEEvSL_,"axG",@progbits,_ZN7rocprim17ROCPRIM_400000_NS6detail17trampoline_kernelINS0_14default_configENS1_38merge_sort_block_merge_config_selectorIiNS0_10empty_typeEEEZZNS1_27merge_sort_block_merge_implIS3_N6thrust23THRUST_200600_302600_NS6detail15normal_iteratorINS9_10device_ptrIiEEEEPS5_jNS1_19radix_merge_compareILb1ELb0EiNS0_19identity_decomposerEEEEE10hipError_tT0_T1_T2_jT3_P12ihipStream_tbPNSt15iterator_traitsISK_E10value_typeEPNSQ_ISL_E10value_typeEPSM_NS1_7vsmem_tEENKUlT_SK_SL_SM_E_clIPiSE_SF_SF_EESJ_SZ_SK_SL_SM_EUlSZ_E1_NS1_11comp_targetILNS1_3genE8ELNS1_11target_archE1030ELNS1_3gpuE2ELNS1_3repE0EEENS1_36merge_oddeven_config_static_selectorELNS0_4arch9wavefront6targetE0EEEvSL_,comdat
.Lfunc_end245:
	.size	_ZN7rocprim17ROCPRIM_400000_NS6detail17trampoline_kernelINS0_14default_configENS1_38merge_sort_block_merge_config_selectorIiNS0_10empty_typeEEEZZNS1_27merge_sort_block_merge_implIS3_N6thrust23THRUST_200600_302600_NS6detail15normal_iteratorINS9_10device_ptrIiEEEEPS5_jNS1_19radix_merge_compareILb1ELb0EiNS0_19identity_decomposerEEEEE10hipError_tT0_T1_T2_jT3_P12ihipStream_tbPNSt15iterator_traitsISK_E10value_typeEPNSQ_ISL_E10value_typeEPSM_NS1_7vsmem_tEENKUlT_SK_SL_SM_E_clIPiSE_SF_SF_EESJ_SZ_SK_SL_SM_EUlSZ_E1_NS1_11comp_targetILNS1_3genE8ELNS1_11target_archE1030ELNS1_3gpuE2ELNS1_3repE0EEENS1_36merge_oddeven_config_static_selectorELNS0_4arch9wavefront6targetE0EEEvSL_, .Lfunc_end245-_ZN7rocprim17ROCPRIM_400000_NS6detail17trampoline_kernelINS0_14default_configENS1_38merge_sort_block_merge_config_selectorIiNS0_10empty_typeEEEZZNS1_27merge_sort_block_merge_implIS3_N6thrust23THRUST_200600_302600_NS6detail15normal_iteratorINS9_10device_ptrIiEEEEPS5_jNS1_19radix_merge_compareILb1ELb0EiNS0_19identity_decomposerEEEEE10hipError_tT0_T1_T2_jT3_P12ihipStream_tbPNSt15iterator_traitsISK_E10value_typeEPNSQ_ISL_E10value_typeEPSM_NS1_7vsmem_tEENKUlT_SK_SL_SM_E_clIPiSE_SF_SF_EESJ_SZ_SK_SL_SM_EUlSZ_E1_NS1_11comp_targetILNS1_3genE8ELNS1_11target_archE1030ELNS1_3gpuE2ELNS1_3repE0EEENS1_36merge_oddeven_config_static_selectorELNS0_4arch9wavefront6targetE0EEEvSL_
                                        ; -- End function
	.set _ZN7rocprim17ROCPRIM_400000_NS6detail17trampoline_kernelINS0_14default_configENS1_38merge_sort_block_merge_config_selectorIiNS0_10empty_typeEEEZZNS1_27merge_sort_block_merge_implIS3_N6thrust23THRUST_200600_302600_NS6detail15normal_iteratorINS9_10device_ptrIiEEEEPS5_jNS1_19radix_merge_compareILb1ELb0EiNS0_19identity_decomposerEEEEE10hipError_tT0_T1_T2_jT3_P12ihipStream_tbPNSt15iterator_traitsISK_E10value_typeEPNSQ_ISL_E10value_typeEPSM_NS1_7vsmem_tEENKUlT_SK_SL_SM_E_clIPiSE_SF_SF_EESJ_SZ_SK_SL_SM_EUlSZ_E1_NS1_11comp_targetILNS1_3genE8ELNS1_11target_archE1030ELNS1_3gpuE2ELNS1_3repE0EEENS1_36merge_oddeven_config_static_selectorELNS0_4arch9wavefront6targetE0EEEvSL_.num_vgpr, 8
	.set _ZN7rocprim17ROCPRIM_400000_NS6detail17trampoline_kernelINS0_14default_configENS1_38merge_sort_block_merge_config_selectorIiNS0_10empty_typeEEEZZNS1_27merge_sort_block_merge_implIS3_N6thrust23THRUST_200600_302600_NS6detail15normal_iteratorINS9_10device_ptrIiEEEEPS5_jNS1_19radix_merge_compareILb1ELb0EiNS0_19identity_decomposerEEEEE10hipError_tT0_T1_T2_jT3_P12ihipStream_tbPNSt15iterator_traitsISK_E10value_typeEPNSQ_ISL_E10value_typeEPSM_NS1_7vsmem_tEENKUlT_SK_SL_SM_E_clIPiSE_SF_SF_EESJ_SZ_SK_SL_SM_EUlSZ_E1_NS1_11comp_targetILNS1_3genE8ELNS1_11target_archE1030ELNS1_3gpuE2ELNS1_3repE0EEENS1_36merge_oddeven_config_static_selectorELNS0_4arch9wavefront6targetE0EEEvSL_.num_agpr, 0
	.set _ZN7rocprim17ROCPRIM_400000_NS6detail17trampoline_kernelINS0_14default_configENS1_38merge_sort_block_merge_config_selectorIiNS0_10empty_typeEEEZZNS1_27merge_sort_block_merge_implIS3_N6thrust23THRUST_200600_302600_NS6detail15normal_iteratorINS9_10device_ptrIiEEEEPS5_jNS1_19radix_merge_compareILb1ELb0EiNS0_19identity_decomposerEEEEE10hipError_tT0_T1_T2_jT3_P12ihipStream_tbPNSt15iterator_traitsISK_E10value_typeEPNSQ_ISL_E10value_typeEPSM_NS1_7vsmem_tEENKUlT_SK_SL_SM_E_clIPiSE_SF_SF_EESJ_SZ_SK_SL_SM_EUlSZ_E1_NS1_11comp_targetILNS1_3genE8ELNS1_11target_archE1030ELNS1_3gpuE2ELNS1_3repE0EEENS1_36merge_oddeven_config_static_selectorELNS0_4arch9wavefront6targetE0EEEvSL_.numbered_sgpr, 16
	.set _ZN7rocprim17ROCPRIM_400000_NS6detail17trampoline_kernelINS0_14default_configENS1_38merge_sort_block_merge_config_selectorIiNS0_10empty_typeEEEZZNS1_27merge_sort_block_merge_implIS3_N6thrust23THRUST_200600_302600_NS6detail15normal_iteratorINS9_10device_ptrIiEEEEPS5_jNS1_19radix_merge_compareILb1ELb0EiNS0_19identity_decomposerEEEEE10hipError_tT0_T1_T2_jT3_P12ihipStream_tbPNSt15iterator_traitsISK_E10value_typeEPNSQ_ISL_E10value_typeEPSM_NS1_7vsmem_tEENKUlT_SK_SL_SM_E_clIPiSE_SF_SF_EESJ_SZ_SK_SL_SM_EUlSZ_E1_NS1_11comp_targetILNS1_3genE8ELNS1_11target_archE1030ELNS1_3gpuE2ELNS1_3repE0EEENS1_36merge_oddeven_config_static_selectorELNS0_4arch9wavefront6targetE0EEEvSL_.num_named_barrier, 0
	.set _ZN7rocprim17ROCPRIM_400000_NS6detail17trampoline_kernelINS0_14default_configENS1_38merge_sort_block_merge_config_selectorIiNS0_10empty_typeEEEZZNS1_27merge_sort_block_merge_implIS3_N6thrust23THRUST_200600_302600_NS6detail15normal_iteratorINS9_10device_ptrIiEEEEPS5_jNS1_19radix_merge_compareILb1ELb0EiNS0_19identity_decomposerEEEEE10hipError_tT0_T1_T2_jT3_P12ihipStream_tbPNSt15iterator_traitsISK_E10value_typeEPNSQ_ISL_E10value_typeEPSM_NS1_7vsmem_tEENKUlT_SK_SL_SM_E_clIPiSE_SF_SF_EESJ_SZ_SK_SL_SM_EUlSZ_E1_NS1_11comp_targetILNS1_3genE8ELNS1_11target_archE1030ELNS1_3gpuE2ELNS1_3repE0EEENS1_36merge_oddeven_config_static_selectorELNS0_4arch9wavefront6targetE0EEEvSL_.private_seg_size, 0
	.set _ZN7rocprim17ROCPRIM_400000_NS6detail17trampoline_kernelINS0_14default_configENS1_38merge_sort_block_merge_config_selectorIiNS0_10empty_typeEEEZZNS1_27merge_sort_block_merge_implIS3_N6thrust23THRUST_200600_302600_NS6detail15normal_iteratorINS9_10device_ptrIiEEEEPS5_jNS1_19radix_merge_compareILb1ELb0EiNS0_19identity_decomposerEEEEE10hipError_tT0_T1_T2_jT3_P12ihipStream_tbPNSt15iterator_traitsISK_E10value_typeEPNSQ_ISL_E10value_typeEPSM_NS1_7vsmem_tEENKUlT_SK_SL_SM_E_clIPiSE_SF_SF_EESJ_SZ_SK_SL_SM_EUlSZ_E1_NS1_11comp_targetILNS1_3genE8ELNS1_11target_archE1030ELNS1_3gpuE2ELNS1_3repE0EEENS1_36merge_oddeven_config_static_selectorELNS0_4arch9wavefront6targetE0EEEvSL_.uses_vcc, 1
	.set _ZN7rocprim17ROCPRIM_400000_NS6detail17trampoline_kernelINS0_14default_configENS1_38merge_sort_block_merge_config_selectorIiNS0_10empty_typeEEEZZNS1_27merge_sort_block_merge_implIS3_N6thrust23THRUST_200600_302600_NS6detail15normal_iteratorINS9_10device_ptrIiEEEEPS5_jNS1_19radix_merge_compareILb1ELb0EiNS0_19identity_decomposerEEEEE10hipError_tT0_T1_T2_jT3_P12ihipStream_tbPNSt15iterator_traitsISK_E10value_typeEPNSQ_ISL_E10value_typeEPSM_NS1_7vsmem_tEENKUlT_SK_SL_SM_E_clIPiSE_SF_SF_EESJ_SZ_SK_SL_SM_EUlSZ_E1_NS1_11comp_targetILNS1_3genE8ELNS1_11target_archE1030ELNS1_3gpuE2ELNS1_3repE0EEENS1_36merge_oddeven_config_static_selectorELNS0_4arch9wavefront6targetE0EEEvSL_.uses_flat_scratch, 0
	.set _ZN7rocprim17ROCPRIM_400000_NS6detail17trampoline_kernelINS0_14default_configENS1_38merge_sort_block_merge_config_selectorIiNS0_10empty_typeEEEZZNS1_27merge_sort_block_merge_implIS3_N6thrust23THRUST_200600_302600_NS6detail15normal_iteratorINS9_10device_ptrIiEEEEPS5_jNS1_19radix_merge_compareILb1ELb0EiNS0_19identity_decomposerEEEEE10hipError_tT0_T1_T2_jT3_P12ihipStream_tbPNSt15iterator_traitsISK_E10value_typeEPNSQ_ISL_E10value_typeEPSM_NS1_7vsmem_tEENKUlT_SK_SL_SM_E_clIPiSE_SF_SF_EESJ_SZ_SK_SL_SM_EUlSZ_E1_NS1_11comp_targetILNS1_3genE8ELNS1_11target_archE1030ELNS1_3gpuE2ELNS1_3repE0EEENS1_36merge_oddeven_config_static_selectorELNS0_4arch9wavefront6targetE0EEEvSL_.has_dyn_sized_stack, 0
	.set _ZN7rocprim17ROCPRIM_400000_NS6detail17trampoline_kernelINS0_14default_configENS1_38merge_sort_block_merge_config_selectorIiNS0_10empty_typeEEEZZNS1_27merge_sort_block_merge_implIS3_N6thrust23THRUST_200600_302600_NS6detail15normal_iteratorINS9_10device_ptrIiEEEEPS5_jNS1_19radix_merge_compareILb1ELb0EiNS0_19identity_decomposerEEEEE10hipError_tT0_T1_T2_jT3_P12ihipStream_tbPNSt15iterator_traitsISK_E10value_typeEPNSQ_ISL_E10value_typeEPSM_NS1_7vsmem_tEENKUlT_SK_SL_SM_E_clIPiSE_SF_SF_EESJ_SZ_SK_SL_SM_EUlSZ_E1_NS1_11comp_targetILNS1_3genE8ELNS1_11target_archE1030ELNS1_3gpuE2ELNS1_3repE0EEENS1_36merge_oddeven_config_static_selectorELNS0_4arch9wavefront6targetE0EEEvSL_.has_recursion, 0
	.set _ZN7rocprim17ROCPRIM_400000_NS6detail17trampoline_kernelINS0_14default_configENS1_38merge_sort_block_merge_config_selectorIiNS0_10empty_typeEEEZZNS1_27merge_sort_block_merge_implIS3_N6thrust23THRUST_200600_302600_NS6detail15normal_iteratorINS9_10device_ptrIiEEEEPS5_jNS1_19radix_merge_compareILb1ELb0EiNS0_19identity_decomposerEEEEE10hipError_tT0_T1_T2_jT3_P12ihipStream_tbPNSt15iterator_traitsISK_E10value_typeEPNSQ_ISL_E10value_typeEPSM_NS1_7vsmem_tEENKUlT_SK_SL_SM_E_clIPiSE_SF_SF_EESJ_SZ_SK_SL_SM_EUlSZ_E1_NS1_11comp_targetILNS1_3genE8ELNS1_11target_archE1030ELNS1_3gpuE2ELNS1_3repE0EEENS1_36merge_oddeven_config_static_selectorELNS0_4arch9wavefront6targetE0EEEvSL_.has_indirect_call, 0
	.section	.AMDGPU.csdata,"",@progbits
; Kernel info:
; codeLenInByte = 624
; TotalNumSgprs: 18
; NumVgprs: 8
; ScratchSize: 0
; MemoryBound: 0
; FloatMode: 240
; IeeeMode: 1
; LDSByteSize: 0 bytes/workgroup (compile time only)
; SGPRBlocks: 0
; VGPRBlocks: 0
; NumSGPRsForWavesPerEU: 18
; NumVGPRsForWavesPerEU: 8
; Occupancy: 16
; WaveLimiterHint : 0
; COMPUTE_PGM_RSRC2:SCRATCH_EN: 0
; COMPUTE_PGM_RSRC2:USER_SGPR: 6
; COMPUTE_PGM_RSRC2:TRAP_HANDLER: 0
; COMPUTE_PGM_RSRC2:TGID_X_EN: 1
; COMPUTE_PGM_RSRC2:TGID_Y_EN: 0
; COMPUTE_PGM_RSRC2:TGID_Z_EN: 0
; COMPUTE_PGM_RSRC2:TIDIG_COMP_CNT: 0
	.section	.text._ZN7rocprim17ROCPRIM_400000_NS6detail17trampoline_kernelINS0_14default_configENS1_38merge_sort_block_merge_config_selectorIiNS0_10empty_typeEEEZZNS1_27merge_sort_block_merge_implIS3_N6thrust23THRUST_200600_302600_NS6detail15normal_iteratorINS9_10device_ptrIiEEEEPS5_jNS1_19radix_merge_compareILb1ELb0EiNS0_19identity_decomposerEEEEE10hipError_tT0_T1_T2_jT3_P12ihipStream_tbPNSt15iterator_traitsISK_E10value_typeEPNSQ_ISL_E10value_typeEPSM_NS1_7vsmem_tEENKUlT_SK_SL_SM_E_clISE_PiSF_SF_EESJ_SZ_SK_SL_SM_EUlSZ_E_NS1_11comp_targetILNS1_3genE0ELNS1_11target_archE4294967295ELNS1_3gpuE0ELNS1_3repE0EEENS1_48merge_mergepath_partition_config_static_selectorELNS0_4arch9wavefront6targetE0EEEvSL_,"axG",@progbits,_ZN7rocprim17ROCPRIM_400000_NS6detail17trampoline_kernelINS0_14default_configENS1_38merge_sort_block_merge_config_selectorIiNS0_10empty_typeEEEZZNS1_27merge_sort_block_merge_implIS3_N6thrust23THRUST_200600_302600_NS6detail15normal_iteratorINS9_10device_ptrIiEEEEPS5_jNS1_19radix_merge_compareILb1ELb0EiNS0_19identity_decomposerEEEEE10hipError_tT0_T1_T2_jT3_P12ihipStream_tbPNSt15iterator_traitsISK_E10value_typeEPNSQ_ISL_E10value_typeEPSM_NS1_7vsmem_tEENKUlT_SK_SL_SM_E_clISE_PiSF_SF_EESJ_SZ_SK_SL_SM_EUlSZ_E_NS1_11comp_targetILNS1_3genE0ELNS1_11target_archE4294967295ELNS1_3gpuE0ELNS1_3repE0EEENS1_48merge_mergepath_partition_config_static_selectorELNS0_4arch9wavefront6targetE0EEEvSL_,comdat
	.protected	_ZN7rocprim17ROCPRIM_400000_NS6detail17trampoline_kernelINS0_14default_configENS1_38merge_sort_block_merge_config_selectorIiNS0_10empty_typeEEEZZNS1_27merge_sort_block_merge_implIS3_N6thrust23THRUST_200600_302600_NS6detail15normal_iteratorINS9_10device_ptrIiEEEEPS5_jNS1_19radix_merge_compareILb1ELb0EiNS0_19identity_decomposerEEEEE10hipError_tT0_T1_T2_jT3_P12ihipStream_tbPNSt15iterator_traitsISK_E10value_typeEPNSQ_ISL_E10value_typeEPSM_NS1_7vsmem_tEENKUlT_SK_SL_SM_E_clISE_PiSF_SF_EESJ_SZ_SK_SL_SM_EUlSZ_E_NS1_11comp_targetILNS1_3genE0ELNS1_11target_archE4294967295ELNS1_3gpuE0ELNS1_3repE0EEENS1_48merge_mergepath_partition_config_static_selectorELNS0_4arch9wavefront6targetE0EEEvSL_ ; -- Begin function _ZN7rocprim17ROCPRIM_400000_NS6detail17trampoline_kernelINS0_14default_configENS1_38merge_sort_block_merge_config_selectorIiNS0_10empty_typeEEEZZNS1_27merge_sort_block_merge_implIS3_N6thrust23THRUST_200600_302600_NS6detail15normal_iteratorINS9_10device_ptrIiEEEEPS5_jNS1_19radix_merge_compareILb1ELb0EiNS0_19identity_decomposerEEEEE10hipError_tT0_T1_T2_jT3_P12ihipStream_tbPNSt15iterator_traitsISK_E10value_typeEPNSQ_ISL_E10value_typeEPSM_NS1_7vsmem_tEENKUlT_SK_SL_SM_E_clISE_PiSF_SF_EESJ_SZ_SK_SL_SM_EUlSZ_E_NS1_11comp_targetILNS1_3genE0ELNS1_11target_archE4294967295ELNS1_3gpuE0ELNS1_3repE0EEENS1_48merge_mergepath_partition_config_static_selectorELNS0_4arch9wavefront6targetE0EEEvSL_
	.globl	_ZN7rocprim17ROCPRIM_400000_NS6detail17trampoline_kernelINS0_14default_configENS1_38merge_sort_block_merge_config_selectorIiNS0_10empty_typeEEEZZNS1_27merge_sort_block_merge_implIS3_N6thrust23THRUST_200600_302600_NS6detail15normal_iteratorINS9_10device_ptrIiEEEEPS5_jNS1_19radix_merge_compareILb1ELb0EiNS0_19identity_decomposerEEEEE10hipError_tT0_T1_T2_jT3_P12ihipStream_tbPNSt15iterator_traitsISK_E10value_typeEPNSQ_ISL_E10value_typeEPSM_NS1_7vsmem_tEENKUlT_SK_SL_SM_E_clISE_PiSF_SF_EESJ_SZ_SK_SL_SM_EUlSZ_E_NS1_11comp_targetILNS1_3genE0ELNS1_11target_archE4294967295ELNS1_3gpuE0ELNS1_3repE0EEENS1_48merge_mergepath_partition_config_static_selectorELNS0_4arch9wavefront6targetE0EEEvSL_
	.p2align	8
	.type	_ZN7rocprim17ROCPRIM_400000_NS6detail17trampoline_kernelINS0_14default_configENS1_38merge_sort_block_merge_config_selectorIiNS0_10empty_typeEEEZZNS1_27merge_sort_block_merge_implIS3_N6thrust23THRUST_200600_302600_NS6detail15normal_iteratorINS9_10device_ptrIiEEEEPS5_jNS1_19radix_merge_compareILb1ELb0EiNS0_19identity_decomposerEEEEE10hipError_tT0_T1_T2_jT3_P12ihipStream_tbPNSt15iterator_traitsISK_E10value_typeEPNSQ_ISL_E10value_typeEPSM_NS1_7vsmem_tEENKUlT_SK_SL_SM_E_clISE_PiSF_SF_EESJ_SZ_SK_SL_SM_EUlSZ_E_NS1_11comp_targetILNS1_3genE0ELNS1_11target_archE4294967295ELNS1_3gpuE0ELNS1_3repE0EEENS1_48merge_mergepath_partition_config_static_selectorELNS0_4arch9wavefront6targetE0EEEvSL_,@function
_ZN7rocprim17ROCPRIM_400000_NS6detail17trampoline_kernelINS0_14default_configENS1_38merge_sort_block_merge_config_selectorIiNS0_10empty_typeEEEZZNS1_27merge_sort_block_merge_implIS3_N6thrust23THRUST_200600_302600_NS6detail15normal_iteratorINS9_10device_ptrIiEEEEPS5_jNS1_19radix_merge_compareILb1ELb0EiNS0_19identity_decomposerEEEEE10hipError_tT0_T1_T2_jT3_P12ihipStream_tbPNSt15iterator_traitsISK_E10value_typeEPNSQ_ISL_E10value_typeEPSM_NS1_7vsmem_tEENKUlT_SK_SL_SM_E_clISE_PiSF_SF_EESJ_SZ_SK_SL_SM_EUlSZ_E_NS1_11comp_targetILNS1_3genE0ELNS1_11target_archE4294967295ELNS1_3gpuE0ELNS1_3repE0EEENS1_48merge_mergepath_partition_config_static_selectorELNS0_4arch9wavefront6targetE0EEEvSL_: ; @_ZN7rocprim17ROCPRIM_400000_NS6detail17trampoline_kernelINS0_14default_configENS1_38merge_sort_block_merge_config_selectorIiNS0_10empty_typeEEEZZNS1_27merge_sort_block_merge_implIS3_N6thrust23THRUST_200600_302600_NS6detail15normal_iteratorINS9_10device_ptrIiEEEEPS5_jNS1_19radix_merge_compareILb1ELb0EiNS0_19identity_decomposerEEEEE10hipError_tT0_T1_T2_jT3_P12ihipStream_tbPNSt15iterator_traitsISK_E10value_typeEPNSQ_ISL_E10value_typeEPSM_NS1_7vsmem_tEENKUlT_SK_SL_SM_E_clISE_PiSF_SF_EESJ_SZ_SK_SL_SM_EUlSZ_E_NS1_11comp_targetILNS1_3genE0ELNS1_11target_archE4294967295ELNS1_3gpuE0ELNS1_3repE0EEENS1_48merge_mergepath_partition_config_static_selectorELNS0_4arch9wavefront6targetE0EEEvSL_
; %bb.0:
	.section	.rodata,"a",@progbits
	.p2align	6, 0x0
	.amdhsa_kernel _ZN7rocprim17ROCPRIM_400000_NS6detail17trampoline_kernelINS0_14default_configENS1_38merge_sort_block_merge_config_selectorIiNS0_10empty_typeEEEZZNS1_27merge_sort_block_merge_implIS3_N6thrust23THRUST_200600_302600_NS6detail15normal_iteratorINS9_10device_ptrIiEEEEPS5_jNS1_19radix_merge_compareILb1ELb0EiNS0_19identity_decomposerEEEEE10hipError_tT0_T1_T2_jT3_P12ihipStream_tbPNSt15iterator_traitsISK_E10value_typeEPNSQ_ISL_E10value_typeEPSM_NS1_7vsmem_tEENKUlT_SK_SL_SM_E_clISE_PiSF_SF_EESJ_SZ_SK_SL_SM_EUlSZ_E_NS1_11comp_targetILNS1_3genE0ELNS1_11target_archE4294967295ELNS1_3gpuE0ELNS1_3repE0EEENS1_48merge_mergepath_partition_config_static_selectorELNS0_4arch9wavefront6targetE0EEEvSL_
		.amdhsa_group_segment_fixed_size 0
		.amdhsa_private_segment_fixed_size 0
		.amdhsa_kernarg_size 40
		.amdhsa_user_sgpr_count 6
		.amdhsa_user_sgpr_private_segment_buffer 1
		.amdhsa_user_sgpr_dispatch_ptr 0
		.amdhsa_user_sgpr_queue_ptr 0
		.amdhsa_user_sgpr_kernarg_segment_ptr 1
		.amdhsa_user_sgpr_dispatch_id 0
		.amdhsa_user_sgpr_flat_scratch_init 0
		.amdhsa_user_sgpr_private_segment_size 0
		.amdhsa_wavefront_size32 1
		.amdhsa_uses_dynamic_stack 0
		.amdhsa_system_sgpr_private_segment_wavefront_offset 0
		.amdhsa_system_sgpr_workgroup_id_x 1
		.amdhsa_system_sgpr_workgroup_id_y 0
		.amdhsa_system_sgpr_workgroup_id_z 0
		.amdhsa_system_sgpr_workgroup_info 0
		.amdhsa_system_vgpr_workitem_id 0
		.amdhsa_next_free_vgpr 1
		.amdhsa_next_free_sgpr 1
		.amdhsa_reserve_vcc 0
		.amdhsa_reserve_flat_scratch 0
		.amdhsa_float_round_mode_32 0
		.amdhsa_float_round_mode_16_64 0
		.amdhsa_float_denorm_mode_32 3
		.amdhsa_float_denorm_mode_16_64 3
		.amdhsa_dx10_clamp 1
		.amdhsa_ieee_mode 1
		.amdhsa_fp16_overflow 0
		.amdhsa_workgroup_processor_mode 1
		.amdhsa_memory_ordered 1
		.amdhsa_forward_progress 1
		.amdhsa_shared_vgpr_count 0
		.amdhsa_exception_fp_ieee_invalid_op 0
		.amdhsa_exception_fp_denorm_src 0
		.amdhsa_exception_fp_ieee_div_zero 0
		.amdhsa_exception_fp_ieee_overflow 0
		.amdhsa_exception_fp_ieee_underflow 0
		.amdhsa_exception_fp_ieee_inexact 0
		.amdhsa_exception_int_div_zero 0
	.end_amdhsa_kernel
	.section	.text._ZN7rocprim17ROCPRIM_400000_NS6detail17trampoline_kernelINS0_14default_configENS1_38merge_sort_block_merge_config_selectorIiNS0_10empty_typeEEEZZNS1_27merge_sort_block_merge_implIS3_N6thrust23THRUST_200600_302600_NS6detail15normal_iteratorINS9_10device_ptrIiEEEEPS5_jNS1_19radix_merge_compareILb1ELb0EiNS0_19identity_decomposerEEEEE10hipError_tT0_T1_T2_jT3_P12ihipStream_tbPNSt15iterator_traitsISK_E10value_typeEPNSQ_ISL_E10value_typeEPSM_NS1_7vsmem_tEENKUlT_SK_SL_SM_E_clISE_PiSF_SF_EESJ_SZ_SK_SL_SM_EUlSZ_E_NS1_11comp_targetILNS1_3genE0ELNS1_11target_archE4294967295ELNS1_3gpuE0ELNS1_3repE0EEENS1_48merge_mergepath_partition_config_static_selectorELNS0_4arch9wavefront6targetE0EEEvSL_,"axG",@progbits,_ZN7rocprim17ROCPRIM_400000_NS6detail17trampoline_kernelINS0_14default_configENS1_38merge_sort_block_merge_config_selectorIiNS0_10empty_typeEEEZZNS1_27merge_sort_block_merge_implIS3_N6thrust23THRUST_200600_302600_NS6detail15normal_iteratorINS9_10device_ptrIiEEEEPS5_jNS1_19radix_merge_compareILb1ELb0EiNS0_19identity_decomposerEEEEE10hipError_tT0_T1_T2_jT3_P12ihipStream_tbPNSt15iterator_traitsISK_E10value_typeEPNSQ_ISL_E10value_typeEPSM_NS1_7vsmem_tEENKUlT_SK_SL_SM_E_clISE_PiSF_SF_EESJ_SZ_SK_SL_SM_EUlSZ_E_NS1_11comp_targetILNS1_3genE0ELNS1_11target_archE4294967295ELNS1_3gpuE0ELNS1_3repE0EEENS1_48merge_mergepath_partition_config_static_selectorELNS0_4arch9wavefront6targetE0EEEvSL_,comdat
.Lfunc_end246:
	.size	_ZN7rocprim17ROCPRIM_400000_NS6detail17trampoline_kernelINS0_14default_configENS1_38merge_sort_block_merge_config_selectorIiNS0_10empty_typeEEEZZNS1_27merge_sort_block_merge_implIS3_N6thrust23THRUST_200600_302600_NS6detail15normal_iteratorINS9_10device_ptrIiEEEEPS5_jNS1_19radix_merge_compareILb1ELb0EiNS0_19identity_decomposerEEEEE10hipError_tT0_T1_T2_jT3_P12ihipStream_tbPNSt15iterator_traitsISK_E10value_typeEPNSQ_ISL_E10value_typeEPSM_NS1_7vsmem_tEENKUlT_SK_SL_SM_E_clISE_PiSF_SF_EESJ_SZ_SK_SL_SM_EUlSZ_E_NS1_11comp_targetILNS1_3genE0ELNS1_11target_archE4294967295ELNS1_3gpuE0ELNS1_3repE0EEENS1_48merge_mergepath_partition_config_static_selectorELNS0_4arch9wavefront6targetE0EEEvSL_, .Lfunc_end246-_ZN7rocprim17ROCPRIM_400000_NS6detail17trampoline_kernelINS0_14default_configENS1_38merge_sort_block_merge_config_selectorIiNS0_10empty_typeEEEZZNS1_27merge_sort_block_merge_implIS3_N6thrust23THRUST_200600_302600_NS6detail15normal_iteratorINS9_10device_ptrIiEEEEPS5_jNS1_19radix_merge_compareILb1ELb0EiNS0_19identity_decomposerEEEEE10hipError_tT0_T1_T2_jT3_P12ihipStream_tbPNSt15iterator_traitsISK_E10value_typeEPNSQ_ISL_E10value_typeEPSM_NS1_7vsmem_tEENKUlT_SK_SL_SM_E_clISE_PiSF_SF_EESJ_SZ_SK_SL_SM_EUlSZ_E_NS1_11comp_targetILNS1_3genE0ELNS1_11target_archE4294967295ELNS1_3gpuE0ELNS1_3repE0EEENS1_48merge_mergepath_partition_config_static_selectorELNS0_4arch9wavefront6targetE0EEEvSL_
                                        ; -- End function
	.set _ZN7rocprim17ROCPRIM_400000_NS6detail17trampoline_kernelINS0_14default_configENS1_38merge_sort_block_merge_config_selectorIiNS0_10empty_typeEEEZZNS1_27merge_sort_block_merge_implIS3_N6thrust23THRUST_200600_302600_NS6detail15normal_iteratorINS9_10device_ptrIiEEEEPS5_jNS1_19radix_merge_compareILb1ELb0EiNS0_19identity_decomposerEEEEE10hipError_tT0_T1_T2_jT3_P12ihipStream_tbPNSt15iterator_traitsISK_E10value_typeEPNSQ_ISL_E10value_typeEPSM_NS1_7vsmem_tEENKUlT_SK_SL_SM_E_clISE_PiSF_SF_EESJ_SZ_SK_SL_SM_EUlSZ_E_NS1_11comp_targetILNS1_3genE0ELNS1_11target_archE4294967295ELNS1_3gpuE0ELNS1_3repE0EEENS1_48merge_mergepath_partition_config_static_selectorELNS0_4arch9wavefront6targetE0EEEvSL_.num_vgpr, 0
	.set _ZN7rocprim17ROCPRIM_400000_NS6detail17trampoline_kernelINS0_14default_configENS1_38merge_sort_block_merge_config_selectorIiNS0_10empty_typeEEEZZNS1_27merge_sort_block_merge_implIS3_N6thrust23THRUST_200600_302600_NS6detail15normal_iteratorINS9_10device_ptrIiEEEEPS5_jNS1_19radix_merge_compareILb1ELb0EiNS0_19identity_decomposerEEEEE10hipError_tT0_T1_T2_jT3_P12ihipStream_tbPNSt15iterator_traitsISK_E10value_typeEPNSQ_ISL_E10value_typeEPSM_NS1_7vsmem_tEENKUlT_SK_SL_SM_E_clISE_PiSF_SF_EESJ_SZ_SK_SL_SM_EUlSZ_E_NS1_11comp_targetILNS1_3genE0ELNS1_11target_archE4294967295ELNS1_3gpuE0ELNS1_3repE0EEENS1_48merge_mergepath_partition_config_static_selectorELNS0_4arch9wavefront6targetE0EEEvSL_.num_agpr, 0
	.set _ZN7rocprim17ROCPRIM_400000_NS6detail17trampoline_kernelINS0_14default_configENS1_38merge_sort_block_merge_config_selectorIiNS0_10empty_typeEEEZZNS1_27merge_sort_block_merge_implIS3_N6thrust23THRUST_200600_302600_NS6detail15normal_iteratorINS9_10device_ptrIiEEEEPS5_jNS1_19radix_merge_compareILb1ELb0EiNS0_19identity_decomposerEEEEE10hipError_tT0_T1_T2_jT3_P12ihipStream_tbPNSt15iterator_traitsISK_E10value_typeEPNSQ_ISL_E10value_typeEPSM_NS1_7vsmem_tEENKUlT_SK_SL_SM_E_clISE_PiSF_SF_EESJ_SZ_SK_SL_SM_EUlSZ_E_NS1_11comp_targetILNS1_3genE0ELNS1_11target_archE4294967295ELNS1_3gpuE0ELNS1_3repE0EEENS1_48merge_mergepath_partition_config_static_selectorELNS0_4arch9wavefront6targetE0EEEvSL_.numbered_sgpr, 0
	.set _ZN7rocprim17ROCPRIM_400000_NS6detail17trampoline_kernelINS0_14default_configENS1_38merge_sort_block_merge_config_selectorIiNS0_10empty_typeEEEZZNS1_27merge_sort_block_merge_implIS3_N6thrust23THRUST_200600_302600_NS6detail15normal_iteratorINS9_10device_ptrIiEEEEPS5_jNS1_19radix_merge_compareILb1ELb0EiNS0_19identity_decomposerEEEEE10hipError_tT0_T1_T2_jT3_P12ihipStream_tbPNSt15iterator_traitsISK_E10value_typeEPNSQ_ISL_E10value_typeEPSM_NS1_7vsmem_tEENKUlT_SK_SL_SM_E_clISE_PiSF_SF_EESJ_SZ_SK_SL_SM_EUlSZ_E_NS1_11comp_targetILNS1_3genE0ELNS1_11target_archE4294967295ELNS1_3gpuE0ELNS1_3repE0EEENS1_48merge_mergepath_partition_config_static_selectorELNS0_4arch9wavefront6targetE0EEEvSL_.num_named_barrier, 0
	.set _ZN7rocprim17ROCPRIM_400000_NS6detail17trampoline_kernelINS0_14default_configENS1_38merge_sort_block_merge_config_selectorIiNS0_10empty_typeEEEZZNS1_27merge_sort_block_merge_implIS3_N6thrust23THRUST_200600_302600_NS6detail15normal_iteratorINS9_10device_ptrIiEEEEPS5_jNS1_19radix_merge_compareILb1ELb0EiNS0_19identity_decomposerEEEEE10hipError_tT0_T1_T2_jT3_P12ihipStream_tbPNSt15iterator_traitsISK_E10value_typeEPNSQ_ISL_E10value_typeEPSM_NS1_7vsmem_tEENKUlT_SK_SL_SM_E_clISE_PiSF_SF_EESJ_SZ_SK_SL_SM_EUlSZ_E_NS1_11comp_targetILNS1_3genE0ELNS1_11target_archE4294967295ELNS1_3gpuE0ELNS1_3repE0EEENS1_48merge_mergepath_partition_config_static_selectorELNS0_4arch9wavefront6targetE0EEEvSL_.private_seg_size, 0
	.set _ZN7rocprim17ROCPRIM_400000_NS6detail17trampoline_kernelINS0_14default_configENS1_38merge_sort_block_merge_config_selectorIiNS0_10empty_typeEEEZZNS1_27merge_sort_block_merge_implIS3_N6thrust23THRUST_200600_302600_NS6detail15normal_iteratorINS9_10device_ptrIiEEEEPS5_jNS1_19radix_merge_compareILb1ELb0EiNS0_19identity_decomposerEEEEE10hipError_tT0_T1_T2_jT3_P12ihipStream_tbPNSt15iterator_traitsISK_E10value_typeEPNSQ_ISL_E10value_typeEPSM_NS1_7vsmem_tEENKUlT_SK_SL_SM_E_clISE_PiSF_SF_EESJ_SZ_SK_SL_SM_EUlSZ_E_NS1_11comp_targetILNS1_3genE0ELNS1_11target_archE4294967295ELNS1_3gpuE0ELNS1_3repE0EEENS1_48merge_mergepath_partition_config_static_selectorELNS0_4arch9wavefront6targetE0EEEvSL_.uses_vcc, 0
	.set _ZN7rocprim17ROCPRIM_400000_NS6detail17trampoline_kernelINS0_14default_configENS1_38merge_sort_block_merge_config_selectorIiNS0_10empty_typeEEEZZNS1_27merge_sort_block_merge_implIS3_N6thrust23THRUST_200600_302600_NS6detail15normal_iteratorINS9_10device_ptrIiEEEEPS5_jNS1_19radix_merge_compareILb1ELb0EiNS0_19identity_decomposerEEEEE10hipError_tT0_T1_T2_jT3_P12ihipStream_tbPNSt15iterator_traitsISK_E10value_typeEPNSQ_ISL_E10value_typeEPSM_NS1_7vsmem_tEENKUlT_SK_SL_SM_E_clISE_PiSF_SF_EESJ_SZ_SK_SL_SM_EUlSZ_E_NS1_11comp_targetILNS1_3genE0ELNS1_11target_archE4294967295ELNS1_3gpuE0ELNS1_3repE0EEENS1_48merge_mergepath_partition_config_static_selectorELNS0_4arch9wavefront6targetE0EEEvSL_.uses_flat_scratch, 0
	.set _ZN7rocprim17ROCPRIM_400000_NS6detail17trampoline_kernelINS0_14default_configENS1_38merge_sort_block_merge_config_selectorIiNS0_10empty_typeEEEZZNS1_27merge_sort_block_merge_implIS3_N6thrust23THRUST_200600_302600_NS6detail15normal_iteratorINS9_10device_ptrIiEEEEPS5_jNS1_19radix_merge_compareILb1ELb0EiNS0_19identity_decomposerEEEEE10hipError_tT0_T1_T2_jT3_P12ihipStream_tbPNSt15iterator_traitsISK_E10value_typeEPNSQ_ISL_E10value_typeEPSM_NS1_7vsmem_tEENKUlT_SK_SL_SM_E_clISE_PiSF_SF_EESJ_SZ_SK_SL_SM_EUlSZ_E_NS1_11comp_targetILNS1_3genE0ELNS1_11target_archE4294967295ELNS1_3gpuE0ELNS1_3repE0EEENS1_48merge_mergepath_partition_config_static_selectorELNS0_4arch9wavefront6targetE0EEEvSL_.has_dyn_sized_stack, 0
	.set _ZN7rocprim17ROCPRIM_400000_NS6detail17trampoline_kernelINS0_14default_configENS1_38merge_sort_block_merge_config_selectorIiNS0_10empty_typeEEEZZNS1_27merge_sort_block_merge_implIS3_N6thrust23THRUST_200600_302600_NS6detail15normal_iteratorINS9_10device_ptrIiEEEEPS5_jNS1_19radix_merge_compareILb1ELb0EiNS0_19identity_decomposerEEEEE10hipError_tT0_T1_T2_jT3_P12ihipStream_tbPNSt15iterator_traitsISK_E10value_typeEPNSQ_ISL_E10value_typeEPSM_NS1_7vsmem_tEENKUlT_SK_SL_SM_E_clISE_PiSF_SF_EESJ_SZ_SK_SL_SM_EUlSZ_E_NS1_11comp_targetILNS1_3genE0ELNS1_11target_archE4294967295ELNS1_3gpuE0ELNS1_3repE0EEENS1_48merge_mergepath_partition_config_static_selectorELNS0_4arch9wavefront6targetE0EEEvSL_.has_recursion, 0
	.set _ZN7rocprim17ROCPRIM_400000_NS6detail17trampoline_kernelINS0_14default_configENS1_38merge_sort_block_merge_config_selectorIiNS0_10empty_typeEEEZZNS1_27merge_sort_block_merge_implIS3_N6thrust23THRUST_200600_302600_NS6detail15normal_iteratorINS9_10device_ptrIiEEEEPS5_jNS1_19radix_merge_compareILb1ELb0EiNS0_19identity_decomposerEEEEE10hipError_tT0_T1_T2_jT3_P12ihipStream_tbPNSt15iterator_traitsISK_E10value_typeEPNSQ_ISL_E10value_typeEPSM_NS1_7vsmem_tEENKUlT_SK_SL_SM_E_clISE_PiSF_SF_EESJ_SZ_SK_SL_SM_EUlSZ_E_NS1_11comp_targetILNS1_3genE0ELNS1_11target_archE4294967295ELNS1_3gpuE0ELNS1_3repE0EEENS1_48merge_mergepath_partition_config_static_selectorELNS0_4arch9wavefront6targetE0EEEvSL_.has_indirect_call, 0
	.section	.AMDGPU.csdata,"",@progbits
; Kernel info:
; codeLenInByte = 0
; TotalNumSgprs: 0
; NumVgprs: 0
; ScratchSize: 0
; MemoryBound: 0
; FloatMode: 240
; IeeeMode: 1
; LDSByteSize: 0 bytes/workgroup (compile time only)
; SGPRBlocks: 0
; VGPRBlocks: 0
; NumSGPRsForWavesPerEU: 1
; NumVGPRsForWavesPerEU: 1
; Occupancy: 16
; WaveLimiterHint : 0
; COMPUTE_PGM_RSRC2:SCRATCH_EN: 0
; COMPUTE_PGM_RSRC2:USER_SGPR: 6
; COMPUTE_PGM_RSRC2:TRAP_HANDLER: 0
; COMPUTE_PGM_RSRC2:TGID_X_EN: 1
; COMPUTE_PGM_RSRC2:TGID_Y_EN: 0
; COMPUTE_PGM_RSRC2:TGID_Z_EN: 0
; COMPUTE_PGM_RSRC2:TIDIG_COMP_CNT: 0
	.section	.text._ZN7rocprim17ROCPRIM_400000_NS6detail17trampoline_kernelINS0_14default_configENS1_38merge_sort_block_merge_config_selectorIiNS0_10empty_typeEEEZZNS1_27merge_sort_block_merge_implIS3_N6thrust23THRUST_200600_302600_NS6detail15normal_iteratorINS9_10device_ptrIiEEEEPS5_jNS1_19radix_merge_compareILb1ELb0EiNS0_19identity_decomposerEEEEE10hipError_tT0_T1_T2_jT3_P12ihipStream_tbPNSt15iterator_traitsISK_E10value_typeEPNSQ_ISL_E10value_typeEPSM_NS1_7vsmem_tEENKUlT_SK_SL_SM_E_clISE_PiSF_SF_EESJ_SZ_SK_SL_SM_EUlSZ_E_NS1_11comp_targetILNS1_3genE10ELNS1_11target_archE1201ELNS1_3gpuE5ELNS1_3repE0EEENS1_48merge_mergepath_partition_config_static_selectorELNS0_4arch9wavefront6targetE0EEEvSL_,"axG",@progbits,_ZN7rocprim17ROCPRIM_400000_NS6detail17trampoline_kernelINS0_14default_configENS1_38merge_sort_block_merge_config_selectorIiNS0_10empty_typeEEEZZNS1_27merge_sort_block_merge_implIS3_N6thrust23THRUST_200600_302600_NS6detail15normal_iteratorINS9_10device_ptrIiEEEEPS5_jNS1_19radix_merge_compareILb1ELb0EiNS0_19identity_decomposerEEEEE10hipError_tT0_T1_T2_jT3_P12ihipStream_tbPNSt15iterator_traitsISK_E10value_typeEPNSQ_ISL_E10value_typeEPSM_NS1_7vsmem_tEENKUlT_SK_SL_SM_E_clISE_PiSF_SF_EESJ_SZ_SK_SL_SM_EUlSZ_E_NS1_11comp_targetILNS1_3genE10ELNS1_11target_archE1201ELNS1_3gpuE5ELNS1_3repE0EEENS1_48merge_mergepath_partition_config_static_selectorELNS0_4arch9wavefront6targetE0EEEvSL_,comdat
	.protected	_ZN7rocprim17ROCPRIM_400000_NS6detail17trampoline_kernelINS0_14default_configENS1_38merge_sort_block_merge_config_selectorIiNS0_10empty_typeEEEZZNS1_27merge_sort_block_merge_implIS3_N6thrust23THRUST_200600_302600_NS6detail15normal_iteratorINS9_10device_ptrIiEEEEPS5_jNS1_19radix_merge_compareILb1ELb0EiNS0_19identity_decomposerEEEEE10hipError_tT0_T1_T2_jT3_P12ihipStream_tbPNSt15iterator_traitsISK_E10value_typeEPNSQ_ISL_E10value_typeEPSM_NS1_7vsmem_tEENKUlT_SK_SL_SM_E_clISE_PiSF_SF_EESJ_SZ_SK_SL_SM_EUlSZ_E_NS1_11comp_targetILNS1_3genE10ELNS1_11target_archE1201ELNS1_3gpuE5ELNS1_3repE0EEENS1_48merge_mergepath_partition_config_static_selectorELNS0_4arch9wavefront6targetE0EEEvSL_ ; -- Begin function _ZN7rocprim17ROCPRIM_400000_NS6detail17trampoline_kernelINS0_14default_configENS1_38merge_sort_block_merge_config_selectorIiNS0_10empty_typeEEEZZNS1_27merge_sort_block_merge_implIS3_N6thrust23THRUST_200600_302600_NS6detail15normal_iteratorINS9_10device_ptrIiEEEEPS5_jNS1_19radix_merge_compareILb1ELb0EiNS0_19identity_decomposerEEEEE10hipError_tT0_T1_T2_jT3_P12ihipStream_tbPNSt15iterator_traitsISK_E10value_typeEPNSQ_ISL_E10value_typeEPSM_NS1_7vsmem_tEENKUlT_SK_SL_SM_E_clISE_PiSF_SF_EESJ_SZ_SK_SL_SM_EUlSZ_E_NS1_11comp_targetILNS1_3genE10ELNS1_11target_archE1201ELNS1_3gpuE5ELNS1_3repE0EEENS1_48merge_mergepath_partition_config_static_selectorELNS0_4arch9wavefront6targetE0EEEvSL_
	.globl	_ZN7rocprim17ROCPRIM_400000_NS6detail17trampoline_kernelINS0_14default_configENS1_38merge_sort_block_merge_config_selectorIiNS0_10empty_typeEEEZZNS1_27merge_sort_block_merge_implIS3_N6thrust23THRUST_200600_302600_NS6detail15normal_iteratorINS9_10device_ptrIiEEEEPS5_jNS1_19radix_merge_compareILb1ELb0EiNS0_19identity_decomposerEEEEE10hipError_tT0_T1_T2_jT3_P12ihipStream_tbPNSt15iterator_traitsISK_E10value_typeEPNSQ_ISL_E10value_typeEPSM_NS1_7vsmem_tEENKUlT_SK_SL_SM_E_clISE_PiSF_SF_EESJ_SZ_SK_SL_SM_EUlSZ_E_NS1_11comp_targetILNS1_3genE10ELNS1_11target_archE1201ELNS1_3gpuE5ELNS1_3repE0EEENS1_48merge_mergepath_partition_config_static_selectorELNS0_4arch9wavefront6targetE0EEEvSL_
	.p2align	8
	.type	_ZN7rocprim17ROCPRIM_400000_NS6detail17trampoline_kernelINS0_14default_configENS1_38merge_sort_block_merge_config_selectorIiNS0_10empty_typeEEEZZNS1_27merge_sort_block_merge_implIS3_N6thrust23THRUST_200600_302600_NS6detail15normal_iteratorINS9_10device_ptrIiEEEEPS5_jNS1_19radix_merge_compareILb1ELb0EiNS0_19identity_decomposerEEEEE10hipError_tT0_T1_T2_jT3_P12ihipStream_tbPNSt15iterator_traitsISK_E10value_typeEPNSQ_ISL_E10value_typeEPSM_NS1_7vsmem_tEENKUlT_SK_SL_SM_E_clISE_PiSF_SF_EESJ_SZ_SK_SL_SM_EUlSZ_E_NS1_11comp_targetILNS1_3genE10ELNS1_11target_archE1201ELNS1_3gpuE5ELNS1_3repE0EEENS1_48merge_mergepath_partition_config_static_selectorELNS0_4arch9wavefront6targetE0EEEvSL_,@function
_ZN7rocprim17ROCPRIM_400000_NS6detail17trampoline_kernelINS0_14default_configENS1_38merge_sort_block_merge_config_selectorIiNS0_10empty_typeEEEZZNS1_27merge_sort_block_merge_implIS3_N6thrust23THRUST_200600_302600_NS6detail15normal_iteratorINS9_10device_ptrIiEEEEPS5_jNS1_19radix_merge_compareILb1ELb0EiNS0_19identity_decomposerEEEEE10hipError_tT0_T1_T2_jT3_P12ihipStream_tbPNSt15iterator_traitsISK_E10value_typeEPNSQ_ISL_E10value_typeEPSM_NS1_7vsmem_tEENKUlT_SK_SL_SM_E_clISE_PiSF_SF_EESJ_SZ_SK_SL_SM_EUlSZ_E_NS1_11comp_targetILNS1_3genE10ELNS1_11target_archE1201ELNS1_3gpuE5ELNS1_3repE0EEENS1_48merge_mergepath_partition_config_static_selectorELNS0_4arch9wavefront6targetE0EEEvSL_: ; @_ZN7rocprim17ROCPRIM_400000_NS6detail17trampoline_kernelINS0_14default_configENS1_38merge_sort_block_merge_config_selectorIiNS0_10empty_typeEEEZZNS1_27merge_sort_block_merge_implIS3_N6thrust23THRUST_200600_302600_NS6detail15normal_iteratorINS9_10device_ptrIiEEEEPS5_jNS1_19radix_merge_compareILb1ELb0EiNS0_19identity_decomposerEEEEE10hipError_tT0_T1_T2_jT3_P12ihipStream_tbPNSt15iterator_traitsISK_E10value_typeEPNSQ_ISL_E10value_typeEPSM_NS1_7vsmem_tEENKUlT_SK_SL_SM_E_clISE_PiSF_SF_EESJ_SZ_SK_SL_SM_EUlSZ_E_NS1_11comp_targetILNS1_3genE10ELNS1_11target_archE1201ELNS1_3gpuE5ELNS1_3repE0EEENS1_48merge_mergepath_partition_config_static_selectorELNS0_4arch9wavefront6targetE0EEEvSL_
; %bb.0:
	.section	.rodata,"a",@progbits
	.p2align	6, 0x0
	.amdhsa_kernel _ZN7rocprim17ROCPRIM_400000_NS6detail17trampoline_kernelINS0_14default_configENS1_38merge_sort_block_merge_config_selectorIiNS0_10empty_typeEEEZZNS1_27merge_sort_block_merge_implIS3_N6thrust23THRUST_200600_302600_NS6detail15normal_iteratorINS9_10device_ptrIiEEEEPS5_jNS1_19radix_merge_compareILb1ELb0EiNS0_19identity_decomposerEEEEE10hipError_tT0_T1_T2_jT3_P12ihipStream_tbPNSt15iterator_traitsISK_E10value_typeEPNSQ_ISL_E10value_typeEPSM_NS1_7vsmem_tEENKUlT_SK_SL_SM_E_clISE_PiSF_SF_EESJ_SZ_SK_SL_SM_EUlSZ_E_NS1_11comp_targetILNS1_3genE10ELNS1_11target_archE1201ELNS1_3gpuE5ELNS1_3repE0EEENS1_48merge_mergepath_partition_config_static_selectorELNS0_4arch9wavefront6targetE0EEEvSL_
		.amdhsa_group_segment_fixed_size 0
		.amdhsa_private_segment_fixed_size 0
		.amdhsa_kernarg_size 40
		.amdhsa_user_sgpr_count 6
		.amdhsa_user_sgpr_private_segment_buffer 1
		.amdhsa_user_sgpr_dispatch_ptr 0
		.amdhsa_user_sgpr_queue_ptr 0
		.amdhsa_user_sgpr_kernarg_segment_ptr 1
		.amdhsa_user_sgpr_dispatch_id 0
		.amdhsa_user_sgpr_flat_scratch_init 0
		.amdhsa_user_sgpr_private_segment_size 0
		.amdhsa_wavefront_size32 1
		.amdhsa_uses_dynamic_stack 0
		.amdhsa_system_sgpr_private_segment_wavefront_offset 0
		.amdhsa_system_sgpr_workgroup_id_x 1
		.amdhsa_system_sgpr_workgroup_id_y 0
		.amdhsa_system_sgpr_workgroup_id_z 0
		.amdhsa_system_sgpr_workgroup_info 0
		.amdhsa_system_vgpr_workitem_id 0
		.amdhsa_next_free_vgpr 1
		.amdhsa_next_free_sgpr 1
		.amdhsa_reserve_vcc 0
		.amdhsa_reserve_flat_scratch 0
		.amdhsa_float_round_mode_32 0
		.amdhsa_float_round_mode_16_64 0
		.amdhsa_float_denorm_mode_32 3
		.amdhsa_float_denorm_mode_16_64 3
		.amdhsa_dx10_clamp 1
		.amdhsa_ieee_mode 1
		.amdhsa_fp16_overflow 0
		.amdhsa_workgroup_processor_mode 1
		.amdhsa_memory_ordered 1
		.amdhsa_forward_progress 1
		.amdhsa_shared_vgpr_count 0
		.amdhsa_exception_fp_ieee_invalid_op 0
		.amdhsa_exception_fp_denorm_src 0
		.amdhsa_exception_fp_ieee_div_zero 0
		.amdhsa_exception_fp_ieee_overflow 0
		.amdhsa_exception_fp_ieee_underflow 0
		.amdhsa_exception_fp_ieee_inexact 0
		.amdhsa_exception_int_div_zero 0
	.end_amdhsa_kernel
	.section	.text._ZN7rocprim17ROCPRIM_400000_NS6detail17trampoline_kernelINS0_14default_configENS1_38merge_sort_block_merge_config_selectorIiNS0_10empty_typeEEEZZNS1_27merge_sort_block_merge_implIS3_N6thrust23THRUST_200600_302600_NS6detail15normal_iteratorINS9_10device_ptrIiEEEEPS5_jNS1_19radix_merge_compareILb1ELb0EiNS0_19identity_decomposerEEEEE10hipError_tT0_T1_T2_jT3_P12ihipStream_tbPNSt15iterator_traitsISK_E10value_typeEPNSQ_ISL_E10value_typeEPSM_NS1_7vsmem_tEENKUlT_SK_SL_SM_E_clISE_PiSF_SF_EESJ_SZ_SK_SL_SM_EUlSZ_E_NS1_11comp_targetILNS1_3genE10ELNS1_11target_archE1201ELNS1_3gpuE5ELNS1_3repE0EEENS1_48merge_mergepath_partition_config_static_selectorELNS0_4arch9wavefront6targetE0EEEvSL_,"axG",@progbits,_ZN7rocprim17ROCPRIM_400000_NS6detail17trampoline_kernelINS0_14default_configENS1_38merge_sort_block_merge_config_selectorIiNS0_10empty_typeEEEZZNS1_27merge_sort_block_merge_implIS3_N6thrust23THRUST_200600_302600_NS6detail15normal_iteratorINS9_10device_ptrIiEEEEPS5_jNS1_19radix_merge_compareILb1ELb0EiNS0_19identity_decomposerEEEEE10hipError_tT0_T1_T2_jT3_P12ihipStream_tbPNSt15iterator_traitsISK_E10value_typeEPNSQ_ISL_E10value_typeEPSM_NS1_7vsmem_tEENKUlT_SK_SL_SM_E_clISE_PiSF_SF_EESJ_SZ_SK_SL_SM_EUlSZ_E_NS1_11comp_targetILNS1_3genE10ELNS1_11target_archE1201ELNS1_3gpuE5ELNS1_3repE0EEENS1_48merge_mergepath_partition_config_static_selectorELNS0_4arch9wavefront6targetE0EEEvSL_,comdat
.Lfunc_end247:
	.size	_ZN7rocprim17ROCPRIM_400000_NS6detail17trampoline_kernelINS0_14default_configENS1_38merge_sort_block_merge_config_selectorIiNS0_10empty_typeEEEZZNS1_27merge_sort_block_merge_implIS3_N6thrust23THRUST_200600_302600_NS6detail15normal_iteratorINS9_10device_ptrIiEEEEPS5_jNS1_19radix_merge_compareILb1ELb0EiNS0_19identity_decomposerEEEEE10hipError_tT0_T1_T2_jT3_P12ihipStream_tbPNSt15iterator_traitsISK_E10value_typeEPNSQ_ISL_E10value_typeEPSM_NS1_7vsmem_tEENKUlT_SK_SL_SM_E_clISE_PiSF_SF_EESJ_SZ_SK_SL_SM_EUlSZ_E_NS1_11comp_targetILNS1_3genE10ELNS1_11target_archE1201ELNS1_3gpuE5ELNS1_3repE0EEENS1_48merge_mergepath_partition_config_static_selectorELNS0_4arch9wavefront6targetE0EEEvSL_, .Lfunc_end247-_ZN7rocprim17ROCPRIM_400000_NS6detail17trampoline_kernelINS0_14default_configENS1_38merge_sort_block_merge_config_selectorIiNS0_10empty_typeEEEZZNS1_27merge_sort_block_merge_implIS3_N6thrust23THRUST_200600_302600_NS6detail15normal_iteratorINS9_10device_ptrIiEEEEPS5_jNS1_19radix_merge_compareILb1ELb0EiNS0_19identity_decomposerEEEEE10hipError_tT0_T1_T2_jT3_P12ihipStream_tbPNSt15iterator_traitsISK_E10value_typeEPNSQ_ISL_E10value_typeEPSM_NS1_7vsmem_tEENKUlT_SK_SL_SM_E_clISE_PiSF_SF_EESJ_SZ_SK_SL_SM_EUlSZ_E_NS1_11comp_targetILNS1_3genE10ELNS1_11target_archE1201ELNS1_3gpuE5ELNS1_3repE0EEENS1_48merge_mergepath_partition_config_static_selectorELNS0_4arch9wavefront6targetE0EEEvSL_
                                        ; -- End function
	.set _ZN7rocprim17ROCPRIM_400000_NS6detail17trampoline_kernelINS0_14default_configENS1_38merge_sort_block_merge_config_selectorIiNS0_10empty_typeEEEZZNS1_27merge_sort_block_merge_implIS3_N6thrust23THRUST_200600_302600_NS6detail15normal_iteratorINS9_10device_ptrIiEEEEPS5_jNS1_19radix_merge_compareILb1ELb0EiNS0_19identity_decomposerEEEEE10hipError_tT0_T1_T2_jT3_P12ihipStream_tbPNSt15iterator_traitsISK_E10value_typeEPNSQ_ISL_E10value_typeEPSM_NS1_7vsmem_tEENKUlT_SK_SL_SM_E_clISE_PiSF_SF_EESJ_SZ_SK_SL_SM_EUlSZ_E_NS1_11comp_targetILNS1_3genE10ELNS1_11target_archE1201ELNS1_3gpuE5ELNS1_3repE0EEENS1_48merge_mergepath_partition_config_static_selectorELNS0_4arch9wavefront6targetE0EEEvSL_.num_vgpr, 0
	.set _ZN7rocprim17ROCPRIM_400000_NS6detail17trampoline_kernelINS0_14default_configENS1_38merge_sort_block_merge_config_selectorIiNS0_10empty_typeEEEZZNS1_27merge_sort_block_merge_implIS3_N6thrust23THRUST_200600_302600_NS6detail15normal_iteratorINS9_10device_ptrIiEEEEPS5_jNS1_19radix_merge_compareILb1ELb0EiNS0_19identity_decomposerEEEEE10hipError_tT0_T1_T2_jT3_P12ihipStream_tbPNSt15iterator_traitsISK_E10value_typeEPNSQ_ISL_E10value_typeEPSM_NS1_7vsmem_tEENKUlT_SK_SL_SM_E_clISE_PiSF_SF_EESJ_SZ_SK_SL_SM_EUlSZ_E_NS1_11comp_targetILNS1_3genE10ELNS1_11target_archE1201ELNS1_3gpuE5ELNS1_3repE0EEENS1_48merge_mergepath_partition_config_static_selectorELNS0_4arch9wavefront6targetE0EEEvSL_.num_agpr, 0
	.set _ZN7rocprim17ROCPRIM_400000_NS6detail17trampoline_kernelINS0_14default_configENS1_38merge_sort_block_merge_config_selectorIiNS0_10empty_typeEEEZZNS1_27merge_sort_block_merge_implIS3_N6thrust23THRUST_200600_302600_NS6detail15normal_iteratorINS9_10device_ptrIiEEEEPS5_jNS1_19radix_merge_compareILb1ELb0EiNS0_19identity_decomposerEEEEE10hipError_tT0_T1_T2_jT3_P12ihipStream_tbPNSt15iterator_traitsISK_E10value_typeEPNSQ_ISL_E10value_typeEPSM_NS1_7vsmem_tEENKUlT_SK_SL_SM_E_clISE_PiSF_SF_EESJ_SZ_SK_SL_SM_EUlSZ_E_NS1_11comp_targetILNS1_3genE10ELNS1_11target_archE1201ELNS1_3gpuE5ELNS1_3repE0EEENS1_48merge_mergepath_partition_config_static_selectorELNS0_4arch9wavefront6targetE0EEEvSL_.numbered_sgpr, 0
	.set _ZN7rocprim17ROCPRIM_400000_NS6detail17trampoline_kernelINS0_14default_configENS1_38merge_sort_block_merge_config_selectorIiNS0_10empty_typeEEEZZNS1_27merge_sort_block_merge_implIS3_N6thrust23THRUST_200600_302600_NS6detail15normal_iteratorINS9_10device_ptrIiEEEEPS5_jNS1_19radix_merge_compareILb1ELb0EiNS0_19identity_decomposerEEEEE10hipError_tT0_T1_T2_jT3_P12ihipStream_tbPNSt15iterator_traitsISK_E10value_typeEPNSQ_ISL_E10value_typeEPSM_NS1_7vsmem_tEENKUlT_SK_SL_SM_E_clISE_PiSF_SF_EESJ_SZ_SK_SL_SM_EUlSZ_E_NS1_11comp_targetILNS1_3genE10ELNS1_11target_archE1201ELNS1_3gpuE5ELNS1_3repE0EEENS1_48merge_mergepath_partition_config_static_selectorELNS0_4arch9wavefront6targetE0EEEvSL_.num_named_barrier, 0
	.set _ZN7rocprim17ROCPRIM_400000_NS6detail17trampoline_kernelINS0_14default_configENS1_38merge_sort_block_merge_config_selectorIiNS0_10empty_typeEEEZZNS1_27merge_sort_block_merge_implIS3_N6thrust23THRUST_200600_302600_NS6detail15normal_iteratorINS9_10device_ptrIiEEEEPS5_jNS1_19radix_merge_compareILb1ELb0EiNS0_19identity_decomposerEEEEE10hipError_tT0_T1_T2_jT3_P12ihipStream_tbPNSt15iterator_traitsISK_E10value_typeEPNSQ_ISL_E10value_typeEPSM_NS1_7vsmem_tEENKUlT_SK_SL_SM_E_clISE_PiSF_SF_EESJ_SZ_SK_SL_SM_EUlSZ_E_NS1_11comp_targetILNS1_3genE10ELNS1_11target_archE1201ELNS1_3gpuE5ELNS1_3repE0EEENS1_48merge_mergepath_partition_config_static_selectorELNS0_4arch9wavefront6targetE0EEEvSL_.private_seg_size, 0
	.set _ZN7rocprim17ROCPRIM_400000_NS6detail17trampoline_kernelINS0_14default_configENS1_38merge_sort_block_merge_config_selectorIiNS0_10empty_typeEEEZZNS1_27merge_sort_block_merge_implIS3_N6thrust23THRUST_200600_302600_NS6detail15normal_iteratorINS9_10device_ptrIiEEEEPS5_jNS1_19radix_merge_compareILb1ELb0EiNS0_19identity_decomposerEEEEE10hipError_tT0_T1_T2_jT3_P12ihipStream_tbPNSt15iterator_traitsISK_E10value_typeEPNSQ_ISL_E10value_typeEPSM_NS1_7vsmem_tEENKUlT_SK_SL_SM_E_clISE_PiSF_SF_EESJ_SZ_SK_SL_SM_EUlSZ_E_NS1_11comp_targetILNS1_3genE10ELNS1_11target_archE1201ELNS1_3gpuE5ELNS1_3repE0EEENS1_48merge_mergepath_partition_config_static_selectorELNS0_4arch9wavefront6targetE0EEEvSL_.uses_vcc, 0
	.set _ZN7rocprim17ROCPRIM_400000_NS6detail17trampoline_kernelINS0_14default_configENS1_38merge_sort_block_merge_config_selectorIiNS0_10empty_typeEEEZZNS1_27merge_sort_block_merge_implIS3_N6thrust23THRUST_200600_302600_NS6detail15normal_iteratorINS9_10device_ptrIiEEEEPS5_jNS1_19radix_merge_compareILb1ELb0EiNS0_19identity_decomposerEEEEE10hipError_tT0_T1_T2_jT3_P12ihipStream_tbPNSt15iterator_traitsISK_E10value_typeEPNSQ_ISL_E10value_typeEPSM_NS1_7vsmem_tEENKUlT_SK_SL_SM_E_clISE_PiSF_SF_EESJ_SZ_SK_SL_SM_EUlSZ_E_NS1_11comp_targetILNS1_3genE10ELNS1_11target_archE1201ELNS1_3gpuE5ELNS1_3repE0EEENS1_48merge_mergepath_partition_config_static_selectorELNS0_4arch9wavefront6targetE0EEEvSL_.uses_flat_scratch, 0
	.set _ZN7rocprim17ROCPRIM_400000_NS6detail17trampoline_kernelINS0_14default_configENS1_38merge_sort_block_merge_config_selectorIiNS0_10empty_typeEEEZZNS1_27merge_sort_block_merge_implIS3_N6thrust23THRUST_200600_302600_NS6detail15normal_iteratorINS9_10device_ptrIiEEEEPS5_jNS1_19radix_merge_compareILb1ELb0EiNS0_19identity_decomposerEEEEE10hipError_tT0_T1_T2_jT3_P12ihipStream_tbPNSt15iterator_traitsISK_E10value_typeEPNSQ_ISL_E10value_typeEPSM_NS1_7vsmem_tEENKUlT_SK_SL_SM_E_clISE_PiSF_SF_EESJ_SZ_SK_SL_SM_EUlSZ_E_NS1_11comp_targetILNS1_3genE10ELNS1_11target_archE1201ELNS1_3gpuE5ELNS1_3repE0EEENS1_48merge_mergepath_partition_config_static_selectorELNS0_4arch9wavefront6targetE0EEEvSL_.has_dyn_sized_stack, 0
	.set _ZN7rocprim17ROCPRIM_400000_NS6detail17trampoline_kernelINS0_14default_configENS1_38merge_sort_block_merge_config_selectorIiNS0_10empty_typeEEEZZNS1_27merge_sort_block_merge_implIS3_N6thrust23THRUST_200600_302600_NS6detail15normal_iteratorINS9_10device_ptrIiEEEEPS5_jNS1_19radix_merge_compareILb1ELb0EiNS0_19identity_decomposerEEEEE10hipError_tT0_T1_T2_jT3_P12ihipStream_tbPNSt15iterator_traitsISK_E10value_typeEPNSQ_ISL_E10value_typeEPSM_NS1_7vsmem_tEENKUlT_SK_SL_SM_E_clISE_PiSF_SF_EESJ_SZ_SK_SL_SM_EUlSZ_E_NS1_11comp_targetILNS1_3genE10ELNS1_11target_archE1201ELNS1_3gpuE5ELNS1_3repE0EEENS1_48merge_mergepath_partition_config_static_selectorELNS0_4arch9wavefront6targetE0EEEvSL_.has_recursion, 0
	.set _ZN7rocprim17ROCPRIM_400000_NS6detail17trampoline_kernelINS0_14default_configENS1_38merge_sort_block_merge_config_selectorIiNS0_10empty_typeEEEZZNS1_27merge_sort_block_merge_implIS3_N6thrust23THRUST_200600_302600_NS6detail15normal_iteratorINS9_10device_ptrIiEEEEPS5_jNS1_19radix_merge_compareILb1ELb0EiNS0_19identity_decomposerEEEEE10hipError_tT0_T1_T2_jT3_P12ihipStream_tbPNSt15iterator_traitsISK_E10value_typeEPNSQ_ISL_E10value_typeEPSM_NS1_7vsmem_tEENKUlT_SK_SL_SM_E_clISE_PiSF_SF_EESJ_SZ_SK_SL_SM_EUlSZ_E_NS1_11comp_targetILNS1_3genE10ELNS1_11target_archE1201ELNS1_3gpuE5ELNS1_3repE0EEENS1_48merge_mergepath_partition_config_static_selectorELNS0_4arch9wavefront6targetE0EEEvSL_.has_indirect_call, 0
	.section	.AMDGPU.csdata,"",@progbits
; Kernel info:
; codeLenInByte = 0
; TotalNumSgprs: 0
; NumVgprs: 0
; ScratchSize: 0
; MemoryBound: 0
; FloatMode: 240
; IeeeMode: 1
; LDSByteSize: 0 bytes/workgroup (compile time only)
; SGPRBlocks: 0
; VGPRBlocks: 0
; NumSGPRsForWavesPerEU: 1
; NumVGPRsForWavesPerEU: 1
; Occupancy: 16
; WaveLimiterHint : 0
; COMPUTE_PGM_RSRC2:SCRATCH_EN: 0
; COMPUTE_PGM_RSRC2:USER_SGPR: 6
; COMPUTE_PGM_RSRC2:TRAP_HANDLER: 0
; COMPUTE_PGM_RSRC2:TGID_X_EN: 1
; COMPUTE_PGM_RSRC2:TGID_Y_EN: 0
; COMPUTE_PGM_RSRC2:TGID_Z_EN: 0
; COMPUTE_PGM_RSRC2:TIDIG_COMP_CNT: 0
	.section	.text._ZN7rocprim17ROCPRIM_400000_NS6detail17trampoline_kernelINS0_14default_configENS1_38merge_sort_block_merge_config_selectorIiNS0_10empty_typeEEEZZNS1_27merge_sort_block_merge_implIS3_N6thrust23THRUST_200600_302600_NS6detail15normal_iteratorINS9_10device_ptrIiEEEEPS5_jNS1_19radix_merge_compareILb1ELb0EiNS0_19identity_decomposerEEEEE10hipError_tT0_T1_T2_jT3_P12ihipStream_tbPNSt15iterator_traitsISK_E10value_typeEPNSQ_ISL_E10value_typeEPSM_NS1_7vsmem_tEENKUlT_SK_SL_SM_E_clISE_PiSF_SF_EESJ_SZ_SK_SL_SM_EUlSZ_E_NS1_11comp_targetILNS1_3genE5ELNS1_11target_archE942ELNS1_3gpuE9ELNS1_3repE0EEENS1_48merge_mergepath_partition_config_static_selectorELNS0_4arch9wavefront6targetE0EEEvSL_,"axG",@progbits,_ZN7rocprim17ROCPRIM_400000_NS6detail17trampoline_kernelINS0_14default_configENS1_38merge_sort_block_merge_config_selectorIiNS0_10empty_typeEEEZZNS1_27merge_sort_block_merge_implIS3_N6thrust23THRUST_200600_302600_NS6detail15normal_iteratorINS9_10device_ptrIiEEEEPS5_jNS1_19radix_merge_compareILb1ELb0EiNS0_19identity_decomposerEEEEE10hipError_tT0_T1_T2_jT3_P12ihipStream_tbPNSt15iterator_traitsISK_E10value_typeEPNSQ_ISL_E10value_typeEPSM_NS1_7vsmem_tEENKUlT_SK_SL_SM_E_clISE_PiSF_SF_EESJ_SZ_SK_SL_SM_EUlSZ_E_NS1_11comp_targetILNS1_3genE5ELNS1_11target_archE942ELNS1_3gpuE9ELNS1_3repE0EEENS1_48merge_mergepath_partition_config_static_selectorELNS0_4arch9wavefront6targetE0EEEvSL_,comdat
	.protected	_ZN7rocprim17ROCPRIM_400000_NS6detail17trampoline_kernelINS0_14default_configENS1_38merge_sort_block_merge_config_selectorIiNS0_10empty_typeEEEZZNS1_27merge_sort_block_merge_implIS3_N6thrust23THRUST_200600_302600_NS6detail15normal_iteratorINS9_10device_ptrIiEEEEPS5_jNS1_19radix_merge_compareILb1ELb0EiNS0_19identity_decomposerEEEEE10hipError_tT0_T1_T2_jT3_P12ihipStream_tbPNSt15iterator_traitsISK_E10value_typeEPNSQ_ISL_E10value_typeEPSM_NS1_7vsmem_tEENKUlT_SK_SL_SM_E_clISE_PiSF_SF_EESJ_SZ_SK_SL_SM_EUlSZ_E_NS1_11comp_targetILNS1_3genE5ELNS1_11target_archE942ELNS1_3gpuE9ELNS1_3repE0EEENS1_48merge_mergepath_partition_config_static_selectorELNS0_4arch9wavefront6targetE0EEEvSL_ ; -- Begin function _ZN7rocprim17ROCPRIM_400000_NS6detail17trampoline_kernelINS0_14default_configENS1_38merge_sort_block_merge_config_selectorIiNS0_10empty_typeEEEZZNS1_27merge_sort_block_merge_implIS3_N6thrust23THRUST_200600_302600_NS6detail15normal_iteratorINS9_10device_ptrIiEEEEPS5_jNS1_19radix_merge_compareILb1ELb0EiNS0_19identity_decomposerEEEEE10hipError_tT0_T1_T2_jT3_P12ihipStream_tbPNSt15iterator_traitsISK_E10value_typeEPNSQ_ISL_E10value_typeEPSM_NS1_7vsmem_tEENKUlT_SK_SL_SM_E_clISE_PiSF_SF_EESJ_SZ_SK_SL_SM_EUlSZ_E_NS1_11comp_targetILNS1_3genE5ELNS1_11target_archE942ELNS1_3gpuE9ELNS1_3repE0EEENS1_48merge_mergepath_partition_config_static_selectorELNS0_4arch9wavefront6targetE0EEEvSL_
	.globl	_ZN7rocprim17ROCPRIM_400000_NS6detail17trampoline_kernelINS0_14default_configENS1_38merge_sort_block_merge_config_selectorIiNS0_10empty_typeEEEZZNS1_27merge_sort_block_merge_implIS3_N6thrust23THRUST_200600_302600_NS6detail15normal_iteratorINS9_10device_ptrIiEEEEPS5_jNS1_19radix_merge_compareILb1ELb0EiNS0_19identity_decomposerEEEEE10hipError_tT0_T1_T2_jT3_P12ihipStream_tbPNSt15iterator_traitsISK_E10value_typeEPNSQ_ISL_E10value_typeEPSM_NS1_7vsmem_tEENKUlT_SK_SL_SM_E_clISE_PiSF_SF_EESJ_SZ_SK_SL_SM_EUlSZ_E_NS1_11comp_targetILNS1_3genE5ELNS1_11target_archE942ELNS1_3gpuE9ELNS1_3repE0EEENS1_48merge_mergepath_partition_config_static_selectorELNS0_4arch9wavefront6targetE0EEEvSL_
	.p2align	8
	.type	_ZN7rocprim17ROCPRIM_400000_NS6detail17trampoline_kernelINS0_14default_configENS1_38merge_sort_block_merge_config_selectorIiNS0_10empty_typeEEEZZNS1_27merge_sort_block_merge_implIS3_N6thrust23THRUST_200600_302600_NS6detail15normal_iteratorINS9_10device_ptrIiEEEEPS5_jNS1_19radix_merge_compareILb1ELb0EiNS0_19identity_decomposerEEEEE10hipError_tT0_T1_T2_jT3_P12ihipStream_tbPNSt15iterator_traitsISK_E10value_typeEPNSQ_ISL_E10value_typeEPSM_NS1_7vsmem_tEENKUlT_SK_SL_SM_E_clISE_PiSF_SF_EESJ_SZ_SK_SL_SM_EUlSZ_E_NS1_11comp_targetILNS1_3genE5ELNS1_11target_archE942ELNS1_3gpuE9ELNS1_3repE0EEENS1_48merge_mergepath_partition_config_static_selectorELNS0_4arch9wavefront6targetE0EEEvSL_,@function
_ZN7rocprim17ROCPRIM_400000_NS6detail17trampoline_kernelINS0_14default_configENS1_38merge_sort_block_merge_config_selectorIiNS0_10empty_typeEEEZZNS1_27merge_sort_block_merge_implIS3_N6thrust23THRUST_200600_302600_NS6detail15normal_iteratorINS9_10device_ptrIiEEEEPS5_jNS1_19radix_merge_compareILb1ELb0EiNS0_19identity_decomposerEEEEE10hipError_tT0_T1_T2_jT3_P12ihipStream_tbPNSt15iterator_traitsISK_E10value_typeEPNSQ_ISL_E10value_typeEPSM_NS1_7vsmem_tEENKUlT_SK_SL_SM_E_clISE_PiSF_SF_EESJ_SZ_SK_SL_SM_EUlSZ_E_NS1_11comp_targetILNS1_3genE5ELNS1_11target_archE942ELNS1_3gpuE9ELNS1_3repE0EEENS1_48merge_mergepath_partition_config_static_selectorELNS0_4arch9wavefront6targetE0EEEvSL_: ; @_ZN7rocprim17ROCPRIM_400000_NS6detail17trampoline_kernelINS0_14default_configENS1_38merge_sort_block_merge_config_selectorIiNS0_10empty_typeEEEZZNS1_27merge_sort_block_merge_implIS3_N6thrust23THRUST_200600_302600_NS6detail15normal_iteratorINS9_10device_ptrIiEEEEPS5_jNS1_19radix_merge_compareILb1ELb0EiNS0_19identity_decomposerEEEEE10hipError_tT0_T1_T2_jT3_P12ihipStream_tbPNSt15iterator_traitsISK_E10value_typeEPNSQ_ISL_E10value_typeEPSM_NS1_7vsmem_tEENKUlT_SK_SL_SM_E_clISE_PiSF_SF_EESJ_SZ_SK_SL_SM_EUlSZ_E_NS1_11comp_targetILNS1_3genE5ELNS1_11target_archE942ELNS1_3gpuE9ELNS1_3repE0EEENS1_48merge_mergepath_partition_config_static_selectorELNS0_4arch9wavefront6targetE0EEEvSL_
; %bb.0:
	.section	.rodata,"a",@progbits
	.p2align	6, 0x0
	.amdhsa_kernel _ZN7rocprim17ROCPRIM_400000_NS6detail17trampoline_kernelINS0_14default_configENS1_38merge_sort_block_merge_config_selectorIiNS0_10empty_typeEEEZZNS1_27merge_sort_block_merge_implIS3_N6thrust23THRUST_200600_302600_NS6detail15normal_iteratorINS9_10device_ptrIiEEEEPS5_jNS1_19radix_merge_compareILb1ELb0EiNS0_19identity_decomposerEEEEE10hipError_tT0_T1_T2_jT3_P12ihipStream_tbPNSt15iterator_traitsISK_E10value_typeEPNSQ_ISL_E10value_typeEPSM_NS1_7vsmem_tEENKUlT_SK_SL_SM_E_clISE_PiSF_SF_EESJ_SZ_SK_SL_SM_EUlSZ_E_NS1_11comp_targetILNS1_3genE5ELNS1_11target_archE942ELNS1_3gpuE9ELNS1_3repE0EEENS1_48merge_mergepath_partition_config_static_selectorELNS0_4arch9wavefront6targetE0EEEvSL_
		.amdhsa_group_segment_fixed_size 0
		.amdhsa_private_segment_fixed_size 0
		.amdhsa_kernarg_size 40
		.amdhsa_user_sgpr_count 6
		.amdhsa_user_sgpr_private_segment_buffer 1
		.amdhsa_user_sgpr_dispatch_ptr 0
		.amdhsa_user_sgpr_queue_ptr 0
		.amdhsa_user_sgpr_kernarg_segment_ptr 1
		.amdhsa_user_sgpr_dispatch_id 0
		.amdhsa_user_sgpr_flat_scratch_init 0
		.amdhsa_user_sgpr_private_segment_size 0
		.amdhsa_wavefront_size32 1
		.amdhsa_uses_dynamic_stack 0
		.amdhsa_system_sgpr_private_segment_wavefront_offset 0
		.amdhsa_system_sgpr_workgroup_id_x 1
		.amdhsa_system_sgpr_workgroup_id_y 0
		.amdhsa_system_sgpr_workgroup_id_z 0
		.amdhsa_system_sgpr_workgroup_info 0
		.amdhsa_system_vgpr_workitem_id 0
		.amdhsa_next_free_vgpr 1
		.amdhsa_next_free_sgpr 1
		.amdhsa_reserve_vcc 0
		.amdhsa_reserve_flat_scratch 0
		.amdhsa_float_round_mode_32 0
		.amdhsa_float_round_mode_16_64 0
		.amdhsa_float_denorm_mode_32 3
		.amdhsa_float_denorm_mode_16_64 3
		.amdhsa_dx10_clamp 1
		.amdhsa_ieee_mode 1
		.amdhsa_fp16_overflow 0
		.amdhsa_workgroup_processor_mode 1
		.amdhsa_memory_ordered 1
		.amdhsa_forward_progress 1
		.amdhsa_shared_vgpr_count 0
		.amdhsa_exception_fp_ieee_invalid_op 0
		.amdhsa_exception_fp_denorm_src 0
		.amdhsa_exception_fp_ieee_div_zero 0
		.amdhsa_exception_fp_ieee_overflow 0
		.amdhsa_exception_fp_ieee_underflow 0
		.amdhsa_exception_fp_ieee_inexact 0
		.amdhsa_exception_int_div_zero 0
	.end_amdhsa_kernel
	.section	.text._ZN7rocprim17ROCPRIM_400000_NS6detail17trampoline_kernelINS0_14default_configENS1_38merge_sort_block_merge_config_selectorIiNS0_10empty_typeEEEZZNS1_27merge_sort_block_merge_implIS3_N6thrust23THRUST_200600_302600_NS6detail15normal_iteratorINS9_10device_ptrIiEEEEPS5_jNS1_19radix_merge_compareILb1ELb0EiNS0_19identity_decomposerEEEEE10hipError_tT0_T1_T2_jT3_P12ihipStream_tbPNSt15iterator_traitsISK_E10value_typeEPNSQ_ISL_E10value_typeEPSM_NS1_7vsmem_tEENKUlT_SK_SL_SM_E_clISE_PiSF_SF_EESJ_SZ_SK_SL_SM_EUlSZ_E_NS1_11comp_targetILNS1_3genE5ELNS1_11target_archE942ELNS1_3gpuE9ELNS1_3repE0EEENS1_48merge_mergepath_partition_config_static_selectorELNS0_4arch9wavefront6targetE0EEEvSL_,"axG",@progbits,_ZN7rocprim17ROCPRIM_400000_NS6detail17trampoline_kernelINS0_14default_configENS1_38merge_sort_block_merge_config_selectorIiNS0_10empty_typeEEEZZNS1_27merge_sort_block_merge_implIS3_N6thrust23THRUST_200600_302600_NS6detail15normal_iteratorINS9_10device_ptrIiEEEEPS5_jNS1_19radix_merge_compareILb1ELb0EiNS0_19identity_decomposerEEEEE10hipError_tT0_T1_T2_jT3_P12ihipStream_tbPNSt15iterator_traitsISK_E10value_typeEPNSQ_ISL_E10value_typeEPSM_NS1_7vsmem_tEENKUlT_SK_SL_SM_E_clISE_PiSF_SF_EESJ_SZ_SK_SL_SM_EUlSZ_E_NS1_11comp_targetILNS1_3genE5ELNS1_11target_archE942ELNS1_3gpuE9ELNS1_3repE0EEENS1_48merge_mergepath_partition_config_static_selectorELNS0_4arch9wavefront6targetE0EEEvSL_,comdat
.Lfunc_end248:
	.size	_ZN7rocprim17ROCPRIM_400000_NS6detail17trampoline_kernelINS0_14default_configENS1_38merge_sort_block_merge_config_selectorIiNS0_10empty_typeEEEZZNS1_27merge_sort_block_merge_implIS3_N6thrust23THRUST_200600_302600_NS6detail15normal_iteratorINS9_10device_ptrIiEEEEPS5_jNS1_19radix_merge_compareILb1ELb0EiNS0_19identity_decomposerEEEEE10hipError_tT0_T1_T2_jT3_P12ihipStream_tbPNSt15iterator_traitsISK_E10value_typeEPNSQ_ISL_E10value_typeEPSM_NS1_7vsmem_tEENKUlT_SK_SL_SM_E_clISE_PiSF_SF_EESJ_SZ_SK_SL_SM_EUlSZ_E_NS1_11comp_targetILNS1_3genE5ELNS1_11target_archE942ELNS1_3gpuE9ELNS1_3repE0EEENS1_48merge_mergepath_partition_config_static_selectorELNS0_4arch9wavefront6targetE0EEEvSL_, .Lfunc_end248-_ZN7rocprim17ROCPRIM_400000_NS6detail17trampoline_kernelINS0_14default_configENS1_38merge_sort_block_merge_config_selectorIiNS0_10empty_typeEEEZZNS1_27merge_sort_block_merge_implIS3_N6thrust23THRUST_200600_302600_NS6detail15normal_iteratorINS9_10device_ptrIiEEEEPS5_jNS1_19radix_merge_compareILb1ELb0EiNS0_19identity_decomposerEEEEE10hipError_tT0_T1_T2_jT3_P12ihipStream_tbPNSt15iterator_traitsISK_E10value_typeEPNSQ_ISL_E10value_typeEPSM_NS1_7vsmem_tEENKUlT_SK_SL_SM_E_clISE_PiSF_SF_EESJ_SZ_SK_SL_SM_EUlSZ_E_NS1_11comp_targetILNS1_3genE5ELNS1_11target_archE942ELNS1_3gpuE9ELNS1_3repE0EEENS1_48merge_mergepath_partition_config_static_selectorELNS0_4arch9wavefront6targetE0EEEvSL_
                                        ; -- End function
	.set _ZN7rocprim17ROCPRIM_400000_NS6detail17trampoline_kernelINS0_14default_configENS1_38merge_sort_block_merge_config_selectorIiNS0_10empty_typeEEEZZNS1_27merge_sort_block_merge_implIS3_N6thrust23THRUST_200600_302600_NS6detail15normal_iteratorINS9_10device_ptrIiEEEEPS5_jNS1_19radix_merge_compareILb1ELb0EiNS0_19identity_decomposerEEEEE10hipError_tT0_T1_T2_jT3_P12ihipStream_tbPNSt15iterator_traitsISK_E10value_typeEPNSQ_ISL_E10value_typeEPSM_NS1_7vsmem_tEENKUlT_SK_SL_SM_E_clISE_PiSF_SF_EESJ_SZ_SK_SL_SM_EUlSZ_E_NS1_11comp_targetILNS1_3genE5ELNS1_11target_archE942ELNS1_3gpuE9ELNS1_3repE0EEENS1_48merge_mergepath_partition_config_static_selectorELNS0_4arch9wavefront6targetE0EEEvSL_.num_vgpr, 0
	.set _ZN7rocprim17ROCPRIM_400000_NS6detail17trampoline_kernelINS0_14default_configENS1_38merge_sort_block_merge_config_selectorIiNS0_10empty_typeEEEZZNS1_27merge_sort_block_merge_implIS3_N6thrust23THRUST_200600_302600_NS6detail15normal_iteratorINS9_10device_ptrIiEEEEPS5_jNS1_19radix_merge_compareILb1ELb0EiNS0_19identity_decomposerEEEEE10hipError_tT0_T1_T2_jT3_P12ihipStream_tbPNSt15iterator_traitsISK_E10value_typeEPNSQ_ISL_E10value_typeEPSM_NS1_7vsmem_tEENKUlT_SK_SL_SM_E_clISE_PiSF_SF_EESJ_SZ_SK_SL_SM_EUlSZ_E_NS1_11comp_targetILNS1_3genE5ELNS1_11target_archE942ELNS1_3gpuE9ELNS1_3repE0EEENS1_48merge_mergepath_partition_config_static_selectorELNS0_4arch9wavefront6targetE0EEEvSL_.num_agpr, 0
	.set _ZN7rocprim17ROCPRIM_400000_NS6detail17trampoline_kernelINS0_14default_configENS1_38merge_sort_block_merge_config_selectorIiNS0_10empty_typeEEEZZNS1_27merge_sort_block_merge_implIS3_N6thrust23THRUST_200600_302600_NS6detail15normal_iteratorINS9_10device_ptrIiEEEEPS5_jNS1_19radix_merge_compareILb1ELb0EiNS0_19identity_decomposerEEEEE10hipError_tT0_T1_T2_jT3_P12ihipStream_tbPNSt15iterator_traitsISK_E10value_typeEPNSQ_ISL_E10value_typeEPSM_NS1_7vsmem_tEENKUlT_SK_SL_SM_E_clISE_PiSF_SF_EESJ_SZ_SK_SL_SM_EUlSZ_E_NS1_11comp_targetILNS1_3genE5ELNS1_11target_archE942ELNS1_3gpuE9ELNS1_3repE0EEENS1_48merge_mergepath_partition_config_static_selectorELNS0_4arch9wavefront6targetE0EEEvSL_.numbered_sgpr, 0
	.set _ZN7rocprim17ROCPRIM_400000_NS6detail17trampoline_kernelINS0_14default_configENS1_38merge_sort_block_merge_config_selectorIiNS0_10empty_typeEEEZZNS1_27merge_sort_block_merge_implIS3_N6thrust23THRUST_200600_302600_NS6detail15normal_iteratorINS9_10device_ptrIiEEEEPS5_jNS1_19radix_merge_compareILb1ELb0EiNS0_19identity_decomposerEEEEE10hipError_tT0_T1_T2_jT3_P12ihipStream_tbPNSt15iterator_traitsISK_E10value_typeEPNSQ_ISL_E10value_typeEPSM_NS1_7vsmem_tEENKUlT_SK_SL_SM_E_clISE_PiSF_SF_EESJ_SZ_SK_SL_SM_EUlSZ_E_NS1_11comp_targetILNS1_3genE5ELNS1_11target_archE942ELNS1_3gpuE9ELNS1_3repE0EEENS1_48merge_mergepath_partition_config_static_selectorELNS0_4arch9wavefront6targetE0EEEvSL_.num_named_barrier, 0
	.set _ZN7rocprim17ROCPRIM_400000_NS6detail17trampoline_kernelINS0_14default_configENS1_38merge_sort_block_merge_config_selectorIiNS0_10empty_typeEEEZZNS1_27merge_sort_block_merge_implIS3_N6thrust23THRUST_200600_302600_NS6detail15normal_iteratorINS9_10device_ptrIiEEEEPS5_jNS1_19radix_merge_compareILb1ELb0EiNS0_19identity_decomposerEEEEE10hipError_tT0_T1_T2_jT3_P12ihipStream_tbPNSt15iterator_traitsISK_E10value_typeEPNSQ_ISL_E10value_typeEPSM_NS1_7vsmem_tEENKUlT_SK_SL_SM_E_clISE_PiSF_SF_EESJ_SZ_SK_SL_SM_EUlSZ_E_NS1_11comp_targetILNS1_3genE5ELNS1_11target_archE942ELNS1_3gpuE9ELNS1_3repE0EEENS1_48merge_mergepath_partition_config_static_selectorELNS0_4arch9wavefront6targetE0EEEvSL_.private_seg_size, 0
	.set _ZN7rocprim17ROCPRIM_400000_NS6detail17trampoline_kernelINS0_14default_configENS1_38merge_sort_block_merge_config_selectorIiNS0_10empty_typeEEEZZNS1_27merge_sort_block_merge_implIS3_N6thrust23THRUST_200600_302600_NS6detail15normal_iteratorINS9_10device_ptrIiEEEEPS5_jNS1_19radix_merge_compareILb1ELb0EiNS0_19identity_decomposerEEEEE10hipError_tT0_T1_T2_jT3_P12ihipStream_tbPNSt15iterator_traitsISK_E10value_typeEPNSQ_ISL_E10value_typeEPSM_NS1_7vsmem_tEENKUlT_SK_SL_SM_E_clISE_PiSF_SF_EESJ_SZ_SK_SL_SM_EUlSZ_E_NS1_11comp_targetILNS1_3genE5ELNS1_11target_archE942ELNS1_3gpuE9ELNS1_3repE0EEENS1_48merge_mergepath_partition_config_static_selectorELNS0_4arch9wavefront6targetE0EEEvSL_.uses_vcc, 0
	.set _ZN7rocprim17ROCPRIM_400000_NS6detail17trampoline_kernelINS0_14default_configENS1_38merge_sort_block_merge_config_selectorIiNS0_10empty_typeEEEZZNS1_27merge_sort_block_merge_implIS3_N6thrust23THRUST_200600_302600_NS6detail15normal_iteratorINS9_10device_ptrIiEEEEPS5_jNS1_19radix_merge_compareILb1ELb0EiNS0_19identity_decomposerEEEEE10hipError_tT0_T1_T2_jT3_P12ihipStream_tbPNSt15iterator_traitsISK_E10value_typeEPNSQ_ISL_E10value_typeEPSM_NS1_7vsmem_tEENKUlT_SK_SL_SM_E_clISE_PiSF_SF_EESJ_SZ_SK_SL_SM_EUlSZ_E_NS1_11comp_targetILNS1_3genE5ELNS1_11target_archE942ELNS1_3gpuE9ELNS1_3repE0EEENS1_48merge_mergepath_partition_config_static_selectorELNS0_4arch9wavefront6targetE0EEEvSL_.uses_flat_scratch, 0
	.set _ZN7rocprim17ROCPRIM_400000_NS6detail17trampoline_kernelINS0_14default_configENS1_38merge_sort_block_merge_config_selectorIiNS0_10empty_typeEEEZZNS1_27merge_sort_block_merge_implIS3_N6thrust23THRUST_200600_302600_NS6detail15normal_iteratorINS9_10device_ptrIiEEEEPS5_jNS1_19radix_merge_compareILb1ELb0EiNS0_19identity_decomposerEEEEE10hipError_tT0_T1_T2_jT3_P12ihipStream_tbPNSt15iterator_traitsISK_E10value_typeEPNSQ_ISL_E10value_typeEPSM_NS1_7vsmem_tEENKUlT_SK_SL_SM_E_clISE_PiSF_SF_EESJ_SZ_SK_SL_SM_EUlSZ_E_NS1_11comp_targetILNS1_3genE5ELNS1_11target_archE942ELNS1_3gpuE9ELNS1_3repE0EEENS1_48merge_mergepath_partition_config_static_selectorELNS0_4arch9wavefront6targetE0EEEvSL_.has_dyn_sized_stack, 0
	.set _ZN7rocprim17ROCPRIM_400000_NS6detail17trampoline_kernelINS0_14default_configENS1_38merge_sort_block_merge_config_selectorIiNS0_10empty_typeEEEZZNS1_27merge_sort_block_merge_implIS3_N6thrust23THRUST_200600_302600_NS6detail15normal_iteratorINS9_10device_ptrIiEEEEPS5_jNS1_19radix_merge_compareILb1ELb0EiNS0_19identity_decomposerEEEEE10hipError_tT0_T1_T2_jT3_P12ihipStream_tbPNSt15iterator_traitsISK_E10value_typeEPNSQ_ISL_E10value_typeEPSM_NS1_7vsmem_tEENKUlT_SK_SL_SM_E_clISE_PiSF_SF_EESJ_SZ_SK_SL_SM_EUlSZ_E_NS1_11comp_targetILNS1_3genE5ELNS1_11target_archE942ELNS1_3gpuE9ELNS1_3repE0EEENS1_48merge_mergepath_partition_config_static_selectorELNS0_4arch9wavefront6targetE0EEEvSL_.has_recursion, 0
	.set _ZN7rocprim17ROCPRIM_400000_NS6detail17trampoline_kernelINS0_14default_configENS1_38merge_sort_block_merge_config_selectorIiNS0_10empty_typeEEEZZNS1_27merge_sort_block_merge_implIS3_N6thrust23THRUST_200600_302600_NS6detail15normal_iteratorINS9_10device_ptrIiEEEEPS5_jNS1_19radix_merge_compareILb1ELb0EiNS0_19identity_decomposerEEEEE10hipError_tT0_T1_T2_jT3_P12ihipStream_tbPNSt15iterator_traitsISK_E10value_typeEPNSQ_ISL_E10value_typeEPSM_NS1_7vsmem_tEENKUlT_SK_SL_SM_E_clISE_PiSF_SF_EESJ_SZ_SK_SL_SM_EUlSZ_E_NS1_11comp_targetILNS1_3genE5ELNS1_11target_archE942ELNS1_3gpuE9ELNS1_3repE0EEENS1_48merge_mergepath_partition_config_static_selectorELNS0_4arch9wavefront6targetE0EEEvSL_.has_indirect_call, 0
	.section	.AMDGPU.csdata,"",@progbits
; Kernel info:
; codeLenInByte = 0
; TotalNumSgprs: 0
; NumVgprs: 0
; ScratchSize: 0
; MemoryBound: 0
; FloatMode: 240
; IeeeMode: 1
; LDSByteSize: 0 bytes/workgroup (compile time only)
; SGPRBlocks: 0
; VGPRBlocks: 0
; NumSGPRsForWavesPerEU: 1
; NumVGPRsForWavesPerEU: 1
; Occupancy: 16
; WaveLimiterHint : 0
; COMPUTE_PGM_RSRC2:SCRATCH_EN: 0
; COMPUTE_PGM_RSRC2:USER_SGPR: 6
; COMPUTE_PGM_RSRC2:TRAP_HANDLER: 0
; COMPUTE_PGM_RSRC2:TGID_X_EN: 1
; COMPUTE_PGM_RSRC2:TGID_Y_EN: 0
; COMPUTE_PGM_RSRC2:TGID_Z_EN: 0
; COMPUTE_PGM_RSRC2:TIDIG_COMP_CNT: 0
	.section	.text._ZN7rocprim17ROCPRIM_400000_NS6detail17trampoline_kernelINS0_14default_configENS1_38merge_sort_block_merge_config_selectorIiNS0_10empty_typeEEEZZNS1_27merge_sort_block_merge_implIS3_N6thrust23THRUST_200600_302600_NS6detail15normal_iteratorINS9_10device_ptrIiEEEEPS5_jNS1_19radix_merge_compareILb1ELb0EiNS0_19identity_decomposerEEEEE10hipError_tT0_T1_T2_jT3_P12ihipStream_tbPNSt15iterator_traitsISK_E10value_typeEPNSQ_ISL_E10value_typeEPSM_NS1_7vsmem_tEENKUlT_SK_SL_SM_E_clISE_PiSF_SF_EESJ_SZ_SK_SL_SM_EUlSZ_E_NS1_11comp_targetILNS1_3genE4ELNS1_11target_archE910ELNS1_3gpuE8ELNS1_3repE0EEENS1_48merge_mergepath_partition_config_static_selectorELNS0_4arch9wavefront6targetE0EEEvSL_,"axG",@progbits,_ZN7rocprim17ROCPRIM_400000_NS6detail17trampoline_kernelINS0_14default_configENS1_38merge_sort_block_merge_config_selectorIiNS0_10empty_typeEEEZZNS1_27merge_sort_block_merge_implIS3_N6thrust23THRUST_200600_302600_NS6detail15normal_iteratorINS9_10device_ptrIiEEEEPS5_jNS1_19radix_merge_compareILb1ELb0EiNS0_19identity_decomposerEEEEE10hipError_tT0_T1_T2_jT3_P12ihipStream_tbPNSt15iterator_traitsISK_E10value_typeEPNSQ_ISL_E10value_typeEPSM_NS1_7vsmem_tEENKUlT_SK_SL_SM_E_clISE_PiSF_SF_EESJ_SZ_SK_SL_SM_EUlSZ_E_NS1_11comp_targetILNS1_3genE4ELNS1_11target_archE910ELNS1_3gpuE8ELNS1_3repE0EEENS1_48merge_mergepath_partition_config_static_selectorELNS0_4arch9wavefront6targetE0EEEvSL_,comdat
	.protected	_ZN7rocprim17ROCPRIM_400000_NS6detail17trampoline_kernelINS0_14default_configENS1_38merge_sort_block_merge_config_selectorIiNS0_10empty_typeEEEZZNS1_27merge_sort_block_merge_implIS3_N6thrust23THRUST_200600_302600_NS6detail15normal_iteratorINS9_10device_ptrIiEEEEPS5_jNS1_19radix_merge_compareILb1ELb0EiNS0_19identity_decomposerEEEEE10hipError_tT0_T1_T2_jT3_P12ihipStream_tbPNSt15iterator_traitsISK_E10value_typeEPNSQ_ISL_E10value_typeEPSM_NS1_7vsmem_tEENKUlT_SK_SL_SM_E_clISE_PiSF_SF_EESJ_SZ_SK_SL_SM_EUlSZ_E_NS1_11comp_targetILNS1_3genE4ELNS1_11target_archE910ELNS1_3gpuE8ELNS1_3repE0EEENS1_48merge_mergepath_partition_config_static_selectorELNS0_4arch9wavefront6targetE0EEEvSL_ ; -- Begin function _ZN7rocprim17ROCPRIM_400000_NS6detail17trampoline_kernelINS0_14default_configENS1_38merge_sort_block_merge_config_selectorIiNS0_10empty_typeEEEZZNS1_27merge_sort_block_merge_implIS3_N6thrust23THRUST_200600_302600_NS6detail15normal_iteratorINS9_10device_ptrIiEEEEPS5_jNS1_19radix_merge_compareILb1ELb0EiNS0_19identity_decomposerEEEEE10hipError_tT0_T1_T2_jT3_P12ihipStream_tbPNSt15iterator_traitsISK_E10value_typeEPNSQ_ISL_E10value_typeEPSM_NS1_7vsmem_tEENKUlT_SK_SL_SM_E_clISE_PiSF_SF_EESJ_SZ_SK_SL_SM_EUlSZ_E_NS1_11comp_targetILNS1_3genE4ELNS1_11target_archE910ELNS1_3gpuE8ELNS1_3repE0EEENS1_48merge_mergepath_partition_config_static_selectorELNS0_4arch9wavefront6targetE0EEEvSL_
	.globl	_ZN7rocprim17ROCPRIM_400000_NS6detail17trampoline_kernelINS0_14default_configENS1_38merge_sort_block_merge_config_selectorIiNS0_10empty_typeEEEZZNS1_27merge_sort_block_merge_implIS3_N6thrust23THRUST_200600_302600_NS6detail15normal_iteratorINS9_10device_ptrIiEEEEPS5_jNS1_19radix_merge_compareILb1ELb0EiNS0_19identity_decomposerEEEEE10hipError_tT0_T1_T2_jT3_P12ihipStream_tbPNSt15iterator_traitsISK_E10value_typeEPNSQ_ISL_E10value_typeEPSM_NS1_7vsmem_tEENKUlT_SK_SL_SM_E_clISE_PiSF_SF_EESJ_SZ_SK_SL_SM_EUlSZ_E_NS1_11comp_targetILNS1_3genE4ELNS1_11target_archE910ELNS1_3gpuE8ELNS1_3repE0EEENS1_48merge_mergepath_partition_config_static_selectorELNS0_4arch9wavefront6targetE0EEEvSL_
	.p2align	8
	.type	_ZN7rocprim17ROCPRIM_400000_NS6detail17trampoline_kernelINS0_14default_configENS1_38merge_sort_block_merge_config_selectorIiNS0_10empty_typeEEEZZNS1_27merge_sort_block_merge_implIS3_N6thrust23THRUST_200600_302600_NS6detail15normal_iteratorINS9_10device_ptrIiEEEEPS5_jNS1_19radix_merge_compareILb1ELb0EiNS0_19identity_decomposerEEEEE10hipError_tT0_T1_T2_jT3_P12ihipStream_tbPNSt15iterator_traitsISK_E10value_typeEPNSQ_ISL_E10value_typeEPSM_NS1_7vsmem_tEENKUlT_SK_SL_SM_E_clISE_PiSF_SF_EESJ_SZ_SK_SL_SM_EUlSZ_E_NS1_11comp_targetILNS1_3genE4ELNS1_11target_archE910ELNS1_3gpuE8ELNS1_3repE0EEENS1_48merge_mergepath_partition_config_static_selectorELNS0_4arch9wavefront6targetE0EEEvSL_,@function
_ZN7rocprim17ROCPRIM_400000_NS6detail17trampoline_kernelINS0_14default_configENS1_38merge_sort_block_merge_config_selectorIiNS0_10empty_typeEEEZZNS1_27merge_sort_block_merge_implIS3_N6thrust23THRUST_200600_302600_NS6detail15normal_iteratorINS9_10device_ptrIiEEEEPS5_jNS1_19radix_merge_compareILb1ELb0EiNS0_19identity_decomposerEEEEE10hipError_tT0_T1_T2_jT3_P12ihipStream_tbPNSt15iterator_traitsISK_E10value_typeEPNSQ_ISL_E10value_typeEPSM_NS1_7vsmem_tEENKUlT_SK_SL_SM_E_clISE_PiSF_SF_EESJ_SZ_SK_SL_SM_EUlSZ_E_NS1_11comp_targetILNS1_3genE4ELNS1_11target_archE910ELNS1_3gpuE8ELNS1_3repE0EEENS1_48merge_mergepath_partition_config_static_selectorELNS0_4arch9wavefront6targetE0EEEvSL_: ; @_ZN7rocprim17ROCPRIM_400000_NS6detail17trampoline_kernelINS0_14default_configENS1_38merge_sort_block_merge_config_selectorIiNS0_10empty_typeEEEZZNS1_27merge_sort_block_merge_implIS3_N6thrust23THRUST_200600_302600_NS6detail15normal_iteratorINS9_10device_ptrIiEEEEPS5_jNS1_19radix_merge_compareILb1ELb0EiNS0_19identity_decomposerEEEEE10hipError_tT0_T1_T2_jT3_P12ihipStream_tbPNSt15iterator_traitsISK_E10value_typeEPNSQ_ISL_E10value_typeEPSM_NS1_7vsmem_tEENKUlT_SK_SL_SM_E_clISE_PiSF_SF_EESJ_SZ_SK_SL_SM_EUlSZ_E_NS1_11comp_targetILNS1_3genE4ELNS1_11target_archE910ELNS1_3gpuE8ELNS1_3repE0EEENS1_48merge_mergepath_partition_config_static_selectorELNS0_4arch9wavefront6targetE0EEEvSL_
; %bb.0:
	.section	.rodata,"a",@progbits
	.p2align	6, 0x0
	.amdhsa_kernel _ZN7rocprim17ROCPRIM_400000_NS6detail17trampoline_kernelINS0_14default_configENS1_38merge_sort_block_merge_config_selectorIiNS0_10empty_typeEEEZZNS1_27merge_sort_block_merge_implIS3_N6thrust23THRUST_200600_302600_NS6detail15normal_iteratorINS9_10device_ptrIiEEEEPS5_jNS1_19radix_merge_compareILb1ELb0EiNS0_19identity_decomposerEEEEE10hipError_tT0_T1_T2_jT3_P12ihipStream_tbPNSt15iterator_traitsISK_E10value_typeEPNSQ_ISL_E10value_typeEPSM_NS1_7vsmem_tEENKUlT_SK_SL_SM_E_clISE_PiSF_SF_EESJ_SZ_SK_SL_SM_EUlSZ_E_NS1_11comp_targetILNS1_3genE4ELNS1_11target_archE910ELNS1_3gpuE8ELNS1_3repE0EEENS1_48merge_mergepath_partition_config_static_selectorELNS0_4arch9wavefront6targetE0EEEvSL_
		.amdhsa_group_segment_fixed_size 0
		.amdhsa_private_segment_fixed_size 0
		.amdhsa_kernarg_size 40
		.amdhsa_user_sgpr_count 6
		.amdhsa_user_sgpr_private_segment_buffer 1
		.amdhsa_user_sgpr_dispatch_ptr 0
		.amdhsa_user_sgpr_queue_ptr 0
		.amdhsa_user_sgpr_kernarg_segment_ptr 1
		.amdhsa_user_sgpr_dispatch_id 0
		.amdhsa_user_sgpr_flat_scratch_init 0
		.amdhsa_user_sgpr_private_segment_size 0
		.amdhsa_wavefront_size32 1
		.amdhsa_uses_dynamic_stack 0
		.amdhsa_system_sgpr_private_segment_wavefront_offset 0
		.amdhsa_system_sgpr_workgroup_id_x 1
		.amdhsa_system_sgpr_workgroup_id_y 0
		.amdhsa_system_sgpr_workgroup_id_z 0
		.amdhsa_system_sgpr_workgroup_info 0
		.amdhsa_system_vgpr_workitem_id 0
		.amdhsa_next_free_vgpr 1
		.amdhsa_next_free_sgpr 1
		.amdhsa_reserve_vcc 0
		.amdhsa_reserve_flat_scratch 0
		.amdhsa_float_round_mode_32 0
		.amdhsa_float_round_mode_16_64 0
		.amdhsa_float_denorm_mode_32 3
		.amdhsa_float_denorm_mode_16_64 3
		.amdhsa_dx10_clamp 1
		.amdhsa_ieee_mode 1
		.amdhsa_fp16_overflow 0
		.amdhsa_workgroup_processor_mode 1
		.amdhsa_memory_ordered 1
		.amdhsa_forward_progress 1
		.amdhsa_shared_vgpr_count 0
		.amdhsa_exception_fp_ieee_invalid_op 0
		.amdhsa_exception_fp_denorm_src 0
		.amdhsa_exception_fp_ieee_div_zero 0
		.amdhsa_exception_fp_ieee_overflow 0
		.amdhsa_exception_fp_ieee_underflow 0
		.amdhsa_exception_fp_ieee_inexact 0
		.amdhsa_exception_int_div_zero 0
	.end_amdhsa_kernel
	.section	.text._ZN7rocprim17ROCPRIM_400000_NS6detail17trampoline_kernelINS0_14default_configENS1_38merge_sort_block_merge_config_selectorIiNS0_10empty_typeEEEZZNS1_27merge_sort_block_merge_implIS3_N6thrust23THRUST_200600_302600_NS6detail15normal_iteratorINS9_10device_ptrIiEEEEPS5_jNS1_19radix_merge_compareILb1ELb0EiNS0_19identity_decomposerEEEEE10hipError_tT0_T1_T2_jT3_P12ihipStream_tbPNSt15iterator_traitsISK_E10value_typeEPNSQ_ISL_E10value_typeEPSM_NS1_7vsmem_tEENKUlT_SK_SL_SM_E_clISE_PiSF_SF_EESJ_SZ_SK_SL_SM_EUlSZ_E_NS1_11comp_targetILNS1_3genE4ELNS1_11target_archE910ELNS1_3gpuE8ELNS1_3repE0EEENS1_48merge_mergepath_partition_config_static_selectorELNS0_4arch9wavefront6targetE0EEEvSL_,"axG",@progbits,_ZN7rocprim17ROCPRIM_400000_NS6detail17trampoline_kernelINS0_14default_configENS1_38merge_sort_block_merge_config_selectorIiNS0_10empty_typeEEEZZNS1_27merge_sort_block_merge_implIS3_N6thrust23THRUST_200600_302600_NS6detail15normal_iteratorINS9_10device_ptrIiEEEEPS5_jNS1_19radix_merge_compareILb1ELb0EiNS0_19identity_decomposerEEEEE10hipError_tT0_T1_T2_jT3_P12ihipStream_tbPNSt15iterator_traitsISK_E10value_typeEPNSQ_ISL_E10value_typeEPSM_NS1_7vsmem_tEENKUlT_SK_SL_SM_E_clISE_PiSF_SF_EESJ_SZ_SK_SL_SM_EUlSZ_E_NS1_11comp_targetILNS1_3genE4ELNS1_11target_archE910ELNS1_3gpuE8ELNS1_3repE0EEENS1_48merge_mergepath_partition_config_static_selectorELNS0_4arch9wavefront6targetE0EEEvSL_,comdat
.Lfunc_end249:
	.size	_ZN7rocprim17ROCPRIM_400000_NS6detail17trampoline_kernelINS0_14default_configENS1_38merge_sort_block_merge_config_selectorIiNS0_10empty_typeEEEZZNS1_27merge_sort_block_merge_implIS3_N6thrust23THRUST_200600_302600_NS6detail15normal_iteratorINS9_10device_ptrIiEEEEPS5_jNS1_19radix_merge_compareILb1ELb0EiNS0_19identity_decomposerEEEEE10hipError_tT0_T1_T2_jT3_P12ihipStream_tbPNSt15iterator_traitsISK_E10value_typeEPNSQ_ISL_E10value_typeEPSM_NS1_7vsmem_tEENKUlT_SK_SL_SM_E_clISE_PiSF_SF_EESJ_SZ_SK_SL_SM_EUlSZ_E_NS1_11comp_targetILNS1_3genE4ELNS1_11target_archE910ELNS1_3gpuE8ELNS1_3repE0EEENS1_48merge_mergepath_partition_config_static_selectorELNS0_4arch9wavefront6targetE0EEEvSL_, .Lfunc_end249-_ZN7rocprim17ROCPRIM_400000_NS6detail17trampoline_kernelINS0_14default_configENS1_38merge_sort_block_merge_config_selectorIiNS0_10empty_typeEEEZZNS1_27merge_sort_block_merge_implIS3_N6thrust23THRUST_200600_302600_NS6detail15normal_iteratorINS9_10device_ptrIiEEEEPS5_jNS1_19radix_merge_compareILb1ELb0EiNS0_19identity_decomposerEEEEE10hipError_tT0_T1_T2_jT3_P12ihipStream_tbPNSt15iterator_traitsISK_E10value_typeEPNSQ_ISL_E10value_typeEPSM_NS1_7vsmem_tEENKUlT_SK_SL_SM_E_clISE_PiSF_SF_EESJ_SZ_SK_SL_SM_EUlSZ_E_NS1_11comp_targetILNS1_3genE4ELNS1_11target_archE910ELNS1_3gpuE8ELNS1_3repE0EEENS1_48merge_mergepath_partition_config_static_selectorELNS0_4arch9wavefront6targetE0EEEvSL_
                                        ; -- End function
	.set _ZN7rocprim17ROCPRIM_400000_NS6detail17trampoline_kernelINS0_14default_configENS1_38merge_sort_block_merge_config_selectorIiNS0_10empty_typeEEEZZNS1_27merge_sort_block_merge_implIS3_N6thrust23THRUST_200600_302600_NS6detail15normal_iteratorINS9_10device_ptrIiEEEEPS5_jNS1_19radix_merge_compareILb1ELb0EiNS0_19identity_decomposerEEEEE10hipError_tT0_T1_T2_jT3_P12ihipStream_tbPNSt15iterator_traitsISK_E10value_typeEPNSQ_ISL_E10value_typeEPSM_NS1_7vsmem_tEENKUlT_SK_SL_SM_E_clISE_PiSF_SF_EESJ_SZ_SK_SL_SM_EUlSZ_E_NS1_11comp_targetILNS1_3genE4ELNS1_11target_archE910ELNS1_3gpuE8ELNS1_3repE0EEENS1_48merge_mergepath_partition_config_static_selectorELNS0_4arch9wavefront6targetE0EEEvSL_.num_vgpr, 0
	.set _ZN7rocprim17ROCPRIM_400000_NS6detail17trampoline_kernelINS0_14default_configENS1_38merge_sort_block_merge_config_selectorIiNS0_10empty_typeEEEZZNS1_27merge_sort_block_merge_implIS3_N6thrust23THRUST_200600_302600_NS6detail15normal_iteratorINS9_10device_ptrIiEEEEPS5_jNS1_19radix_merge_compareILb1ELb0EiNS0_19identity_decomposerEEEEE10hipError_tT0_T1_T2_jT3_P12ihipStream_tbPNSt15iterator_traitsISK_E10value_typeEPNSQ_ISL_E10value_typeEPSM_NS1_7vsmem_tEENKUlT_SK_SL_SM_E_clISE_PiSF_SF_EESJ_SZ_SK_SL_SM_EUlSZ_E_NS1_11comp_targetILNS1_3genE4ELNS1_11target_archE910ELNS1_3gpuE8ELNS1_3repE0EEENS1_48merge_mergepath_partition_config_static_selectorELNS0_4arch9wavefront6targetE0EEEvSL_.num_agpr, 0
	.set _ZN7rocprim17ROCPRIM_400000_NS6detail17trampoline_kernelINS0_14default_configENS1_38merge_sort_block_merge_config_selectorIiNS0_10empty_typeEEEZZNS1_27merge_sort_block_merge_implIS3_N6thrust23THRUST_200600_302600_NS6detail15normal_iteratorINS9_10device_ptrIiEEEEPS5_jNS1_19radix_merge_compareILb1ELb0EiNS0_19identity_decomposerEEEEE10hipError_tT0_T1_T2_jT3_P12ihipStream_tbPNSt15iterator_traitsISK_E10value_typeEPNSQ_ISL_E10value_typeEPSM_NS1_7vsmem_tEENKUlT_SK_SL_SM_E_clISE_PiSF_SF_EESJ_SZ_SK_SL_SM_EUlSZ_E_NS1_11comp_targetILNS1_3genE4ELNS1_11target_archE910ELNS1_3gpuE8ELNS1_3repE0EEENS1_48merge_mergepath_partition_config_static_selectorELNS0_4arch9wavefront6targetE0EEEvSL_.numbered_sgpr, 0
	.set _ZN7rocprim17ROCPRIM_400000_NS6detail17trampoline_kernelINS0_14default_configENS1_38merge_sort_block_merge_config_selectorIiNS0_10empty_typeEEEZZNS1_27merge_sort_block_merge_implIS3_N6thrust23THRUST_200600_302600_NS6detail15normal_iteratorINS9_10device_ptrIiEEEEPS5_jNS1_19radix_merge_compareILb1ELb0EiNS0_19identity_decomposerEEEEE10hipError_tT0_T1_T2_jT3_P12ihipStream_tbPNSt15iterator_traitsISK_E10value_typeEPNSQ_ISL_E10value_typeEPSM_NS1_7vsmem_tEENKUlT_SK_SL_SM_E_clISE_PiSF_SF_EESJ_SZ_SK_SL_SM_EUlSZ_E_NS1_11comp_targetILNS1_3genE4ELNS1_11target_archE910ELNS1_3gpuE8ELNS1_3repE0EEENS1_48merge_mergepath_partition_config_static_selectorELNS0_4arch9wavefront6targetE0EEEvSL_.num_named_barrier, 0
	.set _ZN7rocprim17ROCPRIM_400000_NS6detail17trampoline_kernelINS0_14default_configENS1_38merge_sort_block_merge_config_selectorIiNS0_10empty_typeEEEZZNS1_27merge_sort_block_merge_implIS3_N6thrust23THRUST_200600_302600_NS6detail15normal_iteratorINS9_10device_ptrIiEEEEPS5_jNS1_19radix_merge_compareILb1ELb0EiNS0_19identity_decomposerEEEEE10hipError_tT0_T1_T2_jT3_P12ihipStream_tbPNSt15iterator_traitsISK_E10value_typeEPNSQ_ISL_E10value_typeEPSM_NS1_7vsmem_tEENKUlT_SK_SL_SM_E_clISE_PiSF_SF_EESJ_SZ_SK_SL_SM_EUlSZ_E_NS1_11comp_targetILNS1_3genE4ELNS1_11target_archE910ELNS1_3gpuE8ELNS1_3repE0EEENS1_48merge_mergepath_partition_config_static_selectorELNS0_4arch9wavefront6targetE0EEEvSL_.private_seg_size, 0
	.set _ZN7rocprim17ROCPRIM_400000_NS6detail17trampoline_kernelINS0_14default_configENS1_38merge_sort_block_merge_config_selectorIiNS0_10empty_typeEEEZZNS1_27merge_sort_block_merge_implIS3_N6thrust23THRUST_200600_302600_NS6detail15normal_iteratorINS9_10device_ptrIiEEEEPS5_jNS1_19radix_merge_compareILb1ELb0EiNS0_19identity_decomposerEEEEE10hipError_tT0_T1_T2_jT3_P12ihipStream_tbPNSt15iterator_traitsISK_E10value_typeEPNSQ_ISL_E10value_typeEPSM_NS1_7vsmem_tEENKUlT_SK_SL_SM_E_clISE_PiSF_SF_EESJ_SZ_SK_SL_SM_EUlSZ_E_NS1_11comp_targetILNS1_3genE4ELNS1_11target_archE910ELNS1_3gpuE8ELNS1_3repE0EEENS1_48merge_mergepath_partition_config_static_selectorELNS0_4arch9wavefront6targetE0EEEvSL_.uses_vcc, 0
	.set _ZN7rocprim17ROCPRIM_400000_NS6detail17trampoline_kernelINS0_14default_configENS1_38merge_sort_block_merge_config_selectorIiNS0_10empty_typeEEEZZNS1_27merge_sort_block_merge_implIS3_N6thrust23THRUST_200600_302600_NS6detail15normal_iteratorINS9_10device_ptrIiEEEEPS5_jNS1_19radix_merge_compareILb1ELb0EiNS0_19identity_decomposerEEEEE10hipError_tT0_T1_T2_jT3_P12ihipStream_tbPNSt15iterator_traitsISK_E10value_typeEPNSQ_ISL_E10value_typeEPSM_NS1_7vsmem_tEENKUlT_SK_SL_SM_E_clISE_PiSF_SF_EESJ_SZ_SK_SL_SM_EUlSZ_E_NS1_11comp_targetILNS1_3genE4ELNS1_11target_archE910ELNS1_3gpuE8ELNS1_3repE0EEENS1_48merge_mergepath_partition_config_static_selectorELNS0_4arch9wavefront6targetE0EEEvSL_.uses_flat_scratch, 0
	.set _ZN7rocprim17ROCPRIM_400000_NS6detail17trampoline_kernelINS0_14default_configENS1_38merge_sort_block_merge_config_selectorIiNS0_10empty_typeEEEZZNS1_27merge_sort_block_merge_implIS3_N6thrust23THRUST_200600_302600_NS6detail15normal_iteratorINS9_10device_ptrIiEEEEPS5_jNS1_19radix_merge_compareILb1ELb0EiNS0_19identity_decomposerEEEEE10hipError_tT0_T1_T2_jT3_P12ihipStream_tbPNSt15iterator_traitsISK_E10value_typeEPNSQ_ISL_E10value_typeEPSM_NS1_7vsmem_tEENKUlT_SK_SL_SM_E_clISE_PiSF_SF_EESJ_SZ_SK_SL_SM_EUlSZ_E_NS1_11comp_targetILNS1_3genE4ELNS1_11target_archE910ELNS1_3gpuE8ELNS1_3repE0EEENS1_48merge_mergepath_partition_config_static_selectorELNS0_4arch9wavefront6targetE0EEEvSL_.has_dyn_sized_stack, 0
	.set _ZN7rocprim17ROCPRIM_400000_NS6detail17trampoline_kernelINS0_14default_configENS1_38merge_sort_block_merge_config_selectorIiNS0_10empty_typeEEEZZNS1_27merge_sort_block_merge_implIS3_N6thrust23THRUST_200600_302600_NS6detail15normal_iteratorINS9_10device_ptrIiEEEEPS5_jNS1_19radix_merge_compareILb1ELb0EiNS0_19identity_decomposerEEEEE10hipError_tT0_T1_T2_jT3_P12ihipStream_tbPNSt15iterator_traitsISK_E10value_typeEPNSQ_ISL_E10value_typeEPSM_NS1_7vsmem_tEENKUlT_SK_SL_SM_E_clISE_PiSF_SF_EESJ_SZ_SK_SL_SM_EUlSZ_E_NS1_11comp_targetILNS1_3genE4ELNS1_11target_archE910ELNS1_3gpuE8ELNS1_3repE0EEENS1_48merge_mergepath_partition_config_static_selectorELNS0_4arch9wavefront6targetE0EEEvSL_.has_recursion, 0
	.set _ZN7rocprim17ROCPRIM_400000_NS6detail17trampoline_kernelINS0_14default_configENS1_38merge_sort_block_merge_config_selectorIiNS0_10empty_typeEEEZZNS1_27merge_sort_block_merge_implIS3_N6thrust23THRUST_200600_302600_NS6detail15normal_iteratorINS9_10device_ptrIiEEEEPS5_jNS1_19radix_merge_compareILb1ELb0EiNS0_19identity_decomposerEEEEE10hipError_tT0_T1_T2_jT3_P12ihipStream_tbPNSt15iterator_traitsISK_E10value_typeEPNSQ_ISL_E10value_typeEPSM_NS1_7vsmem_tEENKUlT_SK_SL_SM_E_clISE_PiSF_SF_EESJ_SZ_SK_SL_SM_EUlSZ_E_NS1_11comp_targetILNS1_3genE4ELNS1_11target_archE910ELNS1_3gpuE8ELNS1_3repE0EEENS1_48merge_mergepath_partition_config_static_selectorELNS0_4arch9wavefront6targetE0EEEvSL_.has_indirect_call, 0
	.section	.AMDGPU.csdata,"",@progbits
; Kernel info:
; codeLenInByte = 0
; TotalNumSgprs: 0
; NumVgprs: 0
; ScratchSize: 0
; MemoryBound: 0
; FloatMode: 240
; IeeeMode: 1
; LDSByteSize: 0 bytes/workgroup (compile time only)
; SGPRBlocks: 0
; VGPRBlocks: 0
; NumSGPRsForWavesPerEU: 1
; NumVGPRsForWavesPerEU: 1
; Occupancy: 16
; WaveLimiterHint : 0
; COMPUTE_PGM_RSRC2:SCRATCH_EN: 0
; COMPUTE_PGM_RSRC2:USER_SGPR: 6
; COMPUTE_PGM_RSRC2:TRAP_HANDLER: 0
; COMPUTE_PGM_RSRC2:TGID_X_EN: 1
; COMPUTE_PGM_RSRC2:TGID_Y_EN: 0
; COMPUTE_PGM_RSRC2:TGID_Z_EN: 0
; COMPUTE_PGM_RSRC2:TIDIG_COMP_CNT: 0
	.section	.text._ZN7rocprim17ROCPRIM_400000_NS6detail17trampoline_kernelINS0_14default_configENS1_38merge_sort_block_merge_config_selectorIiNS0_10empty_typeEEEZZNS1_27merge_sort_block_merge_implIS3_N6thrust23THRUST_200600_302600_NS6detail15normal_iteratorINS9_10device_ptrIiEEEEPS5_jNS1_19radix_merge_compareILb1ELb0EiNS0_19identity_decomposerEEEEE10hipError_tT0_T1_T2_jT3_P12ihipStream_tbPNSt15iterator_traitsISK_E10value_typeEPNSQ_ISL_E10value_typeEPSM_NS1_7vsmem_tEENKUlT_SK_SL_SM_E_clISE_PiSF_SF_EESJ_SZ_SK_SL_SM_EUlSZ_E_NS1_11comp_targetILNS1_3genE3ELNS1_11target_archE908ELNS1_3gpuE7ELNS1_3repE0EEENS1_48merge_mergepath_partition_config_static_selectorELNS0_4arch9wavefront6targetE0EEEvSL_,"axG",@progbits,_ZN7rocprim17ROCPRIM_400000_NS6detail17trampoline_kernelINS0_14default_configENS1_38merge_sort_block_merge_config_selectorIiNS0_10empty_typeEEEZZNS1_27merge_sort_block_merge_implIS3_N6thrust23THRUST_200600_302600_NS6detail15normal_iteratorINS9_10device_ptrIiEEEEPS5_jNS1_19radix_merge_compareILb1ELb0EiNS0_19identity_decomposerEEEEE10hipError_tT0_T1_T2_jT3_P12ihipStream_tbPNSt15iterator_traitsISK_E10value_typeEPNSQ_ISL_E10value_typeEPSM_NS1_7vsmem_tEENKUlT_SK_SL_SM_E_clISE_PiSF_SF_EESJ_SZ_SK_SL_SM_EUlSZ_E_NS1_11comp_targetILNS1_3genE3ELNS1_11target_archE908ELNS1_3gpuE7ELNS1_3repE0EEENS1_48merge_mergepath_partition_config_static_selectorELNS0_4arch9wavefront6targetE0EEEvSL_,comdat
	.protected	_ZN7rocprim17ROCPRIM_400000_NS6detail17trampoline_kernelINS0_14default_configENS1_38merge_sort_block_merge_config_selectorIiNS0_10empty_typeEEEZZNS1_27merge_sort_block_merge_implIS3_N6thrust23THRUST_200600_302600_NS6detail15normal_iteratorINS9_10device_ptrIiEEEEPS5_jNS1_19radix_merge_compareILb1ELb0EiNS0_19identity_decomposerEEEEE10hipError_tT0_T1_T2_jT3_P12ihipStream_tbPNSt15iterator_traitsISK_E10value_typeEPNSQ_ISL_E10value_typeEPSM_NS1_7vsmem_tEENKUlT_SK_SL_SM_E_clISE_PiSF_SF_EESJ_SZ_SK_SL_SM_EUlSZ_E_NS1_11comp_targetILNS1_3genE3ELNS1_11target_archE908ELNS1_3gpuE7ELNS1_3repE0EEENS1_48merge_mergepath_partition_config_static_selectorELNS0_4arch9wavefront6targetE0EEEvSL_ ; -- Begin function _ZN7rocprim17ROCPRIM_400000_NS6detail17trampoline_kernelINS0_14default_configENS1_38merge_sort_block_merge_config_selectorIiNS0_10empty_typeEEEZZNS1_27merge_sort_block_merge_implIS3_N6thrust23THRUST_200600_302600_NS6detail15normal_iteratorINS9_10device_ptrIiEEEEPS5_jNS1_19radix_merge_compareILb1ELb0EiNS0_19identity_decomposerEEEEE10hipError_tT0_T1_T2_jT3_P12ihipStream_tbPNSt15iterator_traitsISK_E10value_typeEPNSQ_ISL_E10value_typeEPSM_NS1_7vsmem_tEENKUlT_SK_SL_SM_E_clISE_PiSF_SF_EESJ_SZ_SK_SL_SM_EUlSZ_E_NS1_11comp_targetILNS1_3genE3ELNS1_11target_archE908ELNS1_3gpuE7ELNS1_3repE0EEENS1_48merge_mergepath_partition_config_static_selectorELNS0_4arch9wavefront6targetE0EEEvSL_
	.globl	_ZN7rocprim17ROCPRIM_400000_NS6detail17trampoline_kernelINS0_14default_configENS1_38merge_sort_block_merge_config_selectorIiNS0_10empty_typeEEEZZNS1_27merge_sort_block_merge_implIS3_N6thrust23THRUST_200600_302600_NS6detail15normal_iteratorINS9_10device_ptrIiEEEEPS5_jNS1_19radix_merge_compareILb1ELb0EiNS0_19identity_decomposerEEEEE10hipError_tT0_T1_T2_jT3_P12ihipStream_tbPNSt15iterator_traitsISK_E10value_typeEPNSQ_ISL_E10value_typeEPSM_NS1_7vsmem_tEENKUlT_SK_SL_SM_E_clISE_PiSF_SF_EESJ_SZ_SK_SL_SM_EUlSZ_E_NS1_11comp_targetILNS1_3genE3ELNS1_11target_archE908ELNS1_3gpuE7ELNS1_3repE0EEENS1_48merge_mergepath_partition_config_static_selectorELNS0_4arch9wavefront6targetE0EEEvSL_
	.p2align	8
	.type	_ZN7rocprim17ROCPRIM_400000_NS6detail17trampoline_kernelINS0_14default_configENS1_38merge_sort_block_merge_config_selectorIiNS0_10empty_typeEEEZZNS1_27merge_sort_block_merge_implIS3_N6thrust23THRUST_200600_302600_NS6detail15normal_iteratorINS9_10device_ptrIiEEEEPS5_jNS1_19radix_merge_compareILb1ELb0EiNS0_19identity_decomposerEEEEE10hipError_tT0_T1_T2_jT3_P12ihipStream_tbPNSt15iterator_traitsISK_E10value_typeEPNSQ_ISL_E10value_typeEPSM_NS1_7vsmem_tEENKUlT_SK_SL_SM_E_clISE_PiSF_SF_EESJ_SZ_SK_SL_SM_EUlSZ_E_NS1_11comp_targetILNS1_3genE3ELNS1_11target_archE908ELNS1_3gpuE7ELNS1_3repE0EEENS1_48merge_mergepath_partition_config_static_selectorELNS0_4arch9wavefront6targetE0EEEvSL_,@function
_ZN7rocprim17ROCPRIM_400000_NS6detail17trampoline_kernelINS0_14default_configENS1_38merge_sort_block_merge_config_selectorIiNS0_10empty_typeEEEZZNS1_27merge_sort_block_merge_implIS3_N6thrust23THRUST_200600_302600_NS6detail15normal_iteratorINS9_10device_ptrIiEEEEPS5_jNS1_19radix_merge_compareILb1ELb0EiNS0_19identity_decomposerEEEEE10hipError_tT0_T1_T2_jT3_P12ihipStream_tbPNSt15iterator_traitsISK_E10value_typeEPNSQ_ISL_E10value_typeEPSM_NS1_7vsmem_tEENKUlT_SK_SL_SM_E_clISE_PiSF_SF_EESJ_SZ_SK_SL_SM_EUlSZ_E_NS1_11comp_targetILNS1_3genE3ELNS1_11target_archE908ELNS1_3gpuE7ELNS1_3repE0EEENS1_48merge_mergepath_partition_config_static_selectorELNS0_4arch9wavefront6targetE0EEEvSL_: ; @_ZN7rocprim17ROCPRIM_400000_NS6detail17trampoline_kernelINS0_14default_configENS1_38merge_sort_block_merge_config_selectorIiNS0_10empty_typeEEEZZNS1_27merge_sort_block_merge_implIS3_N6thrust23THRUST_200600_302600_NS6detail15normal_iteratorINS9_10device_ptrIiEEEEPS5_jNS1_19radix_merge_compareILb1ELb0EiNS0_19identity_decomposerEEEEE10hipError_tT0_T1_T2_jT3_P12ihipStream_tbPNSt15iterator_traitsISK_E10value_typeEPNSQ_ISL_E10value_typeEPSM_NS1_7vsmem_tEENKUlT_SK_SL_SM_E_clISE_PiSF_SF_EESJ_SZ_SK_SL_SM_EUlSZ_E_NS1_11comp_targetILNS1_3genE3ELNS1_11target_archE908ELNS1_3gpuE7ELNS1_3repE0EEENS1_48merge_mergepath_partition_config_static_selectorELNS0_4arch9wavefront6targetE0EEEvSL_
; %bb.0:
	.section	.rodata,"a",@progbits
	.p2align	6, 0x0
	.amdhsa_kernel _ZN7rocprim17ROCPRIM_400000_NS6detail17trampoline_kernelINS0_14default_configENS1_38merge_sort_block_merge_config_selectorIiNS0_10empty_typeEEEZZNS1_27merge_sort_block_merge_implIS3_N6thrust23THRUST_200600_302600_NS6detail15normal_iteratorINS9_10device_ptrIiEEEEPS5_jNS1_19radix_merge_compareILb1ELb0EiNS0_19identity_decomposerEEEEE10hipError_tT0_T1_T2_jT3_P12ihipStream_tbPNSt15iterator_traitsISK_E10value_typeEPNSQ_ISL_E10value_typeEPSM_NS1_7vsmem_tEENKUlT_SK_SL_SM_E_clISE_PiSF_SF_EESJ_SZ_SK_SL_SM_EUlSZ_E_NS1_11comp_targetILNS1_3genE3ELNS1_11target_archE908ELNS1_3gpuE7ELNS1_3repE0EEENS1_48merge_mergepath_partition_config_static_selectorELNS0_4arch9wavefront6targetE0EEEvSL_
		.amdhsa_group_segment_fixed_size 0
		.amdhsa_private_segment_fixed_size 0
		.amdhsa_kernarg_size 40
		.amdhsa_user_sgpr_count 6
		.amdhsa_user_sgpr_private_segment_buffer 1
		.amdhsa_user_sgpr_dispatch_ptr 0
		.amdhsa_user_sgpr_queue_ptr 0
		.amdhsa_user_sgpr_kernarg_segment_ptr 1
		.amdhsa_user_sgpr_dispatch_id 0
		.amdhsa_user_sgpr_flat_scratch_init 0
		.amdhsa_user_sgpr_private_segment_size 0
		.amdhsa_wavefront_size32 1
		.amdhsa_uses_dynamic_stack 0
		.amdhsa_system_sgpr_private_segment_wavefront_offset 0
		.amdhsa_system_sgpr_workgroup_id_x 1
		.amdhsa_system_sgpr_workgroup_id_y 0
		.amdhsa_system_sgpr_workgroup_id_z 0
		.amdhsa_system_sgpr_workgroup_info 0
		.amdhsa_system_vgpr_workitem_id 0
		.amdhsa_next_free_vgpr 1
		.amdhsa_next_free_sgpr 1
		.amdhsa_reserve_vcc 0
		.amdhsa_reserve_flat_scratch 0
		.amdhsa_float_round_mode_32 0
		.amdhsa_float_round_mode_16_64 0
		.amdhsa_float_denorm_mode_32 3
		.amdhsa_float_denorm_mode_16_64 3
		.amdhsa_dx10_clamp 1
		.amdhsa_ieee_mode 1
		.amdhsa_fp16_overflow 0
		.amdhsa_workgroup_processor_mode 1
		.amdhsa_memory_ordered 1
		.amdhsa_forward_progress 1
		.amdhsa_shared_vgpr_count 0
		.amdhsa_exception_fp_ieee_invalid_op 0
		.amdhsa_exception_fp_denorm_src 0
		.amdhsa_exception_fp_ieee_div_zero 0
		.amdhsa_exception_fp_ieee_overflow 0
		.amdhsa_exception_fp_ieee_underflow 0
		.amdhsa_exception_fp_ieee_inexact 0
		.amdhsa_exception_int_div_zero 0
	.end_amdhsa_kernel
	.section	.text._ZN7rocprim17ROCPRIM_400000_NS6detail17trampoline_kernelINS0_14default_configENS1_38merge_sort_block_merge_config_selectorIiNS0_10empty_typeEEEZZNS1_27merge_sort_block_merge_implIS3_N6thrust23THRUST_200600_302600_NS6detail15normal_iteratorINS9_10device_ptrIiEEEEPS5_jNS1_19radix_merge_compareILb1ELb0EiNS0_19identity_decomposerEEEEE10hipError_tT0_T1_T2_jT3_P12ihipStream_tbPNSt15iterator_traitsISK_E10value_typeEPNSQ_ISL_E10value_typeEPSM_NS1_7vsmem_tEENKUlT_SK_SL_SM_E_clISE_PiSF_SF_EESJ_SZ_SK_SL_SM_EUlSZ_E_NS1_11comp_targetILNS1_3genE3ELNS1_11target_archE908ELNS1_3gpuE7ELNS1_3repE0EEENS1_48merge_mergepath_partition_config_static_selectorELNS0_4arch9wavefront6targetE0EEEvSL_,"axG",@progbits,_ZN7rocprim17ROCPRIM_400000_NS6detail17trampoline_kernelINS0_14default_configENS1_38merge_sort_block_merge_config_selectorIiNS0_10empty_typeEEEZZNS1_27merge_sort_block_merge_implIS3_N6thrust23THRUST_200600_302600_NS6detail15normal_iteratorINS9_10device_ptrIiEEEEPS5_jNS1_19radix_merge_compareILb1ELb0EiNS0_19identity_decomposerEEEEE10hipError_tT0_T1_T2_jT3_P12ihipStream_tbPNSt15iterator_traitsISK_E10value_typeEPNSQ_ISL_E10value_typeEPSM_NS1_7vsmem_tEENKUlT_SK_SL_SM_E_clISE_PiSF_SF_EESJ_SZ_SK_SL_SM_EUlSZ_E_NS1_11comp_targetILNS1_3genE3ELNS1_11target_archE908ELNS1_3gpuE7ELNS1_3repE0EEENS1_48merge_mergepath_partition_config_static_selectorELNS0_4arch9wavefront6targetE0EEEvSL_,comdat
.Lfunc_end250:
	.size	_ZN7rocprim17ROCPRIM_400000_NS6detail17trampoline_kernelINS0_14default_configENS1_38merge_sort_block_merge_config_selectorIiNS0_10empty_typeEEEZZNS1_27merge_sort_block_merge_implIS3_N6thrust23THRUST_200600_302600_NS6detail15normal_iteratorINS9_10device_ptrIiEEEEPS5_jNS1_19radix_merge_compareILb1ELb0EiNS0_19identity_decomposerEEEEE10hipError_tT0_T1_T2_jT3_P12ihipStream_tbPNSt15iterator_traitsISK_E10value_typeEPNSQ_ISL_E10value_typeEPSM_NS1_7vsmem_tEENKUlT_SK_SL_SM_E_clISE_PiSF_SF_EESJ_SZ_SK_SL_SM_EUlSZ_E_NS1_11comp_targetILNS1_3genE3ELNS1_11target_archE908ELNS1_3gpuE7ELNS1_3repE0EEENS1_48merge_mergepath_partition_config_static_selectorELNS0_4arch9wavefront6targetE0EEEvSL_, .Lfunc_end250-_ZN7rocprim17ROCPRIM_400000_NS6detail17trampoline_kernelINS0_14default_configENS1_38merge_sort_block_merge_config_selectorIiNS0_10empty_typeEEEZZNS1_27merge_sort_block_merge_implIS3_N6thrust23THRUST_200600_302600_NS6detail15normal_iteratorINS9_10device_ptrIiEEEEPS5_jNS1_19radix_merge_compareILb1ELb0EiNS0_19identity_decomposerEEEEE10hipError_tT0_T1_T2_jT3_P12ihipStream_tbPNSt15iterator_traitsISK_E10value_typeEPNSQ_ISL_E10value_typeEPSM_NS1_7vsmem_tEENKUlT_SK_SL_SM_E_clISE_PiSF_SF_EESJ_SZ_SK_SL_SM_EUlSZ_E_NS1_11comp_targetILNS1_3genE3ELNS1_11target_archE908ELNS1_3gpuE7ELNS1_3repE0EEENS1_48merge_mergepath_partition_config_static_selectorELNS0_4arch9wavefront6targetE0EEEvSL_
                                        ; -- End function
	.set _ZN7rocprim17ROCPRIM_400000_NS6detail17trampoline_kernelINS0_14default_configENS1_38merge_sort_block_merge_config_selectorIiNS0_10empty_typeEEEZZNS1_27merge_sort_block_merge_implIS3_N6thrust23THRUST_200600_302600_NS6detail15normal_iteratorINS9_10device_ptrIiEEEEPS5_jNS1_19radix_merge_compareILb1ELb0EiNS0_19identity_decomposerEEEEE10hipError_tT0_T1_T2_jT3_P12ihipStream_tbPNSt15iterator_traitsISK_E10value_typeEPNSQ_ISL_E10value_typeEPSM_NS1_7vsmem_tEENKUlT_SK_SL_SM_E_clISE_PiSF_SF_EESJ_SZ_SK_SL_SM_EUlSZ_E_NS1_11comp_targetILNS1_3genE3ELNS1_11target_archE908ELNS1_3gpuE7ELNS1_3repE0EEENS1_48merge_mergepath_partition_config_static_selectorELNS0_4arch9wavefront6targetE0EEEvSL_.num_vgpr, 0
	.set _ZN7rocprim17ROCPRIM_400000_NS6detail17trampoline_kernelINS0_14default_configENS1_38merge_sort_block_merge_config_selectorIiNS0_10empty_typeEEEZZNS1_27merge_sort_block_merge_implIS3_N6thrust23THRUST_200600_302600_NS6detail15normal_iteratorINS9_10device_ptrIiEEEEPS5_jNS1_19radix_merge_compareILb1ELb0EiNS0_19identity_decomposerEEEEE10hipError_tT0_T1_T2_jT3_P12ihipStream_tbPNSt15iterator_traitsISK_E10value_typeEPNSQ_ISL_E10value_typeEPSM_NS1_7vsmem_tEENKUlT_SK_SL_SM_E_clISE_PiSF_SF_EESJ_SZ_SK_SL_SM_EUlSZ_E_NS1_11comp_targetILNS1_3genE3ELNS1_11target_archE908ELNS1_3gpuE7ELNS1_3repE0EEENS1_48merge_mergepath_partition_config_static_selectorELNS0_4arch9wavefront6targetE0EEEvSL_.num_agpr, 0
	.set _ZN7rocprim17ROCPRIM_400000_NS6detail17trampoline_kernelINS0_14default_configENS1_38merge_sort_block_merge_config_selectorIiNS0_10empty_typeEEEZZNS1_27merge_sort_block_merge_implIS3_N6thrust23THRUST_200600_302600_NS6detail15normal_iteratorINS9_10device_ptrIiEEEEPS5_jNS1_19radix_merge_compareILb1ELb0EiNS0_19identity_decomposerEEEEE10hipError_tT0_T1_T2_jT3_P12ihipStream_tbPNSt15iterator_traitsISK_E10value_typeEPNSQ_ISL_E10value_typeEPSM_NS1_7vsmem_tEENKUlT_SK_SL_SM_E_clISE_PiSF_SF_EESJ_SZ_SK_SL_SM_EUlSZ_E_NS1_11comp_targetILNS1_3genE3ELNS1_11target_archE908ELNS1_3gpuE7ELNS1_3repE0EEENS1_48merge_mergepath_partition_config_static_selectorELNS0_4arch9wavefront6targetE0EEEvSL_.numbered_sgpr, 0
	.set _ZN7rocprim17ROCPRIM_400000_NS6detail17trampoline_kernelINS0_14default_configENS1_38merge_sort_block_merge_config_selectorIiNS0_10empty_typeEEEZZNS1_27merge_sort_block_merge_implIS3_N6thrust23THRUST_200600_302600_NS6detail15normal_iteratorINS9_10device_ptrIiEEEEPS5_jNS1_19radix_merge_compareILb1ELb0EiNS0_19identity_decomposerEEEEE10hipError_tT0_T1_T2_jT3_P12ihipStream_tbPNSt15iterator_traitsISK_E10value_typeEPNSQ_ISL_E10value_typeEPSM_NS1_7vsmem_tEENKUlT_SK_SL_SM_E_clISE_PiSF_SF_EESJ_SZ_SK_SL_SM_EUlSZ_E_NS1_11comp_targetILNS1_3genE3ELNS1_11target_archE908ELNS1_3gpuE7ELNS1_3repE0EEENS1_48merge_mergepath_partition_config_static_selectorELNS0_4arch9wavefront6targetE0EEEvSL_.num_named_barrier, 0
	.set _ZN7rocprim17ROCPRIM_400000_NS6detail17trampoline_kernelINS0_14default_configENS1_38merge_sort_block_merge_config_selectorIiNS0_10empty_typeEEEZZNS1_27merge_sort_block_merge_implIS3_N6thrust23THRUST_200600_302600_NS6detail15normal_iteratorINS9_10device_ptrIiEEEEPS5_jNS1_19radix_merge_compareILb1ELb0EiNS0_19identity_decomposerEEEEE10hipError_tT0_T1_T2_jT3_P12ihipStream_tbPNSt15iterator_traitsISK_E10value_typeEPNSQ_ISL_E10value_typeEPSM_NS1_7vsmem_tEENKUlT_SK_SL_SM_E_clISE_PiSF_SF_EESJ_SZ_SK_SL_SM_EUlSZ_E_NS1_11comp_targetILNS1_3genE3ELNS1_11target_archE908ELNS1_3gpuE7ELNS1_3repE0EEENS1_48merge_mergepath_partition_config_static_selectorELNS0_4arch9wavefront6targetE0EEEvSL_.private_seg_size, 0
	.set _ZN7rocprim17ROCPRIM_400000_NS6detail17trampoline_kernelINS0_14default_configENS1_38merge_sort_block_merge_config_selectorIiNS0_10empty_typeEEEZZNS1_27merge_sort_block_merge_implIS3_N6thrust23THRUST_200600_302600_NS6detail15normal_iteratorINS9_10device_ptrIiEEEEPS5_jNS1_19radix_merge_compareILb1ELb0EiNS0_19identity_decomposerEEEEE10hipError_tT0_T1_T2_jT3_P12ihipStream_tbPNSt15iterator_traitsISK_E10value_typeEPNSQ_ISL_E10value_typeEPSM_NS1_7vsmem_tEENKUlT_SK_SL_SM_E_clISE_PiSF_SF_EESJ_SZ_SK_SL_SM_EUlSZ_E_NS1_11comp_targetILNS1_3genE3ELNS1_11target_archE908ELNS1_3gpuE7ELNS1_3repE0EEENS1_48merge_mergepath_partition_config_static_selectorELNS0_4arch9wavefront6targetE0EEEvSL_.uses_vcc, 0
	.set _ZN7rocprim17ROCPRIM_400000_NS6detail17trampoline_kernelINS0_14default_configENS1_38merge_sort_block_merge_config_selectorIiNS0_10empty_typeEEEZZNS1_27merge_sort_block_merge_implIS3_N6thrust23THRUST_200600_302600_NS6detail15normal_iteratorINS9_10device_ptrIiEEEEPS5_jNS1_19radix_merge_compareILb1ELb0EiNS0_19identity_decomposerEEEEE10hipError_tT0_T1_T2_jT3_P12ihipStream_tbPNSt15iterator_traitsISK_E10value_typeEPNSQ_ISL_E10value_typeEPSM_NS1_7vsmem_tEENKUlT_SK_SL_SM_E_clISE_PiSF_SF_EESJ_SZ_SK_SL_SM_EUlSZ_E_NS1_11comp_targetILNS1_3genE3ELNS1_11target_archE908ELNS1_3gpuE7ELNS1_3repE0EEENS1_48merge_mergepath_partition_config_static_selectorELNS0_4arch9wavefront6targetE0EEEvSL_.uses_flat_scratch, 0
	.set _ZN7rocprim17ROCPRIM_400000_NS6detail17trampoline_kernelINS0_14default_configENS1_38merge_sort_block_merge_config_selectorIiNS0_10empty_typeEEEZZNS1_27merge_sort_block_merge_implIS3_N6thrust23THRUST_200600_302600_NS6detail15normal_iteratorINS9_10device_ptrIiEEEEPS5_jNS1_19radix_merge_compareILb1ELb0EiNS0_19identity_decomposerEEEEE10hipError_tT0_T1_T2_jT3_P12ihipStream_tbPNSt15iterator_traitsISK_E10value_typeEPNSQ_ISL_E10value_typeEPSM_NS1_7vsmem_tEENKUlT_SK_SL_SM_E_clISE_PiSF_SF_EESJ_SZ_SK_SL_SM_EUlSZ_E_NS1_11comp_targetILNS1_3genE3ELNS1_11target_archE908ELNS1_3gpuE7ELNS1_3repE0EEENS1_48merge_mergepath_partition_config_static_selectorELNS0_4arch9wavefront6targetE0EEEvSL_.has_dyn_sized_stack, 0
	.set _ZN7rocprim17ROCPRIM_400000_NS6detail17trampoline_kernelINS0_14default_configENS1_38merge_sort_block_merge_config_selectorIiNS0_10empty_typeEEEZZNS1_27merge_sort_block_merge_implIS3_N6thrust23THRUST_200600_302600_NS6detail15normal_iteratorINS9_10device_ptrIiEEEEPS5_jNS1_19radix_merge_compareILb1ELb0EiNS0_19identity_decomposerEEEEE10hipError_tT0_T1_T2_jT3_P12ihipStream_tbPNSt15iterator_traitsISK_E10value_typeEPNSQ_ISL_E10value_typeEPSM_NS1_7vsmem_tEENKUlT_SK_SL_SM_E_clISE_PiSF_SF_EESJ_SZ_SK_SL_SM_EUlSZ_E_NS1_11comp_targetILNS1_3genE3ELNS1_11target_archE908ELNS1_3gpuE7ELNS1_3repE0EEENS1_48merge_mergepath_partition_config_static_selectorELNS0_4arch9wavefront6targetE0EEEvSL_.has_recursion, 0
	.set _ZN7rocprim17ROCPRIM_400000_NS6detail17trampoline_kernelINS0_14default_configENS1_38merge_sort_block_merge_config_selectorIiNS0_10empty_typeEEEZZNS1_27merge_sort_block_merge_implIS3_N6thrust23THRUST_200600_302600_NS6detail15normal_iteratorINS9_10device_ptrIiEEEEPS5_jNS1_19radix_merge_compareILb1ELb0EiNS0_19identity_decomposerEEEEE10hipError_tT0_T1_T2_jT3_P12ihipStream_tbPNSt15iterator_traitsISK_E10value_typeEPNSQ_ISL_E10value_typeEPSM_NS1_7vsmem_tEENKUlT_SK_SL_SM_E_clISE_PiSF_SF_EESJ_SZ_SK_SL_SM_EUlSZ_E_NS1_11comp_targetILNS1_3genE3ELNS1_11target_archE908ELNS1_3gpuE7ELNS1_3repE0EEENS1_48merge_mergepath_partition_config_static_selectorELNS0_4arch9wavefront6targetE0EEEvSL_.has_indirect_call, 0
	.section	.AMDGPU.csdata,"",@progbits
; Kernel info:
; codeLenInByte = 0
; TotalNumSgprs: 0
; NumVgprs: 0
; ScratchSize: 0
; MemoryBound: 0
; FloatMode: 240
; IeeeMode: 1
; LDSByteSize: 0 bytes/workgroup (compile time only)
; SGPRBlocks: 0
; VGPRBlocks: 0
; NumSGPRsForWavesPerEU: 1
; NumVGPRsForWavesPerEU: 1
; Occupancy: 16
; WaveLimiterHint : 0
; COMPUTE_PGM_RSRC2:SCRATCH_EN: 0
; COMPUTE_PGM_RSRC2:USER_SGPR: 6
; COMPUTE_PGM_RSRC2:TRAP_HANDLER: 0
; COMPUTE_PGM_RSRC2:TGID_X_EN: 1
; COMPUTE_PGM_RSRC2:TGID_Y_EN: 0
; COMPUTE_PGM_RSRC2:TGID_Z_EN: 0
; COMPUTE_PGM_RSRC2:TIDIG_COMP_CNT: 0
	.section	.text._ZN7rocprim17ROCPRIM_400000_NS6detail17trampoline_kernelINS0_14default_configENS1_38merge_sort_block_merge_config_selectorIiNS0_10empty_typeEEEZZNS1_27merge_sort_block_merge_implIS3_N6thrust23THRUST_200600_302600_NS6detail15normal_iteratorINS9_10device_ptrIiEEEEPS5_jNS1_19radix_merge_compareILb1ELb0EiNS0_19identity_decomposerEEEEE10hipError_tT0_T1_T2_jT3_P12ihipStream_tbPNSt15iterator_traitsISK_E10value_typeEPNSQ_ISL_E10value_typeEPSM_NS1_7vsmem_tEENKUlT_SK_SL_SM_E_clISE_PiSF_SF_EESJ_SZ_SK_SL_SM_EUlSZ_E_NS1_11comp_targetILNS1_3genE2ELNS1_11target_archE906ELNS1_3gpuE6ELNS1_3repE0EEENS1_48merge_mergepath_partition_config_static_selectorELNS0_4arch9wavefront6targetE0EEEvSL_,"axG",@progbits,_ZN7rocprim17ROCPRIM_400000_NS6detail17trampoline_kernelINS0_14default_configENS1_38merge_sort_block_merge_config_selectorIiNS0_10empty_typeEEEZZNS1_27merge_sort_block_merge_implIS3_N6thrust23THRUST_200600_302600_NS6detail15normal_iteratorINS9_10device_ptrIiEEEEPS5_jNS1_19radix_merge_compareILb1ELb0EiNS0_19identity_decomposerEEEEE10hipError_tT0_T1_T2_jT3_P12ihipStream_tbPNSt15iterator_traitsISK_E10value_typeEPNSQ_ISL_E10value_typeEPSM_NS1_7vsmem_tEENKUlT_SK_SL_SM_E_clISE_PiSF_SF_EESJ_SZ_SK_SL_SM_EUlSZ_E_NS1_11comp_targetILNS1_3genE2ELNS1_11target_archE906ELNS1_3gpuE6ELNS1_3repE0EEENS1_48merge_mergepath_partition_config_static_selectorELNS0_4arch9wavefront6targetE0EEEvSL_,comdat
	.protected	_ZN7rocprim17ROCPRIM_400000_NS6detail17trampoline_kernelINS0_14default_configENS1_38merge_sort_block_merge_config_selectorIiNS0_10empty_typeEEEZZNS1_27merge_sort_block_merge_implIS3_N6thrust23THRUST_200600_302600_NS6detail15normal_iteratorINS9_10device_ptrIiEEEEPS5_jNS1_19radix_merge_compareILb1ELb0EiNS0_19identity_decomposerEEEEE10hipError_tT0_T1_T2_jT3_P12ihipStream_tbPNSt15iterator_traitsISK_E10value_typeEPNSQ_ISL_E10value_typeEPSM_NS1_7vsmem_tEENKUlT_SK_SL_SM_E_clISE_PiSF_SF_EESJ_SZ_SK_SL_SM_EUlSZ_E_NS1_11comp_targetILNS1_3genE2ELNS1_11target_archE906ELNS1_3gpuE6ELNS1_3repE0EEENS1_48merge_mergepath_partition_config_static_selectorELNS0_4arch9wavefront6targetE0EEEvSL_ ; -- Begin function _ZN7rocprim17ROCPRIM_400000_NS6detail17trampoline_kernelINS0_14default_configENS1_38merge_sort_block_merge_config_selectorIiNS0_10empty_typeEEEZZNS1_27merge_sort_block_merge_implIS3_N6thrust23THRUST_200600_302600_NS6detail15normal_iteratorINS9_10device_ptrIiEEEEPS5_jNS1_19radix_merge_compareILb1ELb0EiNS0_19identity_decomposerEEEEE10hipError_tT0_T1_T2_jT3_P12ihipStream_tbPNSt15iterator_traitsISK_E10value_typeEPNSQ_ISL_E10value_typeEPSM_NS1_7vsmem_tEENKUlT_SK_SL_SM_E_clISE_PiSF_SF_EESJ_SZ_SK_SL_SM_EUlSZ_E_NS1_11comp_targetILNS1_3genE2ELNS1_11target_archE906ELNS1_3gpuE6ELNS1_3repE0EEENS1_48merge_mergepath_partition_config_static_selectorELNS0_4arch9wavefront6targetE0EEEvSL_
	.globl	_ZN7rocprim17ROCPRIM_400000_NS6detail17trampoline_kernelINS0_14default_configENS1_38merge_sort_block_merge_config_selectorIiNS0_10empty_typeEEEZZNS1_27merge_sort_block_merge_implIS3_N6thrust23THRUST_200600_302600_NS6detail15normal_iteratorINS9_10device_ptrIiEEEEPS5_jNS1_19radix_merge_compareILb1ELb0EiNS0_19identity_decomposerEEEEE10hipError_tT0_T1_T2_jT3_P12ihipStream_tbPNSt15iterator_traitsISK_E10value_typeEPNSQ_ISL_E10value_typeEPSM_NS1_7vsmem_tEENKUlT_SK_SL_SM_E_clISE_PiSF_SF_EESJ_SZ_SK_SL_SM_EUlSZ_E_NS1_11comp_targetILNS1_3genE2ELNS1_11target_archE906ELNS1_3gpuE6ELNS1_3repE0EEENS1_48merge_mergepath_partition_config_static_selectorELNS0_4arch9wavefront6targetE0EEEvSL_
	.p2align	8
	.type	_ZN7rocprim17ROCPRIM_400000_NS6detail17trampoline_kernelINS0_14default_configENS1_38merge_sort_block_merge_config_selectorIiNS0_10empty_typeEEEZZNS1_27merge_sort_block_merge_implIS3_N6thrust23THRUST_200600_302600_NS6detail15normal_iteratorINS9_10device_ptrIiEEEEPS5_jNS1_19radix_merge_compareILb1ELb0EiNS0_19identity_decomposerEEEEE10hipError_tT0_T1_T2_jT3_P12ihipStream_tbPNSt15iterator_traitsISK_E10value_typeEPNSQ_ISL_E10value_typeEPSM_NS1_7vsmem_tEENKUlT_SK_SL_SM_E_clISE_PiSF_SF_EESJ_SZ_SK_SL_SM_EUlSZ_E_NS1_11comp_targetILNS1_3genE2ELNS1_11target_archE906ELNS1_3gpuE6ELNS1_3repE0EEENS1_48merge_mergepath_partition_config_static_selectorELNS0_4arch9wavefront6targetE0EEEvSL_,@function
_ZN7rocprim17ROCPRIM_400000_NS6detail17trampoline_kernelINS0_14default_configENS1_38merge_sort_block_merge_config_selectorIiNS0_10empty_typeEEEZZNS1_27merge_sort_block_merge_implIS3_N6thrust23THRUST_200600_302600_NS6detail15normal_iteratorINS9_10device_ptrIiEEEEPS5_jNS1_19radix_merge_compareILb1ELb0EiNS0_19identity_decomposerEEEEE10hipError_tT0_T1_T2_jT3_P12ihipStream_tbPNSt15iterator_traitsISK_E10value_typeEPNSQ_ISL_E10value_typeEPSM_NS1_7vsmem_tEENKUlT_SK_SL_SM_E_clISE_PiSF_SF_EESJ_SZ_SK_SL_SM_EUlSZ_E_NS1_11comp_targetILNS1_3genE2ELNS1_11target_archE906ELNS1_3gpuE6ELNS1_3repE0EEENS1_48merge_mergepath_partition_config_static_selectorELNS0_4arch9wavefront6targetE0EEEvSL_: ; @_ZN7rocprim17ROCPRIM_400000_NS6detail17trampoline_kernelINS0_14default_configENS1_38merge_sort_block_merge_config_selectorIiNS0_10empty_typeEEEZZNS1_27merge_sort_block_merge_implIS3_N6thrust23THRUST_200600_302600_NS6detail15normal_iteratorINS9_10device_ptrIiEEEEPS5_jNS1_19radix_merge_compareILb1ELb0EiNS0_19identity_decomposerEEEEE10hipError_tT0_T1_T2_jT3_P12ihipStream_tbPNSt15iterator_traitsISK_E10value_typeEPNSQ_ISL_E10value_typeEPSM_NS1_7vsmem_tEENKUlT_SK_SL_SM_E_clISE_PiSF_SF_EESJ_SZ_SK_SL_SM_EUlSZ_E_NS1_11comp_targetILNS1_3genE2ELNS1_11target_archE906ELNS1_3gpuE6ELNS1_3repE0EEENS1_48merge_mergepath_partition_config_static_selectorELNS0_4arch9wavefront6targetE0EEEvSL_
; %bb.0:
	.section	.rodata,"a",@progbits
	.p2align	6, 0x0
	.amdhsa_kernel _ZN7rocprim17ROCPRIM_400000_NS6detail17trampoline_kernelINS0_14default_configENS1_38merge_sort_block_merge_config_selectorIiNS0_10empty_typeEEEZZNS1_27merge_sort_block_merge_implIS3_N6thrust23THRUST_200600_302600_NS6detail15normal_iteratorINS9_10device_ptrIiEEEEPS5_jNS1_19radix_merge_compareILb1ELb0EiNS0_19identity_decomposerEEEEE10hipError_tT0_T1_T2_jT3_P12ihipStream_tbPNSt15iterator_traitsISK_E10value_typeEPNSQ_ISL_E10value_typeEPSM_NS1_7vsmem_tEENKUlT_SK_SL_SM_E_clISE_PiSF_SF_EESJ_SZ_SK_SL_SM_EUlSZ_E_NS1_11comp_targetILNS1_3genE2ELNS1_11target_archE906ELNS1_3gpuE6ELNS1_3repE0EEENS1_48merge_mergepath_partition_config_static_selectorELNS0_4arch9wavefront6targetE0EEEvSL_
		.amdhsa_group_segment_fixed_size 0
		.amdhsa_private_segment_fixed_size 0
		.amdhsa_kernarg_size 40
		.amdhsa_user_sgpr_count 6
		.amdhsa_user_sgpr_private_segment_buffer 1
		.amdhsa_user_sgpr_dispatch_ptr 0
		.amdhsa_user_sgpr_queue_ptr 0
		.amdhsa_user_sgpr_kernarg_segment_ptr 1
		.amdhsa_user_sgpr_dispatch_id 0
		.amdhsa_user_sgpr_flat_scratch_init 0
		.amdhsa_user_sgpr_private_segment_size 0
		.amdhsa_wavefront_size32 1
		.amdhsa_uses_dynamic_stack 0
		.amdhsa_system_sgpr_private_segment_wavefront_offset 0
		.amdhsa_system_sgpr_workgroup_id_x 1
		.amdhsa_system_sgpr_workgroup_id_y 0
		.amdhsa_system_sgpr_workgroup_id_z 0
		.amdhsa_system_sgpr_workgroup_info 0
		.amdhsa_system_vgpr_workitem_id 0
		.amdhsa_next_free_vgpr 1
		.amdhsa_next_free_sgpr 1
		.amdhsa_reserve_vcc 0
		.amdhsa_reserve_flat_scratch 0
		.amdhsa_float_round_mode_32 0
		.amdhsa_float_round_mode_16_64 0
		.amdhsa_float_denorm_mode_32 3
		.amdhsa_float_denorm_mode_16_64 3
		.amdhsa_dx10_clamp 1
		.amdhsa_ieee_mode 1
		.amdhsa_fp16_overflow 0
		.amdhsa_workgroup_processor_mode 1
		.amdhsa_memory_ordered 1
		.amdhsa_forward_progress 1
		.amdhsa_shared_vgpr_count 0
		.amdhsa_exception_fp_ieee_invalid_op 0
		.amdhsa_exception_fp_denorm_src 0
		.amdhsa_exception_fp_ieee_div_zero 0
		.amdhsa_exception_fp_ieee_overflow 0
		.amdhsa_exception_fp_ieee_underflow 0
		.amdhsa_exception_fp_ieee_inexact 0
		.amdhsa_exception_int_div_zero 0
	.end_amdhsa_kernel
	.section	.text._ZN7rocprim17ROCPRIM_400000_NS6detail17trampoline_kernelINS0_14default_configENS1_38merge_sort_block_merge_config_selectorIiNS0_10empty_typeEEEZZNS1_27merge_sort_block_merge_implIS3_N6thrust23THRUST_200600_302600_NS6detail15normal_iteratorINS9_10device_ptrIiEEEEPS5_jNS1_19radix_merge_compareILb1ELb0EiNS0_19identity_decomposerEEEEE10hipError_tT0_T1_T2_jT3_P12ihipStream_tbPNSt15iterator_traitsISK_E10value_typeEPNSQ_ISL_E10value_typeEPSM_NS1_7vsmem_tEENKUlT_SK_SL_SM_E_clISE_PiSF_SF_EESJ_SZ_SK_SL_SM_EUlSZ_E_NS1_11comp_targetILNS1_3genE2ELNS1_11target_archE906ELNS1_3gpuE6ELNS1_3repE0EEENS1_48merge_mergepath_partition_config_static_selectorELNS0_4arch9wavefront6targetE0EEEvSL_,"axG",@progbits,_ZN7rocprim17ROCPRIM_400000_NS6detail17trampoline_kernelINS0_14default_configENS1_38merge_sort_block_merge_config_selectorIiNS0_10empty_typeEEEZZNS1_27merge_sort_block_merge_implIS3_N6thrust23THRUST_200600_302600_NS6detail15normal_iteratorINS9_10device_ptrIiEEEEPS5_jNS1_19radix_merge_compareILb1ELb0EiNS0_19identity_decomposerEEEEE10hipError_tT0_T1_T2_jT3_P12ihipStream_tbPNSt15iterator_traitsISK_E10value_typeEPNSQ_ISL_E10value_typeEPSM_NS1_7vsmem_tEENKUlT_SK_SL_SM_E_clISE_PiSF_SF_EESJ_SZ_SK_SL_SM_EUlSZ_E_NS1_11comp_targetILNS1_3genE2ELNS1_11target_archE906ELNS1_3gpuE6ELNS1_3repE0EEENS1_48merge_mergepath_partition_config_static_selectorELNS0_4arch9wavefront6targetE0EEEvSL_,comdat
.Lfunc_end251:
	.size	_ZN7rocprim17ROCPRIM_400000_NS6detail17trampoline_kernelINS0_14default_configENS1_38merge_sort_block_merge_config_selectorIiNS0_10empty_typeEEEZZNS1_27merge_sort_block_merge_implIS3_N6thrust23THRUST_200600_302600_NS6detail15normal_iteratorINS9_10device_ptrIiEEEEPS5_jNS1_19radix_merge_compareILb1ELb0EiNS0_19identity_decomposerEEEEE10hipError_tT0_T1_T2_jT3_P12ihipStream_tbPNSt15iterator_traitsISK_E10value_typeEPNSQ_ISL_E10value_typeEPSM_NS1_7vsmem_tEENKUlT_SK_SL_SM_E_clISE_PiSF_SF_EESJ_SZ_SK_SL_SM_EUlSZ_E_NS1_11comp_targetILNS1_3genE2ELNS1_11target_archE906ELNS1_3gpuE6ELNS1_3repE0EEENS1_48merge_mergepath_partition_config_static_selectorELNS0_4arch9wavefront6targetE0EEEvSL_, .Lfunc_end251-_ZN7rocprim17ROCPRIM_400000_NS6detail17trampoline_kernelINS0_14default_configENS1_38merge_sort_block_merge_config_selectorIiNS0_10empty_typeEEEZZNS1_27merge_sort_block_merge_implIS3_N6thrust23THRUST_200600_302600_NS6detail15normal_iteratorINS9_10device_ptrIiEEEEPS5_jNS1_19radix_merge_compareILb1ELb0EiNS0_19identity_decomposerEEEEE10hipError_tT0_T1_T2_jT3_P12ihipStream_tbPNSt15iterator_traitsISK_E10value_typeEPNSQ_ISL_E10value_typeEPSM_NS1_7vsmem_tEENKUlT_SK_SL_SM_E_clISE_PiSF_SF_EESJ_SZ_SK_SL_SM_EUlSZ_E_NS1_11comp_targetILNS1_3genE2ELNS1_11target_archE906ELNS1_3gpuE6ELNS1_3repE0EEENS1_48merge_mergepath_partition_config_static_selectorELNS0_4arch9wavefront6targetE0EEEvSL_
                                        ; -- End function
	.set _ZN7rocprim17ROCPRIM_400000_NS6detail17trampoline_kernelINS0_14default_configENS1_38merge_sort_block_merge_config_selectorIiNS0_10empty_typeEEEZZNS1_27merge_sort_block_merge_implIS3_N6thrust23THRUST_200600_302600_NS6detail15normal_iteratorINS9_10device_ptrIiEEEEPS5_jNS1_19radix_merge_compareILb1ELb0EiNS0_19identity_decomposerEEEEE10hipError_tT0_T1_T2_jT3_P12ihipStream_tbPNSt15iterator_traitsISK_E10value_typeEPNSQ_ISL_E10value_typeEPSM_NS1_7vsmem_tEENKUlT_SK_SL_SM_E_clISE_PiSF_SF_EESJ_SZ_SK_SL_SM_EUlSZ_E_NS1_11comp_targetILNS1_3genE2ELNS1_11target_archE906ELNS1_3gpuE6ELNS1_3repE0EEENS1_48merge_mergepath_partition_config_static_selectorELNS0_4arch9wavefront6targetE0EEEvSL_.num_vgpr, 0
	.set _ZN7rocprim17ROCPRIM_400000_NS6detail17trampoline_kernelINS0_14default_configENS1_38merge_sort_block_merge_config_selectorIiNS0_10empty_typeEEEZZNS1_27merge_sort_block_merge_implIS3_N6thrust23THRUST_200600_302600_NS6detail15normal_iteratorINS9_10device_ptrIiEEEEPS5_jNS1_19radix_merge_compareILb1ELb0EiNS0_19identity_decomposerEEEEE10hipError_tT0_T1_T2_jT3_P12ihipStream_tbPNSt15iterator_traitsISK_E10value_typeEPNSQ_ISL_E10value_typeEPSM_NS1_7vsmem_tEENKUlT_SK_SL_SM_E_clISE_PiSF_SF_EESJ_SZ_SK_SL_SM_EUlSZ_E_NS1_11comp_targetILNS1_3genE2ELNS1_11target_archE906ELNS1_3gpuE6ELNS1_3repE0EEENS1_48merge_mergepath_partition_config_static_selectorELNS0_4arch9wavefront6targetE0EEEvSL_.num_agpr, 0
	.set _ZN7rocprim17ROCPRIM_400000_NS6detail17trampoline_kernelINS0_14default_configENS1_38merge_sort_block_merge_config_selectorIiNS0_10empty_typeEEEZZNS1_27merge_sort_block_merge_implIS3_N6thrust23THRUST_200600_302600_NS6detail15normal_iteratorINS9_10device_ptrIiEEEEPS5_jNS1_19radix_merge_compareILb1ELb0EiNS0_19identity_decomposerEEEEE10hipError_tT0_T1_T2_jT3_P12ihipStream_tbPNSt15iterator_traitsISK_E10value_typeEPNSQ_ISL_E10value_typeEPSM_NS1_7vsmem_tEENKUlT_SK_SL_SM_E_clISE_PiSF_SF_EESJ_SZ_SK_SL_SM_EUlSZ_E_NS1_11comp_targetILNS1_3genE2ELNS1_11target_archE906ELNS1_3gpuE6ELNS1_3repE0EEENS1_48merge_mergepath_partition_config_static_selectorELNS0_4arch9wavefront6targetE0EEEvSL_.numbered_sgpr, 0
	.set _ZN7rocprim17ROCPRIM_400000_NS6detail17trampoline_kernelINS0_14default_configENS1_38merge_sort_block_merge_config_selectorIiNS0_10empty_typeEEEZZNS1_27merge_sort_block_merge_implIS3_N6thrust23THRUST_200600_302600_NS6detail15normal_iteratorINS9_10device_ptrIiEEEEPS5_jNS1_19radix_merge_compareILb1ELb0EiNS0_19identity_decomposerEEEEE10hipError_tT0_T1_T2_jT3_P12ihipStream_tbPNSt15iterator_traitsISK_E10value_typeEPNSQ_ISL_E10value_typeEPSM_NS1_7vsmem_tEENKUlT_SK_SL_SM_E_clISE_PiSF_SF_EESJ_SZ_SK_SL_SM_EUlSZ_E_NS1_11comp_targetILNS1_3genE2ELNS1_11target_archE906ELNS1_3gpuE6ELNS1_3repE0EEENS1_48merge_mergepath_partition_config_static_selectorELNS0_4arch9wavefront6targetE0EEEvSL_.num_named_barrier, 0
	.set _ZN7rocprim17ROCPRIM_400000_NS6detail17trampoline_kernelINS0_14default_configENS1_38merge_sort_block_merge_config_selectorIiNS0_10empty_typeEEEZZNS1_27merge_sort_block_merge_implIS3_N6thrust23THRUST_200600_302600_NS6detail15normal_iteratorINS9_10device_ptrIiEEEEPS5_jNS1_19radix_merge_compareILb1ELb0EiNS0_19identity_decomposerEEEEE10hipError_tT0_T1_T2_jT3_P12ihipStream_tbPNSt15iterator_traitsISK_E10value_typeEPNSQ_ISL_E10value_typeEPSM_NS1_7vsmem_tEENKUlT_SK_SL_SM_E_clISE_PiSF_SF_EESJ_SZ_SK_SL_SM_EUlSZ_E_NS1_11comp_targetILNS1_3genE2ELNS1_11target_archE906ELNS1_3gpuE6ELNS1_3repE0EEENS1_48merge_mergepath_partition_config_static_selectorELNS0_4arch9wavefront6targetE0EEEvSL_.private_seg_size, 0
	.set _ZN7rocprim17ROCPRIM_400000_NS6detail17trampoline_kernelINS0_14default_configENS1_38merge_sort_block_merge_config_selectorIiNS0_10empty_typeEEEZZNS1_27merge_sort_block_merge_implIS3_N6thrust23THRUST_200600_302600_NS6detail15normal_iteratorINS9_10device_ptrIiEEEEPS5_jNS1_19radix_merge_compareILb1ELb0EiNS0_19identity_decomposerEEEEE10hipError_tT0_T1_T2_jT3_P12ihipStream_tbPNSt15iterator_traitsISK_E10value_typeEPNSQ_ISL_E10value_typeEPSM_NS1_7vsmem_tEENKUlT_SK_SL_SM_E_clISE_PiSF_SF_EESJ_SZ_SK_SL_SM_EUlSZ_E_NS1_11comp_targetILNS1_3genE2ELNS1_11target_archE906ELNS1_3gpuE6ELNS1_3repE0EEENS1_48merge_mergepath_partition_config_static_selectorELNS0_4arch9wavefront6targetE0EEEvSL_.uses_vcc, 0
	.set _ZN7rocprim17ROCPRIM_400000_NS6detail17trampoline_kernelINS0_14default_configENS1_38merge_sort_block_merge_config_selectorIiNS0_10empty_typeEEEZZNS1_27merge_sort_block_merge_implIS3_N6thrust23THRUST_200600_302600_NS6detail15normal_iteratorINS9_10device_ptrIiEEEEPS5_jNS1_19radix_merge_compareILb1ELb0EiNS0_19identity_decomposerEEEEE10hipError_tT0_T1_T2_jT3_P12ihipStream_tbPNSt15iterator_traitsISK_E10value_typeEPNSQ_ISL_E10value_typeEPSM_NS1_7vsmem_tEENKUlT_SK_SL_SM_E_clISE_PiSF_SF_EESJ_SZ_SK_SL_SM_EUlSZ_E_NS1_11comp_targetILNS1_3genE2ELNS1_11target_archE906ELNS1_3gpuE6ELNS1_3repE0EEENS1_48merge_mergepath_partition_config_static_selectorELNS0_4arch9wavefront6targetE0EEEvSL_.uses_flat_scratch, 0
	.set _ZN7rocprim17ROCPRIM_400000_NS6detail17trampoline_kernelINS0_14default_configENS1_38merge_sort_block_merge_config_selectorIiNS0_10empty_typeEEEZZNS1_27merge_sort_block_merge_implIS3_N6thrust23THRUST_200600_302600_NS6detail15normal_iteratorINS9_10device_ptrIiEEEEPS5_jNS1_19radix_merge_compareILb1ELb0EiNS0_19identity_decomposerEEEEE10hipError_tT0_T1_T2_jT3_P12ihipStream_tbPNSt15iterator_traitsISK_E10value_typeEPNSQ_ISL_E10value_typeEPSM_NS1_7vsmem_tEENKUlT_SK_SL_SM_E_clISE_PiSF_SF_EESJ_SZ_SK_SL_SM_EUlSZ_E_NS1_11comp_targetILNS1_3genE2ELNS1_11target_archE906ELNS1_3gpuE6ELNS1_3repE0EEENS1_48merge_mergepath_partition_config_static_selectorELNS0_4arch9wavefront6targetE0EEEvSL_.has_dyn_sized_stack, 0
	.set _ZN7rocprim17ROCPRIM_400000_NS6detail17trampoline_kernelINS0_14default_configENS1_38merge_sort_block_merge_config_selectorIiNS0_10empty_typeEEEZZNS1_27merge_sort_block_merge_implIS3_N6thrust23THRUST_200600_302600_NS6detail15normal_iteratorINS9_10device_ptrIiEEEEPS5_jNS1_19radix_merge_compareILb1ELb0EiNS0_19identity_decomposerEEEEE10hipError_tT0_T1_T2_jT3_P12ihipStream_tbPNSt15iterator_traitsISK_E10value_typeEPNSQ_ISL_E10value_typeEPSM_NS1_7vsmem_tEENKUlT_SK_SL_SM_E_clISE_PiSF_SF_EESJ_SZ_SK_SL_SM_EUlSZ_E_NS1_11comp_targetILNS1_3genE2ELNS1_11target_archE906ELNS1_3gpuE6ELNS1_3repE0EEENS1_48merge_mergepath_partition_config_static_selectorELNS0_4arch9wavefront6targetE0EEEvSL_.has_recursion, 0
	.set _ZN7rocprim17ROCPRIM_400000_NS6detail17trampoline_kernelINS0_14default_configENS1_38merge_sort_block_merge_config_selectorIiNS0_10empty_typeEEEZZNS1_27merge_sort_block_merge_implIS3_N6thrust23THRUST_200600_302600_NS6detail15normal_iteratorINS9_10device_ptrIiEEEEPS5_jNS1_19radix_merge_compareILb1ELb0EiNS0_19identity_decomposerEEEEE10hipError_tT0_T1_T2_jT3_P12ihipStream_tbPNSt15iterator_traitsISK_E10value_typeEPNSQ_ISL_E10value_typeEPSM_NS1_7vsmem_tEENKUlT_SK_SL_SM_E_clISE_PiSF_SF_EESJ_SZ_SK_SL_SM_EUlSZ_E_NS1_11comp_targetILNS1_3genE2ELNS1_11target_archE906ELNS1_3gpuE6ELNS1_3repE0EEENS1_48merge_mergepath_partition_config_static_selectorELNS0_4arch9wavefront6targetE0EEEvSL_.has_indirect_call, 0
	.section	.AMDGPU.csdata,"",@progbits
; Kernel info:
; codeLenInByte = 0
; TotalNumSgprs: 0
; NumVgprs: 0
; ScratchSize: 0
; MemoryBound: 0
; FloatMode: 240
; IeeeMode: 1
; LDSByteSize: 0 bytes/workgroup (compile time only)
; SGPRBlocks: 0
; VGPRBlocks: 0
; NumSGPRsForWavesPerEU: 1
; NumVGPRsForWavesPerEU: 1
; Occupancy: 16
; WaveLimiterHint : 0
; COMPUTE_PGM_RSRC2:SCRATCH_EN: 0
; COMPUTE_PGM_RSRC2:USER_SGPR: 6
; COMPUTE_PGM_RSRC2:TRAP_HANDLER: 0
; COMPUTE_PGM_RSRC2:TGID_X_EN: 1
; COMPUTE_PGM_RSRC2:TGID_Y_EN: 0
; COMPUTE_PGM_RSRC2:TGID_Z_EN: 0
; COMPUTE_PGM_RSRC2:TIDIG_COMP_CNT: 0
	.section	.text._ZN7rocprim17ROCPRIM_400000_NS6detail17trampoline_kernelINS0_14default_configENS1_38merge_sort_block_merge_config_selectorIiNS0_10empty_typeEEEZZNS1_27merge_sort_block_merge_implIS3_N6thrust23THRUST_200600_302600_NS6detail15normal_iteratorINS9_10device_ptrIiEEEEPS5_jNS1_19radix_merge_compareILb1ELb0EiNS0_19identity_decomposerEEEEE10hipError_tT0_T1_T2_jT3_P12ihipStream_tbPNSt15iterator_traitsISK_E10value_typeEPNSQ_ISL_E10value_typeEPSM_NS1_7vsmem_tEENKUlT_SK_SL_SM_E_clISE_PiSF_SF_EESJ_SZ_SK_SL_SM_EUlSZ_E_NS1_11comp_targetILNS1_3genE9ELNS1_11target_archE1100ELNS1_3gpuE3ELNS1_3repE0EEENS1_48merge_mergepath_partition_config_static_selectorELNS0_4arch9wavefront6targetE0EEEvSL_,"axG",@progbits,_ZN7rocprim17ROCPRIM_400000_NS6detail17trampoline_kernelINS0_14default_configENS1_38merge_sort_block_merge_config_selectorIiNS0_10empty_typeEEEZZNS1_27merge_sort_block_merge_implIS3_N6thrust23THRUST_200600_302600_NS6detail15normal_iteratorINS9_10device_ptrIiEEEEPS5_jNS1_19radix_merge_compareILb1ELb0EiNS0_19identity_decomposerEEEEE10hipError_tT0_T1_T2_jT3_P12ihipStream_tbPNSt15iterator_traitsISK_E10value_typeEPNSQ_ISL_E10value_typeEPSM_NS1_7vsmem_tEENKUlT_SK_SL_SM_E_clISE_PiSF_SF_EESJ_SZ_SK_SL_SM_EUlSZ_E_NS1_11comp_targetILNS1_3genE9ELNS1_11target_archE1100ELNS1_3gpuE3ELNS1_3repE0EEENS1_48merge_mergepath_partition_config_static_selectorELNS0_4arch9wavefront6targetE0EEEvSL_,comdat
	.protected	_ZN7rocprim17ROCPRIM_400000_NS6detail17trampoline_kernelINS0_14default_configENS1_38merge_sort_block_merge_config_selectorIiNS0_10empty_typeEEEZZNS1_27merge_sort_block_merge_implIS3_N6thrust23THRUST_200600_302600_NS6detail15normal_iteratorINS9_10device_ptrIiEEEEPS5_jNS1_19radix_merge_compareILb1ELb0EiNS0_19identity_decomposerEEEEE10hipError_tT0_T1_T2_jT3_P12ihipStream_tbPNSt15iterator_traitsISK_E10value_typeEPNSQ_ISL_E10value_typeEPSM_NS1_7vsmem_tEENKUlT_SK_SL_SM_E_clISE_PiSF_SF_EESJ_SZ_SK_SL_SM_EUlSZ_E_NS1_11comp_targetILNS1_3genE9ELNS1_11target_archE1100ELNS1_3gpuE3ELNS1_3repE0EEENS1_48merge_mergepath_partition_config_static_selectorELNS0_4arch9wavefront6targetE0EEEvSL_ ; -- Begin function _ZN7rocprim17ROCPRIM_400000_NS6detail17trampoline_kernelINS0_14default_configENS1_38merge_sort_block_merge_config_selectorIiNS0_10empty_typeEEEZZNS1_27merge_sort_block_merge_implIS3_N6thrust23THRUST_200600_302600_NS6detail15normal_iteratorINS9_10device_ptrIiEEEEPS5_jNS1_19radix_merge_compareILb1ELb0EiNS0_19identity_decomposerEEEEE10hipError_tT0_T1_T2_jT3_P12ihipStream_tbPNSt15iterator_traitsISK_E10value_typeEPNSQ_ISL_E10value_typeEPSM_NS1_7vsmem_tEENKUlT_SK_SL_SM_E_clISE_PiSF_SF_EESJ_SZ_SK_SL_SM_EUlSZ_E_NS1_11comp_targetILNS1_3genE9ELNS1_11target_archE1100ELNS1_3gpuE3ELNS1_3repE0EEENS1_48merge_mergepath_partition_config_static_selectorELNS0_4arch9wavefront6targetE0EEEvSL_
	.globl	_ZN7rocprim17ROCPRIM_400000_NS6detail17trampoline_kernelINS0_14default_configENS1_38merge_sort_block_merge_config_selectorIiNS0_10empty_typeEEEZZNS1_27merge_sort_block_merge_implIS3_N6thrust23THRUST_200600_302600_NS6detail15normal_iteratorINS9_10device_ptrIiEEEEPS5_jNS1_19radix_merge_compareILb1ELb0EiNS0_19identity_decomposerEEEEE10hipError_tT0_T1_T2_jT3_P12ihipStream_tbPNSt15iterator_traitsISK_E10value_typeEPNSQ_ISL_E10value_typeEPSM_NS1_7vsmem_tEENKUlT_SK_SL_SM_E_clISE_PiSF_SF_EESJ_SZ_SK_SL_SM_EUlSZ_E_NS1_11comp_targetILNS1_3genE9ELNS1_11target_archE1100ELNS1_3gpuE3ELNS1_3repE0EEENS1_48merge_mergepath_partition_config_static_selectorELNS0_4arch9wavefront6targetE0EEEvSL_
	.p2align	8
	.type	_ZN7rocprim17ROCPRIM_400000_NS6detail17trampoline_kernelINS0_14default_configENS1_38merge_sort_block_merge_config_selectorIiNS0_10empty_typeEEEZZNS1_27merge_sort_block_merge_implIS3_N6thrust23THRUST_200600_302600_NS6detail15normal_iteratorINS9_10device_ptrIiEEEEPS5_jNS1_19radix_merge_compareILb1ELb0EiNS0_19identity_decomposerEEEEE10hipError_tT0_T1_T2_jT3_P12ihipStream_tbPNSt15iterator_traitsISK_E10value_typeEPNSQ_ISL_E10value_typeEPSM_NS1_7vsmem_tEENKUlT_SK_SL_SM_E_clISE_PiSF_SF_EESJ_SZ_SK_SL_SM_EUlSZ_E_NS1_11comp_targetILNS1_3genE9ELNS1_11target_archE1100ELNS1_3gpuE3ELNS1_3repE0EEENS1_48merge_mergepath_partition_config_static_selectorELNS0_4arch9wavefront6targetE0EEEvSL_,@function
_ZN7rocprim17ROCPRIM_400000_NS6detail17trampoline_kernelINS0_14default_configENS1_38merge_sort_block_merge_config_selectorIiNS0_10empty_typeEEEZZNS1_27merge_sort_block_merge_implIS3_N6thrust23THRUST_200600_302600_NS6detail15normal_iteratorINS9_10device_ptrIiEEEEPS5_jNS1_19radix_merge_compareILb1ELb0EiNS0_19identity_decomposerEEEEE10hipError_tT0_T1_T2_jT3_P12ihipStream_tbPNSt15iterator_traitsISK_E10value_typeEPNSQ_ISL_E10value_typeEPSM_NS1_7vsmem_tEENKUlT_SK_SL_SM_E_clISE_PiSF_SF_EESJ_SZ_SK_SL_SM_EUlSZ_E_NS1_11comp_targetILNS1_3genE9ELNS1_11target_archE1100ELNS1_3gpuE3ELNS1_3repE0EEENS1_48merge_mergepath_partition_config_static_selectorELNS0_4arch9wavefront6targetE0EEEvSL_: ; @_ZN7rocprim17ROCPRIM_400000_NS6detail17trampoline_kernelINS0_14default_configENS1_38merge_sort_block_merge_config_selectorIiNS0_10empty_typeEEEZZNS1_27merge_sort_block_merge_implIS3_N6thrust23THRUST_200600_302600_NS6detail15normal_iteratorINS9_10device_ptrIiEEEEPS5_jNS1_19radix_merge_compareILb1ELb0EiNS0_19identity_decomposerEEEEE10hipError_tT0_T1_T2_jT3_P12ihipStream_tbPNSt15iterator_traitsISK_E10value_typeEPNSQ_ISL_E10value_typeEPSM_NS1_7vsmem_tEENKUlT_SK_SL_SM_E_clISE_PiSF_SF_EESJ_SZ_SK_SL_SM_EUlSZ_E_NS1_11comp_targetILNS1_3genE9ELNS1_11target_archE1100ELNS1_3gpuE3ELNS1_3repE0EEENS1_48merge_mergepath_partition_config_static_selectorELNS0_4arch9wavefront6targetE0EEEvSL_
; %bb.0:
	.section	.rodata,"a",@progbits
	.p2align	6, 0x0
	.amdhsa_kernel _ZN7rocprim17ROCPRIM_400000_NS6detail17trampoline_kernelINS0_14default_configENS1_38merge_sort_block_merge_config_selectorIiNS0_10empty_typeEEEZZNS1_27merge_sort_block_merge_implIS3_N6thrust23THRUST_200600_302600_NS6detail15normal_iteratorINS9_10device_ptrIiEEEEPS5_jNS1_19radix_merge_compareILb1ELb0EiNS0_19identity_decomposerEEEEE10hipError_tT0_T1_T2_jT3_P12ihipStream_tbPNSt15iterator_traitsISK_E10value_typeEPNSQ_ISL_E10value_typeEPSM_NS1_7vsmem_tEENKUlT_SK_SL_SM_E_clISE_PiSF_SF_EESJ_SZ_SK_SL_SM_EUlSZ_E_NS1_11comp_targetILNS1_3genE9ELNS1_11target_archE1100ELNS1_3gpuE3ELNS1_3repE0EEENS1_48merge_mergepath_partition_config_static_selectorELNS0_4arch9wavefront6targetE0EEEvSL_
		.amdhsa_group_segment_fixed_size 0
		.amdhsa_private_segment_fixed_size 0
		.amdhsa_kernarg_size 40
		.amdhsa_user_sgpr_count 6
		.amdhsa_user_sgpr_private_segment_buffer 1
		.amdhsa_user_sgpr_dispatch_ptr 0
		.amdhsa_user_sgpr_queue_ptr 0
		.amdhsa_user_sgpr_kernarg_segment_ptr 1
		.amdhsa_user_sgpr_dispatch_id 0
		.amdhsa_user_sgpr_flat_scratch_init 0
		.amdhsa_user_sgpr_private_segment_size 0
		.amdhsa_wavefront_size32 1
		.amdhsa_uses_dynamic_stack 0
		.amdhsa_system_sgpr_private_segment_wavefront_offset 0
		.amdhsa_system_sgpr_workgroup_id_x 1
		.amdhsa_system_sgpr_workgroup_id_y 0
		.amdhsa_system_sgpr_workgroup_id_z 0
		.amdhsa_system_sgpr_workgroup_info 0
		.amdhsa_system_vgpr_workitem_id 0
		.amdhsa_next_free_vgpr 1
		.amdhsa_next_free_sgpr 1
		.amdhsa_reserve_vcc 0
		.amdhsa_reserve_flat_scratch 0
		.amdhsa_float_round_mode_32 0
		.amdhsa_float_round_mode_16_64 0
		.amdhsa_float_denorm_mode_32 3
		.amdhsa_float_denorm_mode_16_64 3
		.amdhsa_dx10_clamp 1
		.amdhsa_ieee_mode 1
		.amdhsa_fp16_overflow 0
		.amdhsa_workgroup_processor_mode 1
		.amdhsa_memory_ordered 1
		.amdhsa_forward_progress 1
		.amdhsa_shared_vgpr_count 0
		.amdhsa_exception_fp_ieee_invalid_op 0
		.amdhsa_exception_fp_denorm_src 0
		.amdhsa_exception_fp_ieee_div_zero 0
		.amdhsa_exception_fp_ieee_overflow 0
		.amdhsa_exception_fp_ieee_underflow 0
		.amdhsa_exception_fp_ieee_inexact 0
		.amdhsa_exception_int_div_zero 0
	.end_amdhsa_kernel
	.section	.text._ZN7rocprim17ROCPRIM_400000_NS6detail17trampoline_kernelINS0_14default_configENS1_38merge_sort_block_merge_config_selectorIiNS0_10empty_typeEEEZZNS1_27merge_sort_block_merge_implIS3_N6thrust23THRUST_200600_302600_NS6detail15normal_iteratorINS9_10device_ptrIiEEEEPS5_jNS1_19radix_merge_compareILb1ELb0EiNS0_19identity_decomposerEEEEE10hipError_tT0_T1_T2_jT3_P12ihipStream_tbPNSt15iterator_traitsISK_E10value_typeEPNSQ_ISL_E10value_typeEPSM_NS1_7vsmem_tEENKUlT_SK_SL_SM_E_clISE_PiSF_SF_EESJ_SZ_SK_SL_SM_EUlSZ_E_NS1_11comp_targetILNS1_3genE9ELNS1_11target_archE1100ELNS1_3gpuE3ELNS1_3repE0EEENS1_48merge_mergepath_partition_config_static_selectorELNS0_4arch9wavefront6targetE0EEEvSL_,"axG",@progbits,_ZN7rocprim17ROCPRIM_400000_NS6detail17trampoline_kernelINS0_14default_configENS1_38merge_sort_block_merge_config_selectorIiNS0_10empty_typeEEEZZNS1_27merge_sort_block_merge_implIS3_N6thrust23THRUST_200600_302600_NS6detail15normal_iteratorINS9_10device_ptrIiEEEEPS5_jNS1_19radix_merge_compareILb1ELb0EiNS0_19identity_decomposerEEEEE10hipError_tT0_T1_T2_jT3_P12ihipStream_tbPNSt15iterator_traitsISK_E10value_typeEPNSQ_ISL_E10value_typeEPSM_NS1_7vsmem_tEENKUlT_SK_SL_SM_E_clISE_PiSF_SF_EESJ_SZ_SK_SL_SM_EUlSZ_E_NS1_11comp_targetILNS1_3genE9ELNS1_11target_archE1100ELNS1_3gpuE3ELNS1_3repE0EEENS1_48merge_mergepath_partition_config_static_selectorELNS0_4arch9wavefront6targetE0EEEvSL_,comdat
.Lfunc_end252:
	.size	_ZN7rocprim17ROCPRIM_400000_NS6detail17trampoline_kernelINS0_14default_configENS1_38merge_sort_block_merge_config_selectorIiNS0_10empty_typeEEEZZNS1_27merge_sort_block_merge_implIS3_N6thrust23THRUST_200600_302600_NS6detail15normal_iteratorINS9_10device_ptrIiEEEEPS5_jNS1_19radix_merge_compareILb1ELb0EiNS0_19identity_decomposerEEEEE10hipError_tT0_T1_T2_jT3_P12ihipStream_tbPNSt15iterator_traitsISK_E10value_typeEPNSQ_ISL_E10value_typeEPSM_NS1_7vsmem_tEENKUlT_SK_SL_SM_E_clISE_PiSF_SF_EESJ_SZ_SK_SL_SM_EUlSZ_E_NS1_11comp_targetILNS1_3genE9ELNS1_11target_archE1100ELNS1_3gpuE3ELNS1_3repE0EEENS1_48merge_mergepath_partition_config_static_selectorELNS0_4arch9wavefront6targetE0EEEvSL_, .Lfunc_end252-_ZN7rocprim17ROCPRIM_400000_NS6detail17trampoline_kernelINS0_14default_configENS1_38merge_sort_block_merge_config_selectorIiNS0_10empty_typeEEEZZNS1_27merge_sort_block_merge_implIS3_N6thrust23THRUST_200600_302600_NS6detail15normal_iteratorINS9_10device_ptrIiEEEEPS5_jNS1_19radix_merge_compareILb1ELb0EiNS0_19identity_decomposerEEEEE10hipError_tT0_T1_T2_jT3_P12ihipStream_tbPNSt15iterator_traitsISK_E10value_typeEPNSQ_ISL_E10value_typeEPSM_NS1_7vsmem_tEENKUlT_SK_SL_SM_E_clISE_PiSF_SF_EESJ_SZ_SK_SL_SM_EUlSZ_E_NS1_11comp_targetILNS1_3genE9ELNS1_11target_archE1100ELNS1_3gpuE3ELNS1_3repE0EEENS1_48merge_mergepath_partition_config_static_selectorELNS0_4arch9wavefront6targetE0EEEvSL_
                                        ; -- End function
	.set _ZN7rocprim17ROCPRIM_400000_NS6detail17trampoline_kernelINS0_14default_configENS1_38merge_sort_block_merge_config_selectorIiNS0_10empty_typeEEEZZNS1_27merge_sort_block_merge_implIS3_N6thrust23THRUST_200600_302600_NS6detail15normal_iteratorINS9_10device_ptrIiEEEEPS5_jNS1_19radix_merge_compareILb1ELb0EiNS0_19identity_decomposerEEEEE10hipError_tT0_T1_T2_jT3_P12ihipStream_tbPNSt15iterator_traitsISK_E10value_typeEPNSQ_ISL_E10value_typeEPSM_NS1_7vsmem_tEENKUlT_SK_SL_SM_E_clISE_PiSF_SF_EESJ_SZ_SK_SL_SM_EUlSZ_E_NS1_11comp_targetILNS1_3genE9ELNS1_11target_archE1100ELNS1_3gpuE3ELNS1_3repE0EEENS1_48merge_mergepath_partition_config_static_selectorELNS0_4arch9wavefront6targetE0EEEvSL_.num_vgpr, 0
	.set _ZN7rocprim17ROCPRIM_400000_NS6detail17trampoline_kernelINS0_14default_configENS1_38merge_sort_block_merge_config_selectorIiNS0_10empty_typeEEEZZNS1_27merge_sort_block_merge_implIS3_N6thrust23THRUST_200600_302600_NS6detail15normal_iteratorINS9_10device_ptrIiEEEEPS5_jNS1_19radix_merge_compareILb1ELb0EiNS0_19identity_decomposerEEEEE10hipError_tT0_T1_T2_jT3_P12ihipStream_tbPNSt15iterator_traitsISK_E10value_typeEPNSQ_ISL_E10value_typeEPSM_NS1_7vsmem_tEENKUlT_SK_SL_SM_E_clISE_PiSF_SF_EESJ_SZ_SK_SL_SM_EUlSZ_E_NS1_11comp_targetILNS1_3genE9ELNS1_11target_archE1100ELNS1_3gpuE3ELNS1_3repE0EEENS1_48merge_mergepath_partition_config_static_selectorELNS0_4arch9wavefront6targetE0EEEvSL_.num_agpr, 0
	.set _ZN7rocprim17ROCPRIM_400000_NS6detail17trampoline_kernelINS0_14default_configENS1_38merge_sort_block_merge_config_selectorIiNS0_10empty_typeEEEZZNS1_27merge_sort_block_merge_implIS3_N6thrust23THRUST_200600_302600_NS6detail15normal_iteratorINS9_10device_ptrIiEEEEPS5_jNS1_19radix_merge_compareILb1ELb0EiNS0_19identity_decomposerEEEEE10hipError_tT0_T1_T2_jT3_P12ihipStream_tbPNSt15iterator_traitsISK_E10value_typeEPNSQ_ISL_E10value_typeEPSM_NS1_7vsmem_tEENKUlT_SK_SL_SM_E_clISE_PiSF_SF_EESJ_SZ_SK_SL_SM_EUlSZ_E_NS1_11comp_targetILNS1_3genE9ELNS1_11target_archE1100ELNS1_3gpuE3ELNS1_3repE0EEENS1_48merge_mergepath_partition_config_static_selectorELNS0_4arch9wavefront6targetE0EEEvSL_.numbered_sgpr, 0
	.set _ZN7rocprim17ROCPRIM_400000_NS6detail17trampoline_kernelINS0_14default_configENS1_38merge_sort_block_merge_config_selectorIiNS0_10empty_typeEEEZZNS1_27merge_sort_block_merge_implIS3_N6thrust23THRUST_200600_302600_NS6detail15normal_iteratorINS9_10device_ptrIiEEEEPS5_jNS1_19radix_merge_compareILb1ELb0EiNS0_19identity_decomposerEEEEE10hipError_tT0_T1_T2_jT3_P12ihipStream_tbPNSt15iterator_traitsISK_E10value_typeEPNSQ_ISL_E10value_typeEPSM_NS1_7vsmem_tEENKUlT_SK_SL_SM_E_clISE_PiSF_SF_EESJ_SZ_SK_SL_SM_EUlSZ_E_NS1_11comp_targetILNS1_3genE9ELNS1_11target_archE1100ELNS1_3gpuE3ELNS1_3repE0EEENS1_48merge_mergepath_partition_config_static_selectorELNS0_4arch9wavefront6targetE0EEEvSL_.num_named_barrier, 0
	.set _ZN7rocprim17ROCPRIM_400000_NS6detail17trampoline_kernelINS0_14default_configENS1_38merge_sort_block_merge_config_selectorIiNS0_10empty_typeEEEZZNS1_27merge_sort_block_merge_implIS3_N6thrust23THRUST_200600_302600_NS6detail15normal_iteratorINS9_10device_ptrIiEEEEPS5_jNS1_19radix_merge_compareILb1ELb0EiNS0_19identity_decomposerEEEEE10hipError_tT0_T1_T2_jT3_P12ihipStream_tbPNSt15iterator_traitsISK_E10value_typeEPNSQ_ISL_E10value_typeEPSM_NS1_7vsmem_tEENKUlT_SK_SL_SM_E_clISE_PiSF_SF_EESJ_SZ_SK_SL_SM_EUlSZ_E_NS1_11comp_targetILNS1_3genE9ELNS1_11target_archE1100ELNS1_3gpuE3ELNS1_3repE0EEENS1_48merge_mergepath_partition_config_static_selectorELNS0_4arch9wavefront6targetE0EEEvSL_.private_seg_size, 0
	.set _ZN7rocprim17ROCPRIM_400000_NS6detail17trampoline_kernelINS0_14default_configENS1_38merge_sort_block_merge_config_selectorIiNS0_10empty_typeEEEZZNS1_27merge_sort_block_merge_implIS3_N6thrust23THRUST_200600_302600_NS6detail15normal_iteratorINS9_10device_ptrIiEEEEPS5_jNS1_19radix_merge_compareILb1ELb0EiNS0_19identity_decomposerEEEEE10hipError_tT0_T1_T2_jT3_P12ihipStream_tbPNSt15iterator_traitsISK_E10value_typeEPNSQ_ISL_E10value_typeEPSM_NS1_7vsmem_tEENKUlT_SK_SL_SM_E_clISE_PiSF_SF_EESJ_SZ_SK_SL_SM_EUlSZ_E_NS1_11comp_targetILNS1_3genE9ELNS1_11target_archE1100ELNS1_3gpuE3ELNS1_3repE0EEENS1_48merge_mergepath_partition_config_static_selectorELNS0_4arch9wavefront6targetE0EEEvSL_.uses_vcc, 0
	.set _ZN7rocprim17ROCPRIM_400000_NS6detail17trampoline_kernelINS0_14default_configENS1_38merge_sort_block_merge_config_selectorIiNS0_10empty_typeEEEZZNS1_27merge_sort_block_merge_implIS3_N6thrust23THRUST_200600_302600_NS6detail15normal_iteratorINS9_10device_ptrIiEEEEPS5_jNS1_19radix_merge_compareILb1ELb0EiNS0_19identity_decomposerEEEEE10hipError_tT0_T1_T2_jT3_P12ihipStream_tbPNSt15iterator_traitsISK_E10value_typeEPNSQ_ISL_E10value_typeEPSM_NS1_7vsmem_tEENKUlT_SK_SL_SM_E_clISE_PiSF_SF_EESJ_SZ_SK_SL_SM_EUlSZ_E_NS1_11comp_targetILNS1_3genE9ELNS1_11target_archE1100ELNS1_3gpuE3ELNS1_3repE0EEENS1_48merge_mergepath_partition_config_static_selectorELNS0_4arch9wavefront6targetE0EEEvSL_.uses_flat_scratch, 0
	.set _ZN7rocprim17ROCPRIM_400000_NS6detail17trampoline_kernelINS0_14default_configENS1_38merge_sort_block_merge_config_selectorIiNS0_10empty_typeEEEZZNS1_27merge_sort_block_merge_implIS3_N6thrust23THRUST_200600_302600_NS6detail15normal_iteratorINS9_10device_ptrIiEEEEPS5_jNS1_19radix_merge_compareILb1ELb0EiNS0_19identity_decomposerEEEEE10hipError_tT0_T1_T2_jT3_P12ihipStream_tbPNSt15iterator_traitsISK_E10value_typeEPNSQ_ISL_E10value_typeEPSM_NS1_7vsmem_tEENKUlT_SK_SL_SM_E_clISE_PiSF_SF_EESJ_SZ_SK_SL_SM_EUlSZ_E_NS1_11comp_targetILNS1_3genE9ELNS1_11target_archE1100ELNS1_3gpuE3ELNS1_3repE0EEENS1_48merge_mergepath_partition_config_static_selectorELNS0_4arch9wavefront6targetE0EEEvSL_.has_dyn_sized_stack, 0
	.set _ZN7rocprim17ROCPRIM_400000_NS6detail17trampoline_kernelINS0_14default_configENS1_38merge_sort_block_merge_config_selectorIiNS0_10empty_typeEEEZZNS1_27merge_sort_block_merge_implIS3_N6thrust23THRUST_200600_302600_NS6detail15normal_iteratorINS9_10device_ptrIiEEEEPS5_jNS1_19radix_merge_compareILb1ELb0EiNS0_19identity_decomposerEEEEE10hipError_tT0_T1_T2_jT3_P12ihipStream_tbPNSt15iterator_traitsISK_E10value_typeEPNSQ_ISL_E10value_typeEPSM_NS1_7vsmem_tEENKUlT_SK_SL_SM_E_clISE_PiSF_SF_EESJ_SZ_SK_SL_SM_EUlSZ_E_NS1_11comp_targetILNS1_3genE9ELNS1_11target_archE1100ELNS1_3gpuE3ELNS1_3repE0EEENS1_48merge_mergepath_partition_config_static_selectorELNS0_4arch9wavefront6targetE0EEEvSL_.has_recursion, 0
	.set _ZN7rocprim17ROCPRIM_400000_NS6detail17trampoline_kernelINS0_14default_configENS1_38merge_sort_block_merge_config_selectorIiNS0_10empty_typeEEEZZNS1_27merge_sort_block_merge_implIS3_N6thrust23THRUST_200600_302600_NS6detail15normal_iteratorINS9_10device_ptrIiEEEEPS5_jNS1_19radix_merge_compareILb1ELb0EiNS0_19identity_decomposerEEEEE10hipError_tT0_T1_T2_jT3_P12ihipStream_tbPNSt15iterator_traitsISK_E10value_typeEPNSQ_ISL_E10value_typeEPSM_NS1_7vsmem_tEENKUlT_SK_SL_SM_E_clISE_PiSF_SF_EESJ_SZ_SK_SL_SM_EUlSZ_E_NS1_11comp_targetILNS1_3genE9ELNS1_11target_archE1100ELNS1_3gpuE3ELNS1_3repE0EEENS1_48merge_mergepath_partition_config_static_selectorELNS0_4arch9wavefront6targetE0EEEvSL_.has_indirect_call, 0
	.section	.AMDGPU.csdata,"",@progbits
; Kernel info:
; codeLenInByte = 0
; TotalNumSgprs: 0
; NumVgprs: 0
; ScratchSize: 0
; MemoryBound: 0
; FloatMode: 240
; IeeeMode: 1
; LDSByteSize: 0 bytes/workgroup (compile time only)
; SGPRBlocks: 0
; VGPRBlocks: 0
; NumSGPRsForWavesPerEU: 1
; NumVGPRsForWavesPerEU: 1
; Occupancy: 16
; WaveLimiterHint : 0
; COMPUTE_PGM_RSRC2:SCRATCH_EN: 0
; COMPUTE_PGM_RSRC2:USER_SGPR: 6
; COMPUTE_PGM_RSRC2:TRAP_HANDLER: 0
; COMPUTE_PGM_RSRC2:TGID_X_EN: 1
; COMPUTE_PGM_RSRC2:TGID_Y_EN: 0
; COMPUTE_PGM_RSRC2:TGID_Z_EN: 0
; COMPUTE_PGM_RSRC2:TIDIG_COMP_CNT: 0
	.section	.text._ZN7rocprim17ROCPRIM_400000_NS6detail17trampoline_kernelINS0_14default_configENS1_38merge_sort_block_merge_config_selectorIiNS0_10empty_typeEEEZZNS1_27merge_sort_block_merge_implIS3_N6thrust23THRUST_200600_302600_NS6detail15normal_iteratorINS9_10device_ptrIiEEEEPS5_jNS1_19radix_merge_compareILb1ELb0EiNS0_19identity_decomposerEEEEE10hipError_tT0_T1_T2_jT3_P12ihipStream_tbPNSt15iterator_traitsISK_E10value_typeEPNSQ_ISL_E10value_typeEPSM_NS1_7vsmem_tEENKUlT_SK_SL_SM_E_clISE_PiSF_SF_EESJ_SZ_SK_SL_SM_EUlSZ_E_NS1_11comp_targetILNS1_3genE8ELNS1_11target_archE1030ELNS1_3gpuE2ELNS1_3repE0EEENS1_48merge_mergepath_partition_config_static_selectorELNS0_4arch9wavefront6targetE0EEEvSL_,"axG",@progbits,_ZN7rocprim17ROCPRIM_400000_NS6detail17trampoline_kernelINS0_14default_configENS1_38merge_sort_block_merge_config_selectorIiNS0_10empty_typeEEEZZNS1_27merge_sort_block_merge_implIS3_N6thrust23THRUST_200600_302600_NS6detail15normal_iteratorINS9_10device_ptrIiEEEEPS5_jNS1_19radix_merge_compareILb1ELb0EiNS0_19identity_decomposerEEEEE10hipError_tT0_T1_T2_jT3_P12ihipStream_tbPNSt15iterator_traitsISK_E10value_typeEPNSQ_ISL_E10value_typeEPSM_NS1_7vsmem_tEENKUlT_SK_SL_SM_E_clISE_PiSF_SF_EESJ_SZ_SK_SL_SM_EUlSZ_E_NS1_11comp_targetILNS1_3genE8ELNS1_11target_archE1030ELNS1_3gpuE2ELNS1_3repE0EEENS1_48merge_mergepath_partition_config_static_selectorELNS0_4arch9wavefront6targetE0EEEvSL_,comdat
	.protected	_ZN7rocprim17ROCPRIM_400000_NS6detail17trampoline_kernelINS0_14default_configENS1_38merge_sort_block_merge_config_selectorIiNS0_10empty_typeEEEZZNS1_27merge_sort_block_merge_implIS3_N6thrust23THRUST_200600_302600_NS6detail15normal_iteratorINS9_10device_ptrIiEEEEPS5_jNS1_19radix_merge_compareILb1ELb0EiNS0_19identity_decomposerEEEEE10hipError_tT0_T1_T2_jT3_P12ihipStream_tbPNSt15iterator_traitsISK_E10value_typeEPNSQ_ISL_E10value_typeEPSM_NS1_7vsmem_tEENKUlT_SK_SL_SM_E_clISE_PiSF_SF_EESJ_SZ_SK_SL_SM_EUlSZ_E_NS1_11comp_targetILNS1_3genE8ELNS1_11target_archE1030ELNS1_3gpuE2ELNS1_3repE0EEENS1_48merge_mergepath_partition_config_static_selectorELNS0_4arch9wavefront6targetE0EEEvSL_ ; -- Begin function _ZN7rocprim17ROCPRIM_400000_NS6detail17trampoline_kernelINS0_14default_configENS1_38merge_sort_block_merge_config_selectorIiNS0_10empty_typeEEEZZNS1_27merge_sort_block_merge_implIS3_N6thrust23THRUST_200600_302600_NS6detail15normal_iteratorINS9_10device_ptrIiEEEEPS5_jNS1_19radix_merge_compareILb1ELb0EiNS0_19identity_decomposerEEEEE10hipError_tT0_T1_T2_jT3_P12ihipStream_tbPNSt15iterator_traitsISK_E10value_typeEPNSQ_ISL_E10value_typeEPSM_NS1_7vsmem_tEENKUlT_SK_SL_SM_E_clISE_PiSF_SF_EESJ_SZ_SK_SL_SM_EUlSZ_E_NS1_11comp_targetILNS1_3genE8ELNS1_11target_archE1030ELNS1_3gpuE2ELNS1_3repE0EEENS1_48merge_mergepath_partition_config_static_selectorELNS0_4arch9wavefront6targetE0EEEvSL_
	.globl	_ZN7rocprim17ROCPRIM_400000_NS6detail17trampoline_kernelINS0_14default_configENS1_38merge_sort_block_merge_config_selectorIiNS0_10empty_typeEEEZZNS1_27merge_sort_block_merge_implIS3_N6thrust23THRUST_200600_302600_NS6detail15normal_iteratorINS9_10device_ptrIiEEEEPS5_jNS1_19radix_merge_compareILb1ELb0EiNS0_19identity_decomposerEEEEE10hipError_tT0_T1_T2_jT3_P12ihipStream_tbPNSt15iterator_traitsISK_E10value_typeEPNSQ_ISL_E10value_typeEPSM_NS1_7vsmem_tEENKUlT_SK_SL_SM_E_clISE_PiSF_SF_EESJ_SZ_SK_SL_SM_EUlSZ_E_NS1_11comp_targetILNS1_3genE8ELNS1_11target_archE1030ELNS1_3gpuE2ELNS1_3repE0EEENS1_48merge_mergepath_partition_config_static_selectorELNS0_4arch9wavefront6targetE0EEEvSL_
	.p2align	8
	.type	_ZN7rocprim17ROCPRIM_400000_NS6detail17trampoline_kernelINS0_14default_configENS1_38merge_sort_block_merge_config_selectorIiNS0_10empty_typeEEEZZNS1_27merge_sort_block_merge_implIS3_N6thrust23THRUST_200600_302600_NS6detail15normal_iteratorINS9_10device_ptrIiEEEEPS5_jNS1_19radix_merge_compareILb1ELb0EiNS0_19identity_decomposerEEEEE10hipError_tT0_T1_T2_jT3_P12ihipStream_tbPNSt15iterator_traitsISK_E10value_typeEPNSQ_ISL_E10value_typeEPSM_NS1_7vsmem_tEENKUlT_SK_SL_SM_E_clISE_PiSF_SF_EESJ_SZ_SK_SL_SM_EUlSZ_E_NS1_11comp_targetILNS1_3genE8ELNS1_11target_archE1030ELNS1_3gpuE2ELNS1_3repE0EEENS1_48merge_mergepath_partition_config_static_selectorELNS0_4arch9wavefront6targetE0EEEvSL_,@function
_ZN7rocprim17ROCPRIM_400000_NS6detail17trampoline_kernelINS0_14default_configENS1_38merge_sort_block_merge_config_selectorIiNS0_10empty_typeEEEZZNS1_27merge_sort_block_merge_implIS3_N6thrust23THRUST_200600_302600_NS6detail15normal_iteratorINS9_10device_ptrIiEEEEPS5_jNS1_19radix_merge_compareILb1ELb0EiNS0_19identity_decomposerEEEEE10hipError_tT0_T1_T2_jT3_P12ihipStream_tbPNSt15iterator_traitsISK_E10value_typeEPNSQ_ISL_E10value_typeEPSM_NS1_7vsmem_tEENKUlT_SK_SL_SM_E_clISE_PiSF_SF_EESJ_SZ_SK_SL_SM_EUlSZ_E_NS1_11comp_targetILNS1_3genE8ELNS1_11target_archE1030ELNS1_3gpuE2ELNS1_3repE0EEENS1_48merge_mergepath_partition_config_static_selectorELNS0_4arch9wavefront6targetE0EEEvSL_: ; @_ZN7rocprim17ROCPRIM_400000_NS6detail17trampoline_kernelINS0_14default_configENS1_38merge_sort_block_merge_config_selectorIiNS0_10empty_typeEEEZZNS1_27merge_sort_block_merge_implIS3_N6thrust23THRUST_200600_302600_NS6detail15normal_iteratorINS9_10device_ptrIiEEEEPS5_jNS1_19radix_merge_compareILb1ELb0EiNS0_19identity_decomposerEEEEE10hipError_tT0_T1_T2_jT3_P12ihipStream_tbPNSt15iterator_traitsISK_E10value_typeEPNSQ_ISL_E10value_typeEPSM_NS1_7vsmem_tEENKUlT_SK_SL_SM_E_clISE_PiSF_SF_EESJ_SZ_SK_SL_SM_EUlSZ_E_NS1_11comp_targetILNS1_3genE8ELNS1_11target_archE1030ELNS1_3gpuE2ELNS1_3repE0EEENS1_48merge_mergepath_partition_config_static_selectorELNS0_4arch9wavefront6targetE0EEEvSL_
; %bb.0:
	s_load_dword s0, s[4:5], 0x0
	v_lshl_or_b32 v0, s6, 7, v0
	s_waitcnt lgkmcnt(0)
	v_cmp_gt_u32_e32 vcc_lo, s0, v0
	s_and_saveexec_b32 s0, vcc_lo
	s_cbranch_execz .LBB253_6
; %bb.1:
	s_load_dwordx2 s[0:1], s[4:5], 0x4
	s_waitcnt lgkmcnt(0)
	s_lshr_b32 s2, s0, 9
	s_and_b32 s2, s2, 0x7ffffe
	s_sub_i32 s3, 0, s2
	s_add_i32 s2, s2, -1
	v_and_b32_e32 v1, s3, v0
	v_and_b32_e32 v5, s2, v0
	s_mov_b32 s3, 0
	s_mov_b32 s2, exec_lo
	v_lshlrev_b32_e32 v1, 10, v1
	v_add_nc_u32_e32 v2, s0, v1
	v_min_u32_e32 v4, s1, v2
	v_min_u32_e32 v2, s1, v1
	v_add_nc_u32_e32 v3, s0, v4
	v_min_u32_e32 v1, s1, v3
	s_load_dwordx2 s[0:1], s[4:5], 0x20
	v_lshlrev_b32_e32 v3, 10, v5
	v_sub_nc_u32_e32 v5, v1, v2
	v_sub_nc_u32_e32 v6, v1, v4
	v_min_u32_e32 v1, v5, v3
	v_sub_nc_u32_e32 v3, v4, v2
	v_sub_nc_u32_e64 v6, v1, v6 clamp
	v_min_u32_e32 v7, v1, v3
	v_cmpx_lt_u32_e64 v6, v7
	s_cbranch_execz .LBB253_5
; %bb.2:
	s_load_dwordx2 s[4:5], s[4:5], 0x10
	v_mov_b32_e32 v5, 0
	v_mov_b32_e32 v3, v5
	v_lshlrev_b64 v[10:11], 2, v[4:5]
	v_lshlrev_b64 v[8:9], 2, v[2:3]
	s_waitcnt lgkmcnt(0)
	v_add_co_u32 v3, vcc_lo, s4, v8
	v_add_co_ci_u32_e64 v8, null, s5, v9, vcc_lo
	v_add_co_u32 v9, vcc_lo, s4, v10
	v_add_co_ci_u32_e64 v10, null, s5, v11, vcc_lo
	.p2align	6
.LBB253_3:                              ; =>This Inner Loop Header: Depth=1
	v_add_nc_u32_e32 v4, v7, v6
	v_mov_b32_e32 v12, v5
	v_lshrrev_b32_e32 v4, 1, v4
	v_xad_u32 v11, v4, -1, v1
	v_lshlrev_b64 v[13:14], 2, v[4:5]
	v_lshlrev_b64 v[11:12], 2, v[11:12]
	v_add_co_u32 v13, vcc_lo, v3, v13
	v_add_co_ci_u32_e64 v14, null, v8, v14, vcc_lo
	v_add_co_u32 v11, vcc_lo, v9, v11
	v_add_co_ci_u32_e64 v12, null, v10, v12, vcc_lo
	s_clause 0x1
	flat_load_dword v13, v[13:14]
	flat_load_dword v11, v[11:12]
	v_add_nc_u32_e32 v12, 1, v4
	s_waitcnt vmcnt(0) lgkmcnt(0)
	v_cmp_gt_i32_e32 vcc_lo, v11, v13
	v_cndmask_b32_e32 v7, v7, v4, vcc_lo
	v_cndmask_b32_e32 v6, v12, v6, vcc_lo
	v_cmp_ge_u32_e32 vcc_lo, v6, v7
	s_or_b32 s3, vcc_lo, s3
	s_andn2_b32 exec_lo, exec_lo, s3
	s_cbranch_execnz .LBB253_3
; %bb.4:
	s_or_b32 exec_lo, exec_lo, s3
.LBB253_5:
	s_or_b32 exec_lo, exec_lo, s2
	v_mov_b32_e32 v1, 0
	v_add_nc_u32_e32 v2, v6, v2
	v_lshlrev_b64 v[0:1], 2, v[0:1]
	s_waitcnt lgkmcnt(0)
	v_add_co_u32 v0, vcc_lo, s0, v0
	v_add_co_ci_u32_e64 v1, null, s1, v1, vcc_lo
	global_store_dword v[0:1], v2, off
.LBB253_6:
	s_endpgm
	.section	.rodata,"a",@progbits
	.p2align	6, 0x0
	.amdhsa_kernel _ZN7rocprim17ROCPRIM_400000_NS6detail17trampoline_kernelINS0_14default_configENS1_38merge_sort_block_merge_config_selectorIiNS0_10empty_typeEEEZZNS1_27merge_sort_block_merge_implIS3_N6thrust23THRUST_200600_302600_NS6detail15normal_iteratorINS9_10device_ptrIiEEEEPS5_jNS1_19radix_merge_compareILb1ELb0EiNS0_19identity_decomposerEEEEE10hipError_tT0_T1_T2_jT3_P12ihipStream_tbPNSt15iterator_traitsISK_E10value_typeEPNSQ_ISL_E10value_typeEPSM_NS1_7vsmem_tEENKUlT_SK_SL_SM_E_clISE_PiSF_SF_EESJ_SZ_SK_SL_SM_EUlSZ_E_NS1_11comp_targetILNS1_3genE8ELNS1_11target_archE1030ELNS1_3gpuE2ELNS1_3repE0EEENS1_48merge_mergepath_partition_config_static_selectorELNS0_4arch9wavefront6targetE0EEEvSL_
		.amdhsa_group_segment_fixed_size 0
		.amdhsa_private_segment_fixed_size 0
		.amdhsa_kernarg_size 40
		.amdhsa_user_sgpr_count 6
		.amdhsa_user_sgpr_private_segment_buffer 1
		.amdhsa_user_sgpr_dispatch_ptr 0
		.amdhsa_user_sgpr_queue_ptr 0
		.amdhsa_user_sgpr_kernarg_segment_ptr 1
		.amdhsa_user_sgpr_dispatch_id 0
		.amdhsa_user_sgpr_flat_scratch_init 0
		.amdhsa_user_sgpr_private_segment_size 0
		.amdhsa_wavefront_size32 1
		.amdhsa_uses_dynamic_stack 0
		.amdhsa_system_sgpr_private_segment_wavefront_offset 0
		.amdhsa_system_sgpr_workgroup_id_x 1
		.amdhsa_system_sgpr_workgroup_id_y 0
		.amdhsa_system_sgpr_workgroup_id_z 0
		.amdhsa_system_sgpr_workgroup_info 0
		.amdhsa_system_vgpr_workitem_id 0
		.amdhsa_next_free_vgpr 15
		.amdhsa_next_free_sgpr 7
		.amdhsa_reserve_vcc 1
		.amdhsa_reserve_flat_scratch 1
		.amdhsa_float_round_mode_32 0
		.amdhsa_float_round_mode_16_64 0
		.amdhsa_float_denorm_mode_32 3
		.amdhsa_float_denorm_mode_16_64 3
		.amdhsa_dx10_clamp 1
		.amdhsa_ieee_mode 1
		.amdhsa_fp16_overflow 0
		.amdhsa_workgroup_processor_mode 1
		.amdhsa_memory_ordered 1
		.amdhsa_forward_progress 1
		.amdhsa_shared_vgpr_count 0
		.amdhsa_exception_fp_ieee_invalid_op 0
		.amdhsa_exception_fp_denorm_src 0
		.amdhsa_exception_fp_ieee_div_zero 0
		.amdhsa_exception_fp_ieee_overflow 0
		.amdhsa_exception_fp_ieee_underflow 0
		.amdhsa_exception_fp_ieee_inexact 0
		.amdhsa_exception_int_div_zero 0
	.end_amdhsa_kernel
	.section	.text._ZN7rocprim17ROCPRIM_400000_NS6detail17trampoline_kernelINS0_14default_configENS1_38merge_sort_block_merge_config_selectorIiNS0_10empty_typeEEEZZNS1_27merge_sort_block_merge_implIS3_N6thrust23THRUST_200600_302600_NS6detail15normal_iteratorINS9_10device_ptrIiEEEEPS5_jNS1_19radix_merge_compareILb1ELb0EiNS0_19identity_decomposerEEEEE10hipError_tT0_T1_T2_jT3_P12ihipStream_tbPNSt15iterator_traitsISK_E10value_typeEPNSQ_ISL_E10value_typeEPSM_NS1_7vsmem_tEENKUlT_SK_SL_SM_E_clISE_PiSF_SF_EESJ_SZ_SK_SL_SM_EUlSZ_E_NS1_11comp_targetILNS1_3genE8ELNS1_11target_archE1030ELNS1_3gpuE2ELNS1_3repE0EEENS1_48merge_mergepath_partition_config_static_selectorELNS0_4arch9wavefront6targetE0EEEvSL_,"axG",@progbits,_ZN7rocprim17ROCPRIM_400000_NS6detail17trampoline_kernelINS0_14default_configENS1_38merge_sort_block_merge_config_selectorIiNS0_10empty_typeEEEZZNS1_27merge_sort_block_merge_implIS3_N6thrust23THRUST_200600_302600_NS6detail15normal_iteratorINS9_10device_ptrIiEEEEPS5_jNS1_19radix_merge_compareILb1ELb0EiNS0_19identity_decomposerEEEEE10hipError_tT0_T1_T2_jT3_P12ihipStream_tbPNSt15iterator_traitsISK_E10value_typeEPNSQ_ISL_E10value_typeEPSM_NS1_7vsmem_tEENKUlT_SK_SL_SM_E_clISE_PiSF_SF_EESJ_SZ_SK_SL_SM_EUlSZ_E_NS1_11comp_targetILNS1_3genE8ELNS1_11target_archE1030ELNS1_3gpuE2ELNS1_3repE0EEENS1_48merge_mergepath_partition_config_static_selectorELNS0_4arch9wavefront6targetE0EEEvSL_,comdat
.Lfunc_end253:
	.size	_ZN7rocprim17ROCPRIM_400000_NS6detail17trampoline_kernelINS0_14default_configENS1_38merge_sort_block_merge_config_selectorIiNS0_10empty_typeEEEZZNS1_27merge_sort_block_merge_implIS3_N6thrust23THRUST_200600_302600_NS6detail15normal_iteratorINS9_10device_ptrIiEEEEPS5_jNS1_19radix_merge_compareILb1ELb0EiNS0_19identity_decomposerEEEEE10hipError_tT0_T1_T2_jT3_P12ihipStream_tbPNSt15iterator_traitsISK_E10value_typeEPNSQ_ISL_E10value_typeEPSM_NS1_7vsmem_tEENKUlT_SK_SL_SM_E_clISE_PiSF_SF_EESJ_SZ_SK_SL_SM_EUlSZ_E_NS1_11comp_targetILNS1_3genE8ELNS1_11target_archE1030ELNS1_3gpuE2ELNS1_3repE0EEENS1_48merge_mergepath_partition_config_static_selectorELNS0_4arch9wavefront6targetE0EEEvSL_, .Lfunc_end253-_ZN7rocprim17ROCPRIM_400000_NS6detail17trampoline_kernelINS0_14default_configENS1_38merge_sort_block_merge_config_selectorIiNS0_10empty_typeEEEZZNS1_27merge_sort_block_merge_implIS3_N6thrust23THRUST_200600_302600_NS6detail15normal_iteratorINS9_10device_ptrIiEEEEPS5_jNS1_19radix_merge_compareILb1ELb0EiNS0_19identity_decomposerEEEEE10hipError_tT0_T1_T2_jT3_P12ihipStream_tbPNSt15iterator_traitsISK_E10value_typeEPNSQ_ISL_E10value_typeEPSM_NS1_7vsmem_tEENKUlT_SK_SL_SM_E_clISE_PiSF_SF_EESJ_SZ_SK_SL_SM_EUlSZ_E_NS1_11comp_targetILNS1_3genE8ELNS1_11target_archE1030ELNS1_3gpuE2ELNS1_3repE0EEENS1_48merge_mergepath_partition_config_static_selectorELNS0_4arch9wavefront6targetE0EEEvSL_
                                        ; -- End function
	.set _ZN7rocprim17ROCPRIM_400000_NS6detail17trampoline_kernelINS0_14default_configENS1_38merge_sort_block_merge_config_selectorIiNS0_10empty_typeEEEZZNS1_27merge_sort_block_merge_implIS3_N6thrust23THRUST_200600_302600_NS6detail15normal_iteratorINS9_10device_ptrIiEEEEPS5_jNS1_19radix_merge_compareILb1ELb0EiNS0_19identity_decomposerEEEEE10hipError_tT0_T1_T2_jT3_P12ihipStream_tbPNSt15iterator_traitsISK_E10value_typeEPNSQ_ISL_E10value_typeEPSM_NS1_7vsmem_tEENKUlT_SK_SL_SM_E_clISE_PiSF_SF_EESJ_SZ_SK_SL_SM_EUlSZ_E_NS1_11comp_targetILNS1_3genE8ELNS1_11target_archE1030ELNS1_3gpuE2ELNS1_3repE0EEENS1_48merge_mergepath_partition_config_static_selectorELNS0_4arch9wavefront6targetE0EEEvSL_.num_vgpr, 15
	.set _ZN7rocprim17ROCPRIM_400000_NS6detail17trampoline_kernelINS0_14default_configENS1_38merge_sort_block_merge_config_selectorIiNS0_10empty_typeEEEZZNS1_27merge_sort_block_merge_implIS3_N6thrust23THRUST_200600_302600_NS6detail15normal_iteratorINS9_10device_ptrIiEEEEPS5_jNS1_19radix_merge_compareILb1ELb0EiNS0_19identity_decomposerEEEEE10hipError_tT0_T1_T2_jT3_P12ihipStream_tbPNSt15iterator_traitsISK_E10value_typeEPNSQ_ISL_E10value_typeEPSM_NS1_7vsmem_tEENKUlT_SK_SL_SM_E_clISE_PiSF_SF_EESJ_SZ_SK_SL_SM_EUlSZ_E_NS1_11comp_targetILNS1_3genE8ELNS1_11target_archE1030ELNS1_3gpuE2ELNS1_3repE0EEENS1_48merge_mergepath_partition_config_static_selectorELNS0_4arch9wavefront6targetE0EEEvSL_.num_agpr, 0
	.set _ZN7rocprim17ROCPRIM_400000_NS6detail17trampoline_kernelINS0_14default_configENS1_38merge_sort_block_merge_config_selectorIiNS0_10empty_typeEEEZZNS1_27merge_sort_block_merge_implIS3_N6thrust23THRUST_200600_302600_NS6detail15normal_iteratorINS9_10device_ptrIiEEEEPS5_jNS1_19radix_merge_compareILb1ELb0EiNS0_19identity_decomposerEEEEE10hipError_tT0_T1_T2_jT3_P12ihipStream_tbPNSt15iterator_traitsISK_E10value_typeEPNSQ_ISL_E10value_typeEPSM_NS1_7vsmem_tEENKUlT_SK_SL_SM_E_clISE_PiSF_SF_EESJ_SZ_SK_SL_SM_EUlSZ_E_NS1_11comp_targetILNS1_3genE8ELNS1_11target_archE1030ELNS1_3gpuE2ELNS1_3repE0EEENS1_48merge_mergepath_partition_config_static_selectorELNS0_4arch9wavefront6targetE0EEEvSL_.numbered_sgpr, 7
	.set _ZN7rocprim17ROCPRIM_400000_NS6detail17trampoline_kernelINS0_14default_configENS1_38merge_sort_block_merge_config_selectorIiNS0_10empty_typeEEEZZNS1_27merge_sort_block_merge_implIS3_N6thrust23THRUST_200600_302600_NS6detail15normal_iteratorINS9_10device_ptrIiEEEEPS5_jNS1_19radix_merge_compareILb1ELb0EiNS0_19identity_decomposerEEEEE10hipError_tT0_T1_T2_jT3_P12ihipStream_tbPNSt15iterator_traitsISK_E10value_typeEPNSQ_ISL_E10value_typeEPSM_NS1_7vsmem_tEENKUlT_SK_SL_SM_E_clISE_PiSF_SF_EESJ_SZ_SK_SL_SM_EUlSZ_E_NS1_11comp_targetILNS1_3genE8ELNS1_11target_archE1030ELNS1_3gpuE2ELNS1_3repE0EEENS1_48merge_mergepath_partition_config_static_selectorELNS0_4arch9wavefront6targetE0EEEvSL_.num_named_barrier, 0
	.set _ZN7rocprim17ROCPRIM_400000_NS6detail17trampoline_kernelINS0_14default_configENS1_38merge_sort_block_merge_config_selectorIiNS0_10empty_typeEEEZZNS1_27merge_sort_block_merge_implIS3_N6thrust23THRUST_200600_302600_NS6detail15normal_iteratorINS9_10device_ptrIiEEEEPS5_jNS1_19radix_merge_compareILb1ELb0EiNS0_19identity_decomposerEEEEE10hipError_tT0_T1_T2_jT3_P12ihipStream_tbPNSt15iterator_traitsISK_E10value_typeEPNSQ_ISL_E10value_typeEPSM_NS1_7vsmem_tEENKUlT_SK_SL_SM_E_clISE_PiSF_SF_EESJ_SZ_SK_SL_SM_EUlSZ_E_NS1_11comp_targetILNS1_3genE8ELNS1_11target_archE1030ELNS1_3gpuE2ELNS1_3repE0EEENS1_48merge_mergepath_partition_config_static_selectorELNS0_4arch9wavefront6targetE0EEEvSL_.private_seg_size, 0
	.set _ZN7rocprim17ROCPRIM_400000_NS6detail17trampoline_kernelINS0_14default_configENS1_38merge_sort_block_merge_config_selectorIiNS0_10empty_typeEEEZZNS1_27merge_sort_block_merge_implIS3_N6thrust23THRUST_200600_302600_NS6detail15normal_iteratorINS9_10device_ptrIiEEEEPS5_jNS1_19radix_merge_compareILb1ELb0EiNS0_19identity_decomposerEEEEE10hipError_tT0_T1_T2_jT3_P12ihipStream_tbPNSt15iterator_traitsISK_E10value_typeEPNSQ_ISL_E10value_typeEPSM_NS1_7vsmem_tEENKUlT_SK_SL_SM_E_clISE_PiSF_SF_EESJ_SZ_SK_SL_SM_EUlSZ_E_NS1_11comp_targetILNS1_3genE8ELNS1_11target_archE1030ELNS1_3gpuE2ELNS1_3repE0EEENS1_48merge_mergepath_partition_config_static_selectorELNS0_4arch9wavefront6targetE0EEEvSL_.uses_vcc, 1
	.set _ZN7rocprim17ROCPRIM_400000_NS6detail17trampoline_kernelINS0_14default_configENS1_38merge_sort_block_merge_config_selectorIiNS0_10empty_typeEEEZZNS1_27merge_sort_block_merge_implIS3_N6thrust23THRUST_200600_302600_NS6detail15normal_iteratorINS9_10device_ptrIiEEEEPS5_jNS1_19radix_merge_compareILb1ELb0EiNS0_19identity_decomposerEEEEE10hipError_tT0_T1_T2_jT3_P12ihipStream_tbPNSt15iterator_traitsISK_E10value_typeEPNSQ_ISL_E10value_typeEPSM_NS1_7vsmem_tEENKUlT_SK_SL_SM_E_clISE_PiSF_SF_EESJ_SZ_SK_SL_SM_EUlSZ_E_NS1_11comp_targetILNS1_3genE8ELNS1_11target_archE1030ELNS1_3gpuE2ELNS1_3repE0EEENS1_48merge_mergepath_partition_config_static_selectorELNS0_4arch9wavefront6targetE0EEEvSL_.uses_flat_scratch, 1
	.set _ZN7rocprim17ROCPRIM_400000_NS6detail17trampoline_kernelINS0_14default_configENS1_38merge_sort_block_merge_config_selectorIiNS0_10empty_typeEEEZZNS1_27merge_sort_block_merge_implIS3_N6thrust23THRUST_200600_302600_NS6detail15normal_iteratorINS9_10device_ptrIiEEEEPS5_jNS1_19radix_merge_compareILb1ELb0EiNS0_19identity_decomposerEEEEE10hipError_tT0_T1_T2_jT3_P12ihipStream_tbPNSt15iterator_traitsISK_E10value_typeEPNSQ_ISL_E10value_typeEPSM_NS1_7vsmem_tEENKUlT_SK_SL_SM_E_clISE_PiSF_SF_EESJ_SZ_SK_SL_SM_EUlSZ_E_NS1_11comp_targetILNS1_3genE8ELNS1_11target_archE1030ELNS1_3gpuE2ELNS1_3repE0EEENS1_48merge_mergepath_partition_config_static_selectorELNS0_4arch9wavefront6targetE0EEEvSL_.has_dyn_sized_stack, 0
	.set _ZN7rocprim17ROCPRIM_400000_NS6detail17trampoline_kernelINS0_14default_configENS1_38merge_sort_block_merge_config_selectorIiNS0_10empty_typeEEEZZNS1_27merge_sort_block_merge_implIS3_N6thrust23THRUST_200600_302600_NS6detail15normal_iteratorINS9_10device_ptrIiEEEEPS5_jNS1_19radix_merge_compareILb1ELb0EiNS0_19identity_decomposerEEEEE10hipError_tT0_T1_T2_jT3_P12ihipStream_tbPNSt15iterator_traitsISK_E10value_typeEPNSQ_ISL_E10value_typeEPSM_NS1_7vsmem_tEENKUlT_SK_SL_SM_E_clISE_PiSF_SF_EESJ_SZ_SK_SL_SM_EUlSZ_E_NS1_11comp_targetILNS1_3genE8ELNS1_11target_archE1030ELNS1_3gpuE2ELNS1_3repE0EEENS1_48merge_mergepath_partition_config_static_selectorELNS0_4arch9wavefront6targetE0EEEvSL_.has_recursion, 0
	.set _ZN7rocprim17ROCPRIM_400000_NS6detail17trampoline_kernelINS0_14default_configENS1_38merge_sort_block_merge_config_selectorIiNS0_10empty_typeEEEZZNS1_27merge_sort_block_merge_implIS3_N6thrust23THRUST_200600_302600_NS6detail15normal_iteratorINS9_10device_ptrIiEEEEPS5_jNS1_19radix_merge_compareILb1ELb0EiNS0_19identity_decomposerEEEEE10hipError_tT0_T1_T2_jT3_P12ihipStream_tbPNSt15iterator_traitsISK_E10value_typeEPNSQ_ISL_E10value_typeEPSM_NS1_7vsmem_tEENKUlT_SK_SL_SM_E_clISE_PiSF_SF_EESJ_SZ_SK_SL_SM_EUlSZ_E_NS1_11comp_targetILNS1_3genE8ELNS1_11target_archE1030ELNS1_3gpuE2ELNS1_3repE0EEENS1_48merge_mergepath_partition_config_static_selectorELNS0_4arch9wavefront6targetE0EEEvSL_.has_indirect_call, 0
	.section	.AMDGPU.csdata,"",@progbits
; Kernel info:
; codeLenInByte = 436
; TotalNumSgprs: 9
; NumVgprs: 15
; ScratchSize: 0
; MemoryBound: 0
; FloatMode: 240
; IeeeMode: 1
; LDSByteSize: 0 bytes/workgroup (compile time only)
; SGPRBlocks: 0
; VGPRBlocks: 1
; NumSGPRsForWavesPerEU: 9
; NumVGPRsForWavesPerEU: 15
; Occupancy: 16
; WaveLimiterHint : 0
; COMPUTE_PGM_RSRC2:SCRATCH_EN: 0
; COMPUTE_PGM_RSRC2:USER_SGPR: 6
; COMPUTE_PGM_RSRC2:TRAP_HANDLER: 0
; COMPUTE_PGM_RSRC2:TGID_X_EN: 1
; COMPUTE_PGM_RSRC2:TGID_Y_EN: 0
; COMPUTE_PGM_RSRC2:TGID_Z_EN: 0
; COMPUTE_PGM_RSRC2:TIDIG_COMP_CNT: 0
	.section	.text._ZN7rocprim17ROCPRIM_400000_NS6detail17trampoline_kernelINS0_14default_configENS1_38merge_sort_block_merge_config_selectorIiNS0_10empty_typeEEEZZNS1_27merge_sort_block_merge_implIS3_N6thrust23THRUST_200600_302600_NS6detail15normal_iteratorINS9_10device_ptrIiEEEEPS5_jNS1_19radix_merge_compareILb1ELb0EiNS0_19identity_decomposerEEEEE10hipError_tT0_T1_T2_jT3_P12ihipStream_tbPNSt15iterator_traitsISK_E10value_typeEPNSQ_ISL_E10value_typeEPSM_NS1_7vsmem_tEENKUlT_SK_SL_SM_E_clISE_PiSF_SF_EESJ_SZ_SK_SL_SM_EUlSZ_E0_NS1_11comp_targetILNS1_3genE0ELNS1_11target_archE4294967295ELNS1_3gpuE0ELNS1_3repE0EEENS1_38merge_mergepath_config_static_selectorELNS0_4arch9wavefront6targetE0EEEvSL_,"axG",@progbits,_ZN7rocprim17ROCPRIM_400000_NS6detail17trampoline_kernelINS0_14default_configENS1_38merge_sort_block_merge_config_selectorIiNS0_10empty_typeEEEZZNS1_27merge_sort_block_merge_implIS3_N6thrust23THRUST_200600_302600_NS6detail15normal_iteratorINS9_10device_ptrIiEEEEPS5_jNS1_19radix_merge_compareILb1ELb0EiNS0_19identity_decomposerEEEEE10hipError_tT0_T1_T2_jT3_P12ihipStream_tbPNSt15iterator_traitsISK_E10value_typeEPNSQ_ISL_E10value_typeEPSM_NS1_7vsmem_tEENKUlT_SK_SL_SM_E_clISE_PiSF_SF_EESJ_SZ_SK_SL_SM_EUlSZ_E0_NS1_11comp_targetILNS1_3genE0ELNS1_11target_archE4294967295ELNS1_3gpuE0ELNS1_3repE0EEENS1_38merge_mergepath_config_static_selectorELNS0_4arch9wavefront6targetE0EEEvSL_,comdat
	.protected	_ZN7rocprim17ROCPRIM_400000_NS6detail17trampoline_kernelINS0_14default_configENS1_38merge_sort_block_merge_config_selectorIiNS0_10empty_typeEEEZZNS1_27merge_sort_block_merge_implIS3_N6thrust23THRUST_200600_302600_NS6detail15normal_iteratorINS9_10device_ptrIiEEEEPS5_jNS1_19radix_merge_compareILb1ELb0EiNS0_19identity_decomposerEEEEE10hipError_tT0_T1_T2_jT3_P12ihipStream_tbPNSt15iterator_traitsISK_E10value_typeEPNSQ_ISL_E10value_typeEPSM_NS1_7vsmem_tEENKUlT_SK_SL_SM_E_clISE_PiSF_SF_EESJ_SZ_SK_SL_SM_EUlSZ_E0_NS1_11comp_targetILNS1_3genE0ELNS1_11target_archE4294967295ELNS1_3gpuE0ELNS1_3repE0EEENS1_38merge_mergepath_config_static_selectorELNS0_4arch9wavefront6targetE0EEEvSL_ ; -- Begin function _ZN7rocprim17ROCPRIM_400000_NS6detail17trampoline_kernelINS0_14default_configENS1_38merge_sort_block_merge_config_selectorIiNS0_10empty_typeEEEZZNS1_27merge_sort_block_merge_implIS3_N6thrust23THRUST_200600_302600_NS6detail15normal_iteratorINS9_10device_ptrIiEEEEPS5_jNS1_19radix_merge_compareILb1ELb0EiNS0_19identity_decomposerEEEEE10hipError_tT0_T1_T2_jT3_P12ihipStream_tbPNSt15iterator_traitsISK_E10value_typeEPNSQ_ISL_E10value_typeEPSM_NS1_7vsmem_tEENKUlT_SK_SL_SM_E_clISE_PiSF_SF_EESJ_SZ_SK_SL_SM_EUlSZ_E0_NS1_11comp_targetILNS1_3genE0ELNS1_11target_archE4294967295ELNS1_3gpuE0ELNS1_3repE0EEENS1_38merge_mergepath_config_static_selectorELNS0_4arch9wavefront6targetE0EEEvSL_
	.globl	_ZN7rocprim17ROCPRIM_400000_NS6detail17trampoline_kernelINS0_14default_configENS1_38merge_sort_block_merge_config_selectorIiNS0_10empty_typeEEEZZNS1_27merge_sort_block_merge_implIS3_N6thrust23THRUST_200600_302600_NS6detail15normal_iteratorINS9_10device_ptrIiEEEEPS5_jNS1_19radix_merge_compareILb1ELb0EiNS0_19identity_decomposerEEEEE10hipError_tT0_T1_T2_jT3_P12ihipStream_tbPNSt15iterator_traitsISK_E10value_typeEPNSQ_ISL_E10value_typeEPSM_NS1_7vsmem_tEENKUlT_SK_SL_SM_E_clISE_PiSF_SF_EESJ_SZ_SK_SL_SM_EUlSZ_E0_NS1_11comp_targetILNS1_3genE0ELNS1_11target_archE4294967295ELNS1_3gpuE0ELNS1_3repE0EEENS1_38merge_mergepath_config_static_selectorELNS0_4arch9wavefront6targetE0EEEvSL_
	.p2align	8
	.type	_ZN7rocprim17ROCPRIM_400000_NS6detail17trampoline_kernelINS0_14default_configENS1_38merge_sort_block_merge_config_selectorIiNS0_10empty_typeEEEZZNS1_27merge_sort_block_merge_implIS3_N6thrust23THRUST_200600_302600_NS6detail15normal_iteratorINS9_10device_ptrIiEEEEPS5_jNS1_19radix_merge_compareILb1ELb0EiNS0_19identity_decomposerEEEEE10hipError_tT0_T1_T2_jT3_P12ihipStream_tbPNSt15iterator_traitsISK_E10value_typeEPNSQ_ISL_E10value_typeEPSM_NS1_7vsmem_tEENKUlT_SK_SL_SM_E_clISE_PiSF_SF_EESJ_SZ_SK_SL_SM_EUlSZ_E0_NS1_11comp_targetILNS1_3genE0ELNS1_11target_archE4294967295ELNS1_3gpuE0ELNS1_3repE0EEENS1_38merge_mergepath_config_static_selectorELNS0_4arch9wavefront6targetE0EEEvSL_,@function
_ZN7rocprim17ROCPRIM_400000_NS6detail17trampoline_kernelINS0_14default_configENS1_38merge_sort_block_merge_config_selectorIiNS0_10empty_typeEEEZZNS1_27merge_sort_block_merge_implIS3_N6thrust23THRUST_200600_302600_NS6detail15normal_iteratorINS9_10device_ptrIiEEEEPS5_jNS1_19radix_merge_compareILb1ELb0EiNS0_19identity_decomposerEEEEE10hipError_tT0_T1_T2_jT3_P12ihipStream_tbPNSt15iterator_traitsISK_E10value_typeEPNSQ_ISL_E10value_typeEPSM_NS1_7vsmem_tEENKUlT_SK_SL_SM_E_clISE_PiSF_SF_EESJ_SZ_SK_SL_SM_EUlSZ_E0_NS1_11comp_targetILNS1_3genE0ELNS1_11target_archE4294967295ELNS1_3gpuE0ELNS1_3repE0EEENS1_38merge_mergepath_config_static_selectorELNS0_4arch9wavefront6targetE0EEEvSL_: ; @_ZN7rocprim17ROCPRIM_400000_NS6detail17trampoline_kernelINS0_14default_configENS1_38merge_sort_block_merge_config_selectorIiNS0_10empty_typeEEEZZNS1_27merge_sort_block_merge_implIS3_N6thrust23THRUST_200600_302600_NS6detail15normal_iteratorINS9_10device_ptrIiEEEEPS5_jNS1_19radix_merge_compareILb1ELb0EiNS0_19identity_decomposerEEEEE10hipError_tT0_T1_T2_jT3_P12ihipStream_tbPNSt15iterator_traitsISK_E10value_typeEPNSQ_ISL_E10value_typeEPSM_NS1_7vsmem_tEENKUlT_SK_SL_SM_E_clISE_PiSF_SF_EESJ_SZ_SK_SL_SM_EUlSZ_E0_NS1_11comp_targetILNS1_3genE0ELNS1_11target_archE4294967295ELNS1_3gpuE0ELNS1_3repE0EEENS1_38merge_mergepath_config_static_selectorELNS0_4arch9wavefront6targetE0EEEvSL_
; %bb.0:
	.section	.rodata,"a",@progbits
	.p2align	6, 0x0
	.amdhsa_kernel _ZN7rocprim17ROCPRIM_400000_NS6detail17trampoline_kernelINS0_14default_configENS1_38merge_sort_block_merge_config_selectorIiNS0_10empty_typeEEEZZNS1_27merge_sort_block_merge_implIS3_N6thrust23THRUST_200600_302600_NS6detail15normal_iteratorINS9_10device_ptrIiEEEEPS5_jNS1_19radix_merge_compareILb1ELb0EiNS0_19identity_decomposerEEEEE10hipError_tT0_T1_T2_jT3_P12ihipStream_tbPNSt15iterator_traitsISK_E10value_typeEPNSQ_ISL_E10value_typeEPSM_NS1_7vsmem_tEENKUlT_SK_SL_SM_E_clISE_PiSF_SF_EESJ_SZ_SK_SL_SM_EUlSZ_E0_NS1_11comp_targetILNS1_3genE0ELNS1_11target_archE4294967295ELNS1_3gpuE0ELNS1_3repE0EEENS1_38merge_mergepath_config_static_selectorELNS0_4arch9wavefront6targetE0EEEvSL_
		.amdhsa_group_segment_fixed_size 0
		.amdhsa_private_segment_fixed_size 0
		.amdhsa_kernarg_size 64
		.amdhsa_user_sgpr_count 6
		.amdhsa_user_sgpr_private_segment_buffer 1
		.amdhsa_user_sgpr_dispatch_ptr 0
		.amdhsa_user_sgpr_queue_ptr 0
		.amdhsa_user_sgpr_kernarg_segment_ptr 1
		.amdhsa_user_sgpr_dispatch_id 0
		.amdhsa_user_sgpr_flat_scratch_init 0
		.amdhsa_user_sgpr_private_segment_size 0
		.amdhsa_wavefront_size32 1
		.amdhsa_uses_dynamic_stack 0
		.amdhsa_system_sgpr_private_segment_wavefront_offset 0
		.amdhsa_system_sgpr_workgroup_id_x 1
		.amdhsa_system_sgpr_workgroup_id_y 0
		.amdhsa_system_sgpr_workgroup_id_z 0
		.amdhsa_system_sgpr_workgroup_info 0
		.amdhsa_system_vgpr_workitem_id 0
		.amdhsa_next_free_vgpr 1
		.amdhsa_next_free_sgpr 1
		.amdhsa_reserve_vcc 0
		.amdhsa_reserve_flat_scratch 0
		.amdhsa_float_round_mode_32 0
		.amdhsa_float_round_mode_16_64 0
		.amdhsa_float_denorm_mode_32 3
		.amdhsa_float_denorm_mode_16_64 3
		.amdhsa_dx10_clamp 1
		.amdhsa_ieee_mode 1
		.amdhsa_fp16_overflow 0
		.amdhsa_workgroup_processor_mode 1
		.amdhsa_memory_ordered 1
		.amdhsa_forward_progress 1
		.amdhsa_shared_vgpr_count 0
		.amdhsa_exception_fp_ieee_invalid_op 0
		.amdhsa_exception_fp_denorm_src 0
		.amdhsa_exception_fp_ieee_div_zero 0
		.amdhsa_exception_fp_ieee_overflow 0
		.amdhsa_exception_fp_ieee_underflow 0
		.amdhsa_exception_fp_ieee_inexact 0
		.amdhsa_exception_int_div_zero 0
	.end_amdhsa_kernel
	.section	.text._ZN7rocprim17ROCPRIM_400000_NS6detail17trampoline_kernelINS0_14default_configENS1_38merge_sort_block_merge_config_selectorIiNS0_10empty_typeEEEZZNS1_27merge_sort_block_merge_implIS3_N6thrust23THRUST_200600_302600_NS6detail15normal_iteratorINS9_10device_ptrIiEEEEPS5_jNS1_19radix_merge_compareILb1ELb0EiNS0_19identity_decomposerEEEEE10hipError_tT0_T1_T2_jT3_P12ihipStream_tbPNSt15iterator_traitsISK_E10value_typeEPNSQ_ISL_E10value_typeEPSM_NS1_7vsmem_tEENKUlT_SK_SL_SM_E_clISE_PiSF_SF_EESJ_SZ_SK_SL_SM_EUlSZ_E0_NS1_11comp_targetILNS1_3genE0ELNS1_11target_archE4294967295ELNS1_3gpuE0ELNS1_3repE0EEENS1_38merge_mergepath_config_static_selectorELNS0_4arch9wavefront6targetE0EEEvSL_,"axG",@progbits,_ZN7rocprim17ROCPRIM_400000_NS6detail17trampoline_kernelINS0_14default_configENS1_38merge_sort_block_merge_config_selectorIiNS0_10empty_typeEEEZZNS1_27merge_sort_block_merge_implIS3_N6thrust23THRUST_200600_302600_NS6detail15normal_iteratorINS9_10device_ptrIiEEEEPS5_jNS1_19radix_merge_compareILb1ELb0EiNS0_19identity_decomposerEEEEE10hipError_tT0_T1_T2_jT3_P12ihipStream_tbPNSt15iterator_traitsISK_E10value_typeEPNSQ_ISL_E10value_typeEPSM_NS1_7vsmem_tEENKUlT_SK_SL_SM_E_clISE_PiSF_SF_EESJ_SZ_SK_SL_SM_EUlSZ_E0_NS1_11comp_targetILNS1_3genE0ELNS1_11target_archE4294967295ELNS1_3gpuE0ELNS1_3repE0EEENS1_38merge_mergepath_config_static_selectorELNS0_4arch9wavefront6targetE0EEEvSL_,comdat
.Lfunc_end254:
	.size	_ZN7rocprim17ROCPRIM_400000_NS6detail17trampoline_kernelINS0_14default_configENS1_38merge_sort_block_merge_config_selectorIiNS0_10empty_typeEEEZZNS1_27merge_sort_block_merge_implIS3_N6thrust23THRUST_200600_302600_NS6detail15normal_iteratorINS9_10device_ptrIiEEEEPS5_jNS1_19radix_merge_compareILb1ELb0EiNS0_19identity_decomposerEEEEE10hipError_tT0_T1_T2_jT3_P12ihipStream_tbPNSt15iterator_traitsISK_E10value_typeEPNSQ_ISL_E10value_typeEPSM_NS1_7vsmem_tEENKUlT_SK_SL_SM_E_clISE_PiSF_SF_EESJ_SZ_SK_SL_SM_EUlSZ_E0_NS1_11comp_targetILNS1_3genE0ELNS1_11target_archE4294967295ELNS1_3gpuE0ELNS1_3repE0EEENS1_38merge_mergepath_config_static_selectorELNS0_4arch9wavefront6targetE0EEEvSL_, .Lfunc_end254-_ZN7rocprim17ROCPRIM_400000_NS6detail17trampoline_kernelINS0_14default_configENS1_38merge_sort_block_merge_config_selectorIiNS0_10empty_typeEEEZZNS1_27merge_sort_block_merge_implIS3_N6thrust23THRUST_200600_302600_NS6detail15normal_iteratorINS9_10device_ptrIiEEEEPS5_jNS1_19radix_merge_compareILb1ELb0EiNS0_19identity_decomposerEEEEE10hipError_tT0_T1_T2_jT3_P12ihipStream_tbPNSt15iterator_traitsISK_E10value_typeEPNSQ_ISL_E10value_typeEPSM_NS1_7vsmem_tEENKUlT_SK_SL_SM_E_clISE_PiSF_SF_EESJ_SZ_SK_SL_SM_EUlSZ_E0_NS1_11comp_targetILNS1_3genE0ELNS1_11target_archE4294967295ELNS1_3gpuE0ELNS1_3repE0EEENS1_38merge_mergepath_config_static_selectorELNS0_4arch9wavefront6targetE0EEEvSL_
                                        ; -- End function
	.set _ZN7rocprim17ROCPRIM_400000_NS6detail17trampoline_kernelINS0_14default_configENS1_38merge_sort_block_merge_config_selectorIiNS0_10empty_typeEEEZZNS1_27merge_sort_block_merge_implIS3_N6thrust23THRUST_200600_302600_NS6detail15normal_iteratorINS9_10device_ptrIiEEEEPS5_jNS1_19radix_merge_compareILb1ELb0EiNS0_19identity_decomposerEEEEE10hipError_tT0_T1_T2_jT3_P12ihipStream_tbPNSt15iterator_traitsISK_E10value_typeEPNSQ_ISL_E10value_typeEPSM_NS1_7vsmem_tEENKUlT_SK_SL_SM_E_clISE_PiSF_SF_EESJ_SZ_SK_SL_SM_EUlSZ_E0_NS1_11comp_targetILNS1_3genE0ELNS1_11target_archE4294967295ELNS1_3gpuE0ELNS1_3repE0EEENS1_38merge_mergepath_config_static_selectorELNS0_4arch9wavefront6targetE0EEEvSL_.num_vgpr, 0
	.set _ZN7rocprim17ROCPRIM_400000_NS6detail17trampoline_kernelINS0_14default_configENS1_38merge_sort_block_merge_config_selectorIiNS0_10empty_typeEEEZZNS1_27merge_sort_block_merge_implIS3_N6thrust23THRUST_200600_302600_NS6detail15normal_iteratorINS9_10device_ptrIiEEEEPS5_jNS1_19radix_merge_compareILb1ELb0EiNS0_19identity_decomposerEEEEE10hipError_tT0_T1_T2_jT3_P12ihipStream_tbPNSt15iterator_traitsISK_E10value_typeEPNSQ_ISL_E10value_typeEPSM_NS1_7vsmem_tEENKUlT_SK_SL_SM_E_clISE_PiSF_SF_EESJ_SZ_SK_SL_SM_EUlSZ_E0_NS1_11comp_targetILNS1_3genE0ELNS1_11target_archE4294967295ELNS1_3gpuE0ELNS1_3repE0EEENS1_38merge_mergepath_config_static_selectorELNS0_4arch9wavefront6targetE0EEEvSL_.num_agpr, 0
	.set _ZN7rocprim17ROCPRIM_400000_NS6detail17trampoline_kernelINS0_14default_configENS1_38merge_sort_block_merge_config_selectorIiNS0_10empty_typeEEEZZNS1_27merge_sort_block_merge_implIS3_N6thrust23THRUST_200600_302600_NS6detail15normal_iteratorINS9_10device_ptrIiEEEEPS5_jNS1_19radix_merge_compareILb1ELb0EiNS0_19identity_decomposerEEEEE10hipError_tT0_T1_T2_jT3_P12ihipStream_tbPNSt15iterator_traitsISK_E10value_typeEPNSQ_ISL_E10value_typeEPSM_NS1_7vsmem_tEENKUlT_SK_SL_SM_E_clISE_PiSF_SF_EESJ_SZ_SK_SL_SM_EUlSZ_E0_NS1_11comp_targetILNS1_3genE0ELNS1_11target_archE4294967295ELNS1_3gpuE0ELNS1_3repE0EEENS1_38merge_mergepath_config_static_selectorELNS0_4arch9wavefront6targetE0EEEvSL_.numbered_sgpr, 0
	.set _ZN7rocprim17ROCPRIM_400000_NS6detail17trampoline_kernelINS0_14default_configENS1_38merge_sort_block_merge_config_selectorIiNS0_10empty_typeEEEZZNS1_27merge_sort_block_merge_implIS3_N6thrust23THRUST_200600_302600_NS6detail15normal_iteratorINS9_10device_ptrIiEEEEPS5_jNS1_19radix_merge_compareILb1ELb0EiNS0_19identity_decomposerEEEEE10hipError_tT0_T1_T2_jT3_P12ihipStream_tbPNSt15iterator_traitsISK_E10value_typeEPNSQ_ISL_E10value_typeEPSM_NS1_7vsmem_tEENKUlT_SK_SL_SM_E_clISE_PiSF_SF_EESJ_SZ_SK_SL_SM_EUlSZ_E0_NS1_11comp_targetILNS1_3genE0ELNS1_11target_archE4294967295ELNS1_3gpuE0ELNS1_3repE0EEENS1_38merge_mergepath_config_static_selectorELNS0_4arch9wavefront6targetE0EEEvSL_.num_named_barrier, 0
	.set _ZN7rocprim17ROCPRIM_400000_NS6detail17trampoline_kernelINS0_14default_configENS1_38merge_sort_block_merge_config_selectorIiNS0_10empty_typeEEEZZNS1_27merge_sort_block_merge_implIS3_N6thrust23THRUST_200600_302600_NS6detail15normal_iteratorINS9_10device_ptrIiEEEEPS5_jNS1_19radix_merge_compareILb1ELb0EiNS0_19identity_decomposerEEEEE10hipError_tT0_T1_T2_jT3_P12ihipStream_tbPNSt15iterator_traitsISK_E10value_typeEPNSQ_ISL_E10value_typeEPSM_NS1_7vsmem_tEENKUlT_SK_SL_SM_E_clISE_PiSF_SF_EESJ_SZ_SK_SL_SM_EUlSZ_E0_NS1_11comp_targetILNS1_3genE0ELNS1_11target_archE4294967295ELNS1_3gpuE0ELNS1_3repE0EEENS1_38merge_mergepath_config_static_selectorELNS0_4arch9wavefront6targetE0EEEvSL_.private_seg_size, 0
	.set _ZN7rocprim17ROCPRIM_400000_NS6detail17trampoline_kernelINS0_14default_configENS1_38merge_sort_block_merge_config_selectorIiNS0_10empty_typeEEEZZNS1_27merge_sort_block_merge_implIS3_N6thrust23THRUST_200600_302600_NS6detail15normal_iteratorINS9_10device_ptrIiEEEEPS5_jNS1_19radix_merge_compareILb1ELb0EiNS0_19identity_decomposerEEEEE10hipError_tT0_T1_T2_jT3_P12ihipStream_tbPNSt15iterator_traitsISK_E10value_typeEPNSQ_ISL_E10value_typeEPSM_NS1_7vsmem_tEENKUlT_SK_SL_SM_E_clISE_PiSF_SF_EESJ_SZ_SK_SL_SM_EUlSZ_E0_NS1_11comp_targetILNS1_3genE0ELNS1_11target_archE4294967295ELNS1_3gpuE0ELNS1_3repE0EEENS1_38merge_mergepath_config_static_selectorELNS0_4arch9wavefront6targetE0EEEvSL_.uses_vcc, 0
	.set _ZN7rocprim17ROCPRIM_400000_NS6detail17trampoline_kernelINS0_14default_configENS1_38merge_sort_block_merge_config_selectorIiNS0_10empty_typeEEEZZNS1_27merge_sort_block_merge_implIS3_N6thrust23THRUST_200600_302600_NS6detail15normal_iteratorINS9_10device_ptrIiEEEEPS5_jNS1_19radix_merge_compareILb1ELb0EiNS0_19identity_decomposerEEEEE10hipError_tT0_T1_T2_jT3_P12ihipStream_tbPNSt15iterator_traitsISK_E10value_typeEPNSQ_ISL_E10value_typeEPSM_NS1_7vsmem_tEENKUlT_SK_SL_SM_E_clISE_PiSF_SF_EESJ_SZ_SK_SL_SM_EUlSZ_E0_NS1_11comp_targetILNS1_3genE0ELNS1_11target_archE4294967295ELNS1_3gpuE0ELNS1_3repE0EEENS1_38merge_mergepath_config_static_selectorELNS0_4arch9wavefront6targetE0EEEvSL_.uses_flat_scratch, 0
	.set _ZN7rocprim17ROCPRIM_400000_NS6detail17trampoline_kernelINS0_14default_configENS1_38merge_sort_block_merge_config_selectorIiNS0_10empty_typeEEEZZNS1_27merge_sort_block_merge_implIS3_N6thrust23THRUST_200600_302600_NS6detail15normal_iteratorINS9_10device_ptrIiEEEEPS5_jNS1_19radix_merge_compareILb1ELb0EiNS0_19identity_decomposerEEEEE10hipError_tT0_T1_T2_jT3_P12ihipStream_tbPNSt15iterator_traitsISK_E10value_typeEPNSQ_ISL_E10value_typeEPSM_NS1_7vsmem_tEENKUlT_SK_SL_SM_E_clISE_PiSF_SF_EESJ_SZ_SK_SL_SM_EUlSZ_E0_NS1_11comp_targetILNS1_3genE0ELNS1_11target_archE4294967295ELNS1_3gpuE0ELNS1_3repE0EEENS1_38merge_mergepath_config_static_selectorELNS0_4arch9wavefront6targetE0EEEvSL_.has_dyn_sized_stack, 0
	.set _ZN7rocprim17ROCPRIM_400000_NS6detail17trampoline_kernelINS0_14default_configENS1_38merge_sort_block_merge_config_selectorIiNS0_10empty_typeEEEZZNS1_27merge_sort_block_merge_implIS3_N6thrust23THRUST_200600_302600_NS6detail15normal_iteratorINS9_10device_ptrIiEEEEPS5_jNS1_19radix_merge_compareILb1ELb0EiNS0_19identity_decomposerEEEEE10hipError_tT0_T1_T2_jT3_P12ihipStream_tbPNSt15iterator_traitsISK_E10value_typeEPNSQ_ISL_E10value_typeEPSM_NS1_7vsmem_tEENKUlT_SK_SL_SM_E_clISE_PiSF_SF_EESJ_SZ_SK_SL_SM_EUlSZ_E0_NS1_11comp_targetILNS1_3genE0ELNS1_11target_archE4294967295ELNS1_3gpuE0ELNS1_3repE0EEENS1_38merge_mergepath_config_static_selectorELNS0_4arch9wavefront6targetE0EEEvSL_.has_recursion, 0
	.set _ZN7rocprim17ROCPRIM_400000_NS6detail17trampoline_kernelINS0_14default_configENS1_38merge_sort_block_merge_config_selectorIiNS0_10empty_typeEEEZZNS1_27merge_sort_block_merge_implIS3_N6thrust23THRUST_200600_302600_NS6detail15normal_iteratorINS9_10device_ptrIiEEEEPS5_jNS1_19radix_merge_compareILb1ELb0EiNS0_19identity_decomposerEEEEE10hipError_tT0_T1_T2_jT3_P12ihipStream_tbPNSt15iterator_traitsISK_E10value_typeEPNSQ_ISL_E10value_typeEPSM_NS1_7vsmem_tEENKUlT_SK_SL_SM_E_clISE_PiSF_SF_EESJ_SZ_SK_SL_SM_EUlSZ_E0_NS1_11comp_targetILNS1_3genE0ELNS1_11target_archE4294967295ELNS1_3gpuE0ELNS1_3repE0EEENS1_38merge_mergepath_config_static_selectorELNS0_4arch9wavefront6targetE0EEEvSL_.has_indirect_call, 0
	.section	.AMDGPU.csdata,"",@progbits
; Kernel info:
; codeLenInByte = 0
; TotalNumSgprs: 0
; NumVgprs: 0
; ScratchSize: 0
; MemoryBound: 0
; FloatMode: 240
; IeeeMode: 1
; LDSByteSize: 0 bytes/workgroup (compile time only)
; SGPRBlocks: 0
; VGPRBlocks: 0
; NumSGPRsForWavesPerEU: 1
; NumVGPRsForWavesPerEU: 1
; Occupancy: 16
; WaveLimiterHint : 0
; COMPUTE_PGM_RSRC2:SCRATCH_EN: 0
; COMPUTE_PGM_RSRC2:USER_SGPR: 6
; COMPUTE_PGM_RSRC2:TRAP_HANDLER: 0
; COMPUTE_PGM_RSRC2:TGID_X_EN: 1
; COMPUTE_PGM_RSRC2:TGID_Y_EN: 0
; COMPUTE_PGM_RSRC2:TGID_Z_EN: 0
; COMPUTE_PGM_RSRC2:TIDIG_COMP_CNT: 0
	.section	.text._ZN7rocprim17ROCPRIM_400000_NS6detail17trampoline_kernelINS0_14default_configENS1_38merge_sort_block_merge_config_selectorIiNS0_10empty_typeEEEZZNS1_27merge_sort_block_merge_implIS3_N6thrust23THRUST_200600_302600_NS6detail15normal_iteratorINS9_10device_ptrIiEEEEPS5_jNS1_19radix_merge_compareILb1ELb0EiNS0_19identity_decomposerEEEEE10hipError_tT0_T1_T2_jT3_P12ihipStream_tbPNSt15iterator_traitsISK_E10value_typeEPNSQ_ISL_E10value_typeEPSM_NS1_7vsmem_tEENKUlT_SK_SL_SM_E_clISE_PiSF_SF_EESJ_SZ_SK_SL_SM_EUlSZ_E0_NS1_11comp_targetILNS1_3genE10ELNS1_11target_archE1201ELNS1_3gpuE5ELNS1_3repE0EEENS1_38merge_mergepath_config_static_selectorELNS0_4arch9wavefront6targetE0EEEvSL_,"axG",@progbits,_ZN7rocprim17ROCPRIM_400000_NS6detail17trampoline_kernelINS0_14default_configENS1_38merge_sort_block_merge_config_selectorIiNS0_10empty_typeEEEZZNS1_27merge_sort_block_merge_implIS3_N6thrust23THRUST_200600_302600_NS6detail15normal_iteratorINS9_10device_ptrIiEEEEPS5_jNS1_19radix_merge_compareILb1ELb0EiNS0_19identity_decomposerEEEEE10hipError_tT0_T1_T2_jT3_P12ihipStream_tbPNSt15iterator_traitsISK_E10value_typeEPNSQ_ISL_E10value_typeEPSM_NS1_7vsmem_tEENKUlT_SK_SL_SM_E_clISE_PiSF_SF_EESJ_SZ_SK_SL_SM_EUlSZ_E0_NS1_11comp_targetILNS1_3genE10ELNS1_11target_archE1201ELNS1_3gpuE5ELNS1_3repE0EEENS1_38merge_mergepath_config_static_selectorELNS0_4arch9wavefront6targetE0EEEvSL_,comdat
	.protected	_ZN7rocprim17ROCPRIM_400000_NS6detail17trampoline_kernelINS0_14default_configENS1_38merge_sort_block_merge_config_selectorIiNS0_10empty_typeEEEZZNS1_27merge_sort_block_merge_implIS3_N6thrust23THRUST_200600_302600_NS6detail15normal_iteratorINS9_10device_ptrIiEEEEPS5_jNS1_19radix_merge_compareILb1ELb0EiNS0_19identity_decomposerEEEEE10hipError_tT0_T1_T2_jT3_P12ihipStream_tbPNSt15iterator_traitsISK_E10value_typeEPNSQ_ISL_E10value_typeEPSM_NS1_7vsmem_tEENKUlT_SK_SL_SM_E_clISE_PiSF_SF_EESJ_SZ_SK_SL_SM_EUlSZ_E0_NS1_11comp_targetILNS1_3genE10ELNS1_11target_archE1201ELNS1_3gpuE5ELNS1_3repE0EEENS1_38merge_mergepath_config_static_selectorELNS0_4arch9wavefront6targetE0EEEvSL_ ; -- Begin function _ZN7rocprim17ROCPRIM_400000_NS6detail17trampoline_kernelINS0_14default_configENS1_38merge_sort_block_merge_config_selectorIiNS0_10empty_typeEEEZZNS1_27merge_sort_block_merge_implIS3_N6thrust23THRUST_200600_302600_NS6detail15normal_iteratorINS9_10device_ptrIiEEEEPS5_jNS1_19radix_merge_compareILb1ELb0EiNS0_19identity_decomposerEEEEE10hipError_tT0_T1_T2_jT3_P12ihipStream_tbPNSt15iterator_traitsISK_E10value_typeEPNSQ_ISL_E10value_typeEPSM_NS1_7vsmem_tEENKUlT_SK_SL_SM_E_clISE_PiSF_SF_EESJ_SZ_SK_SL_SM_EUlSZ_E0_NS1_11comp_targetILNS1_3genE10ELNS1_11target_archE1201ELNS1_3gpuE5ELNS1_3repE0EEENS1_38merge_mergepath_config_static_selectorELNS0_4arch9wavefront6targetE0EEEvSL_
	.globl	_ZN7rocprim17ROCPRIM_400000_NS6detail17trampoline_kernelINS0_14default_configENS1_38merge_sort_block_merge_config_selectorIiNS0_10empty_typeEEEZZNS1_27merge_sort_block_merge_implIS3_N6thrust23THRUST_200600_302600_NS6detail15normal_iteratorINS9_10device_ptrIiEEEEPS5_jNS1_19radix_merge_compareILb1ELb0EiNS0_19identity_decomposerEEEEE10hipError_tT0_T1_T2_jT3_P12ihipStream_tbPNSt15iterator_traitsISK_E10value_typeEPNSQ_ISL_E10value_typeEPSM_NS1_7vsmem_tEENKUlT_SK_SL_SM_E_clISE_PiSF_SF_EESJ_SZ_SK_SL_SM_EUlSZ_E0_NS1_11comp_targetILNS1_3genE10ELNS1_11target_archE1201ELNS1_3gpuE5ELNS1_3repE0EEENS1_38merge_mergepath_config_static_selectorELNS0_4arch9wavefront6targetE0EEEvSL_
	.p2align	8
	.type	_ZN7rocprim17ROCPRIM_400000_NS6detail17trampoline_kernelINS0_14default_configENS1_38merge_sort_block_merge_config_selectorIiNS0_10empty_typeEEEZZNS1_27merge_sort_block_merge_implIS3_N6thrust23THRUST_200600_302600_NS6detail15normal_iteratorINS9_10device_ptrIiEEEEPS5_jNS1_19radix_merge_compareILb1ELb0EiNS0_19identity_decomposerEEEEE10hipError_tT0_T1_T2_jT3_P12ihipStream_tbPNSt15iterator_traitsISK_E10value_typeEPNSQ_ISL_E10value_typeEPSM_NS1_7vsmem_tEENKUlT_SK_SL_SM_E_clISE_PiSF_SF_EESJ_SZ_SK_SL_SM_EUlSZ_E0_NS1_11comp_targetILNS1_3genE10ELNS1_11target_archE1201ELNS1_3gpuE5ELNS1_3repE0EEENS1_38merge_mergepath_config_static_selectorELNS0_4arch9wavefront6targetE0EEEvSL_,@function
_ZN7rocprim17ROCPRIM_400000_NS6detail17trampoline_kernelINS0_14default_configENS1_38merge_sort_block_merge_config_selectorIiNS0_10empty_typeEEEZZNS1_27merge_sort_block_merge_implIS3_N6thrust23THRUST_200600_302600_NS6detail15normal_iteratorINS9_10device_ptrIiEEEEPS5_jNS1_19radix_merge_compareILb1ELb0EiNS0_19identity_decomposerEEEEE10hipError_tT0_T1_T2_jT3_P12ihipStream_tbPNSt15iterator_traitsISK_E10value_typeEPNSQ_ISL_E10value_typeEPSM_NS1_7vsmem_tEENKUlT_SK_SL_SM_E_clISE_PiSF_SF_EESJ_SZ_SK_SL_SM_EUlSZ_E0_NS1_11comp_targetILNS1_3genE10ELNS1_11target_archE1201ELNS1_3gpuE5ELNS1_3repE0EEENS1_38merge_mergepath_config_static_selectorELNS0_4arch9wavefront6targetE0EEEvSL_: ; @_ZN7rocprim17ROCPRIM_400000_NS6detail17trampoline_kernelINS0_14default_configENS1_38merge_sort_block_merge_config_selectorIiNS0_10empty_typeEEEZZNS1_27merge_sort_block_merge_implIS3_N6thrust23THRUST_200600_302600_NS6detail15normal_iteratorINS9_10device_ptrIiEEEEPS5_jNS1_19radix_merge_compareILb1ELb0EiNS0_19identity_decomposerEEEEE10hipError_tT0_T1_T2_jT3_P12ihipStream_tbPNSt15iterator_traitsISK_E10value_typeEPNSQ_ISL_E10value_typeEPSM_NS1_7vsmem_tEENKUlT_SK_SL_SM_E_clISE_PiSF_SF_EESJ_SZ_SK_SL_SM_EUlSZ_E0_NS1_11comp_targetILNS1_3genE10ELNS1_11target_archE1201ELNS1_3gpuE5ELNS1_3repE0EEENS1_38merge_mergepath_config_static_selectorELNS0_4arch9wavefront6targetE0EEEvSL_
; %bb.0:
	.section	.rodata,"a",@progbits
	.p2align	6, 0x0
	.amdhsa_kernel _ZN7rocprim17ROCPRIM_400000_NS6detail17trampoline_kernelINS0_14default_configENS1_38merge_sort_block_merge_config_selectorIiNS0_10empty_typeEEEZZNS1_27merge_sort_block_merge_implIS3_N6thrust23THRUST_200600_302600_NS6detail15normal_iteratorINS9_10device_ptrIiEEEEPS5_jNS1_19radix_merge_compareILb1ELb0EiNS0_19identity_decomposerEEEEE10hipError_tT0_T1_T2_jT3_P12ihipStream_tbPNSt15iterator_traitsISK_E10value_typeEPNSQ_ISL_E10value_typeEPSM_NS1_7vsmem_tEENKUlT_SK_SL_SM_E_clISE_PiSF_SF_EESJ_SZ_SK_SL_SM_EUlSZ_E0_NS1_11comp_targetILNS1_3genE10ELNS1_11target_archE1201ELNS1_3gpuE5ELNS1_3repE0EEENS1_38merge_mergepath_config_static_selectorELNS0_4arch9wavefront6targetE0EEEvSL_
		.amdhsa_group_segment_fixed_size 0
		.amdhsa_private_segment_fixed_size 0
		.amdhsa_kernarg_size 64
		.amdhsa_user_sgpr_count 6
		.amdhsa_user_sgpr_private_segment_buffer 1
		.amdhsa_user_sgpr_dispatch_ptr 0
		.amdhsa_user_sgpr_queue_ptr 0
		.amdhsa_user_sgpr_kernarg_segment_ptr 1
		.amdhsa_user_sgpr_dispatch_id 0
		.amdhsa_user_sgpr_flat_scratch_init 0
		.amdhsa_user_sgpr_private_segment_size 0
		.amdhsa_wavefront_size32 1
		.amdhsa_uses_dynamic_stack 0
		.amdhsa_system_sgpr_private_segment_wavefront_offset 0
		.amdhsa_system_sgpr_workgroup_id_x 1
		.amdhsa_system_sgpr_workgroup_id_y 0
		.amdhsa_system_sgpr_workgroup_id_z 0
		.amdhsa_system_sgpr_workgroup_info 0
		.amdhsa_system_vgpr_workitem_id 0
		.amdhsa_next_free_vgpr 1
		.amdhsa_next_free_sgpr 1
		.amdhsa_reserve_vcc 0
		.amdhsa_reserve_flat_scratch 0
		.amdhsa_float_round_mode_32 0
		.amdhsa_float_round_mode_16_64 0
		.amdhsa_float_denorm_mode_32 3
		.amdhsa_float_denorm_mode_16_64 3
		.amdhsa_dx10_clamp 1
		.amdhsa_ieee_mode 1
		.amdhsa_fp16_overflow 0
		.amdhsa_workgroup_processor_mode 1
		.amdhsa_memory_ordered 1
		.amdhsa_forward_progress 1
		.amdhsa_shared_vgpr_count 0
		.amdhsa_exception_fp_ieee_invalid_op 0
		.amdhsa_exception_fp_denorm_src 0
		.amdhsa_exception_fp_ieee_div_zero 0
		.amdhsa_exception_fp_ieee_overflow 0
		.amdhsa_exception_fp_ieee_underflow 0
		.amdhsa_exception_fp_ieee_inexact 0
		.amdhsa_exception_int_div_zero 0
	.end_amdhsa_kernel
	.section	.text._ZN7rocprim17ROCPRIM_400000_NS6detail17trampoline_kernelINS0_14default_configENS1_38merge_sort_block_merge_config_selectorIiNS0_10empty_typeEEEZZNS1_27merge_sort_block_merge_implIS3_N6thrust23THRUST_200600_302600_NS6detail15normal_iteratorINS9_10device_ptrIiEEEEPS5_jNS1_19radix_merge_compareILb1ELb0EiNS0_19identity_decomposerEEEEE10hipError_tT0_T1_T2_jT3_P12ihipStream_tbPNSt15iterator_traitsISK_E10value_typeEPNSQ_ISL_E10value_typeEPSM_NS1_7vsmem_tEENKUlT_SK_SL_SM_E_clISE_PiSF_SF_EESJ_SZ_SK_SL_SM_EUlSZ_E0_NS1_11comp_targetILNS1_3genE10ELNS1_11target_archE1201ELNS1_3gpuE5ELNS1_3repE0EEENS1_38merge_mergepath_config_static_selectorELNS0_4arch9wavefront6targetE0EEEvSL_,"axG",@progbits,_ZN7rocprim17ROCPRIM_400000_NS6detail17trampoline_kernelINS0_14default_configENS1_38merge_sort_block_merge_config_selectorIiNS0_10empty_typeEEEZZNS1_27merge_sort_block_merge_implIS3_N6thrust23THRUST_200600_302600_NS6detail15normal_iteratorINS9_10device_ptrIiEEEEPS5_jNS1_19radix_merge_compareILb1ELb0EiNS0_19identity_decomposerEEEEE10hipError_tT0_T1_T2_jT3_P12ihipStream_tbPNSt15iterator_traitsISK_E10value_typeEPNSQ_ISL_E10value_typeEPSM_NS1_7vsmem_tEENKUlT_SK_SL_SM_E_clISE_PiSF_SF_EESJ_SZ_SK_SL_SM_EUlSZ_E0_NS1_11comp_targetILNS1_3genE10ELNS1_11target_archE1201ELNS1_3gpuE5ELNS1_3repE0EEENS1_38merge_mergepath_config_static_selectorELNS0_4arch9wavefront6targetE0EEEvSL_,comdat
.Lfunc_end255:
	.size	_ZN7rocprim17ROCPRIM_400000_NS6detail17trampoline_kernelINS0_14default_configENS1_38merge_sort_block_merge_config_selectorIiNS0_10empty_typeEEEZZNS1_27merge_sort_block_merge_implIS3_N6thrust23THRUST_200600_302600_NS6detail15normal_iteratorINS9_10device_ptrIiEEEEPS5_jNS1_19radix_merge_compareILb1ELb0EiNS0_19identity_decomposerEEEEE10hipError_tT0_T1_T2_jT3_P12ihipStream_tbPNSt15iterator_traitsISK_E10value_typeEPNSQ_ISL_E10value_typeEPSM_NS1_7vsmem_tEENKUlT_SK_SL_SM_E_clISE_PiSF_SF_EESJ_SZ_SK_SL_SM_EUlSZ_E0_NS1_11comp_targetILNS1_3genE10ELNS1_11target_archE1201ELNS1_3gpuE5ELNS1_3repE0EEENS1_38merge_mergepath_config_static_selectorELNS0_4arch9wavefront6targetE0EEEvSL_, .Lfunc_end255-_ZN7rocprim17ROCPRIM_400000_NS6detail17trampoline_kernelINS0_14default_configENS1_38merge_sort_block_merge_config_selectorIiNS0_10empty_typeEEEZZNS1_27merge_sort_block_merge_implIS3_N6thrust23THRUST_200600_302600_NS6detail15normal_iteratorINS9_10device_ptrIiEEEEPS5_jNS1_19radix_merge_compareILb1ELb0EiNS0_19identity_decomposerEEEEE10hipError_tT0_T1_T2_jT3_P12ihipStream_tbPNSt15iterator_traitsISK_E10value_typeEPNSQ_ISL_E10value_typeEPSM_NS1_7vsmem_tEENKUlT_SK_SL_SM_E_clISE_PiSF_SF_EESJ_SZ_SK_SL_SM_EUlSZ_E0_NS1_11comp_targetILNS1_3genE10ELNS1_11target_archE1201ELNS1_3gpuE5ELNS1_3repE0EEENS1_38merge_mergepath_config_static_selectorELNS0_4arch9wavefront6targetE0EEEvSL_
                                        ; -- End function
	.set _ZN7rocprim17ROCPRIM_400000_NS6detail17trampoline_kernelINS0_14default_configENS1_38merge_sort_block_merge_config_selectorIiNS0_10empty_typeEEEZZNS1_27merge_sort_block_merge_implIS3_N6thrust23THRUST_200600_302600_NS6detail15normal_iteratorINS9_10device_ptrIiEEEEPS5_jNS1_19radix_merge_compareILb1ELb0EiNS0_19identity_decomposerEEEEE10hipError_tT0_T1_T2_jT3_P12ihipStream_tbPNSt15iterator_traitsISK_E10value_typeEPNSQ_ISL_E10value_typeEPSM_NS1_7vsmem_tEENKUlT_SK_SL_SM_E_clISE_PiSF_SF_EESJ_SZ_SK_SL_SM_EUlSZ_E0_NS1_11comp_targetILNS1_3genE10ELNS1_11target_archE1201ELNS1_3gpuE5ELNS1_3repE0EEENS1_38merge_mergepath_config_static_selectorELNS0_4arch9wavefront6targetE0EEEvSL_.num_vgpr, 0
	.set _ZN7rocprim17ROCPRIM_400000_NS6detail17trampoline_kernelINS0_14default_configENS1_38merge_sort_block_merge_config_selectorIiNS0_10empty_typeEEEZZNS1_27merge_sort_block_merge_implIS3_N6thrust23THRUST_200600_302600_NS6detail15normal_iteratorINS9_10device_ptrIiEEEEPS5_jNS1_19radix_merge_compareILb1ELb0EiNS0_19identity_decomposerEEEEE10hipError_tT0_T1_T2_jT3_P12ihipStream_tbPNSt15iterator_traitsISK_E10value_typeEPNSQ_ISL_E10value_typeEPSM_NS1_7vsmem_tEENKUlT_SK_SL_SM_E_clISE_PiSF_SF_EESJ_SZ_SK_SL_SM_EUlSZ_E0_NS1_11comp_targetILNS1_3genE10ELNS1_11target_archE1201ELNS1_3gpuE5ELNS1_3repE0EEENS1_38merge_mergepath_config_static_selectorELNS0_4arch9wavefront6targetE0EEEvSL_.num_agpr, 0
	.set _ZN7rocprim17ROCPRIM_400000_NS6detail17trampoline_kernelINS0_14default_configENS1_38merge_sort_block_merge_config_selectorIiNS0_10empty_typeEEEZZNS1_27merge_sort_block_merge_implIS3_N6thrust23THRUST_200600_302600_NS6detail15normal_iteratorINS9_10device_ptrIiEEEEPS5_jNS1_19radix_merge_compareILb1ELb0EiNS0_19identity_decomposerEEEEE10hipError_tT0_T1_T2_jT3_P12ihipStream_tbPNSt15iterator_traitsISK_E10value_typeEPNSQ_ISL_E10value_typeEPSM_NS1_7vsmem_tEENKUlT_SK_SL_SM_E_clISE_PiSF_SF_EESJ_SZ_SK_SL_SM_EUlSZ_E0_NS1_11comp_targetILNS1_3genE10ELNS1_11target_archE1201ELNS1_3gpuE5ELNS1_3repE0EEENS1_38merge_mergepath_config_static_selectorELNS0_4arch9wavefront6targetE0EEEvSL_.numbered_sgpr, 0
	.set _ZN7rocprim17ROCPRIM_400000_NS6detail17trampoline_kernelINS0_14default_configENS1_38merge_sort_block_merge_config_selectorIiNS0_10empty_typeEEEZZNS1_27merge_sort_block_merge_implIS3_N6thrust23THRUST_200600_302600_NS6detail15normal_iteratorINS9_10device_ptrIiEEEEPS5_jNS1_19radix_merge_compareILb1ELb0EiNS0_19identity_decomposerEEEEE10hipError_tT0_T1_T2_jT3_P12ihipStream_tbPNSt15iterator_traitsISK_E10value_typeEPNSQ_ISL_E10value_typeEPSM_NS1_7vsmem_tEENKUlT_SK_SL_SM_E_clISE_PiSF_SF_EESJ_SZ_SK_SL_SM_EUlSZ_E0_NS1_11comp_targetILNS1_3genE10ELNS1_11target_archE1201ELNS1_3gpuE5ELNS1_3repE0EEENS1_38merge_mergepath_config_static_selectorELNS0_4arch9wavefront6targetE0EEEvSL_.num_named_barrier, 0
	.set _ZN7rocprim17ROCPRIM_400000_NS6detail17trampoline_kernelINS0_14default_configENS1_38merge_sort_block_merge_config_selectorIiNS0_10empty_typeEEEZZNS1_27merge_sort_block_merge_implIS3_N6thrust23THRUST_200600_302600_NS6detail15normal_iteratorINS9_10device_ptrIiEEEEPS5_jNS1_19radix_merge_compareILb1ELb0EiNS0_19identity_decomposerEEEEE10hipError_tT0_T1_T2_jT3_P12ihipStream_tbPNSt15iterator_traitsISK_E10value_typeEPNSQ_ISL_E10value_typeEPSM_NS1_7vsmem_tEENKUlT_SK_SL_SM_E_clISE_PiSF_SF_EESJ_SZ_SK_SL_SM_EUlSZ_E0_NS1_11comp_targetILNS1_3genE10ELNS1_11target_archE1201ELNS1_3gpuE5ELNS1_3repE0EEENS1_38merge_mergepath_config_static_selectorELNS0_4arch9wavefront6targetE0EEEvSL_.private_seg_size, 0
	.set _ZN7rocprim17ROCPRIM_400000_NS6detail17trampoline_kernelINS0_14default_configENS1_38merge_sort_block_merge_config_selectorIiNS0_10empty_typeEEEZZNS1_27merge_sort_block_merge_implIS3_N6thrust23THRUST_200600_302600_NS6detail15normal_iteratorINS9_10device_ptrIiEEEEPS5_jNS1_19radix_merge_compareILb1ELb0EiNS0_19identity_decomposerEEEEE10hipError_tT0_T1_T2_jT3_P12ihipStream_tbPNSt15iterator_traitsISK_E10value_typeEPNSQ_ISL_E10value_typeEPSM_NS1_7vsmem_tEENKUlT_SK_SL_SM_E_clISE_PiSF_SF_EESJ_SZ_SK_SL_SM_EUlSZ_E0_NS1_11comp_targetILNS1_3genE10ELNS1_11target_archE1201ELNS1_3gpuE5ELNS1_3repE0EEENS1_38merge_mergepath_config_static_selectorELNS0_4arch9wavefront6targetE0EEEvSL_.uses_vcc, 0
	.set _ZN7rocprim17ROCPRIM_400000_NS6detail17trampoline_kernelINS0_14default_configENS1_38merge_sort_block_merge_config_selectorIiNS0_10empty_typeEEEZZNS1_27merge_sort_block_merge_implIS3_N6thrust23THRUST_200600_302600_NS6detail15normal_iteratorINS9_10device_ptrIiEEEEPS5_jNS1_19radix_merge_compareILb1ELb0EiNS0_19identity_decomposerEEEEE10hipError_tT0_T1_T2_jT3_P12ihipStream_tbPNSt15iterator_traitsISK_E10value_typeEPNSQ_ISL_E10value_typeEPSM_NS1_7vsmem_tEENKUlT_SK_SL_SM_E_clISE_PiSF_SF_EESJ_SZ_SK_SL_SM_EUlSZ_E0_NS1_11comp_targetILNS1_3genE10ELNS1_11target_archE1201ELNS1_3gpuE5ELNS1_3repE0EEENS1_38merge_mergepath_config_static_selectorELNS0_4arch9wavefront6targetE0EEEvSL_.uses_flat_scratch, 0
	.set _ZN7rocprim17ROCPRIM_400000_NS6detail17trampoline_kernelINS0_14default_configENS1_38merge_sort_block_merge_config_selectorIiNS0_10empty_typeEEEZZNS1_27merge_sort_block_merge_implIS3_N6thrust23THRUST_200600_302600_NS6detail15normal_iteratorINS9_10device_ptrIiEEEEPS5_jNS1_19radix_merge_compareILb1ELb0EiNS0_19identity_decomposerEEEEE10hipError_tT0_T1_T2_jT3_P12ihipStream_tbPNSt15iterator_traitsISK_E10value_typeEPNSQ_ISL_E10value_typeEPSM_NS1_7vsmem_tEENKUlT_SK_SL_SM_E_clISE_PiSF_SF_EESJ_SZ_SK_SL_SM_EUlSZ_E0_NS1_11comp_targetILNS1_3genE10ELNS1_11target_archE1201ELNS1_3gpuE5ELNS1_3repE0EEENS1_38merge_mergepath_config_static_selectorELNS0_4arch9wavefront6targetE0EEEvSL_.has_dyn_sized_stack, 0
	.set _ZN7rocprim17ROCPRIM_400000_NS6detail17trampoline_kernelINS0_14default_configENS1_38merge_sort_block_merge_config_selectorIiNS0_10empty_typeEEEZZNS1_27merge_sort_block_merge_implIS3_N6thrust23THRUST_200600_302600_NS6detail15normal_iteratorINS9_10device_ptrIiEEEEPS5_jNS1_19radix_merge_compareILb1ELb0EiNS0_19identity_decomposerEEEEE10hipError_tT0_T1_T2_jT3_P12ihipStream_tbPNSt15iterator_traitsISK_E10value_typeEPNSQ_ISL_E10value_typeEPSM_NS1_7vsmem_tEENKUlT_SK_SL_SM_E_clISE_PiSF_SF_EESJ_SZ_SK_SL_SM_EUlSZ_E0_NS1_11comp_targetILNS1_3genE10ELNS1_11target_archE1201ELNS1_3gpuE5ELNS1_3repE0EEENS1_38merge_mergepath_config_static_selectorELNS0_4arch9wavefront6targetE0EEEvSL_.has_recursion, 0
	.set _ZN7rocprim17ROCPRIM_400000_NS6detail17trampoline_kernelINS0_14default_configENS1_38merge_sort_block_merge_config_selectorIiNS0_10empty_typeEEEZZNS1_27merge_sort_block_merge_implIS3_N6thrust23THRUST_200600_302600_NS6detail15normal_iteratorINS9_10device_ptrIiEEEEPS5_jNS1_19radix_merge_compareILb1ELb0EiNS0_19identity_decomposerEEEEE10hipError_tT0_T1_T2_jT3_P12ihipStream_tbPNSt15iterator_traitsISK_E10value_typeEPNSQ_ISL_E10value_typeEPSM_NS1_7vsmem_tEENKUlT_SK_SL_SM_E_clISE_PiSF_SF_EESJ_SZ_SK_SL_SM_EUlSZ_E0_NS1_11comp_targetILNS1_3genE10ELNS1_11target_archE1201ELNS1_3gpuE5ELNS1_3repE0EEENS1_38merge_mergepath_config_static_selectorELNS0_4arch9wavefront6targetE0EEEvSL_.has_indirect_call, 0
	.section	.AMDGPU.csdata,"",@progbits
; Kernel info:
; codeLenInByte = 0
; TotalNumSgprs: 0
; NumVgprs: 0
; ScratchSize: 0
; MemoryBound: 0
; FloatMode: 240
; IeeeMode: 1
; LDSByteSize: 0 bytes/workgroup (compile time only)
; SGPRBlocks: 0
; VGPRBlocks: 0
; NumSGPRsForWavesPerEU: 1
; NumVGPRsForWavesPerEU: 1
; Occupancy: 16
; WaveLimiterHint : 0
; COMPUTE_PGM_RSRC2:SCRATCH_EN: 0
; COMPUTE_PGM_RSRC2:USER_SGPR: 6
; COMPUTE_PGM_RSRC2:TRAP_HANDLER: 0
; COMPUTE_PGM_RSRC2:TGID_X_EN: 1
; COMPUTE_PGM_RSRC2:TGID_Y_EN: 0
; COMPUTE_PGM_RSRC2:TGID_Z_EN: 0
; COMPUTE_PGM_RSRC2:TIDIG_COMP_CNT: 0
	.section	.text._ZN7rocprim17ROCPRIM_400000_NS6detail17trampoline_kernelINS0_14default_configENS1_38merge_sort_block_merge_config_selectorIiNS0_10empty_typeEEEZZNS1_27merge_sort_block_merge_implIS3_N6thrust23THRUST_200600_302600_NS6detail15normal_iteratorINS9_10device_ptrIiEEEEPS5_jNS1_19radix_merge_compareILb1ELb0EiNS0_19identity_decomposerEEEEE10hipError_tT0_T1_T2_jT3_P12ihipStream_tbPNSt15iterator_traitsISK_E10value_typeEPNSQ_ISL_E10value_typeEPSM_NS1_7vsmem_tEENKUlT_SK_SL_SM_E_clISE_PiSF_SF_EESJ_SZ_SK_SL_SM_EUlSZ_E0_NS1_11comp_targetILNS1_3genE5ELNS1_11target_archE942ELNS1_3gpuE9ELNS1_3repE0EEENS1_38merge_mergepath_config_static_selectorELNS0_4arch9wavefront6targetE0EEEvSL_,"axG",@progbits,_ZN7rocprim17ROCPRIM_400000_NS6detail17trampoline_kernelINS0_14default_configENS1_38merge_sort_block_merge_config_selectorIiNS0_10empty_typeEEEZZNS1_27merge_sort_block_merge_implIS3_N6thrust23THRUST_200600_302600_NS6detail15normal_iteratorINS9_10device_ptrIiEEEEPS5_jNS1_19radix_merge_compareILb1ELb0EiNS0_19identity_decomposerEEEEE10hipError_tT0_T1_T2_jT3_P12ihipStream_tbPNSt15iterator_traitsISK_E10value_typeEPNSQ_ISL_E10value_typeEPSM_NS1_7vsmem_tEENKUlT_SK_SL_SM_E_clISE_PiSF_SF_EESJ_SZ_SK_SL_SM_EUlSZ_E0_NS1_11comp_targetILNS1_3genE5ELNS1_11target_archE942ELNS1_3gpuE9ELNS1_3repE0EEENS1_38merge_mergepath_config_static_selectorELNS0_4arch9wavefront6targetE0EEEvSL_,comdat
	.protected	_ZN7rocprim17ROCPRIM_400000_NS6detail17trampoline_kernelINS0_14default_configENS1_38merge_sort_block_merge_config_selectorIiNS0_10empty_typeEEEZZNS1_27merge_sort_block_merge_implIS3_N6thrust23THRUST_200600_302600_NS6detail15normal_iteratorINS9_10device_ptrIiEEEEPS5_jNS1_19radix_merge_compareILb1ELb0EiNS0_19identity_decomposerEEEEE10hipError_tT0_T1_T2_jT3_P12ihipStream_tbPNSt15iterator_traitsISK_E10value_typeEPNSQ_ISL_E10value_typeEPSM_NS1_7vsmem_tEENKUlT_SK_SL_SM_E_clISE_PiSF_SF_EESJ_SZ_SK_SL_SM_EUlSZ_E0_NS1_11comp_targetILNS1_3genE5ELNS1_11target_archE942ELNS1_3gpuE9ELNS1_3repE0EEENS1_38merge_mergepath_config_static_selectorELNS0_4arch9wavefront6targetE0EEEvSL_ ; -- Begin function _ZN7rocprim17ROCPRIM_400000_NS6detail17trampoline_kernelINS0_14default_configENS1_38merge_sort_block_merge_config_selectorIiNS0_10empty_typeEEEZZNS1_27merge_sort_block_merge_implIS3_N6thrust23THRUST_200600_302600_NS6detail15normal_iteratorINS9_10device_ptrIiEEEEPS5_jNS1_19radix_merge_compareILb1ELb0EiNS0_19identity_decomposerEEEEE10hipError_tT0_T1_T2_jT3_P12ihipStream_tbPNSt15iterator_traitsISK_E10value_typeEPNSQ_ISL_E10value_typeEPSM_NS1_7vsmem_tEENKUlT_SK_SL_SM_E_clISE_PiSF_SF_EESJ_SZ_SK_SL_SM_EUlSZ_E0_NS1_11comp_targetILNS1_3genE5ELNS1_11target_archE942ELNS1_3gpuE9ELNS1_3repE0EEENS1_38merge_mergepath_config_static_selectorELNS0_4arch9wavefront6targetE0EEEvSL_
	.globl	_ZN7rocprim17ROCPRIM_400000_NS6detail17trampoline_kernelINS0_14default_configENS1_38merge_sort_block_merge_config_selectorIiNS0_10empty_typeEEEZZNS1_27merge_sort_block_merge_implIS3_N6thrust23THRUST_200600_302600_NS6detail15normal_iteratorINS9_10device_ptrIiEEEEPS5_jNS1_19radix_merge_compareILb1ELb0EiNS0_19identity_decomposerEEEEE10hipError_tT0_T1_T2_jT3_P12ihipStream_tbPNSt15iterator_traitsISK_E10value_typeEPNSQ_ISL_E10value_typeEPSM_NS1_7vsmem_tEENKUlT_SK_SL_SM_E_clISE_PiSF_SF_EESJ_SZ_SK_SL_SM_EUlSZ_E0_NS1_11comp_targetILNS1_3genE5ELNS1_11target_archE942ELNS1_3gpuE9ELNS1_3repE0EEENS1_38merge_mergepath_config_static_selectorELNS0_4arch9wavefront6targetE0EEEvSL_
	.p2align	8
	.type	_ZN7rocprim17ROCPRIM_400000_NS6detail17trampoline_kernelINS0_14default_configENS1_38merge_sort_block_merge_config_selectorIiNS0_10empty_typeEEEZZNS1_27merge_sort_block_merge_implIS3_N6thrust23THRUST_200600_302600_NS6detail15normal_iteratorINS9_10device_ptrIiEEEEPS5_jNS1_19radix_merge_compareILb1ELb0EiNS0_19identity_decomposerEEEEE10hipError_tT0_T1_T2_jT3_P12ihipStream_tbPNSt15iterator_traitsISK_E10value_typeEPNSQ_ISL_E10value_typeEPSM_NS1_7vsmem_tEENKUlT_SK_SL_SM_E_clISE_PiSF_SF_EESJ_SZ_SK_SL_SM_EUlSZ_E0_NS1_11comp_targetILNS1_3genE5ELNS1_11target_archE942ELNS1_3gpuE9ELNS1_3repE0EEENS1_38merge_mergepath_config_static_selectorELNS0_4arch9wavefront6targetE0EEEvSL_,@function
_ZN7rocprim17ROCPRIM_400000_NS6detail17trampoline_kernelINS0_14default_configENS1_38merge_sort_block_merge_config_selectorIiNS0_10empty_typeEEEZZNS1_27merge_sort_block_merge_implIS3_N6thrust23THRUST_200600_302600_NS6detail15normal_iteratorINS9_10device_ptrIiEEEEPS5_jNS1_19radix_merge_compareILb1ELb0EiNS0_19identity_decomposerEEEEE10hipError_tT0_T1_T2_jT3_P12ihipStream_tbPNSt15iterator_traitsISK_E10value_typeEPNSQ_ISL_E10value_typeEPSM_NS1_7vsmem_tEENKUlT_SK_SL_SM_E_clISE_PiSF_SF_EESJ_SZ_SK_SL_SM_EUlSZ_E0_NS1_11comp_targetILNS1_3genE5ELNS1_11target_archE942ELNS1_3gpuE9ELNS1_3repE0EEENS1_38merge_mergepath_config_static_selectorELNS0_4arch9wavefront6targetE0EEEvSL_: ; @_ZN7rocprim17ROCPRIM_400000_NS6detail17trampoline_kernelINS0_14default_configENS1_38merge_sort_block_merge_config_selectorIiNS0_10empty_typeEEEZZNS1_27merge_sort_block_merge_implIS3_N6thrust23THRUST_200600_302600_NS6detail15normal_iteratorINS9_10device_ptrIiEEEEPS5_jNS1_19radix_merge_compareILb1ELb0EiNS0_19identity_decomposerEEEEE10hipError_tT0_T1_T2_jT3_P12ihipStream_tbPNSt15iterator_traitsISK_E10value_typeEPNSQ_ISL_E10value_typeEPSM_NS1_7vsmem_tEENKUlT_SK_SL_SM_E_clISE_PiSF_SF_EESJ_SZ_SK_SL_SM_EUlSZ_E0_NS1_11comp_targetILNS1_3genE5ELNS1_11target_archE942ELNS1_3gpuE9ELNS1_3repE0EEENS1_38merge_mergepath_config_static_selectorELNS0_4arch9wavefront6targetE0EEEvSL_
; %bb.0:
	.section	.rodata,"a",@progbits
	.p2align	6, 0x0
	.amdhsa_kernel _ZN7rocprim17ROCPRIM_400000_NS6detail17trampoline_kernelINS0_14default_configENS1_38merge_sort_block_merge_config_selectorIiNS0_10empty_typeEEEZZNS1_27merge_sort_block_merge_implIS3_N6thrust23THRUST_200600_302600_NS6detail15normal_iteratorINS9_10device_ptrIiEEEEPS5_jNS1_19radix_merge_compareILb1ELb0EiNS0_19identity_decomposerEEEEE10hipError_tT0_T1_T2_jT3_P12ihipStream_tbPNSt15iterator_traitsISK_E10value_typeEPNSQ_ISL_E10value_typeEPSM_NS1_7vsmem_tEENKUlT_SK_SL_SM_E_clISE_PiSF_SF_EESJ_SZ_SK_SL_SM_EUlSZ_E0_NS1_11comp_targetILNS1_3genE5ELNS1_11target_archE942ELNS1_3gpuE9ELNS1_3repE0EEENS1_38merge_mergepath_config_static_selectorELNS0_4arch9wavefront6targetE0EEEvSL_
		.amdhsa_group_segment_fixed_size 0
		.amdhsa_private_segment_fixed_size 0
		.amdhsa_kernarg_size 64
		.amdhsa_user_sgpr_count 6
		.amdhsa_user_sgpr_private_segment_buffer 1
		.amdhsa_user_sgpr_dispatch_ptr 0
		.amdhsa_user_sgpr_queue_ptr 0
		.amdhsa_user_sgpr_kernarg_segment_ptr 1
		.amdhsa_user_sgpr_dispatch_id 0
		.amdhsa_user_sgpr_flat_scratch_init 0
		.amdhsa_user_sgpr_private_segment_size 0
		.amdhsa_wavefront_size32 1
		.amdhsa_uses_dynamic_stack 0
		.amdhsa_system_sgpr_private_segment_wavefront_offset 0
		.amdhsa_system_sgpr_workgroup_id_x 1
		.amdhsa_system_sgpr_workgroup_id_y 0
		.amdhsa_system_sgpr_workgroup_id_z 0
		.amdhsa_system_sgpr_workgroup_info 0
		.amdhsa_system_vgpr_workitem_id 0
		.amdhsa_next_free_vgpr 1
		.amdhsa_next_free_sgpr 1
		.amdhsa_reserve_vcc 0
		.amdhsa_reserve_flat_scratch 0
		.amdhsa_float_round_mode_32 0
		.amdhsa_float_round_mode_16_64 0
		.amdhsa_float_denorm_mode_32 3
		.amdhsa_float_denorm_mode_16_64 3
		.amdhsa_dx10_clamp 1
		.amdhsa_ieee_mode 1
		.amdhsa_fp16_overflow 0
		.amdhsa_workgroup_processor_mode 1
		.amdhsa_memory_ordered 1
		.amdhsa_forward_progress 1
		.amdhsa_shared_vgpr_count 0
		.amdhsa_exception_fp_ieee_invalid_op 0
		.amdhsa_exception_fp_denorm_src 0
		.amdhsa_exception_fp_ieee_div_zero 0
		.amdhsa_exception_fp_ieee_overflow 0
		.amdhsa_exception_fp_ieee_underflow 0
		.amdhsa_exception_fp_ieee_inexact 0
		.amdhsa_exception_int_div_zero 0
	.end_amdhsa_kernel
	.section	.text._ZN7rocprim17ROCPRIM_400000_NS6detail17trampoline_kernelINS0_14default_configENS1_38merge_sort_block_merge_config_selectorIiNS0_10empty_typeEEEZZNS1_27merge_sort_block_merge_implIS3_N6thrust23THRUST_200600_302600_NS6detail15normal_iteratorINS9_10device_ptrIiEEEEPS5_jNS1_19radix_merge_compareILb1ELb0EiNS0_19identity_decomposerEEEEE10hipError_tT0_T1_T2_jT3_P12ihipStream_tbPNSt15iterator_traitsISK_E10value_typeEPNSQ_ISL_E10value_typeEPSM_NS1_7vsmem_tEENKUlT_SK_SL_SM_E_clISE_PiSF_SF_EESJ_SZ_SK_SL_SM_EUlSZ_E0_NS1_11comp_targetILNS1_3genE5ELNS1_11target_archE942ELNS1_3gpuE9ELNS1_3repE0EEENS1_38merge_mergepath_config_static_selectorELNS0_4arch9wavefront6targetE0EEEvSL_,"axG",@progbits,_ZN7rocprim17ROCPRIM_400000_NS6detail17trampoline_kernelINS0_14default_configENS1_38merge_sort_block_merge_config_selectorIiNS0_10empty_typeEEEZZNS1_27merge_sort_block_merge_implIS3_N6thrust23THRUST_200600_302600_NS6detail15normal_iteratorINS9_10device_ptrIiEEEEPS5_jNS1_19radix_merge_compareILb1ELb0EiNS0_19identity_decomposerEEEEE10hipError_tT0_T1_T2_jT3_P12ihipStream_tbPNSt15iterator_traitsISK_E10value_typeEPNSQ_ISL_E10value_typeEPSM_NS1_7vsmem_tEENKUlT_SK_SL_SM_E_clISE_PiSF_SF_EESJ_SZ_SK_SL_SM_EUlSZ_E0_NS1_11comp_targetILNS1_3genE5ELNS1_11target_archE942ELNS1_3gpuE9ELNS1_3repE0EEENS1_38merge_mergepath_config_static_selectorELNS0_4arch9wavefront6targetE0EEEvSL_,comdat
.Lfunc_end256:
	.size	_ZN7rocprim17ROCPRIM_400000_NS6detail17trampoline_kernelINS0_14default_configENS1_38merge_sort_block_merge_config_selectorIiNS0_10empty_typeEEEZZNS1_27merge_sort_block_merge_implIS3_N6thrust23THRUST_200600_302600_NS6detail15normal_iteratorINS9_10device_ptrIiEEEEPS5_jNS1_19radix_merge_compareILb1ELb0EiNS0_19identity_decomposerEEEEE10hipError_tT0_T1_T2_jT3_P12ihipStream_tbPNSt15iterator_traitsISK_E10value_typeEPNSQ_ISL_E10value_typeEPSM_NS1_7vsmem_tEENKUlT_SK_SL_SM_E_clISE_PiSF_SF_EESJ_SZ_SK_SL_SM_EUlSZ_E0_NS1_11comp_targetILNS1_3genE5ELNS1_11target_archE942ELNS1_3gpuE9ELNS1_3repE0EEENS1_38merge_mergepath_config_static_selectorELNS0_4arch9wavefront6targetE0EEEvSL_, .Lfunc_end256-_ZN7rocprim17ROCPRIM_400000_NS6detail17trampoline_kernelINS0_14default_configENS1_38merge_sort_block_merge_config_selectorIiNS0_10empty_typeEEEZZNS1_27merge_sort_block_merge_implIS3_N6thrust23THRUST_200600_302600_NS6detail15normal_iteratorINS9_10device_ptrIiEEEEPS5_jNS1_19radix_merge_compareILb1ELb0EiNS0_19identity_decomposerEEEEE10hipError_tT0_T1_T2_jT3_P12ihipStream_tbPNSt15iterator_traitsISK_E10value_typeEPNSQ_ISL_E10value_typeEPSM_NS1_7vsmem_tEENKUlT_SK_SL_SM_E_clISE_PiSF_SF_EESJ_SZ_SK_SL_SM_EUlSZ_E0_NS1_11comp_targetILNS1_3genE5ELNS1_11target_archE942ELNS1_3gpuE9ELNS1_3repE0EEENS1_38merge_mergepath_config_static_selectorELNS0_4arch9wavefront6targetE0EEEvSL_
                                        ; -- End function
	.set _ZN7rocprim17ROCPRIM_400000_NS6detail17trampoline_kernelINS0_14default_configENS1_38merge_sort_block_merge_config_selectorIiNS0_10empty_typeEEEZZNS1_27merge_sort_block_merge_implIS3_N6thrust23THRUST_200600_302600_NS6detail15normal_iteratorINS9_10device_ptrIiEEEEPS5_jNS1_19radix_merge_compareILb1ELb0EiNS0_19identity_decomposerEEEEE10hipError_tT0_T1_T2_jT3_P12ihipStream_tbPNSt15iterator_traitsISK_E10value_typeEPNSQ_ISL_E10value_typeEPSM_NS1_7vsmem_tEENKUlT_SK_SL_SM_E_clISE_PiSF_SF_EESJ_SZ_SK_SL_SM_EUlSZ_E0_NS1_11comp_targetILNS1_3genE5ELNS1_11target_archE942ELNS1_3gpuE9ELNS1_3repE0EEENS1_38merge_mergepath_config_static_selectorELNS0_4arch9wavefront6targetE0EEEvSL_.num_vgpr, 0
	.set _ZN7rocprim17ROCPRIM_400000_NS6detail17trampoline_kernelINS0_14default_configENS1_38merge_sort_block_merge_config_selectorIiNS0_10empty_typeEEEZZNS1_27merge_sort_block_merge_implIS3_N6thrust23THRUST_200600_302600_NS6detail15normal_iteratorINS9_10device_ptrIiEEEEPS5_jNS1_19radix_merge_compareILb1ELb0EiNS0_19identity_decomposerEEEEE10hipError_tT0_T1_T2_jT3_P12ihipStream_tbPNSt15iterator_traitsISK_E10value_typeEPNSQ_ISL_E10value_typeEPSM_NS1_7vsmem_tEENKUlT_SK_SL_SM_E_clISE_PiSF_SF_EESJ_SZ_SK_SL_SM_EUlSZ_E0_NS1_11comp_targetILNS1_3genE5ELNS1_11target_archE942ELNS1_3gpuE9ELNS1_3repE0EEENS1_38merge_mergepath_config_static_selectorELNS0_4arch9wavefront6targetE0EEEvSL_.num_agpr, 0
	.set _ZN7rocprim17ROCPRIM_400000_NS6detail17trampoline_kernelINS0_14default_configENS1_38merge_sort_block_merge_config_selectorIiNS0_10empty_typeEEEZZNS1_27merge_sort_block_merge_implIS3_N6thrust23THRUST_200600_302600_NS6detail15normal_iteratorINS9_10device_ptrIiEEEEPS5_jNS1_19radix_merge_compareILb1ELb0EiNS0_19identity_decomposerEEEEE10hipError_tT0_T1_T2_jT3_P12ihipStream_tbPNSt15iterator_traitsISK_E10value_typeEPNSQ_ISL_E10value_typeEPSM_NS1_7vsmem_tEENKUlT_SK_SL_SM_E_clISE_PiSF_SF_EESJ_SZ_SK_SL_SM_EUlSZ_E0_NS1_11comp_targetILNS1_3genE5ELNS1_11target_archE942ELNS1_3gpuE9ELNS1_3repE0EEENS1_38merge_mergepath_config_static_selectorELNS0_4arch9wavefront6targetE0EEEvSL_.numbered_sgpr, 0
	.set _ZN7rocprim17ROCPRIM_400000_NS6detail17trampoline_kernelINS0_14default_configENS1_38merge_sort_block_merge_config_selectorIiNS0_10empty_typeEEEZZNS1_27merge_sort_block_merge_implIS3_N6thrust23THRUST_200600_302600_NS6detail15normal_iteratorINS9_10device_ptrIiEEEEPS5_jNS1_19radix_merge_compareILb1ELb0EiNS0_19identity_decomposerEEEEE10hipError_tT0_T1_T2_jT3_P12ihipStream_tbPNSt15iterator_traitsISK_E10value_typeEPNSQ_ISL_E10value_typeEPSM_NS1_7vsmem_tEENKUlT_SK_SL_SM_E_clISE_PiSF_SF_EESJ_SZ_SK_SL_SM_EUlSZ_E0_NS1_11comp_targetILNS1_3genE5ELNS1_11target_archE942ELNS1_3gpuE9ELNS1_3repE0EEENS1_38merge_mergepath_config_static_selectorELNS0_4arch9wavefront6targetE0EEEvSL_.num_named_barrier, 0
	.set _ZN7rocprim17ROCPRIM_400000_NS6detail17trampoline_kernelINS0_14default_configENS1_38merge_sort_block_merge_config_selectorIiNS0_10empty_typeEEEZZNS1_27merge_sort_block_merge_implIS3_N6thrust23THRUST_200600_302600_NS6detail15normal_iteratorINS9_10device_ptrIiEEEEPS5_jNS1_19radix_merge_compareILb1ELb0EiNS0_19identity_decomposerEEEEE10hipError_tT0_T1_T2_jT3_P12ihipStream_tbPNSt15iterator_traitsISK_E10value_typeEPNSQ_ISL_E10value_typeEPSM_NS1_7vsmem_tEENKUlT_SK_SL_SM_E_clISE_PiSF_SF_EESJ_SZ_SK_SL_SM_EUlSZ_E0_NS1_11comp_targetILNS1_3genE5ELNS1_11target_archE942ELNS1_3gpuE9ELNS1_3repE0EEENS1_38merge_mergepath_config_static_selectorELNS0_4arch9wavefront6targetE0EEEvSL_.private_seg_size, 0
	.set _ZN7rocprim17ROCPRIM_400000_NS6detail17trampoline_kernelINS0_14default_configENS1_38merge_sort_block_merge_config_selectorIiNS0_10empty_typeEEEZZNS1_27merge_sort_block_merge_implIS3_N6thrust23THRUST_200600_302600_NS6detail15normal_iteratorINS9_10device_ptrIiEEEEPS5_jNS1_19radix_merge_compareILb1ELb0EiNS0_19identity_decomposerEEEEE10hipError_tT0_T1_T2_jT3_P12ihipStream_tbPNSt15iterator_traitsISK_E10value_typeEPNSQ_ISL_E10value_typeEPSM_NS1_7vsmem_tEENKUlT_SK_SL_SM_E_clISE_PiSF_SF_EESJ_SZ_SK_SL_SM_EUlSZ_E0_NS1_11comp_targetILNS1_3genE5ELNS1_11target_archE942ELNS1_3gpuE9ELNS1_3repE0EEENS1_38merge_mergepath_config_static_selectorELNS0_4arch9wavefront6targetE0EEEvSL_.uses_vcc, 0
	.set _ZN7rocprim17ROCPRIM_400000_NS6detail17trampoline_kernelINS0_14default_configENS1_38merge_sort_block_merge_config_selectorIiNS0_10empty_typeEEEZZNS1_27merge_sort_block_merge_implIS3_N6thrust23THRUST_200600_302600_NS6detail15normal_iteratorINS9_10device_ptrIiEEEEPS5_jNS1_19radix_merge_compareILb1ELb0EiNS0_19identity_decomposerEEEEE10hipError_tT0_T1_T2_jT3_P12ihipStream_tbPNSt15iterator_traitsISK_E10value_typeEPNSQ_ISL_E10value_typeEPSM_NS1_7vsmem_tEENKUlT_SK_SL_SM_E_clISE_PiSF_SF_EESJ_SZ_SK_SL_SM_EUlSZ_E0_NS1_11comp_targetILNS1_3genE5ELNS1_11target_archE942ELNS1_3gpuE9ELNS1_3repE0EEENS1_38merge_mergepath_config_static_selectorELNS0_4arch9wavefront6targetE0EEEvSL_.uses_flat_scratch, 0
	.set _ZN7rocprim17ROCPRIM_400000_NS6detail17trampoline_kernelINS0_14default_configENS1_38merge_sort_block_merge_config_selectorIiNS0_10empty_typeEEEZZNS1_27merge_sort_block_merge_implIS3_N6thrust23THRUST_200600_302600_NS6detail15normal_iteratorINS9_10device_ptrIiEEEEPS5_jNS1_19radix_merge_compareILb1ELb0EiNS0_19identity_decomposerEEEEE10hipError_tT0_T1_T2_jT3_P12ihipStream_tbPNSt15iterator_traitsISK_E10value_typeEPNSQ_ISL_E10value_typeEPSM_NS1_7vsmem_tEENKUlT_SK_SL_SM_E_clISE_PiSF_SF_EESJ_SZ_SK_SL_SM_EUlSZ_E0_NS1_11comp_targetILNS1_3genE5ELNS1_11target_archE942ELNS1_3gpuE9ELNS1_3repE0EEENS1_38merge_mergepath_config_static_selectorELNS0_4arch9wavefront6targetE0EEEvSL_.has_dyn_sized_stack, 0
	.set _ZN7rocprim17ROCPRIM_400000_NS6detail17trampoline_kernelINS0_14default_configENS1_38merge_sort_block_merge_config_selectorIiNS0_10empty_typeEEEZZNS1_27merge_sort_block_merge_implIS3_N6thrust23THRUST_200600_302600_NS6detail15normal_iteratorINS9_10device_ptrIiEEEEPS5_jNS1_19radix_merge_compareILb1ELb0EiNS0_19identity_decomposerEEEEE10hipError_tT0_T1_T2_jT3_P12ihipStream_tbPNSt15iterator_traitsISK_E10value_typeEPNSQ_ISL_E10value_typeEPSM_NS1_7vsmem_tEENKUlT_SK_SL_SM_E_clISE_PiSF_SF_EESJ_SZ_SK_SL_SM_EUlSZ_E0_NS1_11comp_targetILNS1_3genE5ELNS1_11target_archE942ELNS1_3gpuE9ELNS1_3repE0EEENS1_38merge_mergepath_config_static_selectorELNS0_4arch9wavefront6targetE0EEEvSL_.has_recursion, 0
	.set _ZN7rocprim17ROCPRIM_400000_NS6detail17trampoline_kernelINS0_14default_configENS1_38merge_sort_block_merge_config_selectorIiNS0_10empty_typeEEEZZNS1_27merge_sort_block_merge_implIS3_N6thrust23THRUST_200600_302600_NS6detail15normal_iteratorINS9_10device_ptrIiEEEEPS5_jNS1_19radix_merge_compareILb1ELb0EiNS0_19identity_decomposerEEEEE10hipError_tT0_T1_T2_jT3_P12ihipStream_tbPNSt15iterator_traitsISK_E10value_typeEPNSQ_ISL_E10value_typeEPSM_NS1_7vsmem_tEENKUlT_SK_SL_SM_E_clISE_PiSF_SF_EESJ_SZ_SK_SL_SM_EUlSZ_E0_NS1_11comp_targetILNS1_3genE5ELNS1_11target_archE942ELNS1_3gpuE9ELNS1_3repE0EEENS1_38merge_mergepath_config_static_selectorELNS0_4arch9wavefront6targetE0EEEvSL_.has_indirect_call, 0
	.section	.AMDGPU.csdata,"",@progbits
; Kernel info:
; codeLenInByte = 0
; TotalNumSgprs: 0
; NumVgprs: 0
; ScratchSize: 0
; MemoryBound: 0
; FloatMode: 240
; IeeeMode: 1
; LDSByteSize: 0 bytes/workgroup (compile time only)
; SGPRBlocks: 0
; VGPRBlocks: 0
; NumSGPRsForWavesPerEU: 1
; NumVGPRsForWavesPerEU: 1
; Occupancy: 16
; WaveLimiterHint : 0
; COMPUTE_PGM_RSRC2:SCRATCH_EN: 0
; COMPUTE_PGM_RSRC2:USER_SGPR: 6
; COMPUTE_PGM_RSRC2:TRAP_HANDLER: 0
; COMPUTE_PGM_RSRC2:TGID_X_EN: 1
; COMPUTE_PGM_RSRC2:TGID_Y_EN: 0
; COMPUTE_PGM_RSRC2:TGID_Z_EN: 0
; COMPUTE_PGM_RSRC2:TIDIG_COMP_CNT: 0
	.section	.text._ZN7rocprim17ROCPRIM_400000_NS6detail17trampoline_kernelINS0_14default_configENS1_38merge_sort_block_merge_config_selectorIiNS0_10empty_typeEEEZZNS1_27merge_sort_block_merge_implIS3_N6thrust23THRUST_200600_302600_NS6detail15normal_iteratorINS9_10device_ptrIiEEEEPS5_jNS1_19radix_merge_compareILb1ELb0EiNS0_19identity_decomposerEEEEE10hipError_tT0_T1_T2_jT3_P12ihipStream_tbPNSt15iterator_traitsISK_E10value_typeEPNSQ_ISL_E10value_typeEPSM_NS1_7vsmem_tEENKUlT_SK_SL_SM_E_clISE_PiSF_SF_EESJ_SZ_SK_SL_SM_EUlSZ_E0_NS1_11comp_targetILNS1_3genE4ELNS1_11target_archE910ELNS1_3gpuE8ELNS1_3repE0EEENS1_38merge_mergepath_config_static_selectorELNS0_4arch9wavefront6targetE0EEEvSL_,"axG",@progbits,_ZN7rocprim17ROCPRIM_400000_NS6detail17trampoline_kernelINS0_14default_configENS1_38merge_sort_block_merge_config_selectorIiNS0_10empty_typeEEEZZNS1_27merge_sort_block_merge_implIS3_N6thrust23THRUST_200600_302600_NS6detail15normal_iteratorINS9_10device_ptrIiEEEEPS5_jNS1_19radix_merge_compareILb1ELb0EiNS0_19identity_decomposerEEEEE10hipError_tT0_T1_T2_jT3_P12ihipStream_tbPNSt15iterator_traitsISK_E10value_typeEPNSQ_ISL_E10value_typeEPSM_NS1_7vsmem_tEENKUlT_SK_SL_SM_E_clISE_PiSF_SF_EESJ_SZ_SK_SL_SM_EUlSZ_E0_NS1_11comp_targetILNS1_3genE4ELNS1_11target_archE910ELNS1_3gpuE8ELNS1_3repE0EEENS1_38merge_mergepath_config_static_selectorELNS0_4arch9wavefront6targetE0EEEvSL_,comdat
	.protected	_ZN7rocprim17ROCPRIM_400000_NS6detail17trampoline_kernelINS0_14default_configENS1_38merge_sort_block_merge_config_selectorIiNS0_10empty_typeEEEZZNS1_27merge_sort_block_merge_implIS3_N6thrust23THRUST_200600_302600_NS6detail15normal_iteratorINS9_10device_ptrIiEEEEPS5_jNS1_19radix_merge_compareILb1ELb0EiNS0_19identity_decomposerEEEEE10hipError_tT0_T1_T2_jT3_P12ihipStream_tbPNSt15iterator_traitsISK_E10value_typeEPNSQ_ISL_E10value_typeEPSM_NS1_7vsmem_tEENKUlT_SK_SL_SM_E_clISE_PiSF_SF_EESJ_SZ_SK_SL_SM_EUlSZ_E0_NS1_11comp_targetILNS1_3genE4ELNS1_11target_archE910ELNS1_3gpuE8ELNS1_3repE0EEENS1_38merge_mergepath_config_static_selectorELNS0_4arch9wavefront6targetE0EEEvSL_ ; -- Begin function _ZN7rocprim17ROCPRIM_400000_NS6detail17trampoline_kernelINS0_14default_configENS1_38merge_sort_block_merge_config_selectorIiNS0_10empty_typeEEEZZNS1_27merge_sort_block_merge_implIS3_N6thrust23THRUST_200600_302600_NS6detail15normal_iteratorINS9_10device_ptrIiEEEEPS5_jNS1_19radix_merge_compareILb1ELb0EiNS0_19identity_decomposerEEEEE10hipError_tT0_T1_T2_jT3_P12ihipStream_tbPNSt15iterator_traitsISK_E10value_typeEPNSQ_ISL_E10value_typeEPSM_NS1_7vsmem_tEENKUlT_SK_SL_SM_E_clISE_PiSF_SF_EESJ_SZ_SK_SL_SM_EUlSZ_E0_NS1_11comp_targetILNS1_3genE4ELNS1_11target_archE910ELNS1_3gpuE8ELNS1_3repE0EEENS1_38merge_mergepath_config_static_selectorELNS0_4arch9wavefront6targetE0EEEvSL_
	.globl	_ZN7rocprim17ROCPRIM_400000_NS6detail17trampoline_kernelINS0_14default_configENS1_38merge_sort_block_merge_config_selectorIiNS0_10empty_typeEEEZZNS1_27merge_sort_block_merge_implIS3_N6thrust23THRUST_200600_302600_NS6detail15normal_iteratorINS9_10device_ptrIiEEEEPS5_jNS1_19radix_merge_compareILb1ELb0EiNS0_19identity_decomposerEEEEE10hipError_tT0_T1_T2_jT3_P12ihipStream_tbPNSt15iterator_traitsISK_E10value_typeEPNSQ_ISL_E10value_typeEPSM_NS1_7vsmem_tEENKUlT_SK_SL_SM_E_clISE_PiSF_SF_EESJ_SZ_SK_SL_SM_EUlSZ_E0_NS1_11comp_targetILNS1_3genE4ELNS1_11target_archE910ELNS1_3gpuE8ELNS1_3repE0EEENS1_38merge_mergepath_config_static_selectorELNS0_4arch9wavefront6targetE0EEEvSL_
	.p2align	8
	.type	_ZN7rocprim17ROCPRIM_400000_NS6detail17trampoline_kernelINS0_14default_configENS1_38merge_sort_block_merge_config_selectorIiNS0_10empty_typeEEEZZNS1_27merge_sort_block_merge_implIS3_N6thrust23THRUST_200600_302600_NS6detail15normal_iteratorINS9_10device_ptrIiEEEEPS5_jNS1_19radix_merge_compareILb1ELb0EiNS0_19identity_decomposerEEEEE10hipError_tT0_T1_T2_jT3_P12ihipStream_tbPNSt15iterator_traitsISK_E10value_typeEPNSQ_ISL_E10value_typeEPSM_NS1_7vsmem_tEENKUlT_SK_SL_SM_E_clISE_PiSF_SF_EESJ_SZ_SK_SL_SM_EUlSZ_E0_NS1_11comp_targetILNS1_3genE4ELNS1_11target_archE910ELNS1_3gpuE8ELNS1_3repE0EEENS1_38merge_mergepath_config_static_selectorELNS0_4arch9wavefront6targetE0EEEvSL_,@function
_ZN7rocprim17ROCPRIM_400000_NS6detail17trampoline_kernelINS0_14default_configENS1_38merge_sort_block_merge_config_selectorIiNS0_10empty_typeEEEZZNS1_27merge_sort_block_merge_implIS3_N6thrust23THRUST_200600_302600_NS6detail15normal_iteratorINS9_10device_ptrIiEEEEPS5_jNS1_19radix_merge_compareILb1ELb0EiNS0_19identity_decomposerEEEEE10hipError_tT0_T1_T2_jT3_P12ihipStream_tbPNSt15iterator_traitsISK_E10value_typeEPNSQ_ISL_E10value_typeEPSM_NS1_7vsmem_tEENKUlT_SK_SL_SM_E_clISE_PiSF_SF_EESJ_SZ_SK_SL_SM_EUlSZ_E0_NS1_11comp_targetILNS1_3genE4ELNS1_11target_archE910ELNS1_3gpuE8ELNS1_3repE0EEENS1_38merge_mergepath_config_static_selectorELNS0_4arch9wavefront6targetE0EEEvSL_: ; @_ZN7rocprim17ROCPRIM_400000_NS6detail17trampoline_kernelINS0_14default_configENS1_38merge_sort_block_merge_config_selectorIiNS0_10empty_typeEEEZZNS1_27merge_sort_block_merge_implIS3_N6thrust23THRUST_200600_302600_NS6detail15normal_iteratorINS9_10device_ptrIiEEEEPS5_jNS1_19radix_merge_compareILb1ELb0EiNS0_19identity_decomposerEEEEE10hipError_tT0_T1_T2_jT3_P12ihipStream_tbPNSt15iterator_traitsISK_E10value_typeEPNSQ_ISL_E10value_typeEPSM_NS1_7vsmem_tEENKUlT_SK_SL_SM_E_clISE_PiSF_SF_EESJ_SZ_SK_SL_SM_EUlSZ_E0_NS1_11comp_targetILNS1_3genE4ELNS1_11target_archE910ELNS1_3gpuE8ELNS1_3repE0EEENS1_38merge_mergepath_config_static_selectorELNS0_4arch9wavefront6targetE0EEEvSL_
; %bb.0:
	.section	.rodata,"a",@progbits
	.p2align	6, 0x0
	.amdhsa_kernel _ZN7rocprim17ROCPRIM_400000_NS6detail17trampoline_kernelINS0_14default_configENS1_38merge_sort_block_merge_config_selectorIiNS0_10empty_typeEEEZZNS1_27merge_sort_block_merge_implIS3_N6thrust23THRUST_200600_302600_NS6detail15normal_iteratorINS9_10device_ptrIiEEEEPS5_jNS1_19radix_merge_compareILb1ELb0EiNS0_19identity_decomposerEEEEE10hipError_tT0_T1_T2_jT3_P12ihipStream_tbPNSt15iterator_traitsISK_E10value_typeEPNSQ_ISL_E10value_typeEPSM_NS1_7vsmem_tEENKUlT_SK_SL_SM_E_clISE_PiSF_SF_EESJ_SZ_SK_SL_SM_EUlSZ_E0_NS1_11comp_targetILNS1_3genE4ELNS1_11target_archE910ELNS1_3gpuE8ELNS1_3repE0EEENS1_38merge_mergepath_config_static_selectorELNS0_4arch9wavefront6targetE0EEEvSL_
		.amdhsa_group_segment_fixed_size 0
		.amdhsa_private_segment_fixed_size 0
		.amdhsa_kernarg_size 64
		.amdhsa_user_sgpr_count 6
		.amdhsa_user_sgpr_private_segment_buffer 1
		.amdhsa_user_sgpr_dispatch_ptr 0
		.amdhsa_user_sgpr_queue_ptr 0
		.amdhsa_user_sgpr_kernarg_segment_ptr 1
		.amdhsa_user_sgpr_dispatch_id 0
		.amdhsa_user_sgpr_flat_scratch_init 0
		.amdhsa_user_sgpr_private_segment_size 0
		.amdhsa_wavefront_size32 1
		.amdhsa_uses_dynamic_stack 0
		.amdhsa_system_sgpr_private_segment_wavefront_offset 0
		.amdhsa_system_sgpr_workgroup_id_x 1
		.amdhsa_system_sgpr_workgroup_id_y 0
		.amdhsa_system_sgpr_workgroup_id_z 0
		.amdhsa_system_sgpr_workgroup_info 0
		.amdhsa_system_vgpr_workitem_id 0
		.amdhsa_next_free_vgpr 1
		.amdhsa_next_free_sgpr 1
		.amdhsa_reserve_vcc 0
		.amdhsa_reserve_flat_scratch 0
		.amdhsa_float_round_mode_32 0
		.amdhsa_float_round_mode_16_64 0
		.amdhsa_float_denorm_mode_32 3
		.amdhsa_float_denorm_mode_16_64 3
		.amdhsa_dx10_clamp 1
		.amdhsa_ieee_mode 1
		.amdhsa_fp16_overflow 0
		.amdhsa_workgroup_processor_mode 1
		.amdhsa_memory_ordered 1
		.amdhsa_forward_progress 1
		.amdhsa_shared_vgpr_count 0
		.amdhsa_exception_fp_ieee_invalid_op 0
		.amdhsa_exception_fp_denorm_src 0
		.amdhsa_exception_fp_ieee_div_zero 0
		.amdhsa_exception_fp_ieee_overflow 0
		.amdhsa_exception_fp_ieee_underflow 0
		.amdhsa_exception_fp_ieee_inexact 0
		.amdhsa_exception_int_div_zero 0
	.end_amdhsa_kernel
	.section	.text._ZN7rocprim17ROCPRIM_400000_NS6detail17trampoline_kernelINS0_14default_configENS1_38merge_sort_block_merge_config_selectorIiNS0_10empty_typeEEEZZNS1_27merge_sort_block_merge_implIS3_N6thrust23THRUST_200600_302600_NS6detail15normal_iteratorINS9_10device_ptrIiEEEEPS5_jNS1_19radix_merge_compareILb1ELb0EiNS0_19identity_decomposerEEEEE10hipError_tT0_T1_T2_jT3_P12ihipStream_tbPNSt15iterator_traitsISK_E10value_typeEPNSQ_ISL_E10value_typeEPSM_NS1_7vsmem_tEENKUlT_SK_SL_SM_E_clISE_PiSF_SF_EESJ_SZ_SK_SL_SM_EUlSZ_E0_NS1_11comp_targetILNS1_3genE4ELNS1_11target_archE910ELNS1_3gpuE8ELNS1_3repE0EEENS1_38merge_mergepath_config_static_selectorELNS0_4arch9wavefront6targetE0EEEvSL_,"axG",@progbits,_ZN7rocprim17ROCPRIM_400000_NS6detail17trampoline_kernelINS0_14default_configENS1_38merge_sort_block_merge_config_selectorIiNS0_10empty_typeEEEZZNS1_27merge_sort_block_merge_implIS3_N6thrust23THRUST_200600_302600_NS6detail15normal_iteratorINS9_10device_ptrIiEEEEPS5_jNS1_19radix_merge_compareILb1ELb0EiNS0_19identity_decomposerEEEEE10hipError_tT0_T1_T2_jT3_P12ihipStream_tbPNSt15iterator_traitsISK_E10value_typeEPNSQ_ISL_E10value_typeEPSM_NS1_7vsmem_tEENKUlT_SK_SL_SM_E_clISE_PiSF_SF_EESJ_SZ_SK_SL_SM_EUlSZ_E0_NS1_11comp_targetILNS1_3genE4ELNS1_11target_archE910ELNS1_3gpuE8ELNS1_3repE0EEENS1_38merge_mergepath_config_static_selectorELNS0_4arch9wavefront6targetE0EEEvSL_,comdat
.Lfunc_end257:
	.size	_ZN7rocprim17ROCPRIM_400000_NS6detail17trampoline_kernelINS0_14default_configENS1_38merge_sort_block_merge_config_selectorIiNS0_10empty_typeEEEZZNS1_27merge_sort_block_merge_implIS3_N6thrust23THRUST_200600_302600_NS6detail15normal_iteratorINS9_10device_ptrIiEEEEPS5_jNS1_19radix_merge_compareILb1ELb0EiNS0_19identity_decomposerEEEEE10hipError_tT0_T1_T2_jT3_P12ihipStream_tbPNSt15iterator_traitsISK_E10value_typeEPNSQ_ISL_E10value_typeEPSM_NS1_7vsmem_tEENKUlT_SK_SL_SM_E_clISE_PiSF_SF_EESJ_SZ_SK_SL_SM_EUlSZ_E0_NS1_11comp_targetILNS1_3genE4ELNS1_11target_archE910ELNS1_3gpuE8ELNS1_3repE0EEENS1_38merge_mergepath_config_static_selectorELNS0_4arch9wavefront6targetE0EEEvSL_, .Lfunc_end257-_ZN7rocprim17ROCPRIM_400000_NS6detail17trampoline_kernelINS0_14default_configENS1_38merge_sort_block_merge_config_selectorIiNS0_10empty_typeEEEZZNS1_27merge_sort_block_merge_implIS3_N6thrust23THRUST_200600_302600_NS6detail15normal_iteratorINS9_10device_ptrIiEEEEPS5_jNS1_19radix_merge_compareILb1ELb0EiNS0_19identity_decomposerEEEEE10hipError_tT0_T1_T2_jT3_P12ihipStream_tbPNSt15iterator_traitsISK_E10value_typeEPNSQ_ISL_E10value_typeEPSM_NS1_7vsmem_tEENKUlT_SK_SL_SM_E_clISE_PiSF_SF_EESJ_SZ_SK_SL_SM_EUlSZ_E0_NS1_11comp_targetILNS1_3genE4ELNS1_11target_archE910ELNS1_3gpuE8ELNS1_3repE0EEENS1_38merge_mergepath_config_static_selectorELNS0_4arch9wavefront6targetE0EEEvSL_
                                        ; -- End function
	.set _ZN7rocprim17ROCPRIM_400000_NS6detail17trampoline_kernelINS0_14default_configENS1_38merge_sort_block_merge_config_selectorIiNS0_10empty_typeEEEZZNS1_27merge_sort_block_merge_implIS3_N6thrust23THRUST_200600_302600_NS6detail15normal_iteratorINS9_10device_ptrIiEEEEPS5_jNS1_19radix_merge_compareILb1ELb0EiNS0_19identity_decomposerEEEEE10hipError_tT0_T1_T2_jT3_P12ihipStream_tbPNSt15iterator_traitsISK_E10value_typeEPNSQ_ISL_E10value_typeEPSM_NS1_7vsmem_tEENKUlT_SK_SL_SM_E_clISE_PiSF_SF_EESJ_SZ_SK_SL_SM_EUlSZ_E0_NS1_11comp_targetILNS1_3genE4ELNS1_11target_archE910ELNS1_3gpuE8ELNS1_3repE0EEENS1_38merge_mergepath_config_static_selectorELNS0_4arch9wavefront6targetE0EEEvSL_.num_vgpr, 0
	.set _ZN7rocprim17ROCPRIM_400000_NS6detail17trampoline_kernelINS0_14default_configENS1_38merge_sort_block_merge_config_selectorIiNS0_10empty_typeEEEZZNS1_27merge_sort_block_merge_implIS3_N6thrust23THRUST_200600_302600_NS6detail15normal_iteratorINS9_10device_ptrIiEEEEPS5_jNS1_19radix_merge_compareILb1ELb0EiNS0_19identity_decomposerEEEEE10hipError_tT0_T1_T2_jT3_P12ihipStream_tbPNSt15iterator_traitsISK_E10value_typeEPNSQ_ISL_E10value_typeEPSM_NS1_7vsmem_tEENKUlT_SK_SL_SM_E_clISE_PiSF_SF_EESJ_SZ_SK_SL_SM_EUlSZ_E0_NS1_11comp_targetILNS1_3genE4ELNS1_11target_archE910ELNS1_3gpuE8ELNS1_3repE0EEENS1_38merge_mergepath_config_static_selectorELNS0_4arch9wavefront6targetE0EEEvSL_.num_agpr, 0
	.set _ZN7rocprim17ROCPRIM_400000_NS6detail17trampoline_kernelINS0_14default_configENS1_38merge_sort_block_merge_config_selectorIiNS0_10empty_typeEEEZZNS1_27merge_sort_block_merge_implIS3_N6thrust23THRUST_200600_302600_NS6detail15normal_iteratorINS9_10device_ptrIiEEEEPS5_jNS1_19radix_merge_compareILb1ELb0EiNS0_19identity_decomposerEEEEE10hipError_tT0_T1_T2_jT3_P12ihipStream_tbPNSt15iterator_traitsISK_E10value_typeEPNSQ_ISL_E10value_typeEPSM_NS1_7vsmem_tEENKUlT_SK_SL_SM_E_clISE_PiSF_SF_EESJ_SZ_SK_SL_SM_EUlSZ_E0_NS1_11comp_targetILNS1_3genE4ELNS1_11target_archE910ELNS1_3gpuE8ELNS1_3repE0EEENS1_38merge_mergepath_config_static_selectorELNS0_4arch9wavefront6targetE0EEEvSL_.numbered_sgpr, 0
	.set _ZN7rocprim17ROCPRIM_400000_NS6detail17trampoline_kernelINS0_14default_configENS1_38merge_sort_block_merge_config_selectorIiNS0_10empty_typeEEEZZNS1_27merge_sort_block_merge_implIS3_N6thrust23THRUST_200600_302600_NS6detail15normal_iteratorINS9_10device_ptrIiEEEEPS5_jNS1_19radix_merge_compareILb1ELb0EiNS0_19identity_decomposerEEEEE10hipError_tT0_T1_T2_jT3_P12ihipStream_tbPNSt15iterator_traitsISK_E10value_typeEPNSQ_ISL_E10value_typeEPSM_NS1_7vsmem_tEENKUlT_SK_SL_SM_E_clISE_PiSF_SF_EESJ_SZ_SK_SL_SM_EUlSZ_E0_NS1_11comp_targetILNS1_3genE4ELNS1_11target_archE910ELNS1_3gpuE8ELNS1_3repE0EEENS1_38merge_mergepath_config_static_selectorELNS0_4arch9wavefront6targetE0EEEvSL_.num_named_barrier, 0
	.set _ZN7rocprim17ROCPRIM_400000_NS6detail17trampoline_kernelINS0_14default_configENS1_38merge_sort_block_merge_config_selectorIiNS0_10empty_typeEEEZZNS1_27merge_sort_block_merge_implIS3_N6thrust23THRUST_200600_302600_NS6detail15normal_iteratorINS9_10device_ptrIiEEEEPS5_jNS1_19radix_merge_compareILb1ELb0EiNS0_19identity_decomposerEEEEE10hipError_tT0_T1_T2_jT3_P12ihipStream_tbPNSt15iterator_traitsISK_E10value_typeEPNSQ_ISL_E10value_typeEPSM_NS1_7vsmem_tEENKUlT_SK_SL_SM_E_clISE_PiSF_SF_EESJ_SZ_SK_SL_SM_EUlSZ_E0_NS1_11comp_targetILNS1_3genE4ELNS1_11target_archE910ELNS1_3gpuE8ELNS1_3repE0EEENS1_38merge_mergepath_config_static_selectorELNS0_4arch9wavefront6targetE0EEEvSL_.private_seg_size, 0
	.set _ZN7rocprim17ROCPRIM_400000_NS6detail17trampoline_kernelINS0_14default_configENS1_38merge_sort_block_merge_config_selectorIiNS0_10empty_typeEEEZZNS1_27merge_sort_block_merge_implIS3_N6thrust23THRUST_200600_302600_NS6detail15normal_iteratorINS9_10device_ptrIiEEEEPS5_jNS1_19radix_merge_compareILb1ELb0EiNS0_19identity_decomposerEEEEE10hipError_tT0_T1_T2_jT3_P12ihipStream_tbPNSt15iterator_traitsISK_E10value_typeEPNSQ_ISL_E10value_typeEPSM_NS1_7vsmem_tEENKUlT_SK_SL_SM_E_clISE_PiSF_SF_EESJ_SZ_SK_SL_SM_EUlSZ_E0_NS1_11comp_targetILNS1_3genE4ELNS1_11target_archE910ELNS1_3gpuE8ELNS1_3repE0EEENS1_38merge_mergepath_config_static_selectorELNS0_4arch9wavefront6targetE0EEEvSL_.uses_vcc, 0
	.set _ZN7rocprim17ROCPRIM_400000_NS6detail17trampoline_kernelINS0_14default_configENS1_38merge_sort_block_merge_config_selectorIiNS0_10empty_typeEEEZZNS1_27merge_sort_block_merge_implIS3_N6thrust23THRUST_200600_302600_NS6detail15normal_iteratorINS9_10device_ptrIiEEEEPS5_jNS1_19radix_merge_compareILb1ELb0EiNS0_19identity_decomposerEEEEE10hipError_tT0_T1_T2_jT3_P12ihipStream_tbPNSt15iterator_traitsISK_E10value_typeEPNSQ_ISL_E10value_typeEPSM_NS1_7vsmem_tEENKUlT_SK_SL_SM_E_clISE_PiSF_SF_EESJ_SZ_SK_SL_SM_EUlSZ_E0_NS1_11comp_targetILNS1_3genE4ELNS1_11target_archE910ELNS1_3gpuE8ELNS1_3repE0EEENS1_38merge_mergepath_config_static_selectorELNS0_4arch9wavefront6targetE0EEEvSL_.uses_flat_scratch, 0
	.set _ZN7rocprim17ROCPRIM_400000_NS6detail17trampoline_kernelINS0_14default_configENS1_38merge_sort_block_merge_config_selectorIiNS0_10empty_typeEEEZZNS1_27merge_sort_block_merge_implIS3_N6thrust23THRUST_200600_302600_NS6detail15normal_iteratorINS9_10device_ptrIiEEEEPS5_jNS1_19radix_merge_compareILb1ELb0EiNS0_19identity_decomposerEEEEE10hipError_tT0_T1_T2_jT3_P12ihipStream_tbPNSt15iterator_traitsISK_E10value_typeEPNSQ_ISL_E10value_typeEPSM_NS1_7vsmem_tEENKUlT_SK_SL_SM_E_clISE_PiSF_SF_EESJ_SZ_SK_SL_SM_EUlSZ_E0_NS1_11comp_targetILNS1_3genE4ELNS1_11target_archE910ELNS1_3gpuE8ELNS1_3repE0EEENS1_38merge_mergepath_config_static_selectorELNS0_4arch9wavefront6targetE0EEEvSL_.has_dyn_sized_stack, 0
	.set _ZN7rocprim17ROCPRIM_400000_NS6detail17trampoline_kernelINS0_14default_configENS1_38merge_sort_block_merge_config_selectorIiNS0_10empty_typeEEEZZNS1_27merge_sort_block_merge_implIS3_N6thrust23THRUST_200600_302600_NS6detail15normal_iteratorINS9_10device_ptrIiEEEEPS5_jNS1_19radix_merge_compareILb1ELb0EiNS0_19identity_decomposerEEEEE10hipError_tT0_T1_T2_jT3_P12ihipStream_tbPNSt15iterator_traitsISK_E10value_typeEPNSQ_ISL_E10value_typeEPSM_NS1_7vsmem_tEENKUlT_SK_SL_SM_E_clISE_PiSF_SF_EESJ_SZ_SK_SL_SM_EUlSZ_E0_NS1_11comp_targetILNS1_3genE4ELNS1_11target_archE910ELNS1_3gpuE8ELNS1_3repE0EEENS1_38merge_mergepath_config_static_selectorELNS0_4arch9wavefront6targetE0EEEvSL_.has_recursion, 0
	.set _ZN7rocprim17ROCPRIM_400000_NS6detail17trampoline_kernelINS0_14default_configENS1_38merge_sort_block_merge_config_selectorIiNS0_10empty_typeEEEZZNS1_27merge_sort_block_merge_implIS3_N6thrust23THRUST_200600_302600_NS6detail15normal_iteratorINS9_10device_ptrIiEEEEPS5_jNS1_19radix_merge_compareILb1ELb0EiNS0_19identity_decomposerEEEEE10hipError_tT0_T1_T2_jT3_P12ihipStream_tbPNSt15iterator_traitsISK_E10value_typeEPNSQ_ISL_E10value_typeEPSM_NS1_7vsmem_tEENKUlT_SK_SL_SM_E_clISE_PiSF_SF_EESJ_SZ_SK_SL_SM_EUlSZ_E0_NS1_11comp_targetILNS1_3genE4ELNS1_11target_archE910ELNS1_3gpuE8ELNS1_3repE0EEENS1_38merge_mergepath_config_static_selectorELNS0_4arch9wavefront6targetE0EEEvSL_.has_indirect_call, 0
	.section	.AMDGPU.csdata,"",@progbits
; Kernel info:
; codeLenInByte = 0
; TotalNumSgprs: 0
; NumVgprs: 0
; ScratchSize: 0
; MemoryBound: 0
; FloatMode: 240
; IeeeMode: 1
; LDSByteSize: 0 bytes/workgroup (compile time only)
; SGPRBlocks: 0
; VGPRBlocks: 0
; NumSGPRsForWavesPerEU: 1
; NumVGPRsForWavesPerEU: 1
; Occupancy: 16
; WaveLimiterHint : 0
; COMPUTE_PGM_RSRC2:SCRATCH_EN: 0
; COMPUTE_PGM_RSRC2:USER_SGPR: 6
; COMPUTE_PGM_RSRC2:TRAP_HANDLER: 0
; COMPUTE_PGM_RSRC2:TGID_X_EN: 1
; COMPUTE_PGM_RSRC2:TGID_Y_EN: 0
; COMPUTE_PGM_RSRC2:TGID_Z_EN: 0
; COMPUTE_PGM_RSRC2:TIDIG_COMP_CNT: 0
	.section	.text._ZN7rocprim17ROCPRIM_400000_NS6detail17trampoline_kernelINS0_14default_configENS1_38merge_sort_block_merge_config_selectorIiNS0_10empty_typeEEEZZNS1_27merge_sort_block_merge_implIS3_N6thrust23THRUST_200600_302600_NS6detail15normal_iteratorINS9_10device_ptrIiEEEEPS5_jNS1_19radix_merge_compareILb1ELb0EiNS0_19identity_decomposerEEEEE10hipError_tT0_T1_T2_jT3_P12ihipStream_tbPNSt15iterator_traitsISK_E10value_typeEPNSQ_ISL_E10value_typeEPSM_NS1_7vsmem_tEENKUlT_SK_SL_SM_E_clISE_PiSF_SF_EESJ_SZ_SK_SL_SM_EUlSZ_E0_NS1_11comp_targetILNS1_3genE3ELNS1_11target_archE908ELNS1_3gpuE7ELNS1_3repE0EEENS1_38merge_mergepath_config_static_selectorELNS0_4arch9wavefront6targetE0EEEvSL_,"axG",@progbits,_ZN7rocprim17ROCPRIM_400000_NS6detail17trampoline_kernelINS0_14default_configENS1_38merge_sort_block_merge_config_selectorIiNS0_10empty_typeEEEZZNS1_27merge_sort_block_merge_implIS3_N6thrust23THRUST_200600_302600_NS6detail15normal_iteratorINS9_10device_ptrIiEEEEPS5_jNS1_19radix_merge_compareILb1ELb0EiNS0_19identity_decomposerEEEEE10hipError_tT0_T1_T2_jT3_P12ihipStream_tbPNSt15iterator_traitsISK_E10value_typeEPNSQ_ISL_E10value_typeEPSM_NS1_7vsmem_tEENKUlT_SK_SL_SM_E_clISE_PiSF_SF_EESJ_SZ_SK_SL_SM_EUlSZ_E0_NS1_11comp_targetILNS1_3genE3ELNS1_11target_archE908ELNS1_3gpuE7ELNS1_3repE0EEENS1_38merge_mergepath_config_static_selectorELNS0_4arch9wavefront6targetE0EEEvSL_,comdat
	.protected	_ZN7rocprim17ROCPRIM_400000_NS6detail17trampoline_kernelINS0_14default_configENS1_38merge_sort_block_merge_config_selectorIiNS0_10empty_typeEEEZZNS1_27merge_sort_block_merge_implIS3_N6thrust23THRUST_200600_302600_NS6detail15normal_iteratorINS9_10device_ptrIiEEEEPS5_jNS1_19radix_merge_compareILb1ELb0EiNS0_19identity_decomposerEEEEE10hipError_tT0_T1_T2_jT3_P12ihipStream_tbPNSt15iterator_traitsISK_E10value_typeEPNSQ_ISL_E10value_typeEPSM_NS1_7vsmem_tEENKUlT_SK_SL_SM_E_clISE_PiSF_SF_EESJ_SZ_SK_SL_SM_EUlSZ_E0_NS1_11comp_targetILNS1_3genE3ELNS1_11target_archE908ELNS1_3gpuE7ELNS1_3repE0EEENS1_38merge_mergepath_config_static_selectorELNS0_4arch9wavefront6targetE0EEEvSL_ ; -- Begin function _ZN7rocprim17ROCPRIM_400000_NS6detail17trampoline_kernelINS0_14default_configENS1_38merge_sort_block_merge_config_selectorIiNS0_10empty_typeEEEZZNS1_27merge_sort_block_merge_implIS3_N6thrust23THRUST_200600_302600_NS6detail15normal_iteratorINS9_10device_ptrIiEEEEPS5_jNS1_19radix_merge_compareILb1ELb0EiNS0_19identity_decomposerEEEEE10hipError_tT0_T1_T2_jT3_P12ihipStream_tbPNSt15iterator_traitsISK_E10value_typeEPNSQ_ISL_E10value_typeEPSM_NS1_7vsmem_tEENKUlT_SK_SL_SM_E_clISE_PiSF_SF_EESJ_SZ_SK_SL_SM_EUlSZ_E0_NS1_11comp_targetILNS1_3genE3ELNS1_11target_archE908ELNS1_3gpuE7ELNS1_3repE0EEENS1_38merge_mergepath_config_static_selectorELNS0_4arch9wavefront6targetE0EEEvSL_
	.globl	_ZN7rocprim17ROCPRIM_400000_NS6detail17trampoline_kernelINS0_14default_configENS1_38merge_sort_block_merge_config_selectorIiNS0_10empty_typeEEEZZNS1_27merge_sort_block_merge_implIS3_N6thrust23THRUST_200600_302600_NS6detail15normal_iteratorINS9_10device_ptrIiEEEEPS5_jNS1_19radix_merge_compareILb1ELb0EiNS0_19identity_decomposerEEEEE10hipError_tT0_T1_T2_jT3_P12ihipStream_tbPNSt15iterator_traitsISK_E10value_typeEPNSQ_ISL_E10value_typeEPSM_NS1_7vsmem_tEENKUlT_SK_SL_SM_E_clISE_PiSF_SF_EESJ_SZ_SK_SL_SM_EUlSZ_E0_NS1_11comp_targetILNS1_3genE3ELNS1_11target_archE908ELNS1_3gpuE7ELNS1_3repE0EEENS1_38merge_mergepath_config_static_selectorELNS0_4arch9wavefront6targetE0EEEvSL_
	.p2align	8
	.type	_ZN7rocprim17ROCPRIM_400000_NS6detail17trampoline_kernelINS0_14default_configENS1_38merge_sort_block_merge_config_selectorIiNS0_10empty_typeEEEZZNS1_27merge_sort_block_merge_implIS3_N6thrust23THRUST_200600_302600_NS6detail15normal_iteratorINS9_10device_ptrIiEEEEPS5_jNS1_19radix_merge_compareILb1ELb0EiNS0_19identity_decomposerEEEEE10hipError_tT0_T1_T2_jT3_P12ihipStream_tbPNSt15iterator_traitsISK_E10value_typeEPNSQ_ISL_E10value_typeEPSM_NS1_7vsmem_tEENKUlT_SK_SL_SM_E_clISE_PiSF_SF_EESJ_SZ_SK_SL_SM_EUlSZ_E0_NS1_11comp_targetILNS1_3genE3ELNS1_11target_archE908ELNS1_3gpuE7ELNS1_3repE0EEENS1_38merge_mergepath_config_static_selectorELNS0_4arch9wavefront6targetE0EEEvSL_,@function
_ZN7rocprim17ROCPRIM_400000_NS6detail17trampoline_kernelINS0_14default_configENS1_38merge_sort_block_merge_config_selectorIiNS0_10empty_typeEEEZZNS1_27merge_sort_block_merge_implIS3_N6thrust23THRUST_200600_302600_NS6detail15normal_iteratorINS9_10device_ptrIiEEEEPS5_jNS1_19radix_merge_compareILb1ELb0EiNS0_19identity_decomposerEEEEE10hipError_tT0_T1_T2_jT3_P12ihipStream_tbPNSt15iterator_traitsISK_E10value_typeEPNSQ_ISL_E10value_typeEPSM_NS1_7vsmem_tEENKUlT_SK_SL_SM_E_clISE_PiSF_SF_EESJ_SZ_SK_SL_SM_EUlSZ_E0_NS1_11comp_targetILNS1_3genE3ELNS1_11target_archE908ELNS1_3gpuE7ELNS1_3repE0EEENS1_38merge_mergepath_config_static_selectorELNS0_4arch9wavefront6targetE0EEEvSL_: ; @_ZN7rocprim17ROCPRIM_400000_NS6detail17trampoline_kernelINS0_14default_configENS1_38merge_sort_block_merge_config_selectorIiNS0_10empty_typeEEEZZNS1_27merge_sort_block_merge_implIS3_N6thrust23THRUST_200600_302600_NS6detail15normal_iteratorINS9_10device_ptrIiEEEEPS5_jNS1_19radix_merge_compareILb1ELb0EiNS0_19identity_decomposerEEEEE10hipError_tT0_T1_T2_jT3_P12ihipStream_tbPNSt15iterator_traitsISK_E10value_typeEPNSQ_ISL_E10value_typeEPSM_NS1_7vsmem_tEENKUlT_SK_SL_SM_E_clISE_PiSF_SF_EESJ_SZ_SK_SL_SM_EUlSZ_E0_NS1_11comp_targetILNS1_3genE3ELNS1_11target_archE908ELNS1_3gpuE7ELNS1_3repE0EEENS1_38merge_mergepath_config_static_selectorELNS0_4arch9wavefront6targetE0EEEvSL_
; %bb.0:
	.section	.rodata,"a",@progbits
	.p2align	6, 0x0
	.amdhsa_kernel _ZN7rocprim17ROCPRIM_400000_NS6detail17trampoline_kernelINS0_14default_configENS1_38merge_sort_block_merge_config_selectorIiNS0_10empty_typeEEEZZNS1_27merge_sort_block_merge_implIS3_N6thrust23THRUST_200600_302600_NS6detail15normal_iteratorINS9_10device_ptrIiEEEEPS5_jNS1_19radix_merge_compareILb1ELb0EiNS0_19identity_decomposerEEEEE10hipError_tT0_T1_T2_jT3_P12ihipStream_tbPNSt15iterator_traitsISK_E10value_typeEPNSQ_ISL_E10value_typeEPSM_NS1_7vsmem_tEENKUlT_SK_SL_SM_E_clISE_PiSF_SF_EESJ_SZ_SK_SL_SM_EUlSZ_E0_NS1_11comp_targetILNS1_3genE3ELNS1_11target_archE908ELNS1_3gpuE7ELNS1_3repE0EEENS1_38merge_mergepath_config_static_selectorELNS0_4arch9wavefront6targetE0EEEvSL_
		.amdhsa_group_segment_fixed_size 0
		.amdhsa_private_segment_fixed_size 0
		.amdhsa_kernarg_size 64
		.amdhsa_user_sgpr_count 6
		.amdhsa_user_sgpr_private_segment_buffer 1
		.amdhsa_user_sgpr_dispatch_ptr 0
		.amdhsa_user_sgpr_queue_ptr 0
		.amdhsa_user_sgpr_kernarg_segment_ptr 1
		.amdhsa_user_sgpr_dispatch_id 0
		.amdhsa_user_sgpr_flat_scratch_init 0
		.amdhsa_user_sgpr_private_segment_size 0
		.amdhsa_wavefront_size32 1
		.amdhsa_uses_dynamic_stack 0
		.amdhsa_system_sgpr_private_segment_wavefront_offset 0
		.amdhsa_system_sgpr_workgroup_id_x 1
		.amdhsa_system_sgpr_workgroup_id_y 0
		.amdhsa_system_sgpr_workgroup_id_z 0
		.amdhsa_system_sgpr_workgroup_info 0
		.amdhsa_system_vgpr_workitem_id 0
		.amdhsa_next_free_vgpr 1
		.amdhsa_next_free_sgpr 1
		.amdhsa_reserve_vcc 0
		.amdhsa_reserve_flat_scratch 0
		.amdhsa_float_round_mode_32 0
		.amdhsa_float_round_mode_16_64 0
		.amdhsa_float_denorm_mode_32 3
		.amdhsa_float_denorm_mode_16_64 3
		.amdhsa_dx10_clamp 1
		.amdhsa_ieee_mode 1
		.amdhsa_fp16_overflow 0
		.amdhsa_workgroup_processor_mode 1
		.amdhsa_memory_ordered 1
		.amdhsa_forward_progress 1
		.amdhsa_shared_vgpr_count 0
		.amdhsa_exception_fp_ieee_invalid_op 0
		.amdhsa_exception_fp_denorm_src 0
		.amdhsa_exception_fp_ieee_div_zero 0
		.amdhsa_exception_fp_ieee_overflow 0
		.amdhsa_exception_fp_ieee_underflow 0
		.amdhsa_exception_fp_ieee_inexact 0
		.amdhsa_exception_int_div_zero 0
	.end_amdhsa_kernel
	.section	.text._ZN7rocprim17ROCPRIM_400000_NS6detail17trampoline_kernelINS0_14default_configENS1_38merge_sort_block_merge_config_selectorIiNS0_10empty_typeEEEZZNS1_27merge_sort_block_merge_implIS3_N6thrust23THRUST_200600_302600_NS6detail15normal_iteratorINS9_10device_ptrIiEEEEPS5_jNS1_19radix_merge_compareILb1ELb0EiNS0_19identity_decomposerEEEEE10hipError_tT0_T1_T2_jT3_P12ihipStream_tbPNSt15iterator_traitsISK_E10value_typeEPNSQ_ISL_E10value_typeEPSM_NS1_7vsmem_tEENKUlT_SK_SL_SM_E_clISE_PiSF_SF_EESJ_SZ_SK_SL_SM_EUlSZ_E0_NS1_11comp_targetILNS1_3genE3ELNS1_11target_archE908ELNS1_3gpuE7ELNS1_3repE0EEENS1_38merge_mergepath_config_static_selectorELNS0_4arch9wavefront6targetE0EEEvSL_,"axG",@progbits,_ZN7rocprim17ROCPRIM_400000_NS6detail17trampoline_kernelINS0_14default_configENS1_38merge_sort_block_merge_config_selectorIiNS0_10empty_typeEEEZZNS1_27merge_sort_block_merge_implIS3_N6thrust23THRUST_200600_302600_NS6detail15normal_iteratorINS9_10device_ptrIiEEEEPS5_jNS1_19radix_merge_compareILb1ELb0EiNS0_19identity_decomposerEEEEE10hipError_tT0_T1_T2_jT3_P12ihipStream_tbPNSt15iterator_traitsISK_E10value_typeEPNSQ_ISL_E10value_typeEPSM_NS1_7vsmem_tEENKUlT_SK_SL_SM_E_clISE_PiSF_SF_EESJ_SZ_SK_SL_SM_EUlSZ_E0_NS1_11comp_targetILNS1_3genE3ELNS1_11target_archE908ELNS1_3gpuE7ELNS1_3repE0EEENS1_38merge_mergepath_config_static_selectorELNS0_4arch9wavefront6targetE0EEEvSL_,comdat
.Lfunc_end258:
	.size	_ZN7rocprim17ROCPRIM_400000_NS6detail17trampoline_kernelINS0_14default_configENS1_38merge_sort_block_merge_config_selectorIiNS0_10empty_typeEEEZZNS1_27merge_sort_block_merge_implIS3_N6thrust23THRUST_200600_302600_NS6detail15normal_iteratorINS9_10device_ptrIiEEEEPS5_jNS1_19radix_merge_compareILb1ELb0EiNS0_19identity_decomposerEEEEE10hipError_tT0_T1_T2_jT3_P12ihipStream_tbPNSt15iterator_traitsISK_E10value_typeEPNSQ_ISL_E10value_typeEPSM_NS1_7vsmem_tEENKUlT_SK_SL_SM_E_clISE_PiSF_SF_EESJ_SZ_SK_SL_SM_EUlSZ_E0_NS1_11comp_targetILNS1_3genE3ELNS1_11target_archE908ELNS1_3gpuE7ELNS1_3repE0EEENS1_38merge_mergepath_config_static_selectorELNS0_4arch9wavefront6targetE0EEEvSL_, .Lfunc_end258-_ZN7rocprim17ROCPRIM_400000_NS6detail17trampoline_kernelINS0_14default_configENS1_38merge_sort_block_merge_config_selectorIiNS0_10empty_typeEEEZZNS1_27merge_sort_block_merge_implIS3_N6thrust23THRUST_200600_302600_NS6detail15normal_iteratorINS9_10device_ptrIiEEEEPS5_jNS1_19radix_merge_compareILb1ELb0EiNS0_19identity_decomposerEEEEE10hipError_tT0_T1_T2_jT3_P12ihipStream_tbPNSt15iterator_traitsISK_E10value_typeEPNSQ_ISL_E10value_typeEPSM_NS1_7vsmem_tEENKUlT_SK_SL_SM_E_clISE_PiSF_SF_EESJ_SZ_SK_SL_SM_EUlSZ_E0_NS1_11comp_targetILNS1_3genE3ELNS1_11target_archE908ELNS1_3gpuE7ELNS1_3repE0EEENS1_38merge_mergepath_config_static_selectorELNS0_4arch9wavefront6targetE0EEEvSL_
                                        ; -- End function
	.set _ZN7rocprim17ROCPRIM_400000_NS6detail17trampoline_kernelINS0_14default_configENS1_38merge_sort_block_merge_config_selectorIiNS0_10empty_typeEEEZZNS1_27merge_sort_block_merge_implIS3_N6thrust23THRUST_200600_302600_NS6detail15normal_iteratorINS9_10device_ptrIiEEEEPS5_jNS1_19radix_merge_compareILb1ELb0EiNS0_19identity_decomposerEEEEE10hipError_tT0_T1_T2_jT3_P12ihipStream_tbPNSt15iterator_traitsISK_E10value_typeEPNSQ_ISL_E10value_typeEPSM_NS1_7vsmem_tEENKUlT_SK_SL_SM_E_clISE_PiSF_SF_EESJ_SZ_SK_SL_SM_EUlSZ_E0_NS1_11comp_targetILNS1_3genE3ELNS1_11target_archE908ELNS1_3gpuE7ELNS1_3repE0EEENS1_38merge_mergepath_config_static_selectorELNS0_4arch9wavefront6targetE0EEEvSL_.num_vgpr, 0
	.set _ZN7rocprim17ROCPRIM_400000_NS6detail17trampoline_kernelINS0_14default_configENS1_38merge_sort_block_merge_config_selectorIiNS0_10empty_typeEEEZZNS1_27merge_sort_block_merge_implIS3_N6thrust23THRUST_200600_302600_NS6detail15normal_iteratorINS9_10device_ptrIiEEEEPS5_jNS1_19radix_merge_compareILb1ELb0EiNS0_19identity_decomposerEEEEE10hipError_tT0_T1_T2_jT3_P12ihipStream_tbPNSt15iterator_traitsISK_E10value_typeEPNSQ_ISL_E10value_typeEPSM_NS1_7vsmem_tEENKUlT_SK_SL_SM_E_clISE_PiSF_SF_EESJ_SZ_SK_SL_SM_EUlSZ_E0_NS1_11comp_targetILNS1_3genE3ELNS1_11target_archE908ELNS1_3gpuE7ELNS1_3repE0EEENS1_38merge_mergepath_config_static_selectorELNS0_4arch9wavefront6targetE0EEEvSL_.num_agpr, 0
	.set _ZN7rocprim17ROCPRIM_400000_NS6detail17trampoline_kernelINS0_14default_configENS1_38merge_sort_block_merge_config_selectorIiNS0_10empty_typeEEEZZNS1_27merge_sort_block_merge_implIS3_N6thrust23THRUST_200600_302600_NS6detail15normal_iteratorINS9_10device_ptrIiEEEEPS5_jNS1_19radix_merge_compareILb1ELb0EiNS0_19identity_decomposerEEEEE10hipError_tT0_T1_T2_jT3_P12ihipStream_tbPNSt15iterator_traitsISK_E10value_typeEPNSQ_ISL_E10value_typeEPSM_NS1_7vsmem_tEENKUlT_SK_SL_SM_E_clISE_PiSF_SF_EESJ_SZ_SK_SL_SM_EUlSZ_E0_NS1_11comp_targetILNS1_3genE3ELNS1_11target_archE908ELNS1_3gpuE7ELNS1_3repE0EEENS1_38merge_mergepath_config_static_selectorELNS0_4arch9wavefront6targetE0EEEvSL_.numbered_sgpr, 0
	.set _ZN7rocprim17ROCPRIM_400000_NS6detail17trampoline_kernelINS0_14default_configENS1_38merge_sort_block_merge_config_selectorIiNS0_10empty_typeEEEZZNS1_27merge_sort_block_merge_implIS3_N6thrust23THRUST_200600_302600_NS6detail15normal_iteratorINS9_10device_ptrIiEEEEPS5_jNS1_19radix_merge_compareILb1ELb0EiNS0_19identity_decomposerEEEEE10hipError_tT0_T1_T2_jT3_P12ihipStream_tbPNSt15iterator_traitsISK_E10value_typeEPNSQ_ISL_E10value_typeEPSM_NS1_7vsmem_tEENKUlT_SK_SL_SM_E_clISE_PiSF_SF_EESJ_SZ_SK_SL_SM_EUlSZ_E0_NS1_11comp_targetILNS1_3genE3ELNS1_11target_archE908ELNS1_3gpuE7ELNS1_3repE0EEENS1_38merge_mergepath_config_static_selectorELNS0_4arch9wavefront6targetE0EEEvSL_.num_named_barrier, 0
	.set _ZN7rocprim17ROCPRIM_400000_NS6detail17trampoline_kernelINS0_14default_configENS1_38merge_sort_block_merge_config_selectorIiNS0_10empty_typeEEEZZNS1_27merge_sort_block_merge_implIS3_N6thrust23THRUST_200600_302600_NS6detail15normal_iteratorINS9_10device_ptrIiEEEEPS5_jNS1_19radix_merge_compareILb1ELb0EiNS0_19identity_decomposerEEEEE10hipError_tT0_T1_T2_jT3_P12ihipStream_tbPNSt15iterator_traitsISK_E10value_typeEPNSQ_ISL_E10value_typeEPSM_NS1_7vsmem_tEENKUlT_SK_SL_SM_E_clISE_PiSF_SF_EESJ_SZ_SK_SL_SM_EUlSZ_E0_NS1_11comp_targetILNS1_3genE3ELNS1_11target_archE908ELNS1_3gpuE7ELNS1_3repE0EEENS1_38merge_mergepath_config_static_selectorELNS0_4arch9wavefront6targetE0EEEvSL_.private_seg_size, 0
	.set _ZN7rocprim17ROCPRIM_400000_NS6detail17trampoline_kernelINS0_14default_configENS1_38merge_sort_block_merge_config_selectorIiNS0_10empty_typeEEEZZNS1_27merge_sort_block_merge_implIS3_N6thrust23THRUST_200600_302600_NS6detail15normal_iteratorINS9_10device_ptrIiEEEEPS5_jNS1_19radix_merge_compareILb1ELb0EiNS0_19identity_decomposerEEEEE10hipError_tT0_T1_T2_jT3_P12ihipStream_tbPNSt15iterator_traitsISK_E10value_typeEPNSQ_ISL_E10value_typeEPSM_NS1_7vsmem_tEENKUlT_SK_SL_SM_E_clISE_PiSF_SF_EESJ_SZ_SK_SL_SM_EUlSZ_E0_NS1_11comp_targetILNS1_3genE3ELNS1_11target_archE908ELNS1_3gpuE7ELNS1_3repE0EEENS1_38merge_mergepath_config_static_selectorELNS0_4arch9wavefront6targetE0EEEvSL_.uses_vcc, 0
	.set _ZN7rocprim17ROCPRIM_400000_NS6detail17trampoline_kernelINS0_14default_configENS1_38merge_sort_block_merge_config_selectorIiNS0_10empty_typeEEEZZNS1_27merge_sort_block_merge_implIS3_N6thrust23THRUST_200600_302600_NS6detail15normal_iteratorINS9_10device_ptrIiEEEEPS5_jNS1_19radix_merge_compareILb1ELb0EiNS0_19identity_decomposerEEEEE10hipError_tT0_T1_T2_jT3_P12ihipStream_tbPNSt15iterator_traitsISK_E10value_typeEPNSQ_ISL_E10value_typeEPSM_NS1_7vsmem_tEENKUlT_SK_SL_SM_E_clISE_PiSF_SF_EESJ_SZ_SK_SL_SM_EUlSZ_E0_NS1_11comp_targetILNS1_3genE3ELNS1_11target_archE908ELNS1_3gpuE7ELNS1_3repE0EEENS1_38merge_mergepath_config_static_selectorELNS0_4arch9wavefront6targetE0EEEvSL_.uses_flat_scratch, 0
	.set _ZN7rocprim17ROCPRIM_400000_NS6detail17trampoline_kernelINS0_14default_configENS1_38merge_sort_block_merge_config_selectorIiNS0_10empty_typeEEEZZNS1_27merge_sort_block_merge_implIS3_N6thrust23THRUST_200600_302600_NS6detail15normal_iteratorINS9_10device_ptrIiEEEEPS5_jNS1_19radix_merge_compareILb1ELb0EiNS0_19identity_decomposerEEEEE10hipError_tT0_T1_T2_jT3_P12ihipStream_tbPNSt15iterator_traitsISK_E10value_typeEPNSQ_ISL_E10value_typeEPSM_NS1_7vsmem_tEENKUlT_SK_SL_SM_E_clISE_PiSF_SF_EESJ_SZ_SK_SL_SM_EUlSZ_E0_NS1_11comp_targetILNS1_3genE3ELNS1_11target_archE908ELNS1_3gpuE7ELNS1_3repE0EEENS1_38merge_mergepath_config_static_selectorELNS0_4arch9wavefront6targetE0EEEvSL_.has_dyn_sized_stack, 0
	.set _ZN7rocprim17ROCPRIM_400000_NS6detail17trampoline_kernelINS0_14default_configENS1_38merge_sort_block_merge_config_selectorIiNS0_10empty_typeEEEZZNS1_27merge_sort_block_merge_implIS3_N6thrust23THRUST_200600_302600_NS6detail15normal_iteratorINS9_10device_ptrIiEEEEPS5_jNS1_19radix_merge_compareILb1ELb0EiNS0_19identity_decomposerEEEEE10hipError_tT0_T1_T2_jT3_P12ihipStream_tbPNSt15iterator_traitsISK_E10value_typeEPNSQ_ISL_E10value_typeEPSM_NS1_7vsmem_tEENKUlT_SK_SL_SM_E_clISE_PiSF_SF_EESJ_SZ_SK_SL_SM_EUlSZ_E0_NS1_11comp_targetILNS1_3genE3ELNS1_11target_archE908ELNS1_3gpuE7ELNS1_3repE0EEENS1_38merge_mergepath_config_static_selectorELNS0_4arch9wavefront6targetE0EEEvSL_.has_recursion, 0
	.set _ZN7rocprim17ROCPRIM_400000_NS6detail17trampoline_kernelINS0_14default_configENS1_38merge_sort_block_merge_config_selectorIiNS0_10empty_typeEEEZZNS1_27merge_sort_block_merge_implIS3_N6thrust23THRUST_200600_302600_NS6detail15normal_iteratorINS9_10device_ptrIiEEEEPS5_jNS1_19radix_merge_compareILb1ELb0EiNS0_19identity_decomposerEEEEE10hipError_tT0_T1_T2_jT3_P12ihipStream_tbPNSt15iterator_traitsISK_E10value_typeEPNSQ_ISL_E10value_typeEPSM_NS1_7vsmem_tEENKUlT_SK_SL_SM_E_clISE_PiSF_SF_EESJ_SZ_SK_SL_SM_EUlSZ_E0_NS1_11comp_targetILNS1_3genE3ELNS1_11target_archE908ELNS1_3gpuE7ELNS1_3repE0EEENS1_38merge_mergepath_config_static_selectorELNS0_4arch9wavefront6targetE0EEEvSL_.has_indirect_call, 0
	.section	.AMDGPU.csdata,"",@progbits
; Kernel info:
; codeLenInByte = 0
; TotalNumSgprs: 0
; NumVgprs: 0
; ScratchSize: 0
; MemoryBound: 0
; FloatMode: 240
; IeeeMode: 1
; LDSByteSize: 0 bytes/workgroup (compile time only)
; SGPRBlocks: 0
; VGPRBlocks: 0
; NumSGPRsForWavesPerEU: 1
; NumVGPRsForWavesPerEU: 1
; Occupancy: 16
; WaveLimiterHint : 0
; COMPUTE_PGM_RSRC2:SCRATCH_EN: 0
; COMPUTE_PGM_RSRC2:USER_SGPR: 6
; COMPUTE_PGM_RSRC2:TRAP_HANDLER: 0
; COMPUTE_PGM_RSRC2:TGID_X_EN: 1
; COMPUTE_PGM_RSRC2:TGID_Y_EN: 0
; COMPUTE_PGM_RSRC2:TGID_Z_EN: 0
; COMPUTE_PGM_RSRC2:TIDIG_COMP_CNT: 0
	.section	.text._ZN7rocprim17ROCPRIM_400000_NS6detail17trampoline_kernelINS0_14default_configENS1_38merge_sort_block_merge_config_selectorIiNS0_10empty_typeEEEZZNS1_27merge_sort_block_merge_implIS3_N6thrust23THRUST_200600_302600_NS6detail15normal_iteratorINS9_10device_ptrIiEEEEPS5_jNS1_19radix_merge_compareILb1ELb0EiNS0_19identity_decomposerEEEEE10hipError_tT0_T1_T2_jT3_P12ihipStream_tbPNSt15iterator_traitsISK_E10value_typeEPNSQ_ISL_E10value_typeEPSM_NS1_7vsmem_tEENKUlT_SK_SL_SM_E_clISE_PiSF_SF_EESJ_SZ_SK_SL_SM_EUlSZ_E0_NS1_11comp_targetILNS1_3genE2ELNS1_11target_archE906ELNS1_3gpuE6ELNS1_3repE0EEENS1_38merge_mergepath_config_static_selectorELNS0_4arch9wavefront6targetE0EEEvSL_,"axG",@progbits,_ZN7rocprim17ROCPRIM_400000_NS6detail17trampoline_kernelINS0_14default_configENS1_38merge_sort_block_merge_config_selectorIiNS0_10empty_typeEEEZZNS1_27merge_sort_block_merge_implIS3_N6thrust23THRUST_200600_302600_NS6detail15normal_iteratorINS9_10device_ptrIiEEEEPS5_jNS1_19radix_merge_compareILb1ELb0EiNS0_19identity_decomposerEEEEE10hipError_tT0_T1_T2_jT3_P12ihipStream_tbPNSt15iterator_traitsISK_E10value_typeEPNSQ_ISL_E10value_typeEPSM_NS1_7vsmem_tEENKUlT_SK_SL_SM_E_clISE_PiSF_SF_EESJ_SZ_SK_SL_SM_EUlSZ_E0_NS1_11comp_targetILNS1_3genE2ELNS1_11target_archE906ELNS1_3gpuE6ELNS1_3repE0EEENS1_38merge_mergepath_config_static_selectorELNS0_4arch9wavefront6targetE0EEEvSL_,comdat
	.protected	_ZN7rocprim17ROCPRIM_400000_NS6detail17trampoline_kernelINS0_14default_configENS1_38merge_sort_block_merge_config_selectorIiNS0_10empty_typeEEEZZNS1_27merge_sort_block_merge_implIS3_N6thrust23THRUST_200600_302600_NS6detail15normal_iteratorINS9_10device_ptrIiEEEEPS5_jNS1_19radix_merge_compareILb1ELb0EiNS0_19identity_decomposerEEEEE10hipError_tT0_T1_T2_jT3_P12ihipStream_tbPNSt15iterator_traitsISK_E10value_typeEPNSQ_ISL_E10value_typeEPSM_NS1_7vsmem_tEENKUlT_SK_SL_SM_E_clISE_PiSF_SF_EESJ_SZ_SK_SL_SM_EUlSZ_E0_NS1_11comp_targetILNS1_3genE2ELNS1_11target_archE906ELNS1_3gpuE6ELNS1_3repE0EEENS1_38merge_mergepath_config_static_selectorELNS0_4arch9wavefront6targetE0EEEvSL_ ; -- Begin function _ZN7rocprim17ROCPRIM_400000_NS6detail17trampoline_kernelINS0_14default_configENS1_38merge_sort_block_merge_config_selectorIiNS0_10empty_typeEEEZZNS1_27merge_sort_block_merge_implIS3_N6thrust23THRUST_200600_302600_NS6detail15normal_iteratorINS9_10device_ptrIiEEEEPS5_jNS1_19radix_merge_compareILb1ELb0EiNS0_19identity_decomposerEEEEE10hipError_tT0_T1_T2_jT3_P12ihipStream_tbPNSt15iterator_traitsISK_E10value_typeEPNSQ_ISL_E10value_typeEPSM_NS1_7vsmem_tEENKUlT_SK_SL_SM_E_clISE_PiSF_SF_EESJ_SZ_SK_SL_SM_EUlSZ_E0_NS1_11comp_targetILNS1_3genE2ELNS1_11target_archE906ELNS1_3gpuE6ELNS1_3repE0EEENS1_38merge_mergepath_config_static_selectorELNS0_4arch9wavefront6targetE0EEEvSL_
	.globl	_ZN7rocprim17ROCPRIM_400000_NS6detail17trampoline_kernelINS0_14default_configENS1_38merge_sort_block_merge_config_selectorIiNS0_10empty_typeEEEZZNS1_27merge_sort_block_merge_implIS3_N6thrust23THRUST_200600_302600_NS6detail15normal_iteratorINS9_10device_ptrIiEEEEPS5_jNS1_19radix_merge_compareILb1ELb0EiNS0_19identity_decomposerEEEEE10hipError_tT0_T1_T2_jT3_P12ihipStream_tbPNSt15iterator_traitsISK_E10value_typeEPNSQ_ISL_E10value_typeEPSM_NS1_7vsmem_tEENKUlT_SK_SL_SM_E_clISE_PiSF_SF_EESJ_SZ_SK_SL_SM_EUlSZ_E0_NS1_11comp_targetILNS1_3genE2ELNS1_11target_archE906ELNS1_3gpuE6ELNS1_3repE0EEENS1_38merge_mergepath_config_static_selectorELNS0_4arch9wavefront6targetE0EEEvSL_
	.p2align	8
	.type	_ZN7rocprim17ROCPRIM_400000_NS6detail17trampoline_kernelINS0_14default_configENS1_38merge_sort_block_merge_config_selectorIiNS0_10empty_typeEEEZZNS1_27merge_sort_block_merge_implIS3_N6thrust23THRUST_200600_302600_NS6detail15normal_iteratorINS9_10device_ptrIiEEEEPS5_jNS1_19radix_merge_compareILb1ELb0EiNS0_19identity_decomposerEEEEE10hipError_tT0_T1_T2_jT3_P12ihipStream_tbPNSt15iterator_traitsISK_E10value_typeEPNSQ_ISL_E10value_typeEPSM_NS1_7vsmem_tEENKUlT_SK_SL_SM_E_clISE_PiSF_SF_EESJ_SZ_SK_SL_SM_EUlSZ_E0_NS1_11comp_targetILNS1_3genE2ELNS1_11target_archE906ELNS1_3gpuE6ELNS1_3repE0EEENS1_38merge_mergepath_config_static_selectorELNS0_4arch9wavefront6targetE0EEEvSL_,@function
_ZN7rocprim17ROCPRIM_400000_NS6detail17trampoline_kernelINS0_14default_configENS1_38merge_sort_block_merge_config_selectorIiNS0_10empty_typeEEEZZNS1_27merge_sort_block_merge_implIS3_N6thrust23THRUST_200600_302600_NS6detail15normal_iteratorINS9_10device_ptrIiEEEEPS5_jNS1_19radix_merge_compareILb1ELb0EiNS0_19identity_decomposerEEEEE10hipError_tT0_T1_T2_jT3_P12ihipStream_tbPNSt15iterator_traitsISK_E10value_typeEPNSQ_ISL_E10value_typeEPSM_NS1_7vsmem_tEENKUlT_SK_SL_SM_E_clISE_PiSF_SF_EESJ_SZ_SK_SL_SM_EUlSZ_E0_NS1_11comp_targetILNS1_3genE2ELNS1_11target_archE906ELNS1_3gpuE6ELNS1_3repE0EEENS1_38merge_mergepath_config_static_selectorELNS0_4arch9wavefront6targetE0EEEvSL_: ; @_ZN7rocprim17ROCPRIM_400000_NS6detail17trampoline_kernelINS0_14default_configENS1_38merge_sort_block_merge_config_selectorIiNS0_10empty_typeEEEZZNS1_27merge_sort_block_merge_implIS3_N6thrust23THRUST_200600_302600_NS6detail15normal_iteratorINS9_10device_ptrIiEEEEPS5_jNS1_19radix_merge_compareILb1ELb0EiNS0_19identity_decomposerEEEEE10hipError_tT0_T1_T2_jT3_P12ihipStream_tbPNSt15iterator_traitsISK_E10value_typeEPNSQ_ISL_E10value_typeEPSM_NS1_7vsmem_tEENKUlT_SK_SL_SM_E_clISE_PiSF_SF_EESJ_SZ_SK_SL_SM_EUlSZ_E0_NS1_11comp_targetILNS1_3genE2ELNS1_11target_archE906ELNS1_3gpuE6ELNS1_3repE0EEENS1_38merge_mergepath_config_static_selectorELNS0_4arch9wavefront6targetE0EEEvSL_
; %bb.0:
	.section	.rodata,"a",@progbits
	.p2align	6, 0x0
	.amdhsa_kernel _ZN7rocprim17ROCPRIM_400000_NS6detail17trampoline_kernelINS0_14default_configENS1_38merge_sort_block_merge_config_selectorIiNS0_10empty_typeEEEZZNS1_27merge_sort_block_merge_implIS3_N6thrust23THRUST_200600_302600_NS6detail15normal_iteratorINS9_10device_ptrIiEEEEPS5_jNS1_19radix_merge_compareILb1ELb0EiNS0_19identity_decomposerEEEEE10hipError_tT0_T1_T2_jT3_P12ihipStream_tbPNSt15iterator_traitsISK_E10value_typeEPNSQ_ISL_E10value_typeEPSM_NS1_7vsmem_tEENKUlT_SK_SL_SM_E_clISE_PiSF_SF_EESJ_SZ_SK_SL_SM_EUlSZ_E0_NS1_11comp_targetILNS1_3genE2ELNS1_11target_archE906ELNS1_3gpuE6ELNS1_3repE0EEENS1_38merge_mergepath_config_static_selectorELNS0_4arch9wavefront6targetE0EEEvSL_
		.amdhsa_group_segment_fixed_size 0
		.amdhsa_private_segment_fixed_size 0
		.amdhsa_kernarg_size 64
		.amdhsa_user_sgpr_count 6
		.amdhsa_user_sgpr_private_segment_buffer 1
		.amdhsa_user_sgpr_dispatch_ptr 0
		.amdhsa_user_sgpr_queue_ptr 0
		.amdhsa_user_sgpr_kernarg_segment_ptr 1
		.amdhsa_user_sgpr_dispatch_id 0
		.amdhsa_user_sgpr_flat_scratch_init 0
		.amdhsa_user_sgpr_private_segment_size 0
		.amdhsa_wavefront_size32 1
		.amdhsa_uses_dynamic_stack 0
		.amdhsa_system_sgpr_private_segment_wavefront_offset 0
		.amdhsa_system_sgpr_workgroup_id_x 1
		.amdhsa_system_sgpr_workgroup_id_y 0
		.amdhsa_system_sgpr_workgroup_id_z 0
		.amdhsa_system_sgpr_workgroup_info 0
		.amdhsa_system_vgpr_workitem_id 0
		.amdhsa_next_free_vgpr 1
		.amdhsa_next_free_sgpr 1
		.amdhsa_reserve_vcc 0
		.amdhsa_reserve_flat_scratch 0
		.amdhsa_float_round_mode_32 0
		.amdhsa_float_round_mode_16_64 0
		.amdhsa_float_denorm_mode_32 3
		.amdhsa_float_denorm_mode_16_64 3
		.amdhsa_dx10_clamp 1
		.amdhsa_ieee_mode 1
		.amdhsa_fp16_overflow 0
		.amdhsa_workgroup_processor_mode 1
		.amdhsa_memory_ordered 1
		.amdhsa_forward_progress 1
		.amdhsa_shared_vgpr_count 0
		.amdhsa_exception_fp_ieee_invalid_op 0
		.amdhsa_exception_fp_denorm_src 0
		.amdhsa_exception_fp_ieee_div_zero 0
		.amdhsa_exception_fp_ieee_overflow 0
		.amdhsa_exception_fp_ieee_underflow 0
		.amdhsa_exception_fp_ieee_inexact 0
		.amdhsa_exception_int_div_zero 0
	.end_amdhsa_kernel
	.section	.text._ZN7rocprim17ROCPRIM_400000_NS6detail17trampoline_kernelINS0_14default_configENS1_38merge_sort_block_merge_config_selectorIiNS0_10empty_typeEEEZZNS1_27merge_sort_block_merge_implIS3_N6thrust23THRUST_200600_302600_NS6detail15normal_iteratorINS9_10device_ptrIiEEEEPS5_jNS1_19radix_merge_compareILb1ELb0EiNS0_19identity_decomposerEEEEE10hipError_tT0_T1_T2_jT3_P12ihipStream_tbPNSt15iterator_traitsISK_E10value_typeEPNSQ_ISL_E10value_typeEPSM_NS1_7vsmem_tEENKUlT_SK_SL_SM_E_clISE_PiSF_SF_EESJ_SZ_SK_SL_SM_EUlSZ_E0_NS1_11comp_targetILNS1_3genE2ELNS1_11target_archE906ELNS1_3gpuE6ELNS1_3repE0EEENS1_38merge_mergepath_config_static_selectorELNS0_4arch9wavefront6targetE0EEEvSL_,"axG",@progbits,_ZN7rocprim17ROCPRIM_400000_NS6detail17trampoline_kernelINS0_14default_configENS1_38merge_sort_block_merge_config_selectorIiNS0_10empty_typeEEEZZNS1_27merge_sort_block_merge_implIS3_N6thrust23THRUST_200600_302600_NS6detail15normal_iteratorINS9_10device_ptrIiEEEEPS5_jNS1_19radix_merge_compareILb1ELb0EiNS0_19identity_decomposerEEEEE10hipError_tT0_T1_T2_jT3_P12ihipStream_tbPNSt15iterator_traitsISK_E10value_typeEPNSQ_ISL_E10value_typeEPSM_NS1_7vsmem_tEENKUlT_SK_SL_SM_E_clISE_PiSF_SF_EESJ_SZ_SK_SL_SM_EUlSZ_E0_NS1_11comp_targetILNS1_3genE2ELNS1_11target_archE906ELNS1_3gpuE6ELNS1_3repE0EEENS1_38merge_mergepath_config_static_selectorELNS0_4arch9wavefront6targetE0EEEvSL_,comdat
.Lfunc_end259:
	.size	_ZN7rocprim17ROCPRIM_400000_NS6detail17trampoline_kernelINS0_14default_configENS1_38merge_sort_block_merge_config_selectorIiNS0_10empty_typeEEEZZNS1_27merge_sort_block_merge_implIS3_N6thrust23THRUST_200600_302600_NS6detail15normal_iteratorINS9_10device_ptrIiEEEEPS5_jNS1_19radix_merge_compareILb1ELb0EiNS0_19identity_decomposerEEEEE10hipError_tT0_T1_T2_jT3_P12ihipStream_tbPNSt15iterator_traitsISK_E10value_typeEPNSQ_ISL_E10value_typeEPSM_NS1_7vsmem_tEENKUlT_SK_SL_SM_E_clISE_PiSF_SF_EESJ_SZ_SK_SL_SM_EUlSZ_E0_NS1_11comp_targetILNS1_3genE2ELNS1_11target_archE906ELNS1_3gpuE6ELNS1_3repE0EEENS1_38merge_mergepath_config_static_selectorELNS0_4arch9wavefront6targetE0EEEvSL_, .Lfunc_end259-_ZN7rocprim17ROCPRIM_400000_NS6detail17trampoline_kernelINS0_14default_configENS1_38merge_sort_block_merge_config_selectorIiNS0_10empty_typeEEEZZNS1_27merge_sort_block_merge_implIS3_N6thrust23THRUST_200600_302600_NS6detail15normal_iteratorINS9_10device_ptrIiEEEEPS5_jNS1_19radix_merge_compareILb1ELb0EiNS0_19identity_decomposerEEEEE10hipError_tT0_T1_T2_jT3_P12ihipStream_tbPNSt15iterator_traitsISK_E10value_typeEPNSQ_ISL_E10value_typeEPSM_NS1_7vsmem_tEENKUlT_SK_SL_SM_E_clISE_PiSF_SF_EESJ_SZ_SK_SL_SM_EUlSZ_E0_NS1_11comp_targetILNS1_3genE2ELNS1_11target_archE906ELNS1_3gpuE6ELNS1_3repE0EEENS1_38merge_mergepath_config_static_selectorELNS0_4arch9wavefront6targetE0EEEvSL_
                                        ; -- End function
	.set _ZN7rocprim17ROCPRIM_400000_NS6detail17trampoline_kernelINS0_14default_configENS1_38merge_sort_block_merge_config_selectorIiNS0_10empty_typeEEEZZNS1_27merge_sort_block_merge_implIS3_N6thrust23THRUST_200600_302600_NS6detail15normal_iteratorINS9_10device_ptrIiEEEEPS5_jNS1_19radix_merge_compareILb1ELb0EiNS0_19identity_decomposerEEEEE10hipError_tT0_T1_T2_jT3_P12ihipStream_tbPNSt15iterator_traitsISK_E10value_typeEPNSQ_ISL_E10value_typeEPSM_NS1_7vsmem_tEENKUlT_SK_SL_SM_E_clISE_PiSF_SF_EESJ_SZ_SK_SL_SM_EUlSZ_E0_NS1_11comp_targetILNS1_3genE2ELNS1_11target_archE906ELNS1_3gpuE6ELNS1_3repE0EEENS1_38merge_mergepath_config_static_selectorELNS0_4arch9wavefront6targetE0EEEvSL_.num_vgpr, 0
	.set _ZN7rocprim17ROCPRIM_400000_NS6detail17trampoline_kernelINS0_14default_configENS1_38merge_sort_block_merge_config_selectorIiNS0_10empty_typeEEEZZNS1_27merge_sort_block_merge_implIS3_N6thrust23THRUST_200600_302600_NS6detail15normal_iteratorINS9_10device_ptrIiEEEEPS5_jNS1_19radix_merge_compareILb1ELb0EiNS0_19identity_decomposerEEEEE10hipError_tT0_T1_T2_jT3_P12ihipStream_tbPNSt15iterator_traitsISK_E10value_typeEPNSQ_ISL_E10value_typeEPSM_NS1_7vsmem_tEENKUlT_SK_SL_SM_E_clISE_PiSF_SF_EESJ_SZ_SK_SL_SM_EUlSZ_E0_NS1_11comp_targetILNS1_3genE2ELNS1_11target_archE906ELNS1_3gpuE6ELNS1_3repE0EEENS1_38merge_mergepath_config_static_selectorELNS0_4arch9wavefront6targetE0EEEvSL_.num_agpr, 0
	.set _ZN7rocprim17ROCPRIM_400000_NS6detail17trampoline_kernelINS0_14default_configENS1_38merge_sort_block_merge_config_selectorIiNS0_10empty_typeEEEZZNS1_27merge_sort_block_merge_implIS3_N6thrust23THRUST_200600_302600_NS6detail15normal_iteratorINS9_10device_ptrIiEEEEPS5_jNS1_19radix_merge_compareILb1ELb0EiNS0_19identity_decomposerEEEEE10hipError_tT0_T1_T2_jT3_P12ihipStream_tbPNSt15iterator_traitsISK_E10value_typeEPNSQ_ISL_E10value_typeEPSM_NS1_7vsmem_tEENKUlT_SK_SL_SM_E_clISE_PiSF_SF_EESJ_SZ_SK_SL_SM_EUlSZ_E0_NS1_11comp_targetILNS1_3genE2ELNS1_11target_archE906ELNS1_3gpuE6ELNS1_3repE0EEENS1_38merge_mergepath_config_static_selectorELNS0_4arch9wavefront6targetE0EEEvSL_.numbered_sgpr, 0
	.set _ZN7rocprim17ROCPRIM_400000_NS6detail17trampoline_kernelINS0_14default_configENS1_38merge_sort_block_merge_config_selectorIiNS0_10empty_typeEEEZZNS1_27merge_sort_block_merge_implIS3_N6thrust23THRUST_200600_302600_NS6detail15normal_iteratorINS9_10device_ptrIiEEEEPS5_jNS1_19radix_merge_compareILb1ELb0EiNS0_19identity_decomposerEEEEE10hipError_tT0_T1_T2_jT3_P12ihipStream_tbPNSt15iterator_traitsISK_E10value_typeEPNSQ_ISL_E10value_typeEPSM_NS1_7vsmem_tEENKUlT_SK_SL_SM_E_clISE_PiSF_SF_EESJ_SZ_SK_SL_SM_EUlSZ_E0_NS1_11comp_targetILNS1_3genE2ELNS1_11target_archE906ELNS1_3gpuE6ELNS1_3repE0EEENS1_38merge_mergepath_config_static_selectorELNS0_4arch9wavefront6targetE0EEEvSL_.num_named_barrier, 0
	.set _ZN7rocprim17ROCPRIM_400000_NS6detail17trampoline_kernelINS0_14default_configENS1_38merge_sort_block_merge_config_selectorIiNS0_10empty_typeEEEZZNS1_27merge_sort_block_merge_implIS3_N6thrust23THRUST_200600_302600_NS6detail15normal_iteratorINS9_10device_ptrIiEEEEPS5_jNS1_19radix_merge_compareILb1ELb0EiNS0_19identity_decomposerEEEEE10hipError_tT0_T1_T2_jT3_P12ihipStream_tbPNSt15iterator_traitsISK_E10value_typeEPNSQ_ISL_E10value_typeEPSM_NS1_7vsmem_tEENKUlT_SK_SL_SM_E_clISE_PiSF_SF_EESJ_SZ_SK_SL_SM_EUlSZ_E0_NS1_11comp_targetILNS1_3genE2ELNS1_11target_archE906ELNS1_3gpuE6ELNS1_3repE0EEENS1_38merge_mergepath_config_static_selectorELNS0_4arch9wavefront6targetE0EEEvSL_.private_seg_size, 0
	.set _ZN7rocprim17ROCPRIM_400000_NS6detail17trampoline_kernelINS0_14default_configENS1_38merge_sort_block_merge_config_selectorIiNS0_10empty_typeEEEZZNS1_27merge_sort_block_merge_implIS3_N6thrust23THRUST_200600_302600_NS6detail15normal_iteratorINS9_10device_ptrIiEEEEPS5_jNS1_19radix_merge_compareILb1ELb0EiNS0_19identity_decomposerEEEEE10hipError_tT0_T1_T2_jT3_P12ihipStream_tbPNSt15iterator_traitsISK_E10value_typeEPNSQ_ISL_E10value_typeEPSM_NS1_7vsmem_tEENKUlT_SK_SL_SM_E_clISE_PiSF_SF_EESJ_SZ_SK_SL_SM_EUlSZ_E0_NS1_11comp_targetILNS1_3genE2ELNS1_11target_archE906ELNS1_3gpuE6ELNS1_3repE0EEENS1_38merge_mergepath_config_static_selectorELNS0_4arch9wavefront6targetE0EEEvSL_.uses_vcc, 0
	.set _ZN7rocprim17ROCPRIM_400000_NS6detail17trampoline_kernelINS0_14default_configENS1_38merge_sort_block_merge_config_selectorIiNS0_10empty_typeEEEZZNS1_27merge_sort_block_merge_implIS3_N6thrust23THRUST_200600_302600_NS6detail15normal_iteratorINS9_10device_ptrIiEEEEPS5_jNS1_19radix_merge_compareILb1ELb0EiNS0_19identity_decomposerEEEEE10hipError_tT0_T1_T2_jT3_P12ihipStream_tbPNSt15iterator_traitsISK_E10value_typeEPNSQ_ISL_E10value_typeEPSM_NS1_7vsmem_tEENKUlT_SK_SL_SM_E_clISE_PiSF_SF_EESJ_SZ_SK_SL_SM_EUlSZ_E0_NS1_11comp_targetILNS1_3genE2ELNS1_11target_archE906ELNS1_3gpuE6ELNS1_3repE0EEENS1_38merge_mergepath_config_static_selectorELNS0_4arch9wavefront6targetE0EEEvSL_.uses_flat_scratch, 0
	.set _ZN7rocprim17ROCPRIM_400000_NS6detail17trampoline_kernelINS0_14default_configENS1_38merge_sort_block_merge_config_selectorIiNS0_10empty_typeEEEZZNS1_27merge_sort_block_merge_implIS3_N6thrust23THRUST_200600_302600_NS6detail15normal_iteratorINS9_10device_ptrIiEEEEPS5_jNS1_19radix_merge_compareILb1ELb0EiNS0_19identity_decomposerEEEEE10hipError_tT0_T1_T2_jT3_P12ihipStream_tbPNSt15iterator_traitsISK_E10value_typeEPNSQ_ISL_E10value_typeEPSM_NS1_7vsmem_tEENKUlT_SK_SL_SM_E_clISE_PiSF_SF_EESJ_SZ_SK_SL_SM_EUlSZ_E0_NS1_11comp_targetILNS1_3genE2ELNS1_11target_archE906ELNS1_3gpuE6ELNS1_3repE0EEENS1_38merge_mergepath_config_static_selectorELNS0_4arch9wavefront6targetE0EEEvSL_.has_dyn_sized_stack, 0
	.set _ZN7rocprim17ROCPRIM_400000_NS6detail17trampoline_kernelINS0_14default_configENS1_38merge_sort_block_merge_config_selectorIiNS0_10empty_typeEEEZZNS1_27merge_sort_block_merge_implIS3_N6thrust23THRUST_200600_302600_NS6detail15normal_iteratorINS9_10device_ptrIiEEEEPS5_jNS1_19radix_merge_compareILb1ELb0EiNS0_19identity_decomposerEEEEE10hipError_tT0_T1_T2_jT3_P12ihipStream_tbPNSt15iterator_traitsISK_E10value_typeEPNSQ_ISL_E10value_typeEPSM_NS1_7vsmem_tEENKUlT_SK_SL_SM_E_clISE_PiSF_SF_EESJ_SZ_SK_SL_SM_EUlSZ_E0_NS1_11comp_targetILNS1_3genE2ELNS1_11target_archE906ELNS1_3gpuE6ELNS1_3repE0EEENS1_38merge_mergepath_config_static_selectorELNS0_4arch9wavefront6targetE0EEEvSL_.has_recursion, 0
	.set _ZN7rocprim17ROCPRIM_400000_NS6detail17trampoline_kernelINS0_14default_configENS1_38merge_sort_block_merge_config_selectorIiNS0_10empty_typeEEEZZNS1_27merge_sort_block_merge_implIS3_N6thrust23THRUST_200600_302600_NS6detail15normal_iteratorINS9_10device_ptrIiEEEEPS5_jNS1_19radix_merge_compareILb1ELb0EiNS0_19identity_decomposerEEEEE10hipError_tT0_T1_T2_jT3_P12ihipStream_tbPNSt15iterator_traitsISK_E10value_typeEPNSQ_ISL_E10value_typeEPSM_NS1_7vsmem_tEENKUlT_SK_SL_SM_E_clISE_PiSF_SF_EESJ_SZ_SK_SL_SM_EUlSZ_E0_NS1_11comp_targetILNS1_3genE2ELNS1_11target_archE906ELNS1_3gpuE6ELNS1_3repE0EEENS1_38merge_mergepath_config_static_selectorELNS0_4arch9wavefront6targetE0EEEvSL_.has_indirect_call, 0
	.section	.AMDGPU.csdata,"",@progbits
; Kernel info:
; codeLenInByte = 0
; TotalNumSgprs: 0
; NumVgprs: 0
; ScratchSize: 0
; MemoryBound: 0
; FloatMode: 240
; IeeeMode: 1
; LDSByteSize: 0 bytes/workgroup (compile time only)
; SGPRBlocks: 0
; VGPRBlocks: 0
; NumSGPRsForWavesPerEU: 1
; NumVGPRsForWavesPerEU: 1
; Occupancy: 16
; WaveLimiterHint : 0
; COMPUTE_PGM_RSRC2:SCRATCH_EN: 0
; COMPUTE_PGM_RSRC2:USER_SGPR: 6
; COMPUTE_PGM_RSRC2:TRAP_HANDLER: 0
; COMPUTE_PGM_RSRC2:TGID_X_EN: 1
; COMPUTE_PGM_RSRC2:TGID_Y_EN: 0
; COMPUTE_PGM_RSRC2:TGID_Z_EN: 0
; COMPUTE_PGM_RSRC2:TIDIG_COMP_CNT: 0
	.section	.text._ZN7rocprim17ROCPRIM_400000_NS6detail17trampoline_kernelINS0_14default_configENS1_38merge_sort_block_merge_config_selectorIiNS0_10empty_typeEEEZZNS1_27merge_sort_block_merge_implIS3_N6thrust23THRUST_200600_302600_NS6detail15normal_iteratorINS9_10device_ptrIiEEEEPS5_jNS1_19radix_merge_compareILb1ELb0EiNS0_19identity_decomposerEEEEE10hipError_tT0_T1_T2_jT3_P12ihipStream_tbPNSt15iterator_traitsISK_E10value_typeEPNSQ_ISL_E10value_typeEPSM_NS1_7vsmem_tEENKUlT_SK_SL_SM_E_clISE_PiSF_SF_EESJ_SZ_SK_SL_SM_EUlSZ_E0_NS1_11comp_targetILNS1_3genE9ELNS1_11target_archE1100ELNS1_3gpuE3ELNS1_3repE0EEENS1_38merge_mergepath_config_static_selectorELNS0_4arch9wavefront6targetE0EEEvSL_,"axG",@progbits,_ZN7rocprim17ROCPRIM_400000_NS6detail17trampoline_kernelINS0_14default_configENS1_38merge_sort_block_merge_config_selectorIiNS0_10empty_typeEEEZZNS1_27merge_sort_block_merge_implIS3_N6thrust23THRUST_200600_302600_NS6detail15normal_iteratorINS9_10device_ptrIiEEEEPS5_jNS1_19radix_merge_compareILb1ELb0EiNS0_19identity_decomposerEEEEE10hipError_tT0_T1_T2_jT3_P12ihipStream_tbPNSt15iterator_traitsISK_E10value_typeEPNSQ_ISL_E10value_typeEPSM_NS1_7vsmem_tEENKUlT_SK_SL_SM_E_clISE_PiSF_SF_EESJ_SZ_SK_SL_SM_EUlSZ_E0_NS1_11comp_targetILNS1_3genE9ELNS1_11target_archE1100ELNS1_3gpuE3ELNS1_3repE0EEENS1_38merge_mergepath_config_static_selectorELNS0_4arch9wavefront6targetE0EEEvSL_,comdat
	.protected	_ZN7rocprim17ROCPRIM_400000_NS6detail17trampoline_kernelINS0_14default_configENS1_38merge_sort_block_merge_config_selectorIiNS0_10empty_typeEEEZZNS1_27merge_sort_block_merge_implIS3_N6thrust23THRUST_200600_302600_NS6detail15normal_iteratorINS9_10device_ptrIiEEEEPS5_jNS1_19radix_merge_compareILb1ELb0EiNS0_19identity_decomposerEEEEE10hipError_tT0_T1_T2_jT3_P12ihipStream_tbPNSt15iterator_traitsISK_E10value_typeEPNSQ_ISL_E10value_typeEPSM_NS1_7vsmem_tEENKUlT_SK_SL_SM_E_clISE_PiSF_SF_EESJ_SZ_SK_SL_SM_EUlSZ_E0_NS1_11comp_targetILNS1_3genE9ELNS1_11target_archE1100ELNS1_3gpuE3ELNS1_3repE0EEENS1_38merge_mergepath_config_static_selectorELNS0_4arch9wavefront6targetE0EEEvSL_ ; -- Begin function _ZN7rocprim17ROCPRIM_400000_NS6detail17trampoline_kernelINS0_14default_configENS1_38merge_sort_block_merge_config_selectorIiNS0_10empty_typeEEEZZNS1_27merge_sort_block_merge_implIS3_N6thrust23THRUST_200600_302600_NS6detail15normal_iteratorINS9_10device_ptrIiEEEEPS5_jNS1_19radix_merge_compareILb1ELb0EiNS0_19identity_decomposerEEEEE10hipError_tT0_T1_T2_jT3_P12ihipStream_tbPNSt15iterator_traitsISK_E10value_typeEPNSQ_ISL_E10value_typeEPSM_NS1_7vsmem_tEENKUlT_SK_SL_SM_E_clISE_PiSF_SF_EESJ_SZ_SK_SL_SM_EUlSZ_E0_NS1_11comp_targetILNS1_3genE9ELNS1_11target_archE1100ELNS1_3gpuE3ELNS1_3repE0EEENS1_38merge_mergepath_config_static_selectorELNS0_4arch9wavefront6targetE0EEEvSL_
	.globl	_ZN7rocprim17ROCPRIM_400000_NS6detail17trampoline_kernelINS0_14default_configENS1_38merge_sort_block_merge_config_selectorIiNS0_10empty_typeEEEZZNS1_27merge_sort_block_merge_implIS3_N6thrust23THRUST_200600_302600_NS6detail15normal_iteratorINS9_10device_ptrIiEEEEPS5_jNS1_19radix_merge_compareILb1ELb0EiNS0_19identity_decomposerEEEEE10hipError_tT0_T1_T2_jT3_P12ihipStream_tbPNSt15iterator_traitsISK_E10value_typeEPNSQ_ISL_E10value_typeEPSM_NS1_7vsmem_tEENKUlT_SK_SL_SM_E_clISE_PiSF_SF_EESJ_SZ_SK_SL_SM_EUlSZ_E0_NS1_11comp_targetILNS1_3genE9ELNS1_11target_archE1100ELNS1_3gpuE3ELNS1_3repE0EEENS1_38merge_mergepath_config_static_selectorELNS0_4arch9wavefront6targetE0EEEvSL_
	.p2align	8
	.type	_ZN7rocprim17ROCPRIM_400000_NS6detail17trampoline_kernelINS0_14default_configENS1_38merge_sort_block_merge_config_selectorIiNS0_10empty_typeEEEZZNS1_27merge_sort_block_merge_implIS3_N6thrust23THRUST_200600_302600_NS6detail15normal_iteratorINS9_10device_ptrIiEEEEPS5_jNS1_19radix_merge_compareILb1ELb0EiNS0_19identity_decomposerEEEEE10hipError_tT0_T1_T2_jT3_P12ihipStream_tbPNSt15iterator_traitsISK_E10value_typeEPNSQ_ISL_E10value_typeEPSM_NS1_7vsmem_tEENKUlT_SK_SL_SM_E_clISE_PiSF_SF_EESJ_SZ_SK_SL_SM_EUlSZ_E0_NS1_11comp_targetILNS1_3genE9ELNS1_11target_archE1100ELNS1_3gpuE3ELNS1_3repE0EEENS1_38merge_mergepath_config_static_selectorELNS0_4arch9wavefront6targetE0EEEvSL_,@function
_ZN7rocprim17ROCPRIM_400000_NS6detail17trampoline_kernelINS0_14default_configENS1_38merge_sort_block_merge_config_selectorIiNS0_10empty_typeEEEZZNS1_27merge_sort_block_merge_implIS3_N6thrust23THRUST_200600_302600_NS6detail15normal_iteratorINS9_10device_ptrIiEEEEPS5_jNS1_19radix_merge_compareILb1ELb0EiNS0_19identity_decomposerEEEEE10hipError_tT0_T1_T2_jT3_P12ihipStream_tbPNSt15iterator_traitsISK_E10value_typeEPNSQ_ISL_E10value_typeEPSM_NS1_7vsmem_tEENKUlT_SK_SL_SM_E_clISE_PiSF_SF_EESJ_SZ_SK_SL_SM_EUlSZ_E0_NS1_11comp_targetILNS1_3genE9ELNS1_11target_archE1100ELNS1_3gpuE3ELNS1_3repE0EEENS1_38merge_mergepath_config_static_selectorELNS0_4arch9wavefront6targetE0EEEvSL_: ; @_ZN7rocprim17ROCPRIM_400000_NS6detail17trampoline_kernelINS0_14default_configENS1_38merge_sort_block_merge_config_selectorIiNS0_10empty_typeEEEZZNS1_27merge_sort_block_merge_implIS3_N6thrust23THRUST_200600_302600_NS6detail15normal_iteratorINS9_10device_ptrIiEEEEPS5_jNS1_19radix_merge_compareILb1ELb0EiNS0_19identity_decomposerEEEEE10hipError_tT0_T1_T2_jT3_P12ihipStream_tbPNSt15iterator_traitsISK_E10value_typeEPNSQ_ISL_E10value_typeEPSM_NS1_7vsmem_tEENKUlT_SK_SL_SM_E_clISE_PiSF_SF_EESJ_SZ_SK_SL_SM_EUlSZ_E0_NS1_11comp_targetILNS1_3genE9ELNS1_11target_archE1100ELNS1_3gpuE3ELNS1_3repE0EEENS1_38merge_mergepath_config_static_selectorELNS0_4arch9wavefront6targetE0EEEvSL_
; %bb.0:
	.section	.rodata,"a",@progbits
	.p2align	6, 0x0
	.amdhsa_kernel _ZN7rocprim17ROCPRIM_400000_NS6detail17trampoline_kernelINS0_14default_configENS1_38merge_sort_block_merge_config_selectorIiNS0_10empty_typeEEEZZNS1_27merge_sort_block_merge_implIS3_N6thrust23THRUST_200600_302600_NS6detail15normal_iteratorINS9_10device_ptrIiEEEEPS5_jNS1_19radix_merge_compareILb1ELb0EiNS0_19identity_decomposerEEEEE10hipError_tT0_T1_T2_jT3_P12ihipStream_tbPNSt15iterator_traitsISK_E10value_typeEPNSQ_ISL_E10value_typeEPSM_NS1_7vsmem_tEENKUlT_SK_SL_SM_E_clISE_PiSF_SF_EESJ_SZ_SK_SL_SM_EUlSZ_E0_NS1_11comp_targetILNS1_3genE9ELNS1_11target_archE1100ELNS1_3gpuE3ELNS1_3repE0EEENS1_38merge_mergepath_config_static_selectorELNS0_4arch9wavefront6targetE0EEEvSL_
		.amdhsa_group_segment_fixed_size 0
		.amdhsa_private_segment_fixed_size 0
		.amdhsa_kernarg_size 64
		.amdhsa_user_sgpr_count 6
		.amdhsa_user_sgpr_private_segment_buffer 1
		.amdhsa_user_sgpr_dispatch_ptr 0
		.amdhsa_user_sgpr_queue_ptr 0
		.amdhsa_user_sgpr_kernarg_segment_ptr 1
		.amdhsa_user_sgpr_dispatch_id 0
		.amdhsa_user_sgpr_flat_scratch_init 0
		.amdhsa_user_sgpr_private_segment_size 0
		.amdhsa_wavefront_size32 1
		.amdhsa_uses_dynamic_stack 0
		.amdhsa_system_sgpr_private_segment_wavefront_offset 0
		.amdhsa_system_sgpr_workgroup_id_x 1
		.amdhsa_system_sgpr_workgroup_id_y 0
		.amdhsa_system_sgpr_workgroup_id_z 0
		.amdhsa_system_sgpr_workgroup_info 0
		.amdhsa_system_vgpr_workitem_id 0
		.amdhsa_next_free_vgpr 1
		.amdhsa_next_free_sgpr 1
		.amdhsa_reserve_vcc 0
		.amdhsa_reserve_flat_scratch 0
		.amdhsa_float_round_mode_32 0
		.amdhsa_float_round_mode_16_64 0
		.amdhsa_float_denorm_mode_32 3
		.amdhsa_float_denorm_mode_16_64 3
		.amdhsa_dx10_clamp 1
		.amdhsa_ieee_mode 1
		.amdhsa_fp16_overflow 0
		.amdhsa_workgroup_processor_mode 1
		.amdhsa_memory_ordered 1
		.amdhsa_forward_progress 1
		.amdhsa_shared_vgpr_count 0
		.amdhsa_exception_fp_ieee_invalid_op 0
		.amdhsa_exception_fp_denorm_src 0
		.amdhsa_exception_fp_ieee_div_zero 0
		.amdhsa_exception_fp_ieee_overflow 0
		.amdhsa_exception_fp_ieee_underflow 0
		.amdhsa_exception_fp_ieee_inexact 0
		.amdhsa_exception_int_div_zero 0
	.end_amdhsa_kernel
	.section	.text._ZN7rocprim17ROCPRIM_400000_NS6detail17trampoline_kernelINS0_14default_configENS1_38merge_sort_block_merge_config_selectorIiNS0_10empty_typeEEEZZNS1_27merge_sort_block_merge_implIS3_N6thrust23THRUST_200600_302600_NS6detail15normal_iteratorINS9_10device_ptrIiEEEEPS5_jNS1_19radix_merge_compareILb1ELb0EiNS0_19identity_decomposerEEEEE10hipError_tT0_T1_T2_jT3_P12ihipStream_tbPNSt15iterator_traitsISK_E10value_typeEPNSQ_ISL_E10value_typeEPSM_NS1_7vsmem_tEENKUlT_SK_SL_SM_E_clISE_PiSF_SF_EESJ_SZ_SK_SL_SM_EUlSZ_E0_NS1_11comp_targetILNS1_3genE9ELNS1_11target_archE1100ELNS1_3gpuE3ELNS1_3repE0EEENS1_38merge_mergepath_config_static_selectorELNS0_4arch9wavefront6targetE0EEEvSL_,"axG",@progbits,_ZN7rocprim17ROCPRIM_400000_NS6detail17trampoline_kernelINS0_14default_configENS1_38merge_sort_block_merge_config_selectorIiNS0_10empty_typeEEEZZNS1_27merge_sort_block_merge_implIS3_N6thrust23THRUST_200600_302600_NS6detail15normal_iteratorINS9_10device_ptrIiEEEEPS5_jNS1_19radix_merge_compareILb1ELb0EiNS0_19identity_decomposerEEEEE10hipError_tT0_T1_T2_jT3_P12ihipStream_tbPNSt15iterator_traitsISK_E10value_typeEPNSQ_ISL_E10value_typeEPSM_NS1_7vsmem_tEENKUlT_SK_SL_SM_E_clISE_PiSF_SF_EESJ_SZ_SK_SL_SM_EUlSZ_E0_NS1_11comp_targetILNS1_3genE9ELNS1_11target_archE1100ELNS1_3gpuE3ELNS1_3repE0EEENS1_38merge_mergepath_config_static_selectorELNS0_4arch9wavefront6targetE0EEEvSL_,comdat
.Lfunc_end260:
	.size	_ZN7rocprim17ROCPRIM_400000_NS6detail17trampoline_kernelINS0_14default_configENS1_38merge_sort_block_merge_config_selectorIiNS0_10empty_typeEEEZZNS1_27merge_sort_block_merge_implIS3_N6thrust23THRUST_200600_302600_NS6detail15normal_iteratorINS9_10device_ptrIiEEEEPS5_jNS1_19radix_merge_compareILb1ELb0EiNS0_19identity_decomposerEEEEE10hipError_tT0_T1_T2_jT3_P12ihipStream_tbPNSt15iterator_traitsISK_E10value_typeEPNSQ_ISL_E10value_typeEPSM_NS1_7vsmem_tEENKUlT_SK_SL_SM_E_clISE_PiSF_SF_EESJ_SZ_SK_SL_SM_EUlSZ_E0_NS1_11comp_targetILNS1_3genE9ELNS1_11target_archE1100ELNS1_3gpuE3ELNS1_3repE0EEENS1_38merge_mergepath_config_static_selectorELNS0_4arch9wavefront6targetE0EEEvSL_, .Lfunc_end260-_ZN7rocprim17ROCPRIM_400000_NS6detail17trampoline_kernelINS0_14default_configENS1_38merge_sort_block_merge_config_selectorIiNS0_10empty_typeEEEZZNS1_27merge_sort_block_merge_implIS3_N6thrust23THRUST_200600_302600_NS6detail15normal_iteratorINS9_10device_ptrIiEEEEPS5_jNS1_19radix_merge_compareILb1ELb0EiNS0_19identity_decomposerEEEEE10hipError_tT0_T1_T2_jT3_P12ihipStream_tbPNSt15iterator_traitsISK_E10value_typeEPNSQ_ISL_E10value_typeEPSM_NS1_7vsmem_tEENKUlT_SK_SL_SM_E_clISE_PiSF_SF_EESJ_SZ_SK_SL_SM_EUlSZ_E0_NS1_11comp_targetILNS1_3genE9ELNS1_11target_archE1100ELNS1_3gpuE3ELNS1_3repE0EEENS1_38merge_mergepath_config_static_selectorELNS0_4arch9wavefront6targetE0EEEvSL_
                                        ; -- End function
	.set _ZN7rocprim17ROCPRIM_400000_NS6detail17trampoline_kernelINS0_14default_configENS1_38merge_sort_block_merge_config_selectorIiNS0_10empty_typeEEEZZNS1_27merge_sort_block_merge_implIS3_N6thrust23THRUST_200600_302600_NS6detail15normal_iteratorINS9_10device_ptrIiEEEEPS5_jNS1_19radix_merge_compareILb1ELb0EiNS0_19identity_decomposerEEEEE10hipError_tT0_T1_T2_jT3_P12ihipStream_tbPNSt15iterator_traitsISK_E10value_typeEPNSQ_ISL_E10value_typeEPSM_NS1_7vsmem_tEENKUlT_SK_SL_SM_E_clISE_PiSF_SF_EESJ_SZ_SK_SL_SM_EUlSZ_E0_NS1_11comp_targetILNS1_3genE9ELNS1_11target_archE1100ELNS1_3gpuE3ELNS1_3repE0EEENS1_38merge_mergepath_config_static_selectorELNS0_4arch9wavefront6targetE0EEEvSL_.num_vgpr, 0
	.set _ZN7rocprim17ROCPRIM_400000_NS6detail17trampoline_kernelINS0_14default_configENS1_38merge_sort_block_merge_config_selectorIiNS0_10empty_typeEEEZZNS1_27merge_sort_block_merge_implIS3_N6thrust23THRUST_200600_302600_NS6detail15normal_iteratorINS9_10device_ptrIiEEEEPS5_jNS1_19radix_merge_compareILb1ELb0EiNS0_19identity_decomposerEEEEE10hipError_tT0_T1_T2_jT3_P12ihipStream_tbPNSt15iterator_traitsISK_E10value_typeEPNSQ_ISL_E10value_typeEPSM_NS1_7vsmem_tEENKUlT_SK_SL_SM_E_clISE_PiSF_SF_EESJ_SZ_SK_SL_SM_EUlSZ_E0_NS1_11comp_targetILNS1_3genE9ELNS1_11target_archE1100ELNS1_3gpuE3ELNS1_3repE0EEENS1_38merge_mergepath_config_static_selectorELNS0_4arch9wavefront6targetE0EEEvSL_.num_agpr, 0
	.set _ZN7rocprim17ROCPRIM_400000_NS6detail17trampoline_kernelINS0_14default_configENS1_38merge_sort_block_merge_config_selectorIiNS0_10empty_typeEEEZZNS1_27merge_sort_block_merge_implIS3_N6thrust23THRUST_200600_302600_NS6detail15normal_iteratorINS9_10device_ptrIiEEEEPS5_jNS1_19radix_merge_compareILb1ELb0EiNS0_19identity_decomposerEEEEE10hipError_tT0_T1_T2_jT3_P12ihipStream_tbPNSt15iterator_traitsISK_E10value_typeEPNSQ_ISL_E10value_typeEPSM_NS1_7vsmem_tEENKUlT_SK_SL_SM_E_clISE_PiSF_SF_EESJ_SZ_SK_SL_SM_EUlSZ_E0_NS1_11comp_targetILNS1_3genE9ELNS1_11target_archE1100ELNS1_3gpuE3ELNS1_3repE0EEENS1_38merge_mergepath_config_static_selectorELNS0_4arch9wavefront6targetE0EEEvSL_.numbered_sgpr, 0
	.set _ZN7rocprim17ROCPRIM_400000_NS6detail17trampoline_kernelINS0_14default_configENS1_38merge_sort_block_merge_config_selectorIiNS0_10empty_typeEEEZZNS1_27merge_sort_block_merge_implIS3_N6thrust23THRUST_200600_302600_NS6detail15normal_iteratorINS9_10device_ptrIiEEEEPS5_jNS1_19radix_merge_compareILb1ELb0EiNS0_19identity_decomposerEEEEE10hipError_tT0_T1_T2_jT3_P12ihipStream_tbPNSt15iterator_traitsISK_E10value_typeEPNSQ_ISL_E10value_typeEPSM_NS1_7vsmem_tEENKUlT_SK_SL_SM_E_clISE_PiSF_SF_EESJ_SZ_SK_SL_SM_EUlSZ_E0_NS1_11comp_targetILNS1_3genE9ELNS1_11target_archE1100ELNS1_3gpuE3ELNS1_3repE0EEENS1_38merge_mergepath_config_static_selectorELNS0_4arch9wavefront6targetE0EEEvSL_.num_named_barrier, 0
	.set _ZN7rocprim17ROCPRIM_400000_NS6detail17trampoline_kernelINS0_14default_configENS1_38merge_sort_block_merge_config_selectorIiNS0_10empty_typeEEEZZNS1_27merge_sort_block_merge_implIS3_N6thrust23THRUST_200600_302600_NS6detail15normal_iteratorINS9_10device_ptrIiEEEEPS5_jNS1_19radix_merge_compareILb1ELb0EiNS0_19identity_decomposerEEEEE10hipError_tT0_T1_T2_jT3_P12ihipStream_tbPNSt15iterator_traitsISK_E10value_typeEPNSQ_ISL_E10value_typeEPSM_NS1_7vsmem_tEENKUlT_SK_SL_SM_E_clISE_PiSF_SF_EESJ_SZ_SK_SL_SM_EUlSZ_E0_NS1_11comp_targetILNS1_3genE9ELNS1_11target_archE1100ELNS1_3gpuE3ELNS1_3repE0EEENS1_38merge_mergepath_config_static_selectorELNS0_4arch9wavefront6targetE0EEEvSL_.private_seg_size, 0
	.set _ZN7rocprim17ROCPRIM_400000_NS6detail17trampoline_kernelINS0_14default_configENS1_38merge_sort_block_merge_config_selectorIiNS0_10empty_typeEEEZZNS1_27merge_sort_block_merge_implIS3_N6thrust23THRUST_200600_302600_NS6detail15normal_iteratorINS9_10device_ptrIiEEEEPS5_jNS1_19radix_merge_compareILb1ELb0EiNS0_19identity_decomposerEEEEE10hipError_tT0_T1_T2_jT3_P12ihipStream_tbPNSt15iterator_traitsISK_E10value_typeEPNSQ_ISL_E10value_typeEPSM_NS1_7vsmem_tEENKUlT_SK_SL_SM_E_clISE_PiSF_SF_EESJ_SZ_SK_SL_SM_EUlSZ_E0_NS1_11comp_targetILNS1_3genE9ELNS1_11target_archE1100ELNS1_3gpuE3ELNS1_3repE0EEENS1_38merge_mergepath_config_static_selectorELNS0_4arch9wavefront6targetE0EEEvSL_.uses_vcc, 0
	.set _ZN7rocprim17ROCPRIM_400000_NS6detail17trampoline_kernelINS0_14default_configENS1_38merge_sort_block_merge_config_selectorIiNS0_10empty_typeEEEZZNS1_27merge_sort_block_merge_implIS3_N6thrust23THRUST_200600_302600_NS6detail15normal_iteratorINS9_10device_ptrIiEEEEPS5_jNS1_19radix_merge_compareILb1ELb0EiNS0_19identity_decomposerEEEEE10hipError_tT0_T1_T2_jT3_P12ihipStream_tbPNSt15iterator_traitsISK_E10value_typeEPNSQ_ISL_E10value_typeEPSM_NS1_7vsmem_tEENKUlT_SK_SL_SM_E_clISE_PiSF_SF_EESJ_SZ_SK_SL_SM_EUlSZ_E0_NS1_11comp_targetILNS1_3genE9ELNS1_11target_archE1100ELNS1_3gpuE3ELNS1_3repE0EEENS1_38merge_mergepath_config_static_selectorELNS0_4arch9wavefront6targetE0EEEvSL_.uses_flat_scratch, 0
	.set _ZN7rocprim17ROCPRIM_400000_NS6detail17trampoline_kernelINS0_14default_configENS1_38merge_sort_block_merge_config_selectorIiNS0_10empty_typeEEEZZNS1_27merge_sort_block_merge_implIS3_N6thrust23THRUST_200600_302600_NS6detail15normal_iteratorINS9_10device_ptrIiEEEEPS5_jNS1_19radix_merge_compareILb1ELb0EiNS0_19identity_decomposerEEEEE10hipError_tT0_T1_T2_jT3_P12ihipStream_tbPNSt15iterator_traitsISK_E10value_typeEPNSQ_ISL_E10value_typeEPSM_NS1_7vsmem_tEENKUlT_SK_SL_SM_E_clISE_PiSF_SF_EESJ_SZ_SK_SL_SM_EUlSZ_E0_NS1_11comp_targetILNS1_3genE9ELNS1_11target_archE1100ELNS1_3gpuE3ELNS1_3repE0EEENS1_38merge_mergepath_config_static_selectorELNS0_4arch9wavefront6targetE0EEEvSL_.has_dyn_sized_stack, 0
	.set _ZN7rocprim17ROCPRIM_400000_NS6detail17trampoline_kernelINS0_14default_configENS1_38merge_sort_block_merge_config_selectorIiNS0_10empty_typeEEEZZNS1_27merge_sort_block_merge_implIS3_N6thrust23THRUST_200600_302600_NS6detail15normal_iteratorINS9_10device_ptrIiEEEEPS5_jNS1_19radix_merge_compareILb1ELb0EiNS0_19identity_decomposerEEEEE10hipError_tT0_T1_T2_jT3_P12ihipStream_tbPNSt15iterator_traitsISK_E10value_typeEPNSQ_ISL_E10value_typeEPSM_NS1_7vsmem_tEENKUlT_SK_SL_SM_E_clISE_PiSF_SF_EESJ_SZ_SK_SL_SM_EUlSZ_E0_NS1_11comp_targetILNS1_3genE9ELNS1_11target_archE1100ELNS1_3gpuE3ELNS1_3repE0EEENS1_38merge_mergepath_config_static_selectorELNS0_4arch9wavefront6targetE0EEEvSL_.has_recursion, 0
	.set _ZN7rocprim17ROCPRIM_400000_NS6detail17trampoline_kernelINS0_14default_configENS1_38merge_sort_block_merge_config_selectorIiNS0_10empty_typeEEEZZNS1_27merge_sort_block_merge_implIS3_N6thrust23THRUST_200600_302600_NS6detail15normal_iteratorINS9_10device_ptrIiEEEEPS5_jNS1_19radix_merge_compareILb1ELb0EiNS0_19identity_decomposerEEEEE10hipError_tT0_T1_T2_jT3_P12ihipStream_tbPNSt15iterator_traitsISK_E10value_typeEPNSQ_ISL_E10value_typeEPSM_NS1_7vsmem_tEENKUlT_SK_SL_SM_E_clISE_PiSF_SF_EESJ_SZ_SK_SL_SM_EUlSZ_E0_NS1_11comp_targetILNS1_3genE9ELNS1_11target_archE1100ELNS1_3gpuE3ELNS1_3repE0EEENS1_38merge_mergepath_config_static_selectorELNS0_4arch9wavefront6targetE0EEEvSL_.has_indirect_call, 0
	.section	.AMDGPU.csdata,"",@progbits
; Kernel info:
; codeLenInByte = 0
; TotalNumSgprs: 0
; NumVgprs: 0
; ScratchSize: 0
; MemoryBound: 0
; FloatMode: 240
; IeeeMode: 1
; LDSByteSize: 0 bytes/workgroup (compile time only)
; SGPRBlocks: 0
; VGPRBlocks: 0
; NumSGPRsForWavesPerEU: 1
; NumVGPRsForWavesPerEU: 1
; Occupancy: 16
; WaveLimiterHint : 0
; COMPUTE_PGM_RSRC2:SCRATCH_EN: 0
; COMPUTE_PGM_RSRC2:USER_SGPR: 6
; COMPUTE_PGM_RSRC2:TRAP_HANDLER: 0
; COMPUTE_PGM_RSRC2:TGID_X_EN: 1
; COMPUTE_PGM_RSRC2:TGID_Y_EN: 0
; COMPUTE_PGM_RSRC2:TGID_Z_EN: 0
; COMPUTE_PGM_RSRC2:TIDIG_COMP_CNT: 0
	.section	.text._ZN7rocprim17ROCPRIM_400000_NS6detail17trampoline_kernelINS0_14default_configENS1_38merge_sort_block_merge_config_selectorIiNS0_10empty_typeEEEZZNS1_27merge_sort_block_merge_implIS3_N6thrust23THRUST_200600_302600_NS6detail15normal_iteratorINS9_10device_ptrIiEEEEPS5_jNS1_19radix_merge_compareILb1ELb0EiNS0_19identity_decomposerEEEEE10hipError_tT0_T1_T2_jT3_P12ihipStream_tbPNSt15iterator_traitsISK_E10value_typeEPNSQ_ISL_E10value_typeEPSM_NS1_7vsmem_tEENKUlT_SK_SL_SM_E_clISE_PiSF_SF_EESJ_SZ_SK_SL_SM_EUlSZ_E0_NS1_11comp_targetILNS1_3genE8ELNS1_11target_archE1030ELNS1_3gpuE2ELNS1_3repE0EEENS1_38merge_mergepath_config_static_selectorELNS0_4arch9wavefront6targetE0EEEvSL_,"axG",@progbits,_ZN7rocprim17ROCPRIM_400000_NS6detail17trampoline_kernelINS0_14default_configENS1_38merge_sort_block_merge_config_selectorIiNS0_10empty_typeEEEZZNS1_27merge_sort_block_merge_implIS3_N6thrust23THRUST_200600_302600_NS6detail15normal_iteratorINS9_10device_ptrIiEEEEPS5_jNS1_19radix_merge_compareILb1ELb0EiNS0_19identity_decomposerEEEEE10hipError_tT0_T1_T2_jT3_P12ihipStream_tbPNSt15iterator_traitsISK_E10value_typeEPNSQ_ISL_E10value_typeEPSM_NS1_7vsmem_tEENKUlT_SK_SL_SM_E_clISE_PiSF_SF_EESJ_SZ_SK_SL_SM_EUlSZ_E0_NS1_11comp_targetILNS1_3genE8ELNS1_11target_archE1030ELNS1_3gpuE2ELNS1_3repE0EEENS1_38merge_mergepath_config_static_selectorELNS0_4arch9wavefront6targetE0EEEvSL_,comdat
	.protected	_ZN7rocprim17ROCPRIM_400000_NS6detail17trampoline_kernelINS0_14default_configENS1_38merge_sort_block_merge_config_selectorIiNS0_10empty_typeEEEZZNS1_27merge_sort_block_merge_implIS3_N6thrust23THRUST_200600_302600_NS6detail15normal_iteratorINS9_10device_ptrIiEEEEPS5_jNS1_19radix_merge_compareILb1ELb0EiNS0_19identity_decomposerEEEEE10hipError_tT0_T1_T2_jT3_P12ihipStream_tbPNSt15iterator_traitsISK_E10value_typeEPNSQ_ISL_E10value_typeEPSM_NS1_7vsmem_tEENKUlT_SK_SL_SM_E_clISE_PiSF_SF_EESJ_SZ_SK_SL_SM_EUlSZ_E0_NS1_11comp_targetILNS1_3genE8ELNS1_11target_archE1030ELNS1_3gpuE2ELNS1_3repE0EEENS1_38merge_mergepath_config_static_selectorELNS0_4arch9wavefront6targetE0EEEvSL_ ; -- Begin function _ZN7rocprim17ROCPRIM_400000_NS6detail17trampoline_kernelINS0_14default_configENS1_38merge_sort_block_merge_config_selectorIiNS0_10empty_typeEEEZZNS1_27merge_sort_block_merge_implIS3_N6thrust23THRUST_200600_302600_NS6detail15normal_iteratorINS9_10device_ptrIiEEEEPS5_jNS1_19radix_merge_compareILb1ELb0EiNS0_19identity_decomposerEEEEE10hipError_tT0_T1_T2_jT3_P12ihipStream_tbPNSt15iterator_traitsISK_E10value_typeEPNSQ_ISL_E10value_typeEPSM_NS1_7vsmem_tEENKUlT_SK_SL_SM_E_clISE_PiSF_SF_EESJ_SZ_SK_SL_SM_EUlSZ_E0_NS1_11comp_targetILNS1_3genE8ELNS1_11target_archE1030ELNS1_3gpuE2ELNS1_3repE0EEENS1_38merge_mergepath_config_static_selectorELNS0_4arch9wavefront6targetE0EEEvSL_
	.globl	_ZN7rocprim17ROCPRIM_400000_NS6detail17trampoline_kernelINS0_14default_configENS1_38merge_sort_block_merge_config_selectorIiNS0_10empty_typeEEEZZNS1_27merge_sort_block_merge_implIS3_N6thrust23THRUST_200600_302600_NS6detail15normal_iteratorINS9_10device_ptrIiEEEEPS5_jNS1_19radix_merge_compareILb1ELb0EiNS0_19identity_decomposerEEEEE10hipError_tT0_T1_T2_jT3_P12ihipStream_tbPNSt15iterator_traitsISK_E10value_typeEPNSQ_ISL_E10value_typeEPSM_NS1_7vsmem_tEENKUlT_SK_SL_SM_E_clISE_PiSF_SF_EESJ_SZ_SK_SL_SM_EUlSZ_E0_NS1_11comp_targetILNS1_3genE8ELNS1_11target_archE1030ELNS1_3gpuE2ELNS1_3repE0EEENS1_38merge_mergepath_config_static_selectorELNS0_4arch9wavefront6targetE0EEEvSL_
	.p2align	8
	.type	_ZN7rocprim17ROCPRIM_400000_NS6detail17trampoline_kernelINS0_14default_configENS1_38merge_sort_block_merge_config_selectorIiNS0_10empty_typeEEEZZNS1_27merge_sort_block_merge_implIS3_N6thrust23THRUST_200600_302600_NS6detail15normal_iteratorINS9_10device_ptrIiEEEEPS5_jNS1_19radix_merge_compareILb1ELb0EiNS0_19identity_decomposerEEEEE10hipError_tT0_T1_T2_jT3_P12ihipStream_tbPNSt15iterator_traitsISK_E10value_typeEPNSQ_ISL_E10value_typeEPSM_NS1_7vsmem_tEENKUlT_SK_SL_SM_E_clISE_PiSF_SF_EESJ_SZ_SK_SL_SM_EUlSZ_E0_NS1_11comp_targetILNS1_3genE8ELNS1_11target_archE1030ELNS1_3gpuE2ELNS1_3repE0EEENS1_38merge_mergepath_config_static_selectorELNS0_4arch9wavefront6targetE0EEEvSL_,@function
_ZN7rocprim17ROCPRIM_400000_NS6detail17trampoline_kernelINS0_14default_configENS1_38merge_sort_block_merge_config_selectorIiNS0_10empty_typeEEEZZNS1_27merge_sort_block_merge_implIS3_N6thrust23THRUST_200600_302600_NS6detail15normal_iteratorINS9_10device_ptrIiEEEEPS5_jNS1_19radix_merge_compareILb1ELb0EiNS0_19identity_decomposerEEEEE10hipError_tT0_T1_T2_jT3_P12ihipStream_tbPNSt15iterator_traitsISK_E10value_typeEPNSQ_ISL_E10value_typeEPSM_NS1_7vsmem_tEENKUlT_SK_SL_SM_E_clISE_PiSF_SF_EESJ_SZ_SK_SL_SM_EUlSZ_E0_NS1_11comp_targetILNS1_3genE8ELNS1_11target_archE1030ELNS1_3gpuE2ELNS1_3repE0EEENS1_38merge_mergepath_config_static_selectorELNS0_4arch9wavefront6targetE0EEEvSL_: ; @_ZN7rocprim17ROCPRIM_400000_NS6detail17trampoline_kernelINS0_14default_configENS1_38merge_sort_block_merge_config_selectorIiNS0_10empty_typeEEEZZNS1_27merge_sort_block_merge_implIS3_N6thrust23THRUST_200600_302600_NS6detail15normal_iteratorINS9_10device_ptrIiEEEEPS5_jNS1_19radix_merge_compareILb1ELb0EiNS0_19identity_decomposerEEEEE10hipError_tT0_T1_T2_jT3_P12ihipStream_tbPNSt15iterator_traitsISK_E10value_typeEPNSQ_ISL_E10value_typeEPSM_NS1_7vsmem_tEENKUlT_SK_SL_SM_E_clISE_PiSF_SF_EESJ_SZ_SK_SL_SM_EUlSZ_E0_NS1_11comp_targetILNS1_3genE8ELNS1_11target_archE1030ELNS1_3gpuE2ELNS1_3repE0EEENS1_38merge_mergepath_config_static_selectorELNS0_4arch9wavefront6targetE0EEEvSL_
; %bb.0:
	s_clause 0x1
	s_load_dwordx2 s[12:13], s[4:5], 0x40
	s_load_dword s1, s[4:5], 0x30
	s_add_u32 s2, s4, 64
	s_addc_u32 s3, s5, 0
	s_waitcnt lgkmcnt(0)
	s_mul_i32 s0, s13, s8
	s_add_i32 s0, s0, s7
	s_mul_i32 s0, s0, s12
	s_add_i32 s0, s0, s6
	s_cmp_ge_u32 s0, s1
	s_cbranch_scc1 .LBB261_27
; %bb.1:
	s_clause 0x2
	s_load_dwordx2 s[8:9], s[4:5], 0x28
	s_load_dwordx2 s[10:11], s[4:5], 0x38
	;; [unrolled: 1-line block ×3, first 2 shown]
	s_mov_b32 s1, 0
	v_mov_b32_e32 v2, 0
	s_mov_b32 s21, s1
                                        ; implicit-def: $vgpr5
	global_load_dword v1, v2, s[2:3] offset:14
	s_waitcnt lgkmcnt(0)
	s_lshr_b32 s22, s8, 10
	s_cmp_lg_u32 s0, s22
	s_cselect_b32 s7, -1, 0
	s_lshl_b64 s[14:15], s[0:1], 2
	s_add_u32 s10, s10, s14
	s_addc_u32 s11, s11, s15
	s_load_dwordx2 s[14:15], s[10:11], 0x0
	s_lshr_b32 s10, s9, 9
	s_and_b32 s10, s10, 0x7ffffe
	s_sub_i32 s11, 0, s10
	s_lshl_b32 s10, s0, 10
	s_and_b32 s13, s0, s11
	s_or_b32 s11, s0, s11
	s_lshl_b32 s16, s13, 11
	s_lshl_b32 s13, s13, 10
	s_add_i32 s16, s16, s9
	s_sub_i32 s17, s10, s13
	s_sub_i32 s13, s16, s13
	s_add_i32 s16, s16, s17
	s_min_u32 s17, s8, s13
	s_add_i32 s13, s13, s9
	s_waitcnt lgkmcnt(0)
	s_sub_i32 s9, s16, s14
	s_sub_i32 s16, s16, s15
	s_min_u32 s20, s8, s9
	s_addk_i32 s16, 0x400
	s_cmp_eq_u32 s11, -1
	s_cselect_b32 s9, s13, s16
	s_cselect_b32 s11, s17, s15
	s_mov_b32 s15, s1
	s_min_u32 s13, s9, s8
	s_lshl_b64 s[16:17], s[14:15], 2
	s_sub_i32 s9, s11, s14
	s_sub_i32 s11, s13, s20
	s_add_u32 s15, s18, s16
	s_addc_u32 s16, s19, s17
	s_lshl_b64 s[20:21], s[20:21], 2
	s_add_u32 s13, s18, s20
	s_addc_u32 s14, s19, s21
	s_cmp_lt_u32 s6, s12
	s_cselect_b32 s6, 12, 18
	s_add_u32 s2, s2, s6
	s_addc_u32 s3, s3, 0
	s_cmp_eq_u32 s0, s22
	global_load_ushort v3, v2, s[2:3]
	s_mov_b32 s0, -1
	s_waitcnt vmcnt(1)
	v_lshrrev_b32_e32 v4, 16, v1
	v_and_b32_e32 v1, 0xffff, v1
	v_mul_lo_u32 v1, v1, v4
                                        ; implicit-def: $vgpr4
	s_waitcnt vmcnt(0)
	v_mul_lo_u32 v7, v1, v3
	v_lshlrev_b32_e32 v3, 2, v0
                                        ; implicit-def: $vgpr1
	v_add_nc_u32_e32 v6, v7, v0
	s_cbranch_scc0 .LBB261_17
; %bb.2:
	s_andn2_b32 vcc_lo, exec_lo, s0
	s_cbranch_vccz .LBB261_18
.LBB261_3:
	v_mov_b32_e32 v2, 0
	s_and_saveexec_b32 s2, s1
	s_cbranch_execz .LBB261_5
.LBB261_4:
	v_mov_b32_e32 v7, 0
	v_mov_b32_e32 v2, v7
	v_lshlrev_b64 v[8:9], 2, v[1:2]
	v_add_co_u32 v8, vcc_lo, s15, v8
	v_add_co_ci_u32_e64 v9, null, s16, v9, vcc_lo
	v_sub_co_u32 v6, vcc_lo, v1, s9
	v_lshlrev_b64 v[1:2], 2, v[6:7]
	v_add_co_u32 v1, s0, s13, v1
	v_add_co_ci_u32_e64 v2, null, s14, v2, s0
	v_cndmask_b32_e32 v1, v1, v8, vcc_lo
	v_cndmask_b32_e32 v2, v2, v9, vcc_lo
	global_load_dword v2, v[1:2], off
.LBB261_5:
	s_or_b32 exec_lo, exec_lo, s2
	s_load_dwordx2 s[4:5], s[4:5], 0x10
	v_lshlrev_b32_e32 v1, 1, v0
	s_mov_b32 s0, exec_lo
	s_waitcnt vmcnt(0)
	ds_write2st64_b32 v3, v4, v2 offset1:8
	s_waitcnt lgkmcnt(0)
	s_barrier
	v_min_u32_e32 v7, v5, v1
	buffer_gl0_inv
	v_sub_nc_u32_e64 v6, v7, s11 clamp
	v_min_u32_e32 v8, s9, v7
	v_cmpx_lt_u32_e64 v6, v8
	s_cbranch_execz .LBB261_9
; %bb.6:
	v_lshlrev_b32_e32 v9, 2, v7
	s_mov_b32 s1, 0
	v_lshl_add_u32 v9, s9, 2, v9
	.p2align	6
.LBB261_7:                              ; =>This Inner Loop Header: Depth=1
	v_add_nc_u32_e32 v10, v8, v6
	v_lshrrev_b32_e32 v10, 1, v10
	v_not_b32_e32 v11, v10
	v_lshlrev_b32_e32 v12, 2, v10
	v_add_nc_u32_e32 v13, 1, v10
	v_lshl_add_u32 v11, v11, 2, v9
	ds_read_b32 v12, v12
	ds_read_b32 v11, v11
	s_waitcnt lgkmcnt(0)
	v_cmp_gt_i32_e32 vcc_lo, v11, v12
	v_cndmask_b32_e32 v8, v8, v10, vcc_lo
	v_cndmask_b32_e32 v6, v13, v6, vcc_lo
	v_cmp_ge_u32_e32 vcc_lo, v6, v8
	s_or_b32 s1, vcc_lo, s1
	s_andn2_b32 exec_lo, exec_lo, s1
	s_cbranch_execnz .LBB261_7
; %bb.8:
	s_or_b32 exec_lo, exec_lo, s1
.LBB261_9:
	s_or_b32 exec_lo, exec_lo, s0
	v_sub_nc_u32_e32 v7, v7, v6
	v_cmp_ge_u32_e32 vcc_lo, s9, v6
	v_add_nc_u32_e32 v7, s9, v7
	v_cmp_le_u32_e64 s0, v7, v5
	s_or_b32 s0, vcc_lo, s0
	s_and_saveexec_b32 s3, s0
	s_cbranch_execz .LBB261_15
; %bb.10:
	v_cmp_gt_u32_e32 vcc_lo, s9, v6
                                        ; implicit-def: $vgpr2
	s_and_saveexec_b32 s0, vcc_lo
; %bb.11:
	v_lshlrev_b32_e32 v2, 2, v6
	ds_read_b32 v2, v2
; %bb.12:
	s_or_b32 exec_lo, exec_lo, s0
	v_cmp_ge_u32_e64 s0, v7, v5
	s_mov_b32 s2, exec_lo
                                        ; implicit-def: $vgpr4
	v_cmpx_lt_u32_e64 v7, v5
; %bb.13:
	v_lshlrev_b32_e32 v4, 2, v7
	ds_read_b32 v4, v4
; %bb.14:
	s_or_b32 exec_lo, exec_lo, s2
	s_waitcnt lgkmcnt(0)
	v_cmp_le_i32_e64 s1, v4, v2
	s_and_b32 s1, vcc_lo, s1
	s_or_b32 vcc_lo, s0, s1
	v_cndmask_b32_e32 v8, v7, v6, vcc_lo
	v_cndmask_b32_e64 v9, v5, s9, vcc_lo
	v_add_nc_u32_e32 v8, 1, v8
	v_add_nc_u32_e32 v9, -1, v9
	v_cndmask_b32_e32 v6, v6, v8, vcc_lo
	v_min_u32_e32 v9, v8, v9
	v_cndmask_b32_e32 v7, v8, v7, vcc_lo
	v_cmp_gt_u32_e64 s0, s9, v6
	v_lshlrev_b32_e32 v9, 2, v9
	v_cmp_ge_u32_e64 s2, v7, v5
	ds_read_b32 v9, v9
	s_waitcnt lgkmcnt(0)
	v_cndmask_b32_e32 v10, v9, v4, vcc_lo
	v_cndmask_b32_e32 v9, v2, v9, vcc_lo
	;; [unrolled: 1-line block ×3, first 2 shown]
	v_cmp_le_i32_e64 s1, v10, v9
	s_and_b32 s0, s0, s1
	s_or_b32 vcc_lo, s2, s0
	v_cndmask_b32_e32 v2, v10, v9, vcc_lo
.LBB261_15:
	s_or_b32 exec_lo, exec_lo, s3
	v_lshrrev_b32_e32 v6, 2, v0
	v_or_b32_e32 v5, 0x200, v0
	v_lshrrev_b32_e32 v7, 3, v0
	s_mov_b32 s11, 0
	v_and_b32_e32 v6, 0x7c, v6
	v_lshrrev_b32_e32 v8, 3, v5
	s_lshl_b64 s[0:1], s[10:11], 2
	s_barrier
	s_add_u32 s0, s4, s0
	v_lshl_add_u32 v1, v1, 2, v6
	v_and_b32_e32 v6, 60, v7
	v_and_b32_e32 v7, 0x7c, v8
	buffer_gl0_inv
	s_barrier
	buffer_gl0_inv
	s_addc_u32 s1, s5, s1
	ds_write2_b32 v1, v4, v2 offset1:1
	v_add_co_u32 v1, s0, s0, v3
	v_add_nc_u32_e32 v4, v6, v3
	v_add_nc_u32_e32 v6, v7, v3
	v_add_co_ci_u32_e64 v2, null, s1, 0, s0
	s_and_b32 vcc_lo, exec_lo, s7
	s_waitcnt lgkmcnt(0)
	s_cbranch_vccz .LBB261_21
; %bb.16:
	s_barrier
	buffer_gl0_inv
	ds_read_b32 v7, v4
	ds_read_b32 v3, v6 offset:2048
	s_mov_b32 s11, -1
	s_waitcnt lgkmcnt(1)
	global_store_dword v[1:2], v7, off
	s_cbranch_execz .LBB261_22
	s_branch .LBB261_25
.LBB261_17:
	v_sub_co_u32 v1, vcc_lo, v0, s9
	v_add_co_u32 v4, s0, s15, v3
	v_add_co_ci_u32_e64 v5, null, s16, 0, s0
	v_lshlrev_b64 v[1:2], 2, v[1:2]
	s_mov_b32 s1, -1
	v_add_co_u32 v1, s0, s13, v1
	v_add_co_ci_u32_e64 v2, null, s14, v2, s0
	s_add_i32 s0, s11, s9
	v_cndmask_b32_e32 v1, v1, v4, vcc_lo
	v_cndmask_b32_e32 v2, v2, v5, vcc_lo
	v_mov_b32_e32 v5, s0
	global_load_dword v4, v[1:2], off
	v_add_nc_u32_e32 v1, v7, v0
	s_cbranch_execnz .LBB261_3
.LBB261_18:
	s_waitcnt vmcnt(0)
	v_mov_b32_e32 v4, 0
	s_add_i32 s2, s11, s9
	s_mov_b32 s1, exec_lo
	v_cmpx_gt_u32_e64 s2, v0
	s_cbranch_execz .LBB261_20
; %bb.19:
	v_sub_co_u32 v1, vcc_lo, v0, s9
	v_mov_b32_e32 v2, 0
	v_add_co_u32 v4, s0, s15, v3
	v_add_co_ci_u32_e64 v5, null, s16, 0, s0
	v_lshlrev_b64 v[1:2], 2, v[1:2]
	v_add_co_u32 v1, s0, s13, v1
	v_add_co_ci_u32_e64 v2, null, s14, v2, s0
	v_cndmask_b32_e32 v1, v1, v4, vcc_lo
	v_cndmask_b32_e32 v2, v2, v5, vcc_lo
	global_load_dword v4, v[1:2], off
.LBB261_20:
	s_or_b32 exec_lo, exec_lo, s1
	v_cmp_gt_u32_e64 s1, s2, v6
	v_mov_b32_e32 v5, s2
	v_mov_b32_e32 v1, v6
	;; [unrolled: 1-line block ×3, first 2 shown]
	s_and_saveexec_b32 s2, s1
	s_cbranch_execnz .LBB261_4
	s_branch .LBB261_5
.LBB261_21:
                                        ; implicit-def: $vgpr3
.LBB261_22:
	s_barrier
	s_waitcnt lgkmcnt(0)
	s_waitcnt_vscnt null, 0x0
	buffer_gl0_inv
	ds_read_b32 v3, v6 offset:2048
	s_sub_i32 s0, s8, s10
	s_mov_b32 s1, exec_lo
	v_cmpx_gt_u32_e64 s0, v0
	s_cbranch_execz .LBB261_24
; %bb.23:
	ds_read_b32 v0, v4
	s_waitcnt lgkmcnt(0)
	global_store_dword v[1:2], v0, off
.LBB261_24:
	s_or_b32 exec_lo, exec_lo, s1
	v_cmp_gt_u32_e64 s11, s0, v5
.LBB261_25:
	s_and_saveexec_b32 s0, s11
	s_cbranch_execz .LBB261_27
; %bb.26:
	v_add_co_u32 v0, vcc_lo, 0x800, v1
	v_add_co_ci_u32_e64 v1, null, 0, v2, vcc_lo
	s_waitcnt lgkmcnt(0)
	global_store_dword v[0:1], v3, off
.LBB261_27:
	s_endpgm
	.section	.rodata,"a",@progbits
	.p2align	6, 0x0
	.amdhsa_kernel _ZN7rocprim17ROCPRIM_400000_NS6detail17trampoline_kernelINS0_14default_configENS1_38merge_sort_block_merge_config_selectorIiNS0_10empty_typeEEEZZNS1_27merge_sort_block_merge_implIS3_N6thrust23THRUST_200600_302600_NS6detail15normal_iteratorINS9_10device_ptrIiEEEEPS5_jNS1_19radix_merge_compareILb1ELb0EiNS0_19identity_decomposerEEEEE10hipError_tT0_T1_T2_jT3_P12ihipStream_tbPNSt15iterator_traitsISK_E10value_typeEPNSQ_ISL_E10value_typeEPSM_NS1_7vsmem_tEENKUlT_SK_SL_SM_E_clISE_PiSF_SF_EESJ_SZ_SK_SL_SM_EUlSZ_E0_NS1_11comp_targetILNS1_3genE8ELNS1_11target_archE1030ELNS1_3gpuE2ELNS1_3repE0EEENS1_38merge_mergepath_config_static_selectorELNS0_4arch9wavefront6targetE0EEEvSL_
		.amdhsa_group_segment_fixed_size 4224
		.amdhsa_private_segment_fixed_size 0
		.amdhsa_kernarg_size 320
		.amdhsa_user_sgpr_count 6
		.amdhsa_user_sgpr_private_segment_buffer 1
		.amdhsa_user_sgpr_dispatch_ptr 0
		.amdhsa_user_sgpr_queue_ptr 0
		.amdhsa_user_sgpr_kernarg_segment_ptr 1
		.amdhsa_user_sgpr_dispatch_id 0
		.amdhsa_user_sgpr_flat_scratch_init 0
		.amdhsa_user_sgpr_private_segment_size 0
		.amdhsa_wavefront_size32 1
		.amdhsa_uses_dynamic_stack 0
		.amdhsa_system_sgpr_private_segment_wavefront_offset 0
		.amdhsa_system_sgpr_workgroup_id_x 1
		.amdhsa_system_sgpr_workgroup_id_y 1
		.amdhsa_system_sgpr_workgroup_id_z 1
		.amdhsa_system_sgpr_workgroup_info 0
		.amdhsa_system_vgpr_workitem_id 0
		.amdhsa_next_free_vgpr 14
		.amdhsa_next_free_sgpr 23
		.amdhsa_reserve_vcc 1
		.amdhsa_reserve_flat_scratch 0
		.amdhsa_float_round_mode_32 0
		.amdhsa_float_round_mode_16_64 0
		.amdhsa_float_denorm_mode_32 3
		.amdhsa_float_denorm_mode_16_64 3
		.amdhsa_dx10_clamp 1
		.amdhsa_ieee_mode 1
		.amdhsa_fp16_overflow 0
		.amdhsa_workgroup_processor_mode 1
		.amdhsa_memory_ordered 1
		.amdhsa_forward_progress 1
		.amdhsa_shared_vgpr_count 0
		.amdhsa_exception_fp_ieee_invalid_op 0
		.amdhsa_exception_fp_denorm_src 0
		.amdhsa_exception_fp_ieee_div_zero 0
		.amdhsa_exception_fp_ieee_overflow 0
		.amdhsa_exception_fp_ieee_underflow 0
		.amdhsa_exception_fp_ieee_inexact 0
		.amdhsa_exception_int_div_zero 0
	.end_amdhsa_kernel
	.section	.text._ZN7rocprim17ROCPRIM_400000_NS6detail17trampoline_kernelINS0_14default_configENS1_38merge_sort_block_merge_config_selectorIiNS0_10empty_typeEEEZZNS1_27merge_sort_block_merge_implIS3_N6thrust23THRUST_200600_302600_NS6detail15normal_iteratorINS9_10device_ptrIiEEEEPS5_jNS1_19radix_merge_compareILb1ELb0EiNS0_19identity_decomposerEEEEE10hipError_tT0_T1_T2_jT3_P12ihipStream_tbPNSt15iterator_traitsISK_E10value_typeEPNSQ_ISL_E10value_typeEPSM_NS1_7vsmem_tEENKUlT_SK_SL_SM_E_clISE_PiSF_SF_EESJ_SZ_SK_SL_SM_EUlSZ_E0_NS1_11comp_targetILNS1_3genE8ELNS1_11target_archE1030ELNS1_3gpuE2ELNS1_3repE0EEENS1_38merge_mergepath_config_static_selectorELNS0_4arch9wavefront6targetE0EEEvSL_,"axG",@progbits,_ZN7rocprim17ROCPRIM_400000_NS6detail17trampoline_kernelINS0_14default_configENS1_38merge_sort_block_merge_config_selectorIiNS0_10empty_typeEEEZZNS1_27merge_sort_block_merge_implIS3_N6thrust23THRUST_200600_302600_NS6detail15normal_iteratorINS9_10device_ptrIiEEEEPS5_jNS1_19radix_merge_compareILb1ELb0EiNS0_19identity_decomposerEEEEE10hipError_tT0_T1_T2_jT3_P12ihipStream_tbPNSt15iterator_traitsISK_E10value_typeEPNSQ_ISL_E10value_typeEPSM_NS1_7vsmem_tEENKUlT_SK_SL_SM_E_clISE_PiSF_SF_EESJ_SZ_SK_SL_SM_EUlSZ_E0_NS1_11comp_targetILNS1_3genE8ELNS1_11target_archE1030ELNS1_3gpuE2ELNS1_3repE0EEENS1_38merge_mergepath_config_static_selectorELNS0_4arch9wavefront6targetE0EEEvSL_,comdat
.Lfunc_end261:
	.size	_ZN7rocprim17ROCPRIM_400000_NS6detail17trampoline_kernelINS0_14default_configENS1_38merge_sort_block_merge_config_selectorIiNS0_10empty_typeEEEZZNS1_27merge_sort_block_merge_implIS3_N6thrust23THRUST_200600_302600_NS6detail15normal_iteratorINS9_10device_ptrIiEEEEPS5_jNS1_19radix_merge_compareILb1ELb0EiNS0_19identity_decomposerEEEEE10hipError_tT0_T1_T2_jT3_P12ihipStream_tbPNSt15iterator_traitsISK_E10value_typeEPNSQ_ISL_E10value_typeEPSM_NS1_7vsmem_tEENKUlT_SK_SL_SM_E_clISE_PiSF_SF_EESJ_SZ_SK_SL_SM_EUlSZ_E0_NS1_11comp_targetILNS1_3genE8ELNS1_11target_archE1030ELNS1_3gpuE2ELNS1_3repE0EEENS1_38merge_mergepath_config_static_selectorELNS0_4arch9wavefront6targetE0EEEvSL_, .Lfunc_end261-_ZN7rocprim17ROCPRIM_400000_NS6detail17trampoline_kernelINS0_14default_configENS1_38merge_sort_block_merge_config_selectorIiNS0_10empty_typeEEEZZNS1_27merge_sort_block_merge_implIS3_N6thrust23THRUST_200600_302600_NS6detail15normal_iteratorINS9_10device_ptrIiEEEEPS5_jNS1_19radix_merge_compareILb1ELb0EiNS0_19identity_decomposerEEEEE10hipError_tT0_T1_T2_jT3_P12ihipStream_tbPNSt15iterator_traitsISK_E10value_typeEPNSQ_ISL_E10value_typeEPSM_NS1_7vsmem_tEENKUlT_SK_SL_SM_E_clISE_PiSF_SF_EESJ_SZ_SK_SL_SM_EUlSZ_E0_NS1_11comp_targetILNS1_3genE8ELNS1_11target_archE1030ELNS1_3gpuE2ELNS1_3repE0EEENS1_38merge_mergepath_config_static_selectorELNS0_4arch9wavefront6targetE0EEEvSL_
                                        ; -- End function
	.set _ZN7rocprim17ROCPRIM_400000_NS6detail17trampoline_kernelINS0_14default_configENS1_38merge_sort_block_merge_config_selectorIiNS0_10empty_typeEEEZZNS1_27merge_sort_block_merge_implIS3_N6thrust23THRUST_200600_302600_NS6detail15normal_iteratorINS9_10device_ptrIiEEEEPS5_jNS1_19radix_merge_compareILb1ELb0EiNS0_19identity_decomposerEEEEE10hipError_tT0_T1_T2_jT3_P12ihipStream_tbPNSt15iterator_traitsISK_E10value_typeEPNSQ_ISL_E10value_typeEPSM_NS1_7vsmem_tEENKUlT_SK_SL_SM_E_clISE_PiSF_SF_EESJ_SZ_SK_SL_SM_EUlSZ_E0_NS1_11comp_targetILNS1_3genE8ELNS1_11target_archE1030ELNS1_3gpuE2ELNS1_3repE0EEENS1_38merge_mergepath_config_static_selectorELNS0_4arch9wavefront6targetE0EEEvSL_.num_vgpr, 14
	.set _ZN7rocprim17ROCPRIM_400000_NS6detail17trampoline_kernelINS0_14default_configENS1_38merge_sort_block_merge_config_selectorIiNS0_10empty_typeEEEZZNS1_27merge_sort_block_merge_implIS3_N6thrust23THRUST_200600_302600_NS6detail15normal_iteratorINS9_10device_ptrIiEEEEPS5_jNS1_19radix_merge_compareILb1ELb0EiNS0_19identity_decomposerEEEEE10hipError_tT0_T1_T2_jT3_P12ihipStream_tbPNSt15iterator_traitsISK_E10value_typeEPNSQ_ISL_E10value_typeEPSM_NS1_7vsmem_tEENKUlT_SK_SL_SM_E_clISE_PiSF_SF_EESJ_SZ_SK_SL_SM_EUlSZ_E0_NS1_11comp_targetILNS1_3genE8ELNS1_11target_archE1030ELNS1_3gpuE2ELNS1_3repE0EEENS1_38merge_mergepath_config_static_selectorELNS0_4arch9wavefront6targetE0EEEvSL_.num_agpr, 0
	.set _ZN7rocprim17ROCPRIM_400000_NS6detail17trampoline_kernelINS0_14default_configENS1_38merge_sort_block_merge_config_selectorIiNS0_10empty_typeEEEZZNS1_27merge_sort_block_merge_implIS3_N6thrust23THRUST_200600_302600_NS6detail15normal_iteratorINS9_10device_ptrIiEEEEPS5_jNS1_19radix_merge_compareILb1ELb0EiNS0_19identity_decomposerEEEEE10hipError_tT0_T1_T2_jT3_P12ihipStream_tbPNSt15iterator_traitsISK_E10value_typeEPNSQ_ISL_E10value_typeEPSM_NS1_7vsmem_tEENKUlT_SK_SL_SM_E_clISE_PiSF_SF_EESJ_SZ_SK_SL_SM_EUlSZ_E0_NS1_11comp_targetILNS1_3genE8ELNS1_11target_archE1030ELNS1_3gpuE2ELNS1_3repE0EEENS1_38merge_mergepath_config_static_selectorELNS0_4arch9wavefront6targetE0EEEvSL_.numbered_sgpr, 23
	.set _ZN7rocprim17ROCPRIM_400000_NS6detail17trampoline_kernelINS0_14default_configENS1_38merge_sort_block_merge_config_selectorIiNS0_10empty_typeEEEZZNS1_27merge_sort_block_merge_implIS3_N6thrust23THRUST_200600_302600_NS6detail15normal_iteratorINS9_10device_ptrIiEEEEPS5_jNS1_19radix_merge_compareILb1ELb0EiNS0_19identity_decomposerEEEEE10hipError_tT0_T1_T2_jT3_P12ihipStream_tbPNSt15iterator_traitsISK_E10value_typeEPNSQ_ISL_E10value_typeEPSM_NS1_7vsmem_tEENKUlT_SK_SL_SM_E_clISE_PiSF_SF_EESJ_SZ_SK_SL_SM_EUlSZ_E0_NS1_11comp_targetILNS1_3genE8ELNS1_11target_archE1030ELNS1_3gpuE2ELNS1_3repE0EEENS1_38merge_mergepath_config_static_selectorELNS0_4arch9wavefront6targetE0EEEvSL_.num_named_barrier, 0
	.set _ZN7rocprim17ROCPRIM_400000_NS6detail17trampoline_kernelINS0_14default_configENS1_38merge_sort_block_merge_config_selectorIiNS0_10empty_typeEEEZZNS1_27merge_sort_block_merge_implIS3_N6thrust23THRUST_200600_302600_NS6detail15normal_iteratorINS9_10device_ptrIiEEEEPS5_jNS1_19radix_merge_compareILb1ELb0EiNS0_19identity_decomposerEEEEE10hipError_tT0_T1_T2_jT3_P12ihipStream_tbPNSt15iterator_traitsISK_E10value_typeEPNSQ_ISL_E10value_typeEPSM_NS1_7vsmem_tEENKUlT_SK_SL_SM_E_clISE_PiSF_SF_EESJ_SZ_SK_SL_SM_EUlSZ_E0_NS1_11comp_targetILNS1_3genE8ELNS1_11target_archE1030ELNS1_3gpuE2ELNS1_3repE0EEENS1_38merge_mergepath_config_static_selectorELNS0_4arch9wavefront6targetE0EEEvSL_.private_seg_size, 0
	.set _ZN7rocprim17ROCPRIM_400000_NS6detail17trampoline_kernelINS0_14default_configENS1_38merge_sort_block_merge_config_selectorIiNS0_10empty_typeEEEZZNS1_27merge_sort_block_merge_implIS3_N6thrust23THRUST_200600_302600_NS6detail15normal_iteratorINS9_10device_ptrIiEEEEPS5_jNS1_19radix_merge_compareILb1ELb0EiNS0_19identity_decomposerEEEEE10hipError_tT0_T1_T2_jT3_P12ihipStream_tbPNSt15iterator_traitsISK_E10value_typeEPNSQ_ISL_E10value_typeEPSM_NS1_7vsmem_tEENKUlT_SK_SL_SM_E_clISE_PiSF_SF_EESJ_SZ_SK_SL_SM_EUlSZ_E0_NS1_11comp_targetILNS1_3genE8ELNS1_11target_archE1030ELNS1_3gpuE2ELNS1_3repE0EEENS1_38merge_mergepath_config_static_selectorELNS0_4arch9wavefront6targetE0EEEvSL_.uses_vcc, 1
	.set _ZN7rocprim17ROCPRIM_400000_NS6detail17trampoline_kernelINS0_14default_configENS1_38merge_sort_block_merge_config_selectorIiNS0_10empty_typeEEEZZNS1_27merge_sort_block_merge_implIS3_N6thrust23THRUST_200600_302600_NS6detail15normal_iteratorINS9_10device_ptrIiEEEEPS5_jNS1_19radix_merge_compareILb1ELb0EiNS0_19identity_decomposerEEEEE10hipError_tT0_T1_T2_jT3_P12ihipStream_tbPNSt15iterator_traitsISK_E10value_typeEPNSQ_ISL_E10value_typeEPSM_NS1_7vsmem_tEENKUlT_SK_SL_SM_E_clISE_PiSF_SF_EESJ_SZ_SK_SL_SM_EUlSZ_E0_NS1_11comp_targetILNS1_3genE8ELNS1_11target_archE1030ELNS1_3gpuE2ELNS1_3repE0EEENS1_38merge_mergepath_config_static_selectorELNS0_4arch9wavefront6targetE0EEEvSL_.uses_flat_scratch, 0
	.set _ZN7rocprim17ROCPRIM_400000_NS6detail17trampoline_kernelINS0_14default_configENS1_38merge_sort_block_merge_config_selectorIiNS0_10empty_typeEEEZZNS1_27merge_sort_block_merge_implIS3_N6thrust23THRUST_200600_302600_NS6detail15normal_iteratorINS9_10device_ptrIiEEEEPS5_jNS1_19radix_merge_compareILb1ELb0EiNS0_19identity_decomposerEEEEE10hipError_tT0_T1_T2_jT3_P12ihipStream_tbPNSt15iterator_traitsISK_E10value_typeEPNSQ_ISL_E10value_typeEPSM_NS1_7vsmem_tEENKUlT_SK_SL_SM_E_clISE_PiSF_SF_EESJ_SZ_SK_SL_SM_EUlSZ_E0_NS1_11comp_targetILNS1_3genE8ELNS1_11target_archE1030ELNS1_3gpuE2ELNS1_3repE0EEENS1_38merge_mergepath_config_static_selectorELNS0_4arch9wavefront6targetE0EEEvSL_.has_dyn_sized_stack, 0
	.set _ZN7rocprim17ROCPRIM_400000_NS6detail17trampoline_kernelINS0_14default_configENS1_38merge_sort_block_merge_config_selectorIiNS0_10empty_typeEEEZZNS1_27merge_sort_block_merge_implIS3_N6thrust23THRUST_200600_302600_NS6detail15normal_iteratorINS9_10device_ptrIiEEEEPS5_jNS1_19radix_merge_compareILb1ELb0EiNS0_19identity_decomposerEEEEE10hipError_tT0_T1_T2_jT3_P12ihipStream_tbPNSt15iterator_traitsISK_E10value_typeEPNSQ_ISL_E10value_typeEPSM_NS1_7vsmem_tEENKUlT_SK_SL_SM_E_clISE_PiSF_SF_EESJ_SZ_SK_SL_SM_EUlSZ_E0_NS1_11comp_targetILNS1_3genE8ELNS1_11target_archE1030ELNS1_3gpuE2ELNS1_3repE0EEENS1_38merge_mergepath_config_static_selectorELNS0_4arch9wavefront6targetE0EEEvSL_.has_recursion, 0
	.set _ZN7rocprim17ROCPRIM_400000_NS6detail17trampoline_kernelINS0_14default_configENS1_38merge_sort_block_merge_config_selectorIiNS0_10empty_typeEEEZZNS1_27merge_sort_block_merge_implIS3_N6thrust23THRUST_200600_302600_NS6detail15normal_iteratorINS9_10device_ptrIiEEEEPS5_jNS1_19radix_merge_compareILb1ELb0EiNS0_19identity_decomposerEEEEE10hipError_tT0_T1_T2_jT3_P12ihipStream_tbPNSt15iterator_traitsISK_E10value_typeEPNSQ_ISL_E10value_typeEPSM_NS1_7vsmem_tEENKUlT_SK_SL_SM_E_clISE_PiSF_SF_EESJ_SZ_SK_SL_SM_EUlSZ_E0_NS1_11comp_targetILNS1_3genE8ELNS1_11target_archE1030ELNS1_3gpuE2ELNS1_3repE0EEENS1_38merge_mergepath_config_static_selectorELNS0_4arch9wavefront6targetE0EEEvSL_.has_indirect_call, 0
	.section	.AMDGPU.csdata,"",@progbits
; Kernel info:
; codeLenInByte = 1396
; TotalNumSgprs: 25
; NumVgprs: 14
; ScratchSize: 0
; MemoryBound: 0
; FloatMode: 240
; IeeeMode: 1
; LDSByteSize: 4224 bytes/workgroup (compile time only)
; SGPRBlocks: 0
; VGPRBlocks: 1
; NumSGPRsForWavesPerEU: 25
; NumVGPRsForWavesPerEU: 14
; Occupancy: 16
; WaveLimiterHint : 1
; COMPUTE_PGM_RSRC2:SCRATCH_EN: 0
; COMPUTE_PGM_RSRC2:USER_SGPR: 6
; COMPUTE_PGM_RSRC2:TRAP_HANDLER: 0
; COMPUTE_PGM_RSRC2:TGID_X_EN: 1
; COMPUTE_PGM_RSRC2:TGID_Y_EN: 1
; COMPUTE_PGM_RSRC2:TGID_Z_EN: 1
; COMPUTE_PGM_RSRC2:TIDIG_COMP_CNT: 0
	.section	.text._ZN7rocprim17ROCPRIM_400000_NS6detail17trampoline_kernelINS0_14default_configENS1_38merge_sort_block_merge_config_selectorIiNS0_10empty_typeEEEZZNS1_27merge_sort_block_merge_implIS3_N6thrust23THRUST_200600_302600_NS6detail15normal_iteratorINS9_10device_ptrIiEEEEPS5_jNS1_19radix_merge_compareILb1ELb0EiNS0_19identity_decomposerEEEEE10hipError_tT0_T1_T2_jT3_P12ihipStream_tbPNSt15iterator_traitsISK_E10value_typeEPNSQ_ISL_E10value_typeEPSM_NS1_7vsmem_tEENKUlT_SK_SL_SM_E_clISE_PiSF_SF_EESJ_SZ_SK_SL_SM_EUlSZ_E1_NS1_11comp_targetILNS1_3genE0ELNS1_11target_archE4294967295ELNS1_3gpuE0ELNS1_3repE0EEENS1_36merge_oddeven_config_static_selectorELNS0_4arch9wavefront6targetE0EEEvSL_,"axG",@progbits,_ZN7rocprim17ROCPRIM_400000_NS6detail17trampoline_kernelINS0_14default_configENS1_38merge_sort_block_merge_config_selectorIiNS0_10empty_typeEEEZZNS1_27merge_sort_block_merge_implIS3_N6thrust23THRUST_200600_302600_NS6detail15normal_iteratorINS9_10device_ptrIiEEEEPS5_jNS1_19radix_merge_compareILb1ELb0EiNS0_19identity_decomposerEEEEE10hipError_tT0_T1_T2_jT3_P12ihipStream_tbPNSt15iterator_traitsISK_E10value_typeEPNSQ_ISL_E10value_typeEPSM_NS1_7vsmem_tEENKUlT_SK_SL_SM_E_clISE_PiSF_SF_EESJ_SZ_SK_SL_SM_EUlSZ_E1_NS1_11comp_targetILNS1_3genE0ELNS1_11target_archE4294967295ELNS1_3gpuE0ELNS1_3repE0EEENS1_36merge_oddeven_config_static_selectorELNS0_4arch9wavefront6targetE0EEEvSL_,comdat
	.protected	_ZN7rocprim17ROCPRIM_400000_NS6detail17trampoline_kernelINS0_14default_configENS1_38merge_sort_block_merge_config_selectorIiNS0_10empty_typeEEEZZNS1_27merge_sort_block_merge_implIS3_N6thrust23THRUST_200600_302600_NS6detail15normal_iteratorINS9_10device_ptrIiEEEEPS5_jNS1_19radix_merge_compareILb1ELb0EiNS0_19identity_decomposerEEEEE10hipError_tT0_T1_T2_jT3_P12ihipStream_tbPNSt15iterator_traitsISK_E10value_typeEPNSQ_ISL_E10value_typeEPSM_NS1_7vsmem_tEENKUlT_SK_SL_SM_E_clISE_PiSF_SF_EESJ_SZ_SK_SL_SM_EUlSZ_E1_NS1_11comp_targetILNS1_3genE0ELNS1_11target_archE4294967295ELNS1_3gpuE0ELNS1_3repE0EEENS1_36merge_oddeven_config_static_selectorELNS0_4arch9wavefront6targetE0EEEvSL_ ; -- Begin function _ZN7rocprim17ROCPRIM_400000_NS6detail17trampoline_kernelINS0_14default_configENS1_38merge_sort_block_merge_config_selectorIiNS0_10empty_typeEEEZZNS1_27merge_sort_block_merge_implIS3_N6thrust23THRUST_200600_302600_NS6detail15normal_iteratorINS9_10device_ptrIiEEEEPS5_jNS1_19radix_merge_compareILb1ELb0EiNS0_19identity_decomposerEEEEE10hipError_tT0_T1_T2_jT3_P12ihipStream_tbPNSt15iterator_traitsISK_E10value_typeEPNSQ_ISL_E10value_typeEPSM_NS1_7vsmem_tEENKUlT_SK_SL_SM_E_clISE_PiSF_SF_EESJ_SZ_SK_SL_SM_EUlSZ_E1_NS1_11comp_targetILNS1_3genE0ELNS1_11target_archE4294967295ELNS1_3gpuE0ELNS1_3repE0EEENS1_36merge_oddeven_config_static_selectorELNS0_4arch9wavefront6targetE0EEEvSL_
	.globl	_ZN7rocprim17ROCPRIM_400000_NS6detail17trampoline_kernelINS0_14default_configENS1_38merge_sort_block_merge_config_selectorIiNS0_10empty_typeEEEZZNS1_27merge_sort_block_merge_implIS3_N6thrust23THRUST_200600_302600_NS6detail15normal_iteratorINS9_10device_ptrIiEEEEPS5_jNS1_19radix_merge_compareILb1ELb0EiNS0_19identity_decomposerEEEEE10hipError_tT0_T1_T2_jT3_P12ihipStream_tbPNSt15iterator_traitsISK_E10value_typeEPNSQ_ISL_E10value_typeEPSM_NS1_7vsmem_tEENKUlT_SK_SL_SM_E_clISE_PiSF_SF_EESJ_SZ_SK_SL_SM_EUlSZ_E1_NS1_11comp_targetILNS1_3genE0ELNS1_11target_archE4294967295ELNS1_3gpuE0ELNS1_3repE0EEENS1_36merge_oddeven_config_static_selectorELNS0_4arch9wavefront6targetE0EEEvSL_
	.p2align	8
	.type	_ZN7rocprim17ROCPRIM_400000_NS6detail17trampoline_kernelINS0_14default_configENS1_38merge_sort_block_merge_config_selectorIiNS0_10empty_typeEEEZZNS1_27merge_sort_block_merge_implIS3_N6thrust23THRUST_200600_302600_NS6detail15normal_iteratorINS9_10device_ptrIiEEEEPS5_jNS1_19radix_merge_compareILb1ELb0EiNS0_19identity_decomposerEEEEE10hipError_tT0_T1_T2_jT3_P12ihipStream_tbPNSt15iterator_traitsISK_E10value_typeEPNSQ_ISL_E10value_typeEPSM_NS1_7vsmem_tEENKUlT_SK_SL_SM_E_clISE_PiSF_SF_EESJ_SZ_SK_SL_SM_EUlSZ_E1_NS1_11comp_targetILNS1_3genE0ELNS1_11target_archE4294967295ELNS1_3gpuE0ELNS1_3repE0EEENS1_36merge_oddeven_config_static_selectorELNS0_4arch9wavefront6targetE0EEEvSL_,@function
_ZN7rocprim17ROCPRIM_400000_NS6detail17trampoline_kernelINS0_14default_configENS1_38merge_sort_block_merge_config_selectorIiNS0_10empty_typeEEEZZNS1_27merge_sort_block_merge_implIS3_N6thrust23THRUST_200600_302600_NS6detail15normal_iteratorINS9_10device_ptrIiEEEEPS5_jNS1_19radix_merge_compareILb1ELb0EiNS0_19identity_decomposerEEEEE10hipError_tT0_T1_T2_jT3_P12ihipStream_tbPNSt15iterator_traitsISK_E10value_typeEPNSQ_ISL_E10value_typeEPSM_NS1_7vsmem_tEENKUlT_SK_SL_SM_E_clISE_PiSF_SF_EESJ_SZ_SK_SL_SM_EUlSZ_E1_NS1_11comp_targetILNS1_3genE0ELNS1_11target_archE4294967295ELNS1_3gpuE0ELNS1_3repE0EEENS1_36merge_oddeven_config_static_selectorELNS0_4arch9wavefront6targetE0EEEvSL_: ; @_ZN7rocprim17ROCPRIM_400000_NS6detail17trampoline_kernelINS0_14default_configENS1_38merge_sort_block_merge_config_selectorIiNS0_10empty_typeEEEZZNS1_27merge_sort_block_merge_implIS3_N6thrust23THRUST_200600_302600_NS6detail15normal_iteratorINS9_10device_ptrIiEEEEPS5_jNS1_19radix_merge_compareILb1ELb0EiNS0_19identity_decomposerEEEEE10hipError_tT0_T1_T2_jT3_P12ihipStream_tbPNSt15iterator_traitsISK_E10value_typeEPNSQ_ISL_E10value_typeEPSM_NS1_7vsmem_tEENKUlT_SK_SL_SM_E_clISE_PiSF_SF_EESJ_SZ_SK_SL_SM_EUlSZ_E1_NS1_11comp_targetILNS1_3genE0ELNS1_11target_archE4294967295ELNS1_3gpuE0ELNS1_3repE0EEENS1_36merge_oddeven_config_static_selectorELNS0_4arch9wavefront6targetE0EEEvSL_
; %bb.0:
	.section	.rodata,"a",@progbits
	.p2align	6, 0x0
	.amdhsa_kernel _ZN7rocprim17ROCPRIM_400000_NS6detail17trampoline_kernelINS0_14default_configENS1_38merge_sort_block_merge_config_selectorIiNS0_10empty_typeEEEZZNS1_27merge_sort_block_merge_implIS3_N6thrust23THRUST_200600_302600_NS6detail15normal_iteratorINS9_10device_ptrIiEEEEPS5_jNS1_19radix_merge_compareILb1ELb0EiNS0_19identity_decomposerEEEEE10hipError_tT0_T1_T2_jT3_P12ihipStream_tbPNSt15iterator_traitsISK_E10value_typeEPNSQ_ISL_E10value_typeEPSM_NS1_7vsmem_tEENKUlT_SK_SL_SM_E_clISE_PiSF_SF_EESJ_SZ_SK_SL_SM_EUlSZ_E1_NS1_11comp_targetILNS1_3genE0ELNS1_11target_archE4294967295ELNS1_3gpuE0ELNS1_3repE0EEENS1_36merge_oddeven_config_static_selectorELNS0_4arch9wavefront6targetE0EEEvSL_
		.amdhsa_group_segment_fixed_size 0
		.amdhsa_private_segment_fixed_size 0
		.amdhsa_kernarg_size 48
		.amdhsa_user_sgpr_count 6
		.amdhsa_user_sgpr_private_segment_buffer 1
		.amdhsa_user_sgpr_dispatch_ptr 0
		.amdhsa_user_sgpr_queue_ptr 0
		.amdhsa_user_sgpr_kernarg_segment_ptr 1
		.amdhsa_user_sgpr_dispatch_id 0
		.amdhsa_user_sgpr_flat_scratch_init 0
		.amdhsa_user_sgpr_private_segment_size 0
		.amdhsa_wavefront_size32 1
		.amdhsa_uses_dynamic_stack 0
		.amdhsa_system_sgpr_private_segment_wavefront_offset 0
		.amdhsa_system_sgpr_workgroup_id_x 1
		.amdhsa_system_sgpr_workgroup_id_y 0
		.amdhsa_system_sgpr_workgroup_id_z 0
		.amdhsa_system_sgpr_workgroup_info 0
		.amdhsa_system_vgpr_workitem_id 0
		.amdhsa_next_free_vgpr 1
		.amdhsa_next_free_sgpr 1
		.amdhsa_reserve_vcc 0
		.amdhsa_reserve_flat_scratch 0
		.amdhsa_float_round_mode_32 0
		.amdhsa_float_round_mode_16_64 0
		.amdhsa_float_denorm_mode_32 3
		.amdhsa_float_denorm_mode_16_64 3
		.amdhsa_dx10_clamp 1
		.amdhsa_ieee_mode 1
		.amdhsa_fp16_overflow 0
		.amdhsa_workgroup_processor_mode 1
		.amdhsa_memory_ordered 1
		.amdhsa_forward_progress 1
		.amdhsa_shared_vgpr_count 0
		.amdhsa_exception_fp_ieee_invalid_op 0
		.amdhsa_exception_fp_denorm_src 0
		.amdhsa_exception_fp_ieee_div_zero 0
		.amdhsa_exception_fp_ieee_overflow 0
		.amdhsa_exception_fp_ieee_underflow 0
		.amdhsa_exception_fp_ieee_inexact 0
		.amdhsa_exception_int_div_zero 0
	.end_amdhsa_kernel
	.section	.text._ZN7rocprim17ROCPRIM_400000_NS6detail17trampoline_kernelINS0_14default_configENS1_38merge_sort_block_merge_config_selectorIiNS0_10empty_typeEEEZZNS1_27merge_sort_block_merge_implIS3_N6thrust23THRUST_200600_302600_NS6detail15normal_iteratorINS9_10device_ptrIiEEEEPS5_jNS1_19radix_merge_compareILb1ELb0EiNS0_19identity_decomposerEEEEE10hipError_tT0_T1_T2_jT3_P12ihipStream_tbPNSt15iterator_traitsISK_E10value_typeEPNSQ_ISL_E10value_typeEPSM_NS1_7vsmem_tEENKUlT_SK_SL_SM_E_clISE_PiSF_SF_EESJ_SZ_SK_SL_SM_EUlSZ_E1_NS1_11comp_targetILNS1_3genE0ELNS1_11target_archE4294967295ELNS1_3gpuE0ELNS1_3repE0EEENS1_36merge_oddeven_config_static_selectorELNS0_4arch9wavefront6targetE0EEEvSL_,"axG",@progbits,_ZN7rocprim17ROCPRIM_400000_NS6detail17trampoline_kernelINS0_14default_configENS1_38merge_sort_block_merge_config_selectorIiNS0_10empty_typeEEEZZNS1_27merge_sort_block_merge_implIS3_N6thrust23THRUST_200600_302600_NS6detail15normal_iteratorINS9_10device_ptrIiEEEEPS5_jNS1_19radix_merge_compareILb1ELb0EiNS0_19identity_decomposerEEEEE10hipError_tT0_T1_T2_jT3_P12ihipStream_tbPNSt15iterator_traitsISK_E10value_typeEPNSQ_ISL_E10value_typeEPSM_NS1_7vsmem_tEENKUlT_SK_SL_SM_E_clISE_PiSF_SF_EESJ_SZ_SK_SL_SM_EUlSZ_E1_NS1_11comp_targetILNS1_3genE0ELNS1_11target_archE4294967295ELNS1_3gpuE0ELNS1_3repE0EEENS1_36merge_oddeven_config_static_selectorELNS0_4arch9wavefront6targetE0EEEvSL_,comdat
.Lfunc_end262:
	.size	_ZN7rocprim17ROCPRIM_400000_NS6detail17trampoline_kernelINS0_14default_configENS1_38merge_sort_block_merge_config_selectorIiNS0_10empty_typeEEEZZNS1_27merge_sort_block_merge_implIS3_N6thrust23THRUST_200600_302600_NS6detail15normal_iteratorINS9_10device_ptrIiEEEEPS5_jNS1_19radix_merge_compareILb1ELb0EiNS0_19identity_decomposerEEEEE10hipError_tT0_T1_T2_jT3_P12ihipStream_tbPNSt15iterator_traitsISK_E10value_typeEPNSQ_ISL_E10value_typeEPSM_NS1_7vsmem_tEENKUlT_SK_SL_SM_E_clISE_PiSF_SF_EESJ_SZ_SK_SL_SM_EUlSZ_E1_NS1_11comp_targetILNS1_3genE0ELNS1_11target_archE4294967295ELNS1_3gpuE0ELNS1_3repE0EEENS1_36merge_oddeven_config_static_selectorELNS0_4arch9wavefront6targetE0EEEvSL_, .Lfunc_end262-_ZN7rocprim17ROCPRIM_400000_NS6detail17trampoline_kernelINS0_14default_configENS1_38merge_sort_block_merge_config_selectorIiNS0_10empty_typeEEEZZNS1_27merge_sort_block_merge_implIS3_N6thrust23THRUST_200600_302600_NS6detail15normal_iteratorINS9_10device_ptrIiEEEEPS5_jNS1_19radix_merge_compareILb1ELb0EiNS0_19identity_decomposerEEEEE10hipError_tT0_T1_T2_jT3_P12ihipStream_tbPNSt15iterator_traitsISK_E10value_typeEPNSQ_ISL_E10value_typeEPSM_NS1_7vsmem_tEENKUlT_SK_SL_SM_E_clISE_PiSF_SF_EESJ_SZ_SK_SL_SM_EUlSZ_E1_NS1_11comp_targetILNS1_3genE0ELNS1_11target_archE4294967295ELNS1_3gpuE0ELNS1_3repE0EEENS1_36merge_oddeven_config_static_selectorELNS0_4arch9wavefront6targetE0EEEvSL_
                                        ; -- End function
	.set _ZN7rocprim17ROCPRIM_400000_NS6detail17trampoline_kernelINS0_14default_configENS1_38merge_sort_block_merge_config_selectorIiNS0_10empty_typeEEEZZNS1_27merge_sort_block_merge_implIS3_N6thrust23THRUST_200600_302600_NS6detail15normal_iteratorINS9_10device_ptrIiEEEEPS5_jNS1_19radix_merge_compareILb1ELb0EiNS0_19identity_decomposerEEEEE10hipError_tT0_T1_T2_jT3_P12ihipStream_tbPNSt15iterator_traitsISK_E10value_typeEPNSQ_ISL_E10value_typeEPSM_NS1_7vsmem_tEENKUlT_SK_SL_SM_E_clISE_PiSF_SF_EESJ_SZ_SK_SL_SM_EUlSZ_E1_NS1_11comp_targetILNS1_3genE0ELNS1_11target_archE4294967295ELNS1_3gpuE0ELNS1_3repE0EEENS1_36merge_oddeven_config_static_selectorELNS0_4arch9wavefront6targetE0EEEvSL_.num_vgpr, 0
	.set _ZN7rocprim17ROCPRIM_400000_NS6detail17trampoline_kernelINS0_14default_configENS1_38merge_sort_block_merge_config_selectorIiNS0_10empty_typeEEEZZNS1_27merge_sort_block_merge_implIS3_N6thrust23THRUST_200600_302600_NS6detail15normal_iteratorINS9_10device_ptrIiEEEEPS5_jNS1_19radix_merge_compareILb1ELb0EiNS0_19identity_decomposerEEEEE10hipError_tT0_T1_T2_jT3_P12ihipStream_tbPNSt15iterator_traitsISK_E10value_typeEPNSQ_ISL_E10value_typeEPSM_NS1_7vsmem_tEENKUlT_SK_SL_SM_E_clISE_PiSF_SF_EESJ_SZ_SK_SL_SM_EUlSZ_E1_NS1_11comp_targetILNS1_3genE0ELNS1_11target_archE4294967295ELNS1_3gpuE0ELNS1_3repE0EEENS1_36merge_oddeven_config_static_selectorELNS0_4arch9wavefront6targetE0EEEvSL_.num_agpr, 0
	.set _ZN7rocprim17ROCPRIM_400000_NS6detail17trampoline_kernelINS0_14default_configENS1_38merge_sort_block_merge_config_selectorIiNS0_10empty_typeEEEZZNS1_27merge_sort_block_merge_implIS3_N6thrust23THRUST_200600_302600_NS6detail15normal_iteratorINS9_10device_ptrIiEEEEPS5_jNS1_19radix_merge_compareILb1ELb0EiNS0_19identity_decomposerEEEEE10hipError_tT0_T1_T2_jT3_P12ihipStream_tbPNSt15iterator_traitsISK_E10value_typeEPNSQ_ISL_E10value_typeEPSM_NS1_7vsmem_tEENKUlT_SK_SL_SM_E_clISE_PiSF_SF_EESJ_SZ_SK_SL_SM_EUlSZ_E1_NS1_11comp_targetILNS1_3genE0ELNS1_11target_archE4294967295ELNS1_3gpuE0ELNS1_3repE0EEENS1_36merge_oddeven_config_static_selectorELNS0_4arch9wavefront6targetE0EEEvSL_.numbered_sgpr, 0
	.set _ZN7rocprim17ROCPRIM_400000_NS6detail17trampoline_kernelINS0_14default_configENS1_38merge_sort_block_merge_config_selectorIiNS0_10empty_typeEEEZZNS1_27merge_sort_block_merge_implIS3_N6thrust23THRUST_200600_302600_NS6detail15normal_iteratorINS9_10device_ptrIiEEEEPS5_jNS1_19radix_merge_compareILb1ELb0EiNS0_19identity_decomposerEEEEE10hipError_tT0_T1_T2_jT3_P12ihipStream_tbPNSt15iterator_traitsISK_E10value_typeEPNSQ_ISL_E10value_typeEPSM_NS1_7vsmem_tEENKUlT_SK_SL_SM_E_clISE_PiSF_SF_EESJ_SZ_SK_SL_SM_EUlSZ_E1_NS1_11comp_targetILNS1_3genE0ELNS1_11target_archE4294967295ELNS1_3gpuE0ELNS1_3repE0EEENS1_36merge_oddeven_config_static_selectorELNS0_4arch9wavefront6targetE0EEEvSL_.num_named_barrier, 0
	.set _ZN7rocprim17ROCPRIM_400000_NS6detail17trampoline_kernelINS0_14default_configENS1_38merge_sort_block_merge_config_selectorIiNS0_10empty_typeEEEZZNS1_27merge_sort_block_merge_implIS3_N6thrust23THRUST_200600_302600_NS6detail15normal_iteratorINS9_10device_ptrIiEEEEPS5_jNS1_19radix_merge_compareILb1ELb0EiNS0_19identity_decomposerEEEEE10hipError_tT0_T1_T2_jT3_P12ihipStream_tbPNSt15iterator_traitsISK_E10value_typeEPNSQ_ISL_E10value_typeEPSM_NS1_7vsmem_tEENKUlT_SK_SL_SM_E_clISE_PiSF_SF_EESJ_SZ_SK_SL_SM_EUlSZ_E1_NS1_11comp_targetILNS1_3genE0ELNS1_11target_archE4294967295ELNS1_3gpuE0ELNS1_3repE0EEENS1_36merge_oddeven_config_static_selectorELNS0_4arch9wavefront6targetE0EEEvSL_.private_seg_size, 0
	.set _ZN7rocprim17ROCPRIM_400000_NS6detail17trampoline_kernelINS0_14default_configENS1_38merge_sort_block_merge_config_selectorIiNS0_10empty_typeEEEZZNS1_27merge_sort_block_merge_implIS3_N6thrust23THRUST_200600_302600_NS6detail15normal_iteratorINS9_10device_ptrIiEEEEPS5_jNS1_19radix_merge_compareILb1ELb0EiNS0_19identity_decomposerEEEEE10hipError_tT0_T1_T2_jT3_P12ihipStream_tbPNSt15iterator_traitsISK_E10value_typeEPNSQ_ISL_E10value_typeEPSM_NS1_7vsmem_tEENKUlT_SK_SL_SM_E_clISE_PiSF_SF_EESJ_SZ_SK_SL_SM_EUlSZ_E1_NS1_11comp_targetILNS1_3genE0ELNS1_11target_archE4294967295ELNS1_3gpuE0ELNS1_3repE0EEENS1_36merge_oddeven_config_static_selectorELNS0_4arch9wavefront6targetE0EEEvSL_.uses_vcc, 0
	.set _ZN7rocprim17ROCPRIM_400000_NS6detail17trampoline_kernelINS0_14default_configENS1_38merge_sort_block_merge_config_selectorIiNS0_10empty_typeEEEZZNS1_27merge_sort_block_merge_implIS3_N6thrust23THRUST_200600_302600_NS6detail15normal_iteratorINS9_10device_ptrIiEEEEPS5_jNS1_19radix_merge_compareILb1ELb0EiNS0_19identity_decomposerEEEEE10hipError_tT0_T1_T2_jT3_P12ihipStream_tbPNSt15iterator_traitsISK_E10value_typeEPNSQ_ISL_E10value_typeEPSM_NS1_7vsmem_tEENKUlT_SK_SL_SM_E_clISE_PiSF_SF_EESJ_SZ_SK_SL_SM_EUlSZ_E1_NS1_11comp_targetILNS1_3genE0ELNS1_11target_archE4294967295ELNS1_3gpuE0ELNS1_3repE0EEENS1_36merge_oddeven_config_static_selectorELNS0_4arch9wavefront6targetE0EEEvSL_.uses_flat_scratch, 0
	.set _ZN7rocprim17ROCPRIM_400000_NS6detail17trampoline_kernelINS0_14default_configENS1_38merge_sort_block_merge_config_selectorIiNS0_10empty_typeEEEZZNS1_27merge_sort_block_merge_implIS3_N6thrust23THRUST_200600_302600_NS6detail15normal_iteratorINS9_10device_ptrIiEEEEPS5_jNS1_19radix_merge_compareILb1ELb0EiNS0_19identity_decomposerEEEEE10hipError_tT0_T1_T2_jT3_P12ihipStream_tbPNSt15iterator_traitsISK_E10value_typeEPNSQ_ISL_E10value_typeEPSM_NS1_7vsmem_tEENKUlT_SK_SL_SM_E_clISE_PiSF_SF_EESJ_SZ_SK_SL_SM_EUlSZ_E1_NS1_11comp_targetILNS1_3genE0ELNS1_11target_archE4294967295ELNS1_3gpuE0ELNS1_3repE0EEENS1_36merge_oddeven_config_static_selectorELNS0_4arch9wavefront6targetE0EEEvSL_.has_dyn_sized_stack, 0
	.set _ZN7rocprim17ROCPRIM_400000_NS6detail17trampoline_kernelINS0_14default_configENS1_38merge_sort_block_merge_config_selectorIiNS0_10empty_typeEEEZZNS1_27merge_sort_block_merge_implIS3_N6thrust23THRUST_200600_302600_NS6detail15normal_iteratorINS9_10device_ptrIiEEEEPS5_jNS1_19radix_merge_compareILb1ELb0EiNS0_19identity_decomposerEEEEE10hipError_tT0_T1_T2_jT3_P12ihipStream_tbPNSt15iterator_traitsISK_E10value_typeEPNSQ_ISL_E10value_typeEPSM_NS1_7vsmem_tEENKUlT_SK_SL_SM_E_clISE_PiSF_SF_EESJ_SZ_SK_SL_SM_EUlSZ_E1_NS1_11comp_targetILNS1_3genE0ELNS1_11target_archE4294967295ELNS1_3gpuE0ELNS1_3repE0EEENS1_36merge_oddeven_config_static_selectorELNS0_4arch9wavefront6targetE0EEEvSL_.has_recursion, 0
	.set _ZN7rocprim17ROCPRIM_400000_NS6detail17trampoline_kernelINS0_14default_configENS1_38merge_sort_block_merge_config_selectorIiNS0_10empty_typeEEEZZNS1_27merge_sort_block_merge_implIS3_N6thrust23THRUST_200600_302600_NS6detail15normal_iteratorINS9_10device_ptrIiEEEEPS5_jNS1_19radix_merge_compareILb1ELb0EiNS0_19identity_decomposerEEEEE10hipError_tT0_T1_T2_jT3_P12ihipStream_tbPNSt15iterator_traitsISK_E10value_typeEPNSQ_ISL_E10value_typeEPSM_NS1_7vsmem_tEENKUlT_SK_SL_SM_E_clISE_PiSF_SF_EESJ_SZ_SK_SL_SM_EUlSZ_E1_NS1_11comp_targetILNS1_3genE0ELNS1_11target_archE4294967295ELNS1_3gpuE0ELNS1_3repE0EEENS1_36merge_oddeven_config_static_selectorELNS0_4arch9wavefront6targetE0EEEvSL_.has_indirect_call, 0
	.section	.AMDGPU.csdata,"",@progbits
; Kernel info:
; codeLenInByte = 0
; TotalNumSgprs: 0
; NumVgprs: 0
; ScratchSize: 0
; MemoryBound: 0
; FloatMode: 240
; IeeeMode: 1
; LDSByteSize: 0 bytes/workgroup (compile time only)
; SGPRBlocks: 0
; VGPRBlocks: 0
; NumSGPRsForWavesPerEU: 1
; NumVGPRsForWavesPerEU: 1
; Occupancy: 16
; WaveLimiterHint : 0
; COMPUTE_PGM_RSRC2:SCRATCH_EN: 0
; COMPUTE_PGM_RSRC2:USER_SGPR: 6
; COMPUTE_PGM_RSRC2:TRAP_HANDLER: 0
; COMPUTE_PGM_RSRC2:TGID_X_EN: 1
; COMPUTE_PGM_RSRC2:TGID_Y_EN: 0
; COMPUTE_PGM_RSRC2:TGID_Z_EN: 0
; COMPUTE_PGM_RSRC2:TIDIG_COMP_CNT: 0
	.section	.text._ZN7rocprim17ROCPRIM_400000_NS6detail17trampoline_kernelINS0_14default_configENS1_38merge_sort_block_merge_config_selectorIiNS0_10empty_typeEEEZZNS1_27merge_sort_block_merge_implIS3_N6thrust23THRUST_200600_302600_NS6detail15normal_iteratorINS9_10device_ptrIiEEEEPS5_jNS1_19radix_merge_compareILb1ELb0EiNS0_19identity_decomposerEEEEE10hipError_tT0_T1_T2_jT3_P12ihipStream_tbPNSt15iterator_traitsISK_E10value_typeEPNSQ_ISL_E10value_typeEPSM_NS1_7vsmem_tEENKUlT_SK_SL_SM_E_clISE_PiSF_SF_EESJ_SZ_SK_SL_SM_EUlSZ_E1_NS1_11comp_targetILNS1_3genE10ELNS1_11target_archE1201ELNS1_3gpuE5ELNS1_3repE0EEENS1_36merge_oddeven_config_static_selectorELNS0_4arch9wavefront6targetE0EEEvSL_,"axG",@progbits,_ZN7rocprim17ROCPRIM_400000_NS6detail17trampoline_kernelINS0_14default_configENS1_38merge_sort_block_merge_config_selectorIiNS0_10empty_typeEEEZZNS1_27merge_sort_block_merge_implIS3_N6thrust23THRUST_200600_302600_NS6detail15normal_iteratorINS9_10device_ptrIiEEEEPS5_jNS1_19radix_merge_compareILb1ELb0EiNS0_19identity_decomposerEEEEE10hipError_tT0_T1_T2_jT3_P12ihipStream_tbPNSt15iterator_traitsISK_E10value_typeEPNSQ_ISL_E10value_typeEPSM_NS1_7vsmem_tEENKUlT_SK_SL_SM_E_clISE_PiSF_SF_EESJ_SZ_SK_SL_SM_EUlSZ_E1_NS1_11comp_targetILNS1_3genE10ELNS1_11target_archE1201ELNS1_3gpuE5ELNS1_3repE0EEENS1_36merge_oddeven_config_static_selectorELNS0_4arch9wavefront6targetE0EEEvSL_,comdat
	.protected	_ZN7rocprim17ROCPRIM_400000_NS6detail17trampoline_kernelINS0_14default_configENS1_38merge_sort_block_merge_config_selectorIiNS0_10empty_typeEEEZZNS1_27merge_sort_block_merge_implIS3_N6thrust23THRUST_200600_302600_NS6detail15normal_iteratorINS9_10device_ptrIiEEEEPS5_jNS1_19radix_merge_compareILb1ELb0EiNS0_19identity_decomposerEEEEE10hipError_tT0_T1_T2_jT3_P12ihipStream_tbPNSt15iterator_traitsISK_E10value_typeEPNSQ_ISL_E10value_typeEPSM_NS1_7vsmem_tEENKUlT_SK_SL_SM_E_clISE_PiSF_SF_EESJ_SZ_SK_SL_SM_EUlSZ_E1_NS1_11comp_targetILNS1_3genE10ELNS1_11target_archE1201ELNS1_3gpuE5ELNS1_3repE0EEENS1_36merge_oddeven_config_static_selectorELNS0_4arch9wavefront6targetE0EEEvSL_ ; -- Begin function _ZN7rocprim17ROCPRIM_400000_NS6detail17trampoline_kernelINS0_14default_configENS1_38merge_sort_block_merge_config_selectorIiNS0_10empty_typeEEEZZNS1_27merge_sort_block_merge_implIS3_N6thrust23THRUST_200600_302600_NS6detail15normal_iteratorINS9_10device_ptrIiEEEEPS5_jNS1_19radix_merge_compareILb1ELb0EiNS0_19identity_decomposerEEEEE10hipError_tT0_T1_T2_jT3_P12ihipStream_tbPNSt15iterator_traitsISK_E10value_typeEPNSQ_ISL_E10value_typeEPSM_NS1_7vsmem_tEENKUlT_SK_SL_SM_E_clISE_PiSF_SF_EESJ_SZ_SK_SL_SM_EUlSZ_E1_NS1_11comp_targetILNS1_3genE10ELNS1_11target_archE1201ELNS1_3gpuE5ELNS1_3repE0EEENS1_36merge_oddeven_config_static_selectorELNS0_4arch9wavefront6targetE0EEEvSL_
	.globl	_ZN7rocprim17ROCPRIM_400000_NS6detail17trampoline_kernelINS0_14default_configENS1_38merge_sort_block_merge_config_selectorIiNS0_10empty_typeEEEZZNS1_27merge_sort_block_merge_implIS3_N6thrust23THRUST_200600_302600_NS6detail15normal_iteratorINS9_10device_ptrIiEEEEPS5_jNS1_19radix_merge_compareILb1ELb0EiNS0_19identity_decomposerEEEEE10hipError_tT0_T1_T2_jT3_P12ihipStream_tbPNSt15iterator_traitsISK_E10value_typeEPNSQ_ISL_E10value_typeEPSM_NS1_7vsmem_tEENKUlT_SK_SL_SM_E_clISE_PiSF_SF_EESJ_SZ_SK_SL_SM_EUlSZ_E1_NS1_11comp_targetILNS1_3genE10ELNS1_11target_archE1201ELNS1_3gpuE5ELNS1_3repE0EEENS1_36merge_oddeven_config_static_selectorELNS0_4arch9wavefront6targetE0EEEvSL_
	.p2align	8
	.type	_ZN7rocprim17ROCPRIM_400000_NS6detail17trampoline_kernelINS0_14default_configENS1_38merge_sort_block_merge_config_selectorIiNS0_10empty_typeEEEZZNS1_27merge_sort_block_merge_implIS3_N6thrust23THRUST_200600_302600_NS6detail15normal_iteratorINS9_10device_ptrIiEEEEPS5_jNS1_19radix_merge_compareILb1ELb0EiNS0_19identity_decomposerEEEEE10hipError_tT0_T1_T2_jT3_P12ihipStream_tbPNSt15iterator_traitsISK_E10value_typeEPNSQ_ISL_E10value_typeEPSM_NS1_7vsmem_tEENKUlT_SK_SL_SM_E_clISE_PiSF_SF_EESJ_SZ_SK_SL_SM_EUlSZ_E1_NS1_11comp_targetILNS1_3genE10ELNS1_11target_archE1201ELNS1_3gpuE5ELNS1_3repE0EEENS1_36merge_oddeven_config_static_selectorELNS0_4arch9wavefront6targetE0EEEvSL_,@function
_ZN7rocprim17ROCPRIM_400000_NS6detail17trampoline_kernelINS0_14default_configENS1_38merge_sort_block_merge_config_selectorIiNS0_10empty_typeEEEZZNS1_27merge_sort_block_merge_implIS3_N6thrust23THRUST_200600_302600_NS6detail15normal_iteratorINS9_10device_ptrIiEEEEPS5_jNS1_19radix_merge_compareILb1ELb0EiNS0_19identity_decomposerEEEEE10hipError_tT0_T1_T2_jT3_P12ihipStream_tbPNSt15iterator_traitsISK_E10value_typeEPNSQ_ISL_E10value_typeEPSM_NS1_7vsmem_tEENKUlT_SK_SL_SM_E_clISE_PiSF_SF_EESJ_SZ_SK_SL_SM_EUlSZ_E1_NS1_11comp_targetILNS1_3genE10ELNS1_11target_archE1201ELNS1_3gpuE5ELNS1_3repE0EEENS1_36merge_oddeven_config_static_selectorELNS0_4arch9wavefront6targetE0EEEvSL_: ; @_ZN7rocprim17ROCPRIM_400000_NS6detail17trampoline_kernelINS0_14default_configENS1_38merge_sort_block_merge_config_selectorIiNS0_10empty_typeEEEZZNS1_27merge_sort_block_merge_implIS3_N6thrust23THRUST_200600_302600_NS6detail15normal_iteratorINS9_10device_ptrIiEEEEPS5_jNS1_19radix_merge_compareILb1ELb0EiNS0_19identity_decomposerEEEEE10hipError_tT0_T1_T2_jT3_P12ihipStream_tbPNSt15iterator_traitsISK_E10value_typeEPNSQ_ISL_E10value_typeEPSM_NS1_7vsmem_tEENKUlT_SK_SL_SM_E_clISE_PiSF_SF_EESJ_SZ_SK_SL_SM_EUlSZ_E1_NS1_11comp_targetILNS1_3genE10ELNS1_11target_archE1201ELNS1_3gpuE5ELNS1_3repE0EEENS1_36merge_oddeven_config_static_selectorELNS0_4arch9wavefront6targetE0EEEvSL_
; %bb.0:
	.section	.rodata,"a",@progbits
	.p2align	6, 0x0
	.amdhsa_kernel _ZN7rocprim17ROCPRIM_400000_NS6detail17trampoline_kernelINS0_14default_configENS1_38merge_sort_block_merge_config_selectorIiNS0_10empty_typeEEEZZNS1_27merge_sort_block_merge_implIS3_N6thrust23THRUST_200600_302600_NS6detail15normal_iteratorINS9_10device_ptrIiEEEEPS5_jNS1_19radix_merge_compareILb1ELb0EiNS0_19identity_decomposerEEEEE10hipError_tT0_T1_T2_jT3_P12ihipStream_tbPNSt15iterator_traitsISK_E10value_typeEPNSQ_ISL_E10value_typeEPSM_NS1_7vsmem_tEENKUlT_SK_SL_SM_E_clISE_PiSF_SF_EESJ_SZ_SK_SL_SM_EUlSZ_E1_NS1_11comp_targetILNS1_3genE10ELNS1_11target_archE1201ELNS1_3gpuE5ELNS1_3repE0EEENS1_36merge_oddeven_config_static_selectorELNS0_4arch9wavefront6targetE0EEEvSL_
		.amdhsa_group_segment_fixed_size 0
		.amdhsa_private_segment_fixed_size 0
		.amdhsa_kernarg_size 48
		.amdhsa_user_sgpr_count 6
		.amdhsa_user_sgpr_private_segment_buffer 1
		.amdhsa_user_sgpr_dispatch_ptr 0
		.amdhsa_user_sgpr_queue_ptr 0
		.amdhsa_user_sgpr_kernarg_segment_ptr 1
		.amdhsa_user_sgpr_dispatch_id 0
		.amdhsa_user_sgpr_flat_scratch_init 0
		.amdhsa_user_sgpr_private_segment_size 0
		.amdhsa_wavefront_size32 1
		.amdhsa_uses_dynamic_stack 0
		.amdhsa_system_sgpr_private_segment_wavefront_offset 0
		.amdhsa_system_sgpr_workgroup_id_x 1
		.amdhsa_system_sgpr_workgroup_id_y 0
		.amdhsa_system_sgpr_workgroup_id_z 0
		.amdhsa_system_sgpr_workgroup_info 0
		.amdhsa_system_vgpr_workitem_id 0
		.amdhsa_next_free_vgpr 1
		.amdhsa_next_free_sgpr 1
		.amdhsa_reserve_vcc 0
		.amdhsa_reserve_flat_scratch 0
		.amdhsa_float_round_mode_32 0
		.amdhsa_float_round_mode_16_64 0
		.amdhsa_float_denorm_mode_32 3
		.amdhsa_float_denorm_mode_16_64 3
		.amdhsa_dx10_clamp 1
		.amdhsa_ieee_mode 1
		.amdhsa_fp16_overflow 0
		.amdhsa_workgroup_processor_mode 1
		.amdhsa_memory_ordered 1
		.amdhsa_forward_progress 1
		.amdhsa_shared_vgpr_count 0
		.amdhsa_exception_fp_ieee_invalid_op 0
		.amdhsa_exception_fp_denorm_src 0
		.amdhsa_exception_fp_ieee_div_zero 0
		.amdhsa_exception_fp_ieee_overflow 0
		.amdhsa_exception_fp_ieee_underflow 0
		.amdhsa_exception_fp_ieee_inexact 0
		.amdhsa_exception_int_div_zero 0
	.end_amdhsa_kernel
	.section	.text._ZN7rocprim17ROCPRIM_400000_NS6detail17trampoline_kernelINS0_14default_configENS1_38merge_sort_block_merge_config_selectorIiNS0_10empty_typeEEEZZNS1_27merge_sort_block_merge_implIS3_N6thrust23THRUST_200600_302600_NS6detail15normal_iteratorINS9_10device_ptrIiEEEEPS5_jNS1_19radix_merge_compareILb1ELb0EiNS0_19identity_decomposerEEEEE10hipError_tT0_T1_T2_jT3_P12ihipStream_tbPNSt15iterator_traitsISK_E10value_typeEPNSQ_ISL_E10value_typeEPSM_NS1_7vsmem_tEENKUlT_SK_SL_SM_E_clISE_PiSF_SF_EESJ_SZ_SK_SL_SM_EUlSZ_E1_NS1_11comp_targetILNS1_3genE10ELNS1_11target_archE1201ELNS1_3gpuE5ELNS1_3repE0EEENS1_36merge_oddeven_config_static_selectorELNS0_4arch9wavefront6targetE0EEEvSL_,"axG",@progbits,_ZN7rocprim17ROCPRIM_400000_NS6detail17trampoline_kernelINS0_14default_configENS1_38merge_sort_block_merge_config_selectorIiNS0_10empty_typeEEEZZNS1_27merge_sort_block_merge_implIS3_N6thrust23THRUST_200600_302600_NS6detail15normal_iteratorINS9_10device_ptrIiEEEEPS5_jNS1_19radix_merge_compareILb1ELb0EiNS0_19identity_decomposerEEEEE10hipError_tT0_T1_T2_jT3_P12ihipStream_tbPNSt15iterator_traitsISK_E10value_typeEPNSQ_ISL_E10value_typeEPSM_NS1_7vsmem_tEENKUlT_SK_SL_SM_E_clISE_PiSF_SF_EESJ_SZ_SK_SL_SM_EUlSZ_E1_NS1_11comp_targetILNS1_3genE10ELNS1_11target_archE1201ELNS1_3gpuE5ELNS1_3repE0EEENS1_36merge_oddeven_config_static_selectorELNS0_4arch9wavefront6targetE0EEEvSL_,comdat
.Lfunc_end263:
	.size	_ZN7rocprim17ROCPRIM_400000_NS6detail17trampoline_kernelINS0_14default_configENS1_38merge_sort_block_merge_config_selectorIiNS0_10empty_typeEEEZZNS1_27merge_sort_block_merge_implIS3_N6thrust23THRUST_200600_302600_NS6detail15normal_iteratorINS9_10device_ptrIiEEEEPS5_jNS1_19radix_merge_compareILb1ELb0EiNS0_19identity_decomposerEEEEE10hipError_tT0_T1_T2_jT3_P12ihipStream_tbPNSt15iterator_traitsISK_E10value_typeEPNSQ_ISL_E10value_typeEPSM_NS1_7vsmem_tEENKUlT_SK_SL_SM_E_clISE_PiSF_SF_EESJ_SZ_SK_SL_SM_EUlSZ_E1_NS1_11comp_targetILNS1_3genE10ELNS1_11target_archE1201ELNS1_3gpuE5ELNS1_3repE0EEENS1_36merge_oddeven_config_static_selectorELNS0_4arch9wavefront6targetE0EEEvSL_, .Lfunc_end263-_ZN7rocprim17ROCPRIM_400000_NS6detail17trampoline_kernelINS0_14default_configENS1_38merge_sort_block_merge_config_selectorIiNS0_10empty_typeEEEZZNS1_27merge_sort_block_merge_implIS3_N6thrust23THRUST_200600_302600_NS6detail15normal_iteratorINS9_10device_ptrIiEEEEPS5_jNS1_19radix_merge_compareILb1ELb0EiNS0_19identity_decomposerEEEEE10hipError_tT0_T1_T2_jT3_P12ihipStream_tbPNSt15iterator_traitsISK_E10value_typeEPNSQ_ISL_E10value_typeEPSM_NS1_7vsmem_tEENKUlT_SK_SL_SM_E_clISE_PiSF_SF_EESJ_SZ_SK_SL_SM_EUlSZ_E1_NS1_11comp_targetILNS1_3genE10ELNS1_11target_archE1201ELNS1_3gpuE5ELNS1_3repE0EEENS1_36merge_oddeven_config_static_selectorELNS0_4arch9wavefront6targetE0EEEvSL_
                                        ; -- End function
	.set _ZN7rocprim17ROCPRIM_400000_NS6detail17trampoline_kernelINS0_14default_configENS1_38merge_sort_block_merge_config_selectorIiNS0_10empty_typeEEEZZNS1_27merge_sort_block_merge_implIS3_N6thrust23THRUST_200600_302600_NS6detail15normal_iteratorINS9_10device_ptrIiEEEEPS5_jNS1_19radix_merge_compareILb1ELb0EiNS0_19identity_decomposerEEEEE10hipError_tT0_T1_T2_jT3_P12ihipStream_tbPNSt15iterator_traitsISK_E10value_typeEPNSQ_ISL_E10value_typeEPSM_NS1_7vsmem_tEENKUlT_SK_SL_SM_E_clISE_PiSF_SF_EESJ_SZ_SK_SL_SM_EUlSZ_E1_NS1_11comp_targetILNS1_3genE10ELNS1_11target_archE1201ELNS1_3gpuE5ELNS1_3repE0EEENS1_36merge_oddeven_config_static_selectorELNS0_4arch9wavefront6targetE0EEEvSL_.num_vgpr, 0
	.set _ZN7rocprim17ROCPRIM_400000_NS6detail17trampoline_kernelINS0_14default_configENS1_38merge_sort_block_merge_config_selectorIiNS0_10empty_typeEEEZZNS1_27merge_sort_block_merge_implIS3_N6thrust23THRUST_200600_302600_NS6detail15normal_iteratorINS9_10device_ptrIiEEEEPS5_jNS1_19radix_merge_compareILb1ELb0EiNS0_19identity_decomposerEEEEE10hipError_tT0_T1_T2_jT3_P12ihipStream_tbPNSt15iterator_traitsISK_E10value_typeEPNSQ_ISL_E10value_typeEPSM_NS1_7vsmem_tEENKUlT_SK_SL_SM_E_clISE_PiSF_SF_EESJ_SZ_SK_SL_SM_EUlSZ_E1_NS1_11comp_targetILNS1_3genE10ELNS1_11target_archE1201ELNS1_3gpuE5ELNS1_3repE0EEENS1_36merge_oddeven_config_static_selectorELNS0_4arch9wavefront6targetE0EEEvSL_.num_agpr, 0
	.set _ZN7rocprim17ROCPRIM_400000_NS6detail17trampoline_kernelINS0_14default_configENS1_38merge_sort_block_merge_config_selectorIiNS0_10empty_typeEEEZZNS1_27merge_sort_block_merge_implIS3_N6thrust23THRUST_200600_302600_NS6detail15normal_iteratorINS9_10device_ptrIiEEEEPS5_jNS1_19radix_merge_compareILb1ELb0EiNS0_19identity_decomposerEEEEE10hipError_tT0_T1_T2_jT3_P12ihipStream_tbPNSt15iterator_traitsISK_E10value_typeEPNSQ_ISL_E10value_typeEPSM_NS1_7vsmem_tEENKUlT_SK_SL_SM_E_clISE_PiSF_SF_EESJ_SZ_SK_SL_SM_EUlSZ_E1_NS1_11comp_targetILNS1_3genE10ELNS1_11target_archE1201ELNS1_3gpuE5ELNS1_3repE0EEENS1_36merge_oddeven_config_static_selectorELNS0_4arch9wavefront6targetE0EEEvSL_.numbered_sgpr, 0
	.set _ZN7rocprim17ROCPRIM_400000_NS6detail17trampoline_kernelINS0_14default_configENS1_38merge_sort_block_merge_config_selectorIiNS0_10empty_typeEEEZZNS1_27merge_sort_block_merge_implIS3_N6thrust23THRUST_200600_302600_NS6detail15normal_iteratorINS9_10device_ptrIiEEEEPS5_jNS1_19radix_merge_compareILb1ELb0EiNS0_19identity_decomposerEEEEE10hipError_tT0_T1_T2_jT3_P12ihipStream_tbPNSt15iterator_traitsISK_E10value_typeEPNSQ_ISL_E10value_typeEPSM_NS1_7vsmem_tEENKUlT_SK_SL_SM_E_clISE_PiSF_SF_EESJ_SZ_SK_SL_SM_EUlSZ_E1_NS1_11comp_targetILNS1_3genE10ELNS1_11target_archE1201ELNS1_3gpuE5ELNS1_3repE0EEENS1_36merge_oddeven_config_static_selectorELNS0_4arch9wavefront6targetE0EEEvSL_.num_named_barrier, 0
	.set _ZN7rocprim17ROCPRIM_400000_NS6detail17trampoline_kernelINS0_14default_configENS1_38merge_sort_block_merge_config_selectorIiNS0_10empty_typeEEEZZNS1_27merge_sort_block_merge_implIS3_N6thrust23THRUST_200600_302600_NS6detail15normal_iteratorINS9_10device_ptrIiEEEEPS5_jNS1_19radix_merge_compareILb1ELb0EiNS0_19identity_decomposerEEEEE10hipError_tT0_T1_T2_jT3_P12ihipStream_tbPNSt15iterator_traitsISK_E10value_typeEPNSQ_ISL_E10value_typeEPSM_NS1_7vsmem_tEENKUlT_SK_SL_SM_E_clISE_PiSF_SF_EESJ_SZ_SK_SL_SM_EUlSZ_E1_NS1_11comp_targetILNS1_3genE10ELNS1_11target_archE1201ELNS1_3gpuE5ELNS1_3repE0EEENS1_36merge_oddeven_config_static_selectorELNS0_4arch9wavefront6targetE0EEEvSL_.private_seg_size, 0
	.set _ZN7rocprim17ROCPRIM_400000_NS6detail17trampoline_kernelINS0_14default_configENS1_38merge_sort_block_merge_config_selectorIiNS0_10empty_typeEEEZZNS1_27merge_sort_block_merge_implIS3_N6thrust23THRUST_200600_302600_NS6detail15normal_iteratorINS9_10device_ptrIiEEEEPS5_jNS1_19radix_merge_compareILb1ELb0EiNS0_19identity_decomposerEEEEE10hipError_tT0_T1_T2_jT3_P12ihipStream_tbPNSt15iterator_traitsISK_E10value_typeEPNSQ_ISL_E10value_typeEPSM_NS1_7vsmem_tEENKUlT_SK_SL_SM_E_clISE_PiSF_SF_EESJ_SZ_SK_SL_SM_EUlSZ_E1_NS1_11comp_targetILNS1_3genE10ELNS1_11target_archE1201ELNS1_3gpuE5ELNS1_3repE0EEENS1_36merge_oddeven_config_static_selectorELNS0_4arch9wavefront6targetE0EEEvSL_.uses_vcc, 0
	.set _ZN7rocprim17ROCPRIM_400000_NS6detail17trampoline_kernelINS0_14default_configENS1_38merge_sort_block_merge_config_selectorIiNS0_10empty_typeEEEZZNS1_27merge_sort_block_merge_implIS3_N6thrust23THRUST_200600_302600_NS6detail15normal_iteratorINS9_10device_ptrIiEEEEPS5_jNS1_19radix_merge_compareILb1ELb0EiNS0_19identity_decomposerEEEEE10hipError_tT0_T1_T2_jT3_P12ihipStream_tbPNSt15iterator_traitsISK_E10value_typeEPNSQ_ISL_E10value_typeEPSM_NS1_7vsmem_tEENKUlT_SK_SL_SM_E_clISE_PiSF_SF_EESJ_SZ_SK_SL_SM_EUlSZ_E1_NS1_11comp_targetILNS1_3genE10ELNS1_11target_archE1201ELNS1_3gpuE5ELNS1_3repE0EEENS1_36merge_oddeven_config_static_selectorELNS0_4arch9wavefront6targetE0EEEvSL_.uses_flat_scratch, 0
	.set _ZN7rocprim17ROCPRIM_400000_NS6detail17trampoline_kernelINS0_14default_configENS1_38merge_sort_block_merge_config_selectorIiNS0_10empty_typeEEEZZNS1_27merge_sort_block_merge_implIS3_N6thrust23THRUST_200600_302600_NS6detail15normal_iteratorINS9_10device_ptrIiEEEEPS5_jNS1_19radix_merge_compareILb1ELb0EiNS0_19identity_decomposerEEEEE10hipError_tT0_T1_T2_jT3_P12ihipStream_tbPNSt15iterator_traitsISK_E10value_typeEPNSQ_ISL_E10value_typeEPSM_NS1_7vsmem_tEENKUlT_SK_SL_SM_E_clISE_PiSF_SF_EESJ_SZ_SK_SL_SM_EUlSZ_E1_NS1_11comp_targetILNS1_3genE10ELNS1_11target_archE1201ELNS1_3gpuE5ELNS1_3repE0EEENS1_36merge_oddeven_config_static_selectorELNS0_4arch9wavefront6targetE0EEEvSL_.has_dyn_sized_stack, 0
	.set _ZN7rocprim17ROCPRIM_400000_NS6detail17trampoline_kernelINS0_14default_configENS1_38merge_sort_block_merge_config_selectorIiNS0_10empty_typeEEEZZNS1_27merge_sort_block_merge_implIS3_N6thrust23THRUST_200600_302600_NS6detail15normal_iteratorINS9_10device_ptrIiEEEEPS5_jNS1_19radix_merge_compareILb1ELb0EiNS0_19identity_decomposerEEEEE10hipError_tT0_T1_T2_jT3_P12ihipStream_tbPNSt15iterator_traitsISK_E10value_typeEPNSQ_ISL_E10value_typeEPSM_NS1_7vsmem_tEENKUlT_SK_SL_SM_E_clISE_PiSF_SF_EESJ_SZ_SK_SL_SM_EUlSZ_E1_NS1_11comp_targetILNS1_3genE10ELNS1_11target_archE1201ELNS1_3gpuE5ELNS1_3repE0EEENS1_36merge_oddeven_config_static_selectorELNS0_4arch9wavefront6targetE0EEEvSL_.has_recursion, 0
	.set _ZN7rocprim17ROCPRIM_400000_NS6detail17trampoline_kernelINS0_14default_configENS1_38merge_sort_block_merge_config_selectorIiNS0_10empty_typeEEEZZNS1_27merge_sort_block_merge_implIS3_N6thrust23THRUST_200600_302600_NS6detail15normal_iteratorINS9_10device_ptrIiEEEEPS5_jNS1_19radix_merge_compareILb1ELb0EiNS0_19identity_decomposerEEEEE10hipError_tT0_T1_T2_jT3_P12ihipStream_tbPNSt15iterator_traitsISK_E10value_typeEPNSQ_ISL_E10value_typeEPSM_NS1_7vsmem_tEENKUlT_SK_SL_SM_E_clISE_PiSF_SF_EESJ_SZ_SK_SL_SM_EUlSZ_E1_NS1_11comp_targetILNS1_3genE10ELNS1_11target_archE1201ELNS1_3gpuE5ELNS1_3repE0EEENS1_36merge_oddeven_config_static_selectorELNS0_4arch9wavefront6targetE0EEEvSL_.has_indirect_call, 0
	.section	.AMDGPU.csdata,"",@progbits
; Kernel info:
; codeLenInByte = 0
; TotalNumSgprs: 0
; NumVgprs: 0
; ScratchSize: 0
; MemoryBound: 0
; FloatMode: 240
; IeeeMode: 1
; LDSByteSize: 0 bytes/workgroup (compile time only)
; SGPRBlocks: 0
; VGPRBlocks: 0
; NumSGPRsForWavesPerEU: 1
; NumVGPRsForWavesPerEU: 1
; Occupancy: 16
; WaveLimiterHint : 0
; COMPUTE_PGM_RSRC2:SCRATCH_EN: 0
; COMPUTE_PGM_RSRC2:USER_SGPR: 6
; COMPUTE_PGM_RSRC2:TRAP_HANDLER: 0
; COMPUTE_PGM_RSRC2:TGID_X_EN: 1
; COMPUTE_PGM_RSRC2:TGID_Y_EN: 0
; COMPUTE_PGM_RSRC2:TGID_Z_EN: 0
; COMPUTE_PGM_RSRC2:TIDIG_COMP_CNT: 0
	.section	.text._ZN7rocprim17ROCPRIM_400000_NS6detail17trampoline_kernelINS0_14default_configENS1_38merge_sort_block_merge_config_selectorIiNS0_10empty_typeEEEZZNS1_27merge_sort_block_merge_implIS3_N6thrust23THRUST_200600_302600_NS6detail15normal_iteratorINS9_10device_ptrIiEEEEPS5_jNS1_19radix_merge_compareILb1ELb0EiNS0_19identity_decomposerEEEEE10hipError_tT0_T1_T2_jT3_P12ihipStream_tbPNSt15iterator_traitsISK_E10value_typeEPNSQ_ISL_E10value_typeEPSM_NS1_7vsmem_tEENKUlT_SK_SL_SM_E_clISE_PiSF_SF_EESJ_SZ_SK_SL_SM_EUlSZ_E1_NS1_11comp_targetILNS1_3genE5ELNS1_11target_archE942ELNS1_3gpuE9ELNS1_3repE0EEENS1_36merge_oddeven_config_static_selectorELNS0_4arch9wavefront6targetE0EEEvSL_,"axG",@progbits,_ZN7rocprim17ROCPRIM_400000_NS6detail17trampoline_kernelINS0_14default_configENS1_38merge_sort_block_merge_config_selectorIiNS0_10empty_typeEEEZZNS1_27merge_sort_block_merge_implIS3_N6thrust23THRUST_200600_302600_NS6detail15normal_iteratorINS9_10device_ptrIiEEEEPS5_jNS1_19radix_merge_compareILb1ELb0EiNS0_19identity_decomposerEEEEE10hipError_tT0_T1_T2_jT3_P12ihipStream_tbPNSt15iterator_traitsISK_E10value_typeEPNSQ_ISL_E10value_typeEPSM_NS1_7vsmem_tEENKUlT_SK_SL_SM_E_clISE_PiSF_SF_EESJ_SZ_SK_SL_SM_EUlSZ_E1_NS1_11comp_targetILNS1_3genE5ELNS1_11target_archE942ELNS1_3gpuE9ELNS1_3repE0EEENS1_36merge_oddeven_config_static_selectorELNS0_4arch9wavefront6targetE0EEEvSL_,comdat
	.protected	_ZN7rocprim17ROCPRIM_400000_NS6detail17trampoline_kernelINS0_14default_configENS1_38merge_sort_block_merge_config_selectorIiNS0_10empty_typeEEEZZNS1_27merge_sort_block_merge_implIS3_N6thrust23THRUST_200600_302600_NS6detail15normal_iteratorINS9_10device_ptrIiEEEEPS5_jNS1_19radix_merge_compareILb1ELb0EiNS0_19identity_decomposerEEEEE10hipError_tT0_T1_T2_jT3_P12ihipStream_tbPNSt15iterator_traitsISK_E10value_typeEPNSQ_ISL_E10value_typeEPSM_NS1_7vsmem_tEENKUlT_SK_SL_SM_E_clISE_PiSF_SF_EESJ_SZ_SK_SL_SM_EUlSZ_E1_NS1_11comp_targetILNS1_3genE5ELNS1_11target_archE942ELNS1_3gpuE9ELNS1_3repE0EEENS1_36merge_oddeven_config_static_selectorELNS0_4arch9wavefront6targetE0EEEvSL_ ; -- Begin function _ZN7rocprim17ROCPRIM_400000_NS6detail17trampoline_kernelINS0_14default_configENS1_38merge_sort_block_merge_config_selectorIiNS0_10empty_typeEEEZZNS1_27merge_sort_block_merge_implIS3_N6thrust23THRUST_200600_302600_NS6detail15normal_iteratorINS9_10device_ptrIiEEEEPS5_jNS1_19radix_merge_compareILb1ELb0EiNS0_19identity_decomposerEEEEE10hipError_tT0_T1_T2_jT3_P12ihipStream_tbPNSt15iterator_traitsISK_E10value_typeEPNSQ_ISL_E10value_typeEPSM_NS1_7vsmem_tEENKUlT_SK_SL_SM_E_clISE_PiSF_SF_EESJ_SZ_SK_SL_SM_EUlSZ_E1_NS1_11comp_targetILNS1_3genE5ELNS1_11target_archE942ELNS1_3gpuE9ELNS1_3repE0EEENS1_36merge_oddeven_config_static_selectorELNS0_4arch9wavefront6targetE0EEEvSL_
	.globl	_ZN7rocprim17ROCPRIM_400000_NS6detail17trampoline_kernelINS0_14default_configENS1_38merge_sort_block_merge_config_selectorIiNS0_10empty_typeEEEZZNS1_27merge_sort_block_merge_implIS3_N6thrust23THRUST_200600_302600_NS6detail15normal_iteratorINS9_10device_ptrIiEEEEPS5_jNS1_19radix_merge_compareILb1ELb0EiNS0_19identity_decomposerEEEEE10hipError_tT0_T1_T2_jT3_P12ihipStream_tbPNSt15iterator_traitsISK_E10value_typeEPNSQ_ISL_E10value_typeEPSM_NS1_7vsmem_tEENKUlT_SK_SL_SM_E_clISE_PiSF_SF_EESJ_SZ_SK_SL_SM_EUlSZ_E1_NS1_11comp_targetILNS1_3genE5ELNS1_11target_archE942ELNS1_3gpuE9ELNS1_3repE0EEENS1_36merge_oddeven_config_static_selectorELNS0_4arch9wavefront6targetE0EEEvSL_
	.p2align	8
	.type	_ZN7rocprim17ROCPRIM_400000_NS6detail17trampoline_kernelINS0_14default_configENS1_38merge_sort_block_merge_config_selectorIiNS0_10empty_typeEEEZZNS1_27merge_sort_block_merge_implIS3_N6thrust23THRUST_200600_302600_NS6detail15normal_iteratorINS9_10device_ptrIiEEEEPS5_jNS1_19radix_merge_compareILb1ELb0EiNS0_19identity_decomposerEEEEE10hipError_tT0_T1_T2_jT3_P12ihipStream_tbPNSt15iterator_traitsISK_E10value_typeEPNSQ_ISL_E10value_typeEPSM_NS1_7vsmem_tEENKUlT_SK_SL_SM_E_clISE_PiSF_SF_EESJ_SZ_SK_SL_SM_EUlSZ_E1_NS1_11comp_targetILNS1_3genE5ELNS1_11target_archE942ELNS1_3gpuE9ELNS1_3repE0EEENS1_36merge_oddeven_config_static_selectorELNS0_4arch9wavefront6targetE0EEEvSL_,@function
_ZN7rocprim17ROCPRIM_400000_NS6detail17trampoline_kernelINS0_14default_configENS1_38merge_sort_block_merge_config_selectorIiNS0_10empty_typeEEEZZNS1_27merge_sort_block_merge_implIS3_N6thrust23THRUST_200600_302600_NS6detail15normal_iteratorINS9_10device_ptrIiEEEEPS5_jNS1_19radix_merge_compareILb1ELb0EiNS0_19identity_decomposerEEEEE10hipError_tT0_T1_T2_jT3_P12ihipStream_tbPNSt15iterator_traitsISK_E10value_typeEPNSQ_ISL_E10value_typeEPSM_NS1_7vsmem_tEENKUlT_SK_SL_SM_E_clISE_PiSF_SF_EESJ_SZ_SK_SL_SM_EUlSZ_E1_NS1_11comp_targetILNS1_3genE5ELNS1_11target_archE942ELNS1_3gpuE9ELNS1_3repE0EEENS1_36merge_oddeven_config_static_selectorELNS0_4arch9wavefront6targetE0EEEvSL_: ; @_ZN7rocprim17ROCPRIM_400000_NS6detail17trampoline_kernelINS0_14default_configENS1_38merge_sort_block_merge_config_selectorIiNS0_10empty_typeEEEZZNS1_27merge_sort_block_merge_implIS3_N6thrust23THRUST_200600_302600_NS6detail15normal_iteratorINS9_10device_ptrIiEEEEPS5_jNS1_19radix_merge_compareILb1ELb0EiNS0_19identity_decomposerEEEEE10hipError_tT0_T1_T2_jT3_P12ihipStream_tbPNSt15iterator_traitsISK_E10value_typeEPNSQ_ISL_E10value_typeEPSM_NS1_7vsmem_tEENKUlT_SK_SL_SM_E_clISE_PiSF_SF_EESJ_SZ_SK_SL_SM_EUlSZ_E1_NS1_11comp_targetILNS1_3genE5ELNS1_11target_archE942ELNS1_3gpuE9ELNS1_3repE0EEENS1_36merge_oddeven_config_static_selectorELNS0_4arch9wavefront6targetE0EEEvSL_
; %bb.0:
	.section	.rodata,"a",@progbits
	.p2align	6, 0x0
	.amdhsa_kernel _ZN7rocprim17ROCPRIM_400000_NS6detail17trampoline_kernelINS0_14default_configENS1_38merge_sort_block_merge_config_selectorIiNS0_10empty_typeEEEZZNS1_27merge_sort_block_merge_implIS3_N6thrust23THRUST_200600_302600_NS6detail15normal_iteratorINS9_10device_ptrIiEEEEPS5_jNS1_19radix_merge_compareILb1ELb0EiNS0_19identity_decomposerEEEEE10hipError_tT0_T1_T2_jT3_P12ihipStream_tbPNSt15iterator_traitsISK_E10value_typeEPNSQ_ISL_E10value_typeEPSM_NS1_7vsmem_tEENKUlT_SK_SL_SM_E_clISE_PiSF_SF_EESJ_SZ_SK_SL_SM_EUlSZ_E1_NS1_11comp_targetILNS1_3genE5ELNS1_11target_archE942ELNS1_3gpuE9ELNS1_3repE0EEENS1_36merge_oddeven_config_static_selectorELNS0_4arch9wavefront6targetE0EEEvSL_
		.amdhsa_group_segment_fixed_size 0
		.amdhsa_private_segment_fixed_size 0
		.amdhsa_kernarg_size 48
		.amdhsa_user_sgpr_count 6
		.amdhsa_user_sgpr_private_segment_buffer 1
		.amdhsa_user_sgpr_dispatch_ptr 0
		.amdhsa_user_sgpr_queue_ptr 0
		.amdhsa_user_sgpr_kernarg_segment_ptr 1
		.amdhsa_user_sgpr_dispatch_id 0
		.amdhsa_user_sgpr_flat_scratch_init 0
		.amdhsa_user_sgpr_private_segment_size 0
		.amdhsa_wavefront_size32 1
		.amdhsa_uses_dynamic_stack 0
		.amdhsa_system_sgpr_private_segment_wavefront_offset 0
		.amdhsa_system_sgpr_workgroup_id_x 1
		.amdhsa_system_sgpr_workgroup_id_y 0
		.amdhsa_system_sgpr_workgroup_id_z 0
		.amdhsa_system_sgpr_workgroup_info 0
		.amdhsa_system_vgpr_workitem_id 0
		.amdhsa_next_free_vgpr 1
		.amdhsa_next_free_sgpr 1
		.amdhsa_reserve_vcc 0
		.amdhsa_reserve_flat_scratch 0
		.amdhsa_float_round_mode_32 0
		.amdhsa_float_round_mode_16_64 0
		.amdhsa_float_denorm_mode_32 3
		.amdhsa_float_denorm_mode_16_64 3
		.amdhsa_dx10_clamp 1
		.amdhsa_ieee_mode 1
		.amdhsa_fp16_overflow 0
		.amdhsa_workgroup_processor_mode 1
		.amdhsa_memory_ordered 1
		.amdhsa_forward_progress 1
		.amdhsa_shared_vgpr_count 0
		.amdhsa_exception_fp_ieee_invalid_op 0
		.amdhsa_exception_fp_denorm_src 0
		.amdhsa_exception_fp_ieee_div_zero 0
		.amdhsa_exception_fp_ieee_overflow 0
		.amdhsa_exception_fp_ieee_underflow 0
		.amdhsa_exception_fp_ieee_inexact 0
		.amdhsa_exception_int_div_zero 0
	.end_amdhsa_kernel
	.section	.text._ZN7rocprim17ROCPRIM_400000_NS6detail17trampoline_kernelINS0_14default_configENS1_38merge_sort_block_merge_config_selectorIiNS0_10empty_typeEEEZZNS1_27merge_sort_block_merge_implIS3_N6thrust23THRUST_200600_302600_NS6detail15normal_iteratorINS9_10device_ptrIiEEEEPS5_jNS1_19radix_merge_compareILb1ELb0EiNS0_19identity_decomposerEEEEE10hipError_tT0_T1_T2_jT3_P12ihipStream_tbPNSt15iterator_traitsISK_E10value_typeEPNSQ_ISL_E10value_typeEPSM_NS1_7vsmem_tEENKUlT_SK_SL_SM_E_clISE_PiSF_SF_EESJ_SZ_SK_SL_SM_EUlSZ_E1_NS1_11comp_targetILNS1_3genE5ELNS1_11target_archE942ELNS1_3gpuE9ELNS1_3repE0EEENS1_36merge_oddeven_config_static_selectorELNS0_4arch9wavefront6targetE0EEEvSL_,"axG",@progbits,_ZN7rocprim17ROCPRIM_400000_NS6detail17trampoline_kernelINS0_14default_configENS1_38merge_sort_block_merge_config_selectorIiNS0_10empty_typeEEEZZNS1_27merge_sort_block_merge_implIS3_N6thrust23THRUST_200600_302600_NS6detail15normal_iteratorINS9_10device_ptrIiEEEEPS5_jNS1_19radix_merge_compareILb1ELb0EiNS0_19identity_decomposerEEEEE10hipError_tT0_T1_T2_jT3_P12ihipStream_tbPNSt15iterator_traitsISK_E10value_typeEPNSQ_ISL_E10value_typeEPSM_NS1_7vsmem_tEENKUlT_SK_SL_SM_E_clISE_PiSF_SF_EESJ_SZ_SK_SL_SM_EUlSZ_E1_NS1_11comp_targetILNS1_3genE5ELNS1_11target_archE942ELNS1_3gpuE9ELNS1_3repE0EEENS1_36merge_oddeven_config_static_selectorELNS0_4arch9wavefront6targetE0EEEvSL_,comdat
.Lfunc_end264:
	.size	_ZN7rocprim17ROCPRIM_400000_NS6detail17trampoline_kernelINS0_14default_configENS1_38merge_sort_block_merge_config_selectorIiNS0_10empty_typeEEEZZNS1_27merge_sort_block_merge_implIS3_N6thrust23THRUST_200600_302600_NS6detail15normal_iteratorINS9_10device_ptrIiEEEEPS5_jNS1_19radix_merge_compareILb1ELb0EiNS0_19identity_decomposerEEEEE10hipError_tT0_T1_T2_jT3_P12ihipStream_tbPNSt15iterator_traitsISK_E10value_typeEPNSQ_ISL_E10value_typeEPSM_NS1_7vsmem_tEENKUlT_SK_SL_SM_E_clISE_PiSF_SF_EESJ_SZ_SK_SL_SM_EUlSZ_E1_NS1_11comp_targetILNS1_3genE5ELNS1_11target_archE942ELNS1_3gpuE9ELNS1_3repE0EEENS1_36merge_oddeven_config_static_selectorELNS0_4arch9wavefront6targetE0EEEvSL_, .Lfunc_end264-_ZN7rocprim17ROCPRIM_400000_NS6detail17trampoline_kernelINS0_14default_configENS1_38merge_sort_block_merge_config_selectorIiNS0_10empty_typeEEEZZNS1_27merge_sort_block_merge_implIS3_N6thrust23THRUST_200600_302600_NS6detail15normal_iteratorINS9_10device_ptrIiEEEEPS5_jNS1_19radix_merge_compareILb1ELb0EiNS0_19identity_decomposerEEEEE10hipError_tT0_T1_T2_jT3_P12ihipStream_tbPNSt15iterator_traitsISK_E10value_typeEPNSQ_ISL_E10value_typeEPSM_NS1_7vsmem_tEENKUlT_SK_SL_SM_E_clISE_PiSF_SF_EESJ_SZ_SK_SL_SM_EUlSZ_E1_NS1_11comp_targetILNS1_3genE5ELNS1_11target_archE942ELNS1_3gpuE9ELNS1_3repE0EEENS1_36merge_oddeven_config_static_selectorELNS0_4arch9wavefront6targetE0EEEvSL_
                                        ; -- End function
	.set _ZN7rocprim17ROCPRIM_400000_NS6detail17trampoline_kernelINS0_14default_configENS1_38merge_sort_block_merge_config_selectorIiNS0_10empty_typeEEEZZNS1_27merge_sort_block_merge_implIS3_N6thrust23THRUST_200600_302600_NS6detail15normal_iteratorINS9_10device_ptrIiEEEEPS5_jNS1_19radix_merge_compareILb1ELb0EiNS0_19identity_decomposerEEEEE10hipError_tT0_T1_T2_jT3_P12ihipStream_tbPNSt15iterator_traitsISK_E10value_typeEPNSQ_ISL_E10value_typeEPSM_NS1_7vsmem_tEENKUlT_SK_SL_SM_E_clISE_PiSF_SF_EESJ_SZ_SK_SL_SM_EUlSZ_E1_NS1_11comp_targetILNS1_3genE5ELNS1_11target_archE942ELNS1_3gpuE9ELNS1_3repE0EEENS1_36merge_oddeven_config_static_selectorELNS0_4arch9wavefront6targetE0EEEvSL_.num_vgpr, 0
	.set _ZN7rocprim17ROCPRIM_400000_NS6detail17trampoline_kernelINS0_14default_configENS1_38merge_sort_block_merge_config_selectorIiNS0_10empty_typeEEEZZNS1_27merge_sort_block_merge_implIS3_N6thrust23THRUST_200600_302600_NS6detail15normal_iteratorINS9_10device_ptrIiEEEEPS5_jNS1_19radix_merge_compareILb1ELb0EiNS0_19identity_decomposerEEEEE10hipError_tT0_T1_T2_jT3_P12ihipStream_tbPNSt15iterator_traitsISK_E10value_typeEPNSQ_ISL_E10value_typeEPSM_NS1_7vsmem_tEENKUlT_SK_SL_SM_E_clISE_PiSF_SF_EESJ_SZ_SK_SL_SM_EUlSZ_E1_NS1_11comp_targetILNS1_3genE5ELNS1_11target_archE942ELNS1_3gpuE9ELNS1_3repE0EEENS1_36merge_oddeven_config_static_selectorELNS0_4arch9wavefront6targetE0EEEvSL_.num_agpr, 0
	.set _ZN7rocprim17ROCPRIM_400000_NS6detail17trampoline_kernelINS0_14default_configENS1_38merge_sort_block_merge_config_selectorIiNS0_10empty_typeEEEZZNS1_27merge_sort_block_merge_implIS3_N6thrust23THRUST_200600_302600_NS6detail15normal_iteratorINS9_10device_ptrIiEEEEPS5_jNS1_19radix_merge_compareILb1ELb0EiNS0_19identity_decomposerEEEEE10hipError_tT0_T1_T2_jT3_P12ihipStream_tbPNSt15iterator_traitsISK_E10value_typeEPNSQ_ISL_E10value_typeEPSM_NS1_7vsmem_tEENKUlT_SK_SL_SM_E_clISE_PiSF_SF_EESJ_SZ_SK_SL_SM_EUlSZ_E1_NS1_11comp_targetILNS1_3genE5ELNS1_11target_archE942ELNS1_3gpuE9ELNS1_3repE0EEENS1_36merge_oddeven_config_static_selectorELNS0_4arch9wavefront6targetE0EEEvSL_.numbered_sgpr, 0
	.set _ZN7rocprim17ROCPRIM_400000_NS6detail17trampoline_kernelINS0_14default_configENS1_38merge_sort_block_merge_config_selectorIiNS0_10empty_typeEEEZZNS1_27merge_sort_block_merge_implIS3_N6thrust23THRUST_200600_302600_NS6detail15normal_iteratorINS9_10device_ptrIiEEEEPS5_jNS1_19radix_merge_compareILb1ELb0EiNS0_19identity_decomposerEEEEE10hipError_tT0_T1_T2_jT3_P12ihipStream_tbPNSt15iterator_traitsISK_E10value_typeEPNSQ_ISL_E10value_typeEPSM_NS1_7vsmem_tEENKUlT_SK_SL_SM_E_clISE_PiSF_SF_EESJ_SZ_SK_SL_SM_EUlSZ_E1_NS1_11comp_targetILNS1_3genE5ELNS1_11target_archE942ELNS1_3gpuE9ELNS1_3repE0EEENS1_36merge_oddeven_config_static_selectorELNS0_4arch9wavefront6targetE0EEEvSL_.num_named_barrier, 0
	.set _ZN7rocprim17ROCPRIM_400000_NS6detail17trampoline_kernelINS0_14default_configENS1_38merge_sort_block_merge_config_selectorIiNS0_10empty_typeEEEZZNS1_27merge_sort_block_merge_implIS3_N6thrust23THRUST_200600_302600_NS6detail15normal_iteratorINS9_10device_ptrIiEEEEPS5_jNS1_19radix_merge_compareILb1ELb0EiNS0_19identity_decomposerEEEEE10hipError_tT0_T1_T2_jT3_P12ihipStream_tbPNSt15iterator_traitsISK_E10value_typeEPNSQ_ISL_E10value_typeEPSM_NS1_7vsmem_tEENKUlT_SK_SL_SM_E_clISE_PiSF_SF_EESJ_SZ_SK_SL_SM_EUlSZ_E1_NS1_11comp_targetILNS1_3genE5ELNS1_11target_archE942ELNS1_3gpuE9ELNS1_3repE0EEENS1_36merge_oddeven_config_static_selectorELNS0_4arch9wavefront6targetE0EEEvSL_.private_seg_size, 0
	.set _ZN7rocprim17ROCPRIM_400000_NS6detail17trampoline_kernelINS0_14default_configENS1_38merge_sort_block_merge_config_selectorIiNS0_10empty_typeEEEZZNS1_27merge_sort_block_merge_implIS3_N6thrust23THRUST_200600_302600_NS6detail15normal_iteratorINS9_10device_ptrIiEEEEPS5_jNS1_19radix_merge_compareILb1ELb0EiNS0_19identity_decomposerEEEEE10hipError_tT0_T1_T2_jT3_P12ihipStream_tbPNSt15iterator_traitsISK_E10value_typeEPNSQ_ISL_E10value_typeEPSM_NS1_7vsmem_tEENKUlT_SK_SL_SM_E_clISE_PiSF_SF_EESJ_SZ_SK_SL_SM_EUlSZ_E1_NS1_11comp_targetILNS1_3genE5ELNS1_11target_archE942ELNS1_3gpuE9ELNS1_3repE0EEENS1_36merge_oddeven_config_static_selectorELNS0_4arch9wavefront6targetE0EEEvSL_.uses_vcc, 0
	.set _ZN7rocprim17ROCPRIM_400000_NS6detail17trampoline_kernelINS0_14default_configENS1_38merge_sort_block_merge_config_selectorIiNS0_10empty_typeEEEZZNS1_27merge_sort_block_merge_implIS3_N6thrust23THRUST_200600_302600_NS6detail15normal_iteratorINS9_10device_ptrIiEEEEPS5_jNS1_19radix_merge_compareILb1ELb0EiNS0_19identity_decomposerEEEEE10hipError_tT0_T1_T2_jT3_P12ihipStream_tbPNSt15iterator_traitsISK_E10value_typeEPNSQ_ISL_E10value_typeEPSM_NS1_7vsmem_tEENKUlT_SK_SL_SM_E_clISE_PiSF_SF_EESJ_SZ_SK_SL_SM_EUlSZ_E1_NS1_11comp_targetILNS1_3genE5ELNS1_11target_archE942ELNS1_3gpuE9ELNS1_3repE0EEENS1_36merge_oddeven_config_static_selectorELNS0_4arch9wavefront6targetE0EEEvSL_.uses_flat_scratch, 0
	.set _ZN7rocprim17ROCPRIM_400000_NS6detail17trampoline_kernelINS0_14default_configENS1_38merge_sort_block_merge_config_selectorIiNS0_10empty_typeEEEZZNS1_27merge_sort_block_merge_implIS3_N6thrust23THRUST_200600_302600_NS6detail15normal_iteratorINS9_10device_ptrIiEEEEPS5_jNS1_19radix_merge_compareILb1ELb0EiNS0_19identity_decomposerEEEEE10hipError_tT0_T1_T2_jT3_P12ihipStream_tbPNSt15iterator_traitsISK_E10value_typeEPNSQ_ISL_E10value_typeEPSM_NS1_7vsmem_tEENKUlT_SK_SL_SM_E_clISE_PiSF_SF_EESJ_SZ_SK_SL_SM_EUlSZ_E1_NS1_11comp_targetILNS1_3genE5ELNS1_11target_archE942ELNS1_3gpuE9ELNS1_3repE0EEENS1_36merge_oddeven_config_static_selectorELNS0_4arch9wavefront6targetE0EEEvSL_.has_dyn_sized_stack, 0
	.set _ZN7rocprim17ROCPRIM_400000_NS6detail17trampoline_kernelINS0_14default_configENS1_38merge_sort_block_merge_config_selectorIiNS0_10empty_typeEEEZZNS1_27merge_sort_block_merge_implIS3_N6thrust23THRUST_200600_302600_NS6detail15normal_iteratorINS9_10device_ptrIiEEEEPS5_jNS1_19radix_merge_compareILb1ELb0EiNS0_19identity_decomposerEEEEE10hipError_tT0_T1_T2_jT3_P12ihipStream_tbPNSt15iterator_traitsISK_E10value_typeEPNSQ_ISL_E10value_typeEPSM_NS1_7vsmem_tEENKUlT_SK_SL_SM_E_clISE_PiSF_SF_EESJ_SZ_SK_SL_SM_EUlSZ_E1_NS1_11comp_targetILNS1_3genE5ELNS1_11target_archE942ELNS1_3gpuE9ELNS1_3repE0EEENS1_36merge_oddeven_config_static_selectorELNS0_4arch9wavefront6targetE0EEEvSL_.has_recursion, 0
	.set _ZN7rocprim17ROCPRIM_400000_NS6detail17trampoline_kernelINS0_14default_configENS1_38merge_sort_block_merge_config_selectorIiNS0_10empty_typeEEEZZNS1_27merge_sort_block_merge_implIS3_N6thrust23THRUST_200600_302600_NS6detail15normal_iteratorINS9_10device_ptrIiEEEEPS5_jNS1_19radix_merge_compareILb1ELb0EiNS0_19identity_decomposerEEEEE10hipError_tT0_T1_T2_jT3_P12ihipStream_tbPNSt15iterator_traitsISK_E10value_typeEPNSQ_ISL_E10value_typeEPSM_NS1_7vsmem_tEENKUlT_SK_SL_SM_E_clISE_PiSF_SF_EESJ_SZ_SK_SL_SM_EUlSZ_E1_NS1_11comp_targetILNS1_3genE5ELNS1_11target_archE942ELNS1_3gpuE9ELNS1_3repE0EEENS1_36merge_oddeven_config_static_selectorELNS0_4arch9wavefront6targetE0EEEvSL_.has_indirect_call, 0
	.section	.AMDGPU.csdata,"",@progbits
; Kernel info:
; codeLenInByte = 0
; TotalNumSgprs: 0
; NumVgprs: 0
; ScratchSize: 0
; MemoryBound: 0
; FloatMode: 240
; IeeeMode: 1
; LDSByteSize: 0 bytes/workgroup (compile time only)
; SGPRBlocks: 0
; VGPRBlocks: 0
; NumSGPRsForWavesPerEU: 1
; NumVGPRsForWavesPerEU: 1
; Occupancy: 16
; WaveLimiterHint : 0
; COMPUTE_PGM_RSRC2:SCRATCH_EN: 0
; COMPUTE_PGM_RSRC2:USER_SGPR: 6
; COMPUTE_PGM_RSRC2:TRAP_HANDLER: 0
; COMPUTE_PGM_RSRC2:TGID_X_EN: 1
; COMPUTE_PGM_RSRC2:TGID_Y_EN: 0
; COMPUTE_PGM_RSRC2:TGID_Z_EN: 0
; COMPUTE_PGM_RSRC2:TIDIG_COMP_CNT: 0
	.section	.text._ZN7rocprim17ROCPRIM_400000_NS6detail17trampoline_kernelINS0_14default_configENS1_38merge_sort_block_merge_config_selectorIiNS0_10empty_typeEEEZZNS1_27merge_sort_block_merge_implIS3_N6thrust23THRUST_200600_302600_NS6detail15normal_iteratorINS9_10device_ptrIiEEEEPS5_jNS1_19radix_merge_compareILb1ELb0EiNS0_19identity_decomposerEEEEE10hipError_tT0_T1_T2_jT3_P12ihipStream_tbPNSt15iterator_traitsISK_E10value_typeEPNSQ_ISL_E10value_typeEPSM_NS1_7vsmem_tEENKUlT_SK_SL_SM_E_clISE_PiSF_SF_EESJ_SZ_SK_SL_SM_EUlSZ_E1_NS1_11comp_targetILNS1_3genE4ELNS1_11target_archE910ELNS1_3gpuE8ELNS1_3repE0EEENS1_36merge_oddeven_config_static_selectorELNS0_4arch9wavefront6targetE0EEEvSL_,"axG",@progbits,_ZN7rocprim17ROCPRIM_400000_NS6detail17trampoline_kernelINS0_14default_configENS1_38merge_sort_block_merge_config_selectorIiNS0_10empty_typeEEEZZNS1_27merge_sort_block_merge_implIS3_N6thrust23THRUST_200600_302600_NS6detail15normal_iteratorINS9_10device_ptrIiEEEEPS5_jNS1_19radix_merge_compareILb1ELb0EiNS0_19identity_decomposerEEEEE10hipError_tT0_T1_T2_jT3_P12ihipStream_tbPNSt15iterator_traitsISK_E10value_typeEPNSQ_ISL_E10value_typeEPSM_NS1_7vsmem_tEENKUlT_SK_SL_SM_E_clISE_PiSF_SF_EESJ_SZ_SK_SL_SM_EUlSZ_E1_NS1_11comp_targetILNS1_3genE4ELNS1_11target_archE910ELNS1_3gpuE8ELNS1_3repE0EEENS1_36merge_oddeven_config_static_selectorELNS0_4arch9wavefront6targetE0EEEvSL_,comdat
	.protected	_ZN7rocprim17ROCPRIM_400000_NS6detail17trampoline_kernelINS0_14default_configENS1_38merge_sort_block_merge_config_selectorIiNS0_10empty_typeEEEZZNS1_27merge_sort_block_merge_implIS3_N6thrust23THRUST_200600_302600_NS6detail15normal_iteratorINS9_10device_ptrIiEEEEPS5_jNS1_19radix_merge_compareILb1ELb0EiNS0_19identity_decomposerEEEEE10hipError_tT0_T1_T2_jT3_P12ihipStream_tbPNSt15iterator_traitsISK_E10value_typeEPNSQ_ISL_E10value_typeEPSM_NS1_7vsmem_tEENKUlT_SK_SL_SM_E_clISE_PiSF_SF_EESJ_SZ_SK_SL_SM_EUlSZ_E1_NS1_11comp_targetILNS1_3genE4ELNS1_11target_archE910ELNS1_3gpuE8ELNS1_3repE0EEENS1_36merge_oddeven_config_static_selectorELNS0_4arch9wavefront6targetE0EEEvSL_ ; -- Begin function _ZN7rocprim17ROCPRIM_400000_NS6detail17trampoline_kernelINS0_14default_configENS1_38merge_sort_block_merge_config_selectorIiNS0_10empty_typeEEEZZNS1_27merge_sort_block_merge_implIS3_N6thrust23THRUST_200600_302600_NS6detail15normal_iteratorINS9_10device_ptrIiEEEEPS5_jNS1_19radix_merge_compareILb1ELb0EiNS0_19identity_decomposerEEEEE10hipError_tT0_T1_T2_jT3_P12ihipStream_tbPNSt15iterator_traitsISK_E10value_typeEPNSQ_ISL_E10value_typeEPSM_NS1_7vsmem_tEENKUlT_SK_SL_SM_E_clISE_PiSF_SF_EESJ_SZ_SK_SL_SM_EUlSZ_E1_NS1_11comp_targetILNS1_3genE4ELNS1_11target_archE910ELNS1_3gpuE8ELNS1_3repE0EEENS1_36merge_oddeven_config_static_selectorELNS0_4arch9wavefront6targetE0EEEvSL_
	.globl	_ZN7rocprim17ROCPRIM_400000_NS6detail17trampoline_kernelINS0_14default_configENS1_38merge_sort_block_merge_config_selectorIiNS0_10empty_typeEEEZZNS1_27merge_sort_block_merge_implIS3_N6thrust23THRUST_200600_302600_NS6detail15normal_iteratorINS9_10device_ptrIiEEEEPS5_jNS1_19radix_merge_compareILb1ELb0EiNS0_19identity_decomposerEEEEE10hipError_tT0_T1_T2_jT3_P12ihipStream_tbPNSt15iterator_traitsISK_E10value_typeEPNSQ_ISL_E10value_typeEPSM_NS1_7vsmem_tEENKUlT_SK_SL_SM_E_clISE_PiSF_SF_EESJ_SZ_SK_SL_SM_EUlSZ_E1_NS1_11comp_targetILNS1_3genE4ELNS1_11target_archE910ELNS1_3gpuE8ELNS1_3repE0EEENS1_36merge_oddeven_config_static_selectorELNS0_4arch9wavefront6targetE0EEEvSL_
	.p2align	8
	.type	_ZN7rocprim17ROCPRIM_400000_NS6detail17trampoline_kernelINS0_14default_configENS1_38merge_sort_block_merge_config_selectorIiNS0_10empty_typeEEEZZNS1_27merge_sort_block_merge_implIS3_N6thrust23THRUST_200600_302600_NS6detail15normal_iteratorINS9_10device_ptrIiEEEEPS5_jNS1_19radix_merge_compareILb1ELb0EiNS0_19identity_decomposerEEEEE10hipError_tT0_T1_T2_jT3_P12ihipStream_tbPNSt15iterator_traitsISK_E10value_typeEPNSQ_ISL_E10value_typeEPSM_NS1_7vsmem_tEENKUlT_SK_SL_SM_E_clISE_PiSF_SF_EESJ_SZ_SK_SL_SM_EUlSZ_E1_NS1_11comp_targetILNS1_3genE4ELNS1_11target_archE910ELNS1_3gpuE8ELNS1_3repE0EEENS1_36merge_oddeven_config_static_selectorELNS0_4arch9wavefront6targetE0EEEvSL_,@function
_ZN7rocprim17ROCPRIM_400000_NS6detail17trampoline_kernelINS0_14default_configENS1_38merge_sort_block_merge_config_selectorIiNS0_10empty_typeEEEZZNS1_27merge_sort_block_merge_implIS3_N6thrust23THRUST_200600_302600_NS6detail15normal_iteratorINS9_10device_ptrIiEEEEPS5_jNS1_19radix_merge_compareILb1ELb0EiNS0_19identity_decomposerEEEEE10hipError_tT0_T1_T2_jT3_P12ihipStream_tbPNSt15iterator_traitsISK_E10value_typeEPNSQ_ISL_E10value_typeEPSM_NS1_7vsmem_tEENKUlT_SK_SL_SM_E_clISE_PiSF_SF_EESJ_SZ_SK_SL_SM_EUlSZ_E1_NS1_11comp_targetILNS1_3genE4ELNS1_11target_archE910ELNS1_3gpuE8ELNS1_3repE0EEENS1_36merge_oddeven_config_static_selectorELNS0_4arch9wavefront6targetE0EEEvSL_: ; @_ZN7rocprim17ROCPRIM_400000_NS6detail17trampoline_kernelINS0_14default_configENS1_38merge_sort_block_merge_config_selectorIiNS0_10empty_typeEEEZZNS1_27merge_sort_block_merge_implIS3_N6thrust23THRUST_200600_302600_NS6detail15normal_iteratorINS9_10device_ptrIiEEEEPS5_jNS1_19radix_merge_compareILb1ELb0EiNS0_19identity_decomposerEEEEE10hipError_tT0_T1_T2_jT3_P12ihipStream_tbPNSt15iterator_traitsISK_E10value_typeEPNSQ_ISL_E10value_typeEPSM_NS1_7vsmem_tEENKUlT_SK_SL_SM_E_clISE_PiSF_SF_EESJ_SZ_SK_SL_SM_EUlSZ_E1_NS1_11comp_targetILNS1_3genE4ELNS1_11target_archE910ELNS1_3gpuE8ELNS1_3repE0EEENS1_36merge_oddeven_config_static_selectorELNS0_4arch9wavefront6targetE0EEEvSL_
; %bb.0:
	.section	.rodata,"a",@progbits
	.p2align	6, 0x0
	.amdhsa_kernel _ZN7rocprim17ROCPRIM_400000_NS6detail17trampoline_kernelINS0_14default_configENS1_38merge_sort_block_merge_config_selectorIiNS0_10empty_typeEEEZZNS1_27merge_sort_block_merge_implIS3_N6thrust23THRUST_200600_302600_NS6detail15normal_iteratorINS9_10device_ptrIiEEEEPS5_jNS1_19radix_merge_compareILb1ELb0EiNS0_19identity_decomposerEEEEE10hipError_tT0_T1_T2_jT3_P12ihipStream_tbPNSt15iterator_traitsISK_E10value_typeEPNSQ_ISL_E10value_typeEPSM_NS1_7vsmem_tEENKUlT_SK_SL_SM_E_clISE_PiSF_SF_EESJ_SZ_SK_SL_SM_EUlSZ_E1_NS1_11comp_targetILNS1_3genE4ELNS1_11target_archE910ELNS1_3gpuE8ELNS1_3repE0EEENS1_36merge_oddeven_config_static_selectorELNS0_4arch9wavefront6targetE0EEEvSL_
		.amdhsa_group_segment_fixed_size 0
		.amdhsa_private_segment_fixed_size 0
		.amdhsa_kernarg_size 48
		.amdhsa_user_sgpr_count 6
		.amdhsa_user_sgpr_private_segment_buffer 1
		.amdhsa_user_sgpr_dispatch_ptr 0
		.amdhsa_user_sgpr_queue_ptr 0
		.amdhsa_user_sgpr_kernarg_segment_ptr 1
		.amdhsa_user_sgpr_dispatch_id 0
		.amdhsa_user_sgpr_flat_scratch_init 0
		.amdhsa_user_sgpr_private_segment_size 0
		.amdhsa_wavefront_size32 1
		.amdhsa_uses_dynamic_stack 0
		.amdhsa_system_sgpr_private_segment_wavefront_offset 0
		.amdhsa_system_sgpr_workgroup_id_x 1
		.amdhsa_system_sgpr_workgroup_id_y 0
		.amdhsa_system_sgpr_workgroup_id_z 0
		.amdhsa_system_sgpr_workgroup_info 0
		.amdhsa_system_vgpr_workitem_id 0
		.amdhsa_next_free_vgpr 1
		.amdhsa_next_free_sgpr 1
		.amdhsa_reserve_vcc 0
		.amdhsa_reserve_flat_scratch 0
		.amdhsa_float_round_mode_32 0
		.amdhsa_float_round_mode_16_64 0
		.amdhsa_float_denorm_mode_32 3
		.amdhsa_float_denorm_mode_16_64 3
		.amdhsa_dx10_clamp 1
		.amdhsa_ieee_mode 1
		.amdhsa_fp16_overflow 0
		.amdhsa_workgroup_processor_mode 1
		.amdhsa_memory_ordered 1
		.amdhsa_forward_progress 1
		.amdhsa_shared_vgpr_count 0
		.amdhsa_exception_fp_ieee_invalid_op 0
		.amdhsa_exception_fp_denorm_src 0
		.amdhsa_exception_fp_ieee_div_zero 0
		.amdhsa_exception_fp_ieee_overflow 0
		.amdhsa_exception_fp_ieee_underflow 0
		.amdhsa_exception_fp_ieee_inexact 0
		.amdhsa_exception_int_div_zero 0
	.end_amdhsa_kernel
	.section	.text._ZN7rocprim17ROCPRIM_400000_NS6detail17trampoline_kernelINS0_14default_configENS1_38merge_sort_block_merge_config_selectorIiNS0_10empty_typeEEEZZNS1_27merge_sort_block_merge_implIS3_N6thrust23THRUST_200600_302600_NS6detail15normal_iteratorINS9_10device_ptrIiEEEEPS5_jNS1_19radix_merge_compareILb1ELb0EiNS0_19identity_decomposerEEEEE10hipError_tT0_T1_T2_jT3_P12ihipStream_tbPNSt15iterator_traitsISK_E10value_typeEPNSQ_ISL_E10value_typeEPSM_NS1_7vsmem_tEENKUlT_SK_SL_SM_E_clISE_PiSF_SF_EESJ_SZ_SK_SL_SM_EUlSZ_E1_NS1_11comp_targetILNS1_3genE4ELNS1_11target_archE910ELNS1_3gpuE8ELNS1_3repE0EEENS1_36merge_oddeven_config_static_selectorELNS0_4arch9wavefront6targetE0EEEvSL_,"axG",@progbits,_ZN7rocprim17ROCPRIM_400000_NS6detail17trampoline_kernelINS0_14default_configENS1_38merge_sort_block_merge_config_selectorIiNS0_10empty_typeEEEZZNS1_27merge_sort_block_merge_implIS3_N6thrust23THRUST_200600_302600_NS6detail15normal_iteratorINS9_10device_ptrIiEEEEPS5_jNS1_19radix_merge_compareILb1ELb0EiNS0_19identity_decomposerEEEEE10hipError_tT0_T1_T2_jT3_P12ihipStream_tbPNSt15iterator_traitsISK_E10value_typeEPNSQ_ISL_E10value_typeEPSM_NS1_7vsmem_tEENKUlT_SK_SL_SM_E_clISE_PiSF_SF_EESJ_SZ_SK_SL_SM_EUlSZ_E1_NS1_11comp_targetILNS1_3genE4ELNS1_11target_archE910ELNS1_3gpuE8ELNS1_3repE0EEENS1_36merge_oddeven_config_static_selectorELNS0_4arch9wavefront6targetE0EEEvSL_,comdat
.Lfunc_end265:
	.size	_ZN7rocprim17ROCPRIM_400000_NS6detail17trampoline_kernelINS0_14default_configENS1_38merge_sort_block_merge_config_selectorIiNS0_10empty_typeEEEZZNS1_27merge_sort_block_merge_implIS3_N6thrust23THRUST_200600_302600_NS6detail15normal_iteratorINS9_10device_ptrIiEEEEPS5_jNS1_19radix_merge_compareILb1ELb0EiNS0_19identity_decomposerEEEEE10hipError_tT0_T1_T2_jT3_P12ihipStream_tbPNSt15iterator_traitsISK_E10value_typeEPNSQ_ISL_E10value_typeEPSM_NS1_7vsmem_tEENKUlT_SK_SL_SM_E_clISE_PiSF_SF_EESJ_SZ_SK_SL_SM_EUlSZ_E1_NS1_11comp_targetILNS1_3genE4ELNS1_11target_archE910ELNS1_3gpuE8ELNS1_3repE0EEENS1_36merge_oddeven_config_static_selectorELNS0_4arch9wavefront6targetE0EEEvSL_, .Lfunc_end265-_ZN7rocprim17ROCPRIM_400000_NS6detail17trampoline_kernelINS0_14default_configENS1_38merge_sort_block_merge_config_selectorIiNS0_10empty_typeEEEZZNS1_27merge_sort_block_merge_implIS3_N6thrust23THRUST_200600_302600_NS6detail15normal_iteratorINS9_10device_ptrIiEEEEPS5_jNS1_19radix_merge_compareILb1ELb0EiNS0_19identity_decomposerEEEEE10hipError_tT0_T1_T2_jT3_P12ihipStream_tbPNSt15iterator_traitsISK_E10value_typeEPNSQ_ISL_E10value_typeEPSM_NS1_7vsmem_tEENKUlT_SK_SL_SM_E_clISE_PiSF_SF_EESJ_SZ_SK_SL_SM_EUlSZ_E1_NS1_11comp_targetILNS1_3genE4ELNS1_11target_archE910ELNS1_3gpuE8ELNS1_3repE0EEENS1_36merge_oddeven_config_static_selectorELNS0_4arch9wavefront6targetE0EEEvSL_
                                        ; -- End function
	.set _ZN7rocprim17ROCPRIM_400000_NS6detail17trampoline_kernelINS0_14default_configENS1_38merge_sort_block_merge_config_selectorIiNS0_10empty_typeEEEZZNS1_27merge_sort_block_merge_implIS3_N6thrust23THRUST_200600_302600_NS6detail15normal_iteratorINS9_10device_ptrIiEEEEPS5_jNS1_19radix_merge_compareILb1ELb0EiNS0_19identity_decomposerEEEEE10hipError_tT0_T1_T2_jT3_P12ihipStream_tbPNSt15iterator_traitsISK_E10value_typeEPNSQ_ISL_E10value_typeEPSM_NS1_7vsmem_tEENKUlT_SK_SL_SM_E_clISE_PiSF_SF_EESJ_SZ_SK_SL_SM_EUlSZ_E1_NS1_11comp_targetILNS1_3genE4ELNS1_11target_archE910ELNS1_3gpuE8ELNS1_3repE0EEENS1_36merge_oddeven_config_static_selectorELNS0_4arch9wavefront6targetE0EEEvSL_.num_vgpr, 0
	.set _ZN7rocprim17ROCPRIM_400000_NS6detail17trampoline_kernelINS0_14default_configENS1_38merge_sort_block_merge_config_selectorIiNS0_10empty_typeEEEZZNS1_27merge_sort_block_merge_implIS3_N6thrust23THRUST_200600_302600_NS6detail15normal_iteratorINS9_10device_ptrIiEEEEPS5_jNS1_19radix_merge_compareILb1ELb0EiNS0_19identity_decomposerEEEEE10hipError_tT0_T1_T2_jT3_P12ihipStream_tbPNSt15iterator_traitsISK_E10value_typeEPNSQ_ISL_E10value_typeEPSM_NS1_7vsmem_tEENKUlT_SK_SL_SM_E_clISE_PiSF_SF_EESJ_SZ_SK_SL_SM_EUlSZ_E1_NS1_11comp_targetILNS1_3genE4ELNS1_11target_archE910ELNS1_3gpuE8ELNS1_3repE0EEENS1_36merge_oddeven_config_static_selectorELNS0_4arch9wavefront6targetE0EEEvSL_.num_agpr, 0
	.set _ZN7rocprim17ROCPRIM_400000_NS6detail17trampoline_kernelINS0_14default_configENS1_38merge_sort_block_merge_config_selectorIiNS0_10empty_typeEEEZZNS1_27merge_sort_block_merge_implIS3_N6thrust23THRUST_200600_302600_NS6detail15normal_iteratorINS9_10device_ptrIiEEEEPS5_jNS1_19radix_merge_compareILb1ELb0EiNS0_19identity_decomposerEEEEE10hipError_tT0_T1_T2_jT3_P12ihipStream_tbPNSt15iterator_traitsISK_E10value_typeEPNSQ_ISL_E10value_typeEPSM_NS1_7vsmem_tEENKUlT_SK_SL_SM_E_clISE_PiSF_SF_EESJ_SZ_SK_SL_SM_EUlSZ_E1_NS1_11comp_targetILNS1_3genE4ELNS1_11target_archE910ELNS1_3gpuE8ELNS1_3repE0EEENS1_36merge_oddeven_config_static_selectorELNS0_4arch9wavefront6targetE0EEEvSL_.numbered_sgpr, 0
	.set _ZN7rocprim17ROCPRIM_400000_NS6detail17trampoline_kernelINS0_14default_configENS1_38merge_sort_block_merge_config_selectorIiNS0_10empty_typeEEEZZNS1_27merge_sort_block_merge_implIS3_N6thrust23THRUST_200600_302600_NS6detail15normal_iteratorINS9_10device_ptrIiEEEEPS5_jNS1_19radix_merge_compareILb1ELb0EiNS0_19identity_decomposerEEEEE10hipError_tT0_T1_T2_jT3_P12ihipStream_tbPNSt15iterator_traitsISK_E10value_typeEPNSQ_ISL_E10value_typeEPSM_NS1_7vsmem_tEENKUlT_SK_SL_SM_E_clISE_PiSF_SF_EESJ_SZ_SK_SL_SM_EUlSZ_E1_NS1_11comp_targetILNS1_3genE4ELNS1_11target_archE910ELNS1_3gpuE8ELNS1_3repE0EEENS1_36merge_oddeven_config_static_selectorELNS0_4arch9wavefront6targetE0EEEvSL_.num_named_barrier, 0
	.set _ZN7rocprim17ROCPRIM_400000_NS6detail17trampoline_kernelINS0_14default_configENS1_38merge_sort_block_merge_config_selectorIiNS0_10empty_typeEEEZZNS1_27merge_sort_block_merge_implIS3_N6thrust23THRUST_200600_302600_NS6detail15normal_iteratorINS9_10device_ptrIiEEEEPS5_jNS1_19radix_merge_compareILb1ELb0EiNS0_19identity_decomposerEEEEE10hipError_tT0_T1_T2_jT3_P12ihipStream_tbPNSt15iterator_traitsISK_E10value_typeEPNSQ_ISL_E10value_typeEPSM_NS1_7vsmem_tEENKUlT_SK_SL_SM_E_clISE_PiSF_SF_EESJ_SZ_SK_SL_SM_EUlSZ_E1_NS1_11comp_targetILNS1_3genE4ELNS1_11target_archE910ELNS1_3gpuE8ELNS1_3repE0EEENS1_36merge_oddeven_config_static_selectorELNS0_4arch9wavefront6targetE0EEEvSL_.private_seg_size, 0
	.set _ZN7rocprim17ROCPRIM_400000_NS6detail17trampoline_kernelINS0_14default_configENS1_38merge_sort_block_merge_config_selectorIiNS0_10empty_typeEEEZZNS1_27merge_sort_block_merge_implIS3_N6thrust23THRUST_200600_302600_NS6detail15normal_iteratorINS9_10device_ptrIiEEEEPS5_jNS1_19radix_merge_compareILb1ELb0EiNS0_19identity_decomposerEEEEE10hipError_tT0_T1_T2_jT3_P12ihipStream_tbPNSt15iterator_traitsISK_E10value_typeEPNSQ_ISL_E10value_typeEPSM_NS1_7vsmem_tEENKUlT_SK_SL_SM_E_clISE_PiSF_SF_EESJ_SZ_SK_SL_SM_EUlSZ_E1_NS1_11comp_targetILNS1_3genE4ELNS1_11target_archE910ELNS1_3gpuE8ELNS1_3repE0EEENS1_36merge_oddeven_config_static_selectorELNS0_4arch9wavefront6targetE0EEEvSL_.uses_vcc, 0
	.set _ZN7rocprim17ROCPRIM_400000_NS6detail17trampoline_kernelINS0_14default_configENS1_38merge_sort_block_merge_config_selectorIiNS0_10empty_typeEEEZZNS1_27merge_sort_block_merge_implIS3_N6thrust23THRUST_200600_302600_NS6detail15normal_iteratorINS9_10device_ptrIiEEEEPS5_jNS1_19radix_merge_compareILb1ELb0EiNS0_19identity_decomposerEEEEE10hipError_tT0_T1_T2_jT3_P12ihipStream_tbPNSt15iterator_traitsISK_E10value_typeEPNSQ_ISL_E10value_typeEPSM_NS1_7vsmem_tEENKUlT_SK_SL_SM_E_clISE_PiSF_SF_EESJ_SZ_SK_SL_SM_EUlSZ_E1_NS1_11comp_targetILNS1_3genE4ELNS1_11target_archE910ELNS1_3gpuE8ELNS1_3repE0EEENS1_36merge_oddeven_config_static_selectorELNS0_4arch9wavefront6targetE0EEEvSL_.uses_flat_scratch, 0
	.set _ZN7rocprim17ROCPRIM_400000_NS6detail17trampoline_kernelINS0_14default_configENS1_38merge_sort_block_merge_config_selectorIiNS0_10empty_typeEEEZZNS1_27merge_sort_block_merge_implIS3_N6thrust23THRUST_200600_302600_NS6detail15normal_iteratorINS9_10device_ptrIiEEEEPS5_jNS1_19radix_merge_compareILb1ELb0EiNS0_19identity_decomposerEEEEE10hipError_tT0_T1_T2_jT3_P12ihipStream_tbPNSt15iterator_traitsISK_E10value_typeEPNSQ_ISL_E10value_typeEPSM_NS1_7vsmem_tEENKUlT_SK_SL_SM_E_clISE_PiSF_SF_EESJ_SZ_SK_SL_SM_EUlSZ_E1_NS1_11comp_targetILNS1_3genE4ELNS1_11target_archE910ELNS1_3gpuE8ELNS1_3repE0EEENS1_36merge_oddeven_config_static_selectorELNS0_4arch9wavefront6targetE0EEEvSL_.has_dyn_sized_stack, 0
	.set _ZN7rocprim17ROCPRIM_400000_NS6detail17trampoline_kernelINS0_14default_configENS1_38merge_sort_block_merge_config_selectorIiNS0_10empty_typeEEEZZNS1_27merge_sort_block_merge_implIS3_N6thrust23THRUST_200600_302600_NS6detail15normal_iteratorINS9_10device_ptrIiEEEEPS5_jNS1_19radix_merge_compareILb1ELb0EiNS0_19identity_decomposerEEEEE10hipError_tT0_T1_T2_jT3_P12ihipStream_tbPNSt15iterator_traitsISK_E10value_typeEPNSQ_ISL_E10value_typeEPSM_NS1_7vsmem_tEENKUlT_SK_SL_SM_E_clISE_PiSF_SF_EESJ_SZ_SK_SL_SM_EUlSZ_E1_NS1_11comp_targetILNS1_3genE4ELNS1_11target_archE910ELNS1_3gpuE8ELNS1_3repE0EEENS1_36merge_oddeven_config_static_selectorELNS0_4arch9wavefront6targetE0EEEvSL_.has_recursion, 0
	.set _ZN7rocprim17ROCPRIM_400000_NS6detail17trampoline_kernelINS0_14default_configENS1_38merge_sort_block_merge_config_selectorIiNS0_10empty_typeEEEZZNS1_27merge_sort_block_merge_implIS3_N6thrust23THRUST_200600_302600_NS6detail15normal_iteratorINS9_10device_ptrIiEEEEPS5_jNS1_19radix_merge_compareILb1ELb0EiNS0_19identity_decomposerEEEEE10hipError_tT0_T1_T2_jT3_P12ihipStream_tbPNSt15iterator_traitsISK_E10value_typeEPNSQ_ISL_E10value_typeEPSM_NS1_7vsmem_tEENKUlT_SK_SL_SM_E_clISE_PiSF_SF_EESJ_SZ_SK_SL_SM_EUlSZ_E1_NS1_11comp_targetILNS1_3genE4ELNS1_11target_archE910ELNS1_3gpuE8ELNS1_3repE0EEENS1_36merge_oddeven_config_static_selectorELNS0_4arch9wavefront6targetE0EEEvSL_.has_indirect_call, 0
	.section	.AMDGPU.csdata,"",@progbits
; Kernel info:
; codeLenInByte = 0
; TotalNumSgprs: 0
; NumVgprs: 0
; ScratchSize: 0
; MemoryBound: 0
; FloatMode: 240
; IeeeMode: 1
; LDSByteSize: 0 bytes/workgroup (compile time only)
; SGPRBlocks: 0
; VGPRBlocks: 0
; NumSGPRsForWavesPerEU: 1
; NumVGPRsForWavesPerEU: 1
; Occupancy: 16
; WaveLimiterHint : 0
; COMPUTE_PGM_RSRC2:SCRATCH_EN: 0
; COMPUTE_PGM_RSRC2:USER_SGPR: 6
; COMPUTE_PGM_RSRC2:TRAP_HANDLER: 0
; COMPUTE_PGM_RSRC2:TGID_X_EN: 1
; COMPUTE_PGM_RSRC2:TGID_Y_EN: 0
; COMPUTE_PGM_RSRC2:TGID_Z_EN: 0
; COMPUTE_PGM_RSRC2:TIDIG_COMP_CNT: 0
	.section	.text._ZN7rocprim17ROCPRIM_400000_NS6detail17trampoline_kernelINS0_14default_configENS1_38merge_sort_block_merge_config_selectorIiNS0_10empty_typeEEEZZNS1_27merge_sort_block_merge_implIS3_N6thrust23THRUST_200600_302600_NS6detail15normal_iteratorINS9_10device_ptrIiEEEEPS5_jNS1_19radix_merge_compareILb1ELb0EiNS0_19identity_decomposerEEEEE10hipError_tT0_T1_T2_jT3_P12ihipStream_tbPNSt15iterator_traitsISK_E10value_typeEPNSQ_ISL_E10value_typeEPSM_NS1_7vsmem_tEENKUlT_SK_SL_SM_E_clISE_PiSF_SF_EESJ_SZ_SK_SL_SM_EUlSZ_E1_NS1_11comp_targetILNS1_3genE3ELNS1_11target_archE908ELNS1_3gpuE7ELNS1_3repE0EEENS1_36merge_oddeven_config_static_selectorELNS0_4arch9wavefront6targetE0EEEvSL_,"axG",@progbits,_ZN7rocprim17ROCPRIM_400000_NS6detail17trampoline_kernelINS0_14default_configENS1_38merge_sort_block_merge_config_selectorIiNS0_10empty_typeEEEZZNS1_27merge_sort_block_merge_implIS3_N6thrust23THRUST_200600_302600_NS6detail15normal_iteratorINS9_10device_ptrIiEEEEPS5_jNS1_19radix_merge_compareILb1ELb0EiNS0_19identity_decomposerEEEEE10hipError_tT0_T1_T2_jT3_P12ihipStream_tbPNSt15iterator_traitsISK_E10value_typeEPNSQ_ISL_E10value_typeEPSM_NS1_7vsmem_tEENKUlT_SK_SL_SM_E_clISE_PiSF_SF_EESJ_SZ_SK_SL_SM_EUlSZ_E1_NS1_11comp_targetILNS1_3genE3ELNS1_11target_archE908ELNS1_3gpuE7ELNS1_3repE0EEENS1_36merge_oddeven_config_static_selectorELNS0_4arch9wavefront6targetE0EEEvSL_,comdat
	.protected	_ZN7rocprim17ROCPRIM_400000_NS6detail17trampoline_kernelINS0_14default_configENS1_38merge_sort_block_merge_config_selectorIiNS0_10empty_typeEEEZZNS1_27merge_sort_block_merge_implIS3_N6thrust23THRUST_200600_302600_NS6detail15normal_iteratorINS9_10device_ptrIiEEEEPS5_jNS1_19radix_merge_compareILb1ELb0EiNS0_19identity_decomposerEEEEE10hipError_tT0_T1_T2_jT3_P12ihipStream_tbPNSt15iterator_traitsISK_E10value_typeEPNSQ_ISL_E10value_typeEPSM_NS1_7vsmem_tEENKUlT_SK_SL_SM_E_clISE_PiSF_SF_EESJ_SZ_SK_SL_SM_EUlSZ_E1_NS1_11comp_targetILNS1_3genE3ELNS1_11target_archE908ELNS1_3gpuE7ELNS1_3repE0EEENS1_36merge_oddeven_config_static_selectorELNS0_4arch9wavefront6targetE0EEEvSL_ ; -- Begin function _ZN7rocprim17ROCPRIM_400000_NS6detail17trampoline_kernelINS0_14default_configENS1_38merge_sort_block_merge_config_selectorIiNS0_10empty_typeEEEZZNS1_27merge_sort_block_merge_implIS3_N6thrust23THRUST_200600_302600_NS6detail15normal_iteratorINS9_10device_ptrIiEEEEPS5_jNS1_19radix_merge_compareILb1ELb0EiNS0_19identity_decomposerEEEEE10hipError_tT0_T1_T2_jT3_P12ihipStream_tbPNSt15iterator_traitsISK_E10value_typeEPNSQ_ISL_E10value_typeEPSM_NS1_7vsmem_tEENKUlT_SK_SL_SM_E_clISE_PiSF_SF_EESJ_SZ_SK_SL_SM_EUlSZ_E1_NS1_11comp_targetILNS1_3genE3ELNS1_11target_archE908ELNS1_3gpuE7ELNS1_3repE0EEENS1_36merge_oddeven_config_static_selectorELNS0_4arch9wavefront6targetE0EEEvSL_
	.globl	_ZN7rocprim17ROCPRIM_400000_NS6detail17trampoline_kernelINS0_14default_configENS1_38merge_sort_block_merge_config_selectorIiNS0_10empty_typeEEEZZNS1_27merge_sort_block_merge_implIS3_N6thrust23THRUST_200600_302600_NS6detail15normal_iteratorINS9_10device_ptrIiEEEEPS5_jNS1_19radix_merge_compareILb1ELb0EiNS0_19identity_decomposerEEEEE10hipError_tT0_T1_T2_jT3_P12ihipStream_tbPNSt15iterator_traitsISK_E10value_typeEPNSQ_ISL_E10value_typeEPSM_NS1_7vsmem_tEENKUlT_SK_SL_SM_E_clISE_PiSF_SF_EESJ_SZ_SK_SL_SM_EUlSZ_E1_NS1_11comp_targetILNS1_3genE3ELNS1_11target_archE908ELNS1_3gpuE7ELNS1_3repE0EEENS1_36merge_oddeven_config_static_selectorELNS0_4arch9wavefront6targetE0EEEvSL_
	.p2align	8
	.type	_ZN7rocprim17ROCPRIM_400000_NS6detail17trampoline_kernelINS0_14default_configENS1_38merge_sort_block_merge_config_selectorIiNS0_10empty_typeEEEZZNS1_27merge_sort_block_merge_implIS3_N6thrust23THRUST_200600_302600_NS6detail15normal_iteratorINS9_10device_ptrIiEEEEPS5_jNS1_19radix_merge_compareILb1ELb0EiNS0_19identity_decomposerEEEEE10hipError_tT0_T1_T2_jT3_P12ihipStream_tbPNSt15iterator_traitsISK_E10value_typeEPNSQ_ISL_E10value_typeEPSM_NS1_7vsmem_tEENKUlT_SK_SL_SM_E_clISE_PiSF_SF_EESJ_SZ_SK_SL_SM_EUlSZ_E1_NS1_11comp_targetILNS1_3genE3ELNS1_11target_archE908ELNS1_3gpuE7ELNS1_3repE0EEENS1_36merge_oddeven_config_static_selectorELNS0_4arch9wavefront6targetE0EEEvSL_,@function
_ZN7rocprim17ROCPRIM_400000_NS6detail17trampoline_kernelINS0_14default_configENS1_38merge_sort_block_merge_config_selectorIiNS0_10empty_typeEEEZZNS1_27merge_sort_block_merge_implIS3_N6thrust23THRUST_200600_302600_NS6detail15normal_iteratorINS9_10device_ptrIiEEEEPS5_jNS1_19radix_merge_compareILb1ELb0EiNS0_19identity_decomposerEEEEE10hipError_tT0_T1_T2_jT3_P12ihipStream_tbPNSt15iterator_traitsISK_E10value_typeEPNSQ_ISL_E10value_typeEPSM_NS1_7vsmem_tEENKUlT_SK_SL_SM_E_clISE_PiSF_SF_EESJ_SZ_SK_SL_SM_EUlSZ_E1_NS1_11comp_targetILNS1_3genE3ELNS1_11target_archE908ELNS1_3gpuE7ELNS1_3repE0EEENS1_36merge_oddeven_config_static_selectorELNS0_4arch9wavefront6targetE0EEEvSL_: ; @_ZN7rocprim17ROCPRIM_400000_NS6detail17trampoline_kernelINS0_14default_configENS1_38merge_sort_block_merge_config_selectorIiNS0_10empty_typeEEEZZNS1_27merge_sort_block_merge_implIS3_N6thrust23THRUST_200600_302600_NS6detail15normal_iteratorINS9_10device_ptrIiEEEEPS5_jNS1_19radix_merge_compareILb1ELb0EiNS0_19identity_decomposerEEEEE10hipError_tT0_T1_T2_jT3_P12ihipStream_tbPNSt15iterator_traitsISK_E10value_typeEPNSQ_ISL_E10value_typeEPSM_NS1_7vsmem_tEENKUlT_SK_SL_SM_E_clISE_PiSF_SF_EESJ_SZ_SK_SL_SM_EUlSZ_E1_NS1_11comp_targetILNS1_3genE3ELNS1_11target_archE908ELNS1_3gpuE7ELNS1_3repE0EEENS1_36merge_oddeven_config_static_selectorELNS0_4arch9wavefront6targetE0EEEvSL_
; %bb.0:
	.section	.rodata,"a",@progbits
	.p2align	6, 0x0
	.amdhsa_kernel _ZN7rocprim17ROCPRIM_400000_NS6detail17trampoline_kernelINS0_14default_configENS1_38merge_sort_block_merge_config_selectorIiNS0_10empty_typeEEEZZNS1_27merge_sort_block_merge_implIS3_N6thrust23THRUST_200600_302600_NS6detail15normal_iteratorINS9_10device_ptrIiEEEEPS5_jNS1_19radix_merge_compareILb1ELb0EiNS0_19identity_decomposerEEEEE10hipError_tT0_T1_T2_jT3_P12ihipStream_tbPNSt15iterator_traitsISK_E10value_typeEPNSQ_ISL_E10value_typeEPSM_NS1_7vsmem_tEENKUlT_SK_SL_SM_E_clISE_PiSF_SF_EESJ_SZ_SK_SL_SM_EUlSZ_E1_NS1_11comp_targetILNS1_3genE3ELNS1_11target_archE908ELNS1_3gpuE7ELNS1_3repE0EEENS1_36merge_oddeven_config_static_selectorELNS0_4arch9wavefront6targetE0EEEvSL_
		.amdhsa_group_segment_fixed_size 0
		.amdhsa_private_segment_fixed_size 0
		.amdhsa_kernarg_size 48
		.amdhsa_user_sgpr_count 6
		.amdhsa_user_sgpr_private_segment_buffer 1
		.amdhsa_user_sgpr_dispatch_ptr 0
		.amdhsa_user_sgpr_queue_ptr 0
		.amdhsa_user_sgpr_kernarg_segment_ptr 1
		.amdhsa_user_sgpr_dispatch_id 0
		.amdhsa_user_sgpr_flat_scratch_init 0
		.amdhsa_user_sgpr_private_segment_size 0
		.amdhsa_wavefront_size32 1
		.amdhsa_uses_dynamic_stack 0
		.amdhsa_system_sgpr_private_segment_wavefront_offset 0
		.amdhsa_system_sgpr_workgroup_id_x 1
		.amdhsa_system_sgpr_workgroup_id_y 0
		.amdhsa_system_sgpr_workgroup_id_z 0
		.amdhsa_system_sgpr_workgroup_info 0
		.amdhsa_system_vgpr_workitem_id 0
		.amdhsa_next_free_vgpr 1
		.amdhsa_next_free_sgpr 1
		.amdhsa_reserve_vcc 0
		.amdhsa_reserve_flat_scratch 0
		.amdhsa_float_round_mode_32 0
		.amdhsa_float_round_mode_16_64 0
		.amdhsa_float_denorm_mode_32 3
		.amdhsa_float_denorm_mode_16_64 3
		.amdhsa_dx10_clamp 1
		.amdhsa_ieee_mode 1
		.amdhsa_fp16_overflow 0
		.amdhsa_workgroup_processor_mode 1
		.amdhsa_memory_ordered 1
		.amdhsa_forward_progress 1
		.amdhsa_shared_vgpr_count 0
		.amdhsa_exception_fp_ieee_invalid_op 0
		.amdhsa_exception_fp_denorm_src 0
		.amdhsa_exception_fp_ieee_div_zero 0
		.amdhsa_exception_fp_ieee_overflow 0
		.amdhsa_exception_fp_ieee_underflow 0
		.amdhsa_exception_fp_ieee_inexact 0
		.amdhsa_exception_int_div_zero 0
	.end_amdhsa_kernel
	.section	.text._ZN7rocprim17ROCPRIM_400000_NS6detail17trampoline_kernelINS0_14default_configENS1_38merge_sort_block_merge_config_selectorIiNS0_10empty_typeEEEZZNS1_27merge_sort_block_merge_implIS3_N6thrust23THRUST_200600_302600_NS6detail15normal_iteratorINS9_10device_ptrIiEEEEPS5_jNS1_19radix_merge_compareILb1ELb0EiNS0_19identity_decomposerEEEEE10hipError_tT0_T1_T2_jT3_P12ihipStream_tbPNSt15iterator_traitsISK_E10value_typeEPNSQ_ISL_E10value_typeEPSM_NS1_7vsmem_tEENKUlT_SK_SL_SM_E_clISE_PiSF_SF_EESJ_SZ_SK_SL_SM_EUlSZ_E1_NS1_11comp_targetILNS1_3genE3ELNS1_11target_archE908ELNS1_3gpuE7ELNS1_3repE0EEENS1_36merge_oddeven_config_static_selectorELNS0_4arch9wavefront6targetE0EEEvSL_,"axG",@progbits,_ZN7rocprim17ROCPRIM_400000_NS6detail17trampoline_kernelINS0_14default_configENS1_38merge_sort_block_merge_config_selectorIiNS0_10empty_typeEEEZZNS1_27merge_sort_block_merge_implIS3_N6thrust23THRUST_200600_302600_NS6detail15normal_iteratorINS9_10device_ptrIiEEEEPS5_jNS1_19radix_merge_compareILb1ELb0EiNS0_19identity_decomposerEEEEE10hipError_tT0_T1_T2_jT3_P12ihipStream_tbPNSt15iterator_traitsISK_E10value_typeEPNSQ_ISL_E10value_typeEPSM_NS1_7vsmem_tEENKUlT_SK_SL_SM_E_clISE_PiSF_SF_EESJ_SZ_SK_SL_SM_EUlSZ_E1_NS1_11comp_targetILNS1_3genE3ELNS1_11target_archE908ELNS1_3gpuE7ELNS1_3repE0EEENS1_36merge_oddeven_config_static_selectorELNS0_4arch9wavefront6targetE0EEEvSL_,comdat
.Lfunc_end266:
	.size	_ZN7rocprim17ROCPRIM_400000_NS6detail17trampoline_kernelINS0_14default_configENS1_38merge_sort_block_merge_config_selectorIiNS0_10empty_typeEEEZZNS1_27merge_sort_block_merge_implIS3_N6thrust23THRUST_200600_302600_NS6detail15normal_iteratorINS9_10device_ptrIiEEEEPS5_jNS1_19radix_merge_compareILb1ELb0EiNS0_19identity_decomposerEEEEE10hipError_tT0_T1_T2_jT3_P12ihipStream_tbPNSt15iterator_traitsISK_E10value_typeEPNSQ_ISL_E10value_typeEPSM_NS1_7vsmem_tEENKUlT_SK_SL_SM_E_clISE_PiSF_SF_EESJ_SZ_SK_SL_SM_EUlSZ_E1_NS1_11comp_targetILNS1_3genE3ELNS1_11target_archE908ELNS1_3gpuE7ELNS1_3repE0EEENS1_36merge_oddeven_config_static_selectorELNS0_4arch9wavefront6targetE0EEEvSL_, .Lfunc_end266-_ZN7rocprim17ROCPRIM_400000_NS6detail17trampoline_kernelINS0_14default_configENS1_38merge_sort_block_merge_config_selectorIiNS0_10empty_typeEEEZZNS1_27merge_sort_block_merge_implIS3_N6thrust23THRUST_200600_302600_NS6detail15normal_iteratorINS9_10device_ptrIiEEEEPS5_jNS1_19radix_merge_compareILb1ELb0EiNS0_19identity_decomposerEEEEE10hipError_tT0_T1_T2_jT3_P12ihipStream_tbPNSt15iterator_traitsISK_E10value_typeEPNSQ_ISL_E10value_typeEPSM_NS1_7vsmem_tEENKUlT_SK_SL_SM_E_clISE_PiSF_SF_EESJ_SZ_SK_SL_SM_EUlSZ_E1_NS1_11comp_targetILNS1_3genE3ELNS1_11target_archE908ELNS1_3gpuE7ELNS1_3repE0EEENS1_36merge_oddeven_config_static_selectorELNS0_4arch9wavefront6targetE0EEEvSL_
                                        ; -- End function
	.set _ZN7rocprim17ROCPRIM_400000_NS6detail17trampoline_kernelINS0_14default_configENS1_38merge_sort_block_merge_config_selectorIiNS0_10empty_typeEEEZZNS1_27merge_sort_block_merge_implIS3_N6thrust23THRUST_200600_302600_NS6detail15normal_iteratorINS9_10device_ptrIiEEEEPS5_jNS1_19radix_merge_compareILb1ELb0EiNS0_19identity_decomposerEEEEE10hipError_tT0_T1_T2_jT3_P12ihipStream_tbPNSt15iterator_traitsISK_E10value_typeEPNSQ_ISL_E10value_typeEPSM_NS1_7vsmem_tEENKUlT_SK_SL_SM_E_clISE_PiSF_SF_EESJ_SZ_SK_SL_SM_EUlSZ_E1_NS1_11comp_targetILNS1_3genE3ELNS1_11target_archE908ELNS1_3gpuE7ELNS1_3repE0EEENS1_36merge_oddeven_config_static_selectorELNS0_4arch9wavefront6targetE0EEEvSL_.num_vgpr, 0
	.set _ZN7rocprim17ROCPRIM_400000_NS6detail17trampoline_kernelINS0_14default_configENS1_38merge_sort_block_merge_config_selectorIiNS0_10empty_typeEEEZZNS1_27merge_sort_block_merge_implIS3_N6thrust23THRUST_200600_302600_NS6detail15normal_iteratorINS9_10device_ptrIiEEEEPS5_jNS1_19radix_merge_compareILb1ELb0EiNS0_19identity_decomposerEEEEE10hipError_tT0_T1_T2_jT3_P12ihipStream_tbPNSt15iterator_traitsISK_E10value_typeEPNSQ_ISL_E10value_typeEPSM_NS1_7vsmem_tEENKUlT_SK_SL_SM_E_clISE_PiSF_SF_EESJ_SZ_SK_SL_SM_EUlSZ_E1_NS1_11comp_targetILNS1_3genE3ELNS1_11target_archE908ELNS1_3gpuE7ELNS1_3repE0EEENS1_36merge_oddeven_config_static_selectorELNS0_4arch9wavefront6targetE0EEEvSL_.num_agpr, 0
	.set _ZN7rocprim17ROCPRIM_400000_NS6detail17trampoline_kernelINS0_14default_configENS1_38merge_sort_block_merge_config_selectorIiNS0_10empty_typeEEEZZNS1_27merge_sort_block_merge_implIS3_N6thrust23THRUST_200600_302600_NS6detail15normal_iteratorINS9_10device_ptrIiEEEEPS5_jNS1_19radix_merge_compareILb1ELb0EiNS0_19identity_decomposerEEEEE10hipError_tT0_T1_T2_jT3_P12ihipStream_tbPNSt15iterator_traitsISK_E10value_typeEPNSQ_ISL_E10value_typeEPSM_NS1_7vsmem_tEENKUlT_SK_SL_SM_E_clISE_PiSF_SF_EESJ_SZ_SK_SL_SM_EUlSZ_E1_NS1_11comp_targetILNS1_3genE3ELNS1_11target_archE908ELNS1_3gpuE7ELNS1_3repE0EEENS1_36merge_oddeven_config_static_selectorELNS0_4arch9wavefront6targetE0EEEvSL_.numbered_sgpr, 0
	.set _ZN7rocprim17ROCPRIM_400000_NS6detail17trampoline_kernelINS0_14default_configENS1_38merge_sort_block_merge_config_selectorIiNS0_10empty_typeEEEZZNS1_27merge_sort_block_merge_implIS3_N6thrust23THRUST_200600_302600_NS6detail15normal_iteratorINS9_10device_ptrIiEEEEPS5_jNS1_19radix_merge_compareILb1ELb0EiNS0_19identity_decomposerEEEEE10hipError_tT0_T1_T2_jT3_P12ihipStream_tbPNSt15iterator_traitsISK_E10value_typeEPNSQ_ISL_E10value_typeEPSM_NS1_7vsmem_tEENKUlT_SK_SL_SM_E_clISE_PiSF_SF_EESJ_SZ_SK_SL_SM_EUlSZ_E1_NS1_11comp_targetILNS1_3genE3ELNS1_11target_archE908ELNS1_3gpuE7ELNS1_3repE0EEENS1_36merge_oddeven_config_static_selectorELNS0_4arch9wavefront6targetE0EEEvSL_.num_named_barrier, 0
	.set _ZN7rocprim17ROCPRIM_400000_NS6detail17trampoline_kernelINS0_14default_configENS1_38merge_sort_block_merge_config_selectorIiNS0_10empty_typeEEEZZNS1_27merge_sort_block_merge_implIS3_N6thrust23THRUST_200600_302600_NS6detail15normal_iteratorINS9_10device_ptrIiEEEEPS5_jNS1_19radix_merge_compareILb1ELb0EiNS0_19identity_decomposerEEEEE10hipError_tT0_T1_T2_jT3_P12ihipStream_tbPNSt15iterator_traitsISK_E10value_typeEPNSQ_ISL_E10value_typeEPSM_NS1_7vsmem_tEENKUlT_SK_SL_SM_E_clISE_PiSF_SF_EESJ_SZ_SK_SL_SM_EUlSZ_E1_NS1_11comp_targetILNS1_3genE3ELNS1_11target_archE908ELNS1_3gpuE7ELNS1_3repE0EEENS1_36merge_oddeven_config_static_selectorELNS0_4arch9wavefront6targetE0EEEvSL_.private_seg_size, 0
	.set _ZN7rocprim17ROCPRIM_400000_NS6detail17trampoline_kernelINS0_14default_configENS1_38merge_sort_block_merge_config_selectorIiNS0_10empty_typeEEEZZNS1_27merge_sort_block_merge_implIS3_N6thrust23THRUST_200600_302600_NS6detail15normal_iteratorINS9_10device_ptrIiEEEEPS5_jNS1_19radix_merge_compareILb1ELb0EiNS0_19identity_decomposerEEEEE10hipError_tT0_T1_T2_jT3_P12ihipStream_tbPNSt15iterator_traitsISK_E10value_typeEPNSQ_ISL_E10value_typeEPSM_NS1_7vsmem_tEENKUlT_SK_SL_SM_E_clISE_PiSF_SF_EESJ_SZ_SK_SL_SM_EUlSZ_E1_NS1_11comp_targetILNS1_3genE3ELNS1_11target_archE908ELNS1_3gpuE7ELNS1_3repE0EEENS1_36merge_oddeven_config_static_selectorELNS0_4arch9wavefront6targetE0EEEvSL_.uses_vcc, 0
	.set _ZN7rocprim17ROCPRIM_400000_NS6detail17trampoline_kernelINS0_14default_configENS1_38merge_sort_block_merge_config_selectorIiNS0_10empty_typeEEEZZNS1_27merge_sort_block_merge_implIS3_N6thrust23THRUST_200600_302600_NS6detail15normal_iteratorINS9_10device_ptrIiEEEEPS5_jNS1_19radix_merge_compareILb1ELb0EiNS0_19identity_decomposerEEEEE10hipError_tT0_T1_T2_jT3_P12ihipStream_tbPNSt15iterator_traitsISK_E10value_typeEPNSQ_ISL_E10value_typeEPSM_NS1_7vsmem_tEENKUlT_SK_SL_SM_E_clISE_PiSF_SF_EESJ_SZ_SK_SL_SM_EUlSZ_E1_NS1_11comp_targetILNS1_3genE3ELNS1_11target_archE908ELNS1_3gpuE7ELNS1_3repE0EEENS1_36merge_oddeven_config_static_selectorELNS0_4arch9wavefront6targetE0EEEvSL_.uses_flat_scratch, 0
	.set _ZN7rocprim17ROCPRIM_400000_NS6detail17trampoline_kernelINS0_14default_configENS1_38merge_sort_block_merge_config_selectorIiNS0_10empty_typeEEEZZNS1_27merge_sort_block_merge_implIS3_N6thrust23THRUST_200600_302600_NS6detail15normal_iteratorINS9_10device_ptrIiEEEEPS5_jNS1_19radix_merge_compareILb1ELb0EiNS0_19identity_decomposerEEEEE10hipError_tT0_T1_T2_jT3_P12ihipStream_tbPNSt15iterator_traitsISK_E10value_typeEPNSQ_ISL_E10value_typeEPSM_NS1_7vsmem_tEENKUlT_SK_SL_SM_E_clISE_PiSF_SF_EESJ_SZ_SK_SL_SM_EUlSZ_E1_NS1_11comp_targetILNS1_3genE3ELNS1_11target_archE908ELNS1_3gpuE7ELNS1_3repE0EEENS1_36merge_oddeven_config_static_selectorELNS0_4arch9wavefront6targetE0EEEvSL_.has_dyn_sized_stack, 0
	.set _ZN7rocprim17ROCPRIM_400000_NS6detail17trampoline_kernelINS0_14default_configENS1_38merge_sort_block_merge_config_selectorIiNS0_10empty_typeEEEZZNS1_27merge_sort_block_merge_implIS3_N6thrust23THRUST_200600_302600_NS6detail15normal_iteratorINS9_10device_ptrIiEEEEPS5_jNS1_19radix_merge_compareILb1ELb0EiNS0_19identity_decomposerEEEEE10hipError_tT0_T1_T2_jT3_P12ihipStream_tbPNSt15iterator_traitsISK_E10value_typeEPNSQ_ISL_E10value_typeEPSM_NS1_7vsmem_tEENKUlT_SK_SL_SM_E_clISE_PiSF_SF_EESJ_SZ_SK_SL_SM_EUlSZ_E1_NS1_11comp_targetILNS1_3genE3ELNS1_11target_archE908ELNS1_3gpuE7ELNS1_3repE0EEENS1_36merge_oddeven_config_static_selectorELNS0_4arch9wavefront6targetE0EEEvSL_.has_recursion, 0
	.set _ZN7rocprim17ROCPRIM_400000_NS6detail17trampoline_kernelINS0_14default_configENS1_38merge_sort_block_merge_config_selectorIiNS0_10empty_typeEEEZZNS1_27merge_sort_block_merge_implIS3_N6thrust23THRUST_200600_302600_NS6detail15normal_iteratorINS9_10device_ptrIiEEEEPS5_jNS1_19radix_merge_compareILb1ELb0EiNS0_19identity_decomposerEEEEE10hipError_tT0_T1_T2_jT3_P12ihipStream_tbPNSt15iterator_traitsISK_E10value_typeEPNSQ_ISL_E10value_typeEPSM_NS1_7vsmem_tEENKUlT_SK_SL_SM_E_clISE_PiSF_SF_EESJ_SZ_SK_SL_SM_EUlSZ_E1_NS1_11comp_targetILNS1_3genE3ELNS1_11target_archE908ELNS1_3gpuE7ELNS1_3repE0EEENS1_36merge_oddeven_config_static_selectorELNS0_4arch9wavefront6targetE0EEEvSL_.has_indirect_call, 0
	.section	.AMDGPU.csdata,"",@progbits
; Kernel info:
; codeLenInByte = 0
; TotalNumSgprs: 0
; NumVgprs: 0
; ScratchSize: 0
; MemoryBound: 0
; FloatMode: 240
; IeeeMode: 1
; LDSByteSize: 0 bytes/workgroup (compile time only)
; SGPRBlocks: 0
; VGPRBlocks: 0
; NumSGPRsForWavesPerEU: 1
; NumVGPRsForWavesPerEU: 1
; Occupancy: 16
; WaveLimiterHint : 0
; COMPUTE_PGM_RSRC2:SCRATCH_EN: 0
; COMPUTE_PGM_RSRC2:USER_SGPR: 6
; COMPUTE_PGM_RSRC2:TRAP_HANDLER: 0
; COMPUTE_PGM_RSRC2:TGID_X_EN: 1
; COMPUTE_PGM_RSRC2:TGID_Y_EN: 0
; COMPUTE_PGM_RSRC2:TGID_Z_EN: 0
; COMPUTE_PGM_RSRC2:TIDIG_COMP_CNT: 0
	.section	.text._ZN7rocprim17ROCPRIM_400000_NS6detail17trampoline_kernelINS0_14default_configENS1_38merge_sort_block_merge_config_selectorIiNS0_10empty_typeEEEZZNS1_27merge_sort_block_merge_implIS3_N6thrust23THRUST_200600_302600_NS6detail15normal_iteratorINS9_10device_ptrIiEEEEPS5_jNS1_19radix_merge_compareILb1ELb0EiNS0_19identity_decomposerEEEEE10hipError_tT0_T1_T2_jT3_P12ihipStream_tbPNSt15iterator_traitsISK_E10value_typeEPNSQ_ISL_E10value_typeEPSM_NS1_7vsmem_tEENKUlT_SK_SL_SM_E_clISE_PiSF_SF_EESJ_SZ_SK_SL_SM_EUlSZ_E1_NS1_11comp_targetILNS1_3genE2ELNS1_11target_archE906ELNS1_3gpuE6ELNS1_3repE0EEENS1_36merge_oddeven_config_static_selectorELNS0_4arch9wavefront6targetE0EEEvSL_,"axG",@progbits,_ZN7rocprim17ROCPRIM_400000_NS6detail17trampoline_kernelINS0_14default_configENS1_38merge_sort_block_merge_config_selectorIiNS0_10empty_typeEEEZZNS1_27merge_sort_block_merge_implIS3_N6thrust23THRUST_200600_302600_NS6detail15normal_iteratorINS9_10device_ptrIiEEEEPS5_jNS1_19radix_merge_compareILb1ELb0EiNS0_19identity_decomposerEEEEE10hipError_tT0_T1_T2_jT3_P12ihipStream_tbPNSt15iterator_traitsISK_E10value_typeEPNSQ_ISL_E10value_typeEPSM_NS1_7vsmem_tEENKUlT_SK_SL_SM_E_clISE_PiSF_SF_EESJ_SZ_SK_SL_SM_EUlSZ_E1_NS1_11comp_targetILNS1_3genE2ELNS1_11target_archE906ELNS1_3gpuE6ELNS1_3repE0EEENS1_36merge_oddeven_config_static_selectorELNS0_4arch9wavefront6targetE0EEEvSL_,comdat
	.protected	_ZN7rocprim17ROCPRIM_400000_NS6detail17trampoline_kernelINS0_14default_configENS1_38merge_sort_block_merge_config_selectorIiNS0_10empty_typeEEEZZNS1_27merge_sort_block_merge_implIS3_N6thrust23THRUST_200600_302600_NS6detail15normal_iteratorINS9_10device_ptrIiEEEEPS5_jNS1_19radix_merge_compareILb1ELb0EiNS0_19identity_decomposerEEEEE10hipError_tT0_T1_T2_jT3_P12ihipStream_tbPNSt15iterator_traitsISK_E10value_typeEPNSQ_ISL_E10value_typeEPSM_NS1_7vsmem_tEENKUlT_SK_SL_SM_E_clISE_PiSF_SF_EESJ_SZ_SK_SL_SM_EUlSZ_E1_NS1_11comp_targetILNS1_3genE2ELNS1_11target_archE906ELNS1_3gpuE6ELNS1_3repE0EEENS1_36merge_oddeven_config_static_selectorELNS0_4arch9wavefront6targetE0EEEvSL_ ; -- Begin function _ZN7rocprim17ROCPRIM_400000_NS6detail17trampoline_kernelINS0_14default_configENS1_38merge_sort_block_merge_config_selectorIiNS0_10empty_typeEEEZZNS1_27merge_sort_block_merge_implIS3_N6thrust23THRUST_200600_302600_NS6detail15normal_iteratorINS9_10device_ptrIiEEEEPS5_jNS1_19radix_merge_compareILb1ELb0EiNS0_19identity_decomposerEEEEE10hipError_tT0_T1_T2_jT3_P12ihipStream_tbPNSt15iterator_traitsISK_E10value_typeEPNSQ_ISL_E10value_typeEPSM_NS1_7vsmem_tEENKUlT_SK_SL_SM_E_clISE_PiSF_SF_EESJ_SZ_SK_SL_SM_EUlSZ_E1_NS1_11comp_targetILNS1_3genE2ELNS1_11target_archE906ELNS1_3gpuE6ELNS1_3repE0EEENS1_36merge_oddeven_config_static_selectorELNS0_4arch9wavefront6targetE0EEEvSL_
	.globl	_ZN7rocprim17ROCPRIM_400000_NS6detail17trampoline_kernelINS0_14default_configENS1_38merge_sort_block_merge_config_selectorIiNS0_10empty_typeEEEZZNS1_27merge_sort_block_merge_implIS3_N6thrust23THRUST_200600_302600_NS6detail15normal_iteratorINS9_10device_ptrIiEEEEPS5_jNS1_19radix_merge_compareILb1ELb0EiNS0_19identity_decomposerEEEEE10hipError_tT0_T1_T2_jT3_P12ihipStream_tbPNSt15iterator_traitsISK_E10value_typeEPNSQ_ISL_E10value_typeEPSM_NS1_7vsmem_tEENKUlT_SK_SL_SM_E_clISE_PiSF_SF_EESJ_SZ_SK_SL_SM_EUlSZ_E1_NS1_11comp_targetILNS1_3genE2ELNS1_11target_archE906ELNS1_3gpuE6ELNS1_3repE0EEENS1_36merge_oddeven_config_static_selectorELNS0_4arch9wavefront6targetE0EEEvSL_
	.p2align	8
	.type	_ZN7rocprim17ROCPRIM_400000_NS6detail17trampoline_kernelINS0_14default_configENS1_38merge_sort_block_merge_config_selectorIiNS0_10empty_typeEEEZZNS1_27merge_sort_block_merge_implIS3_N6thrust23THRUST_200600_302600_NS6detail15normal_iteratorINS9_10device_ptrIiEEEEPS5_jNS1_19radix_merge_compareILb1ELb0EiNS0_19identity_decomposerEEEEE10hipError_tT0_T1_T2_jT3_P12ihipStream_tbPNSt15iterator_traitsISK_E10value_typeEPNSQ_ISL_E10value_typeEPSM_NS1_7vsmem_tEENKUlT_SK_SL_SM_E_clISE_PiSF_SF_EESJ_SZ_SK_SL_SM_EUlSZ_E1_NS1_11comp_targetILNS1_3genE2ELNS1_11target_archE906ELNS1_3gpuE6ELNS1_3repE0EEENS1_36merge_oddeven_config_static_selectorELNS0_4arch9wavefront6targetE0EEEvSL_,@function
_ZN7rocprim17ROCPRIM_400000_NS6detail17trampoline_kernelINS0_14default_configENS1_38merge_sort_block_merge_config_selectorIiNS0_10empty_typeEEEZZNS1_27merge_sort_block_merge_implIS3_N6thrust23THRUST_200600_302600_NS6detail15normal_iteratorINS9_10device_ptrIiEEEEPS5_jNS1_19radix_merge_compareILb1ELb0EiNS0_19identity_decomposerEEEEE10hipError_tT0_T1_T2_jT3_P12ihipStream_tbPNSt15iterator_traitsISK_E10value_typeEPNSQ_ISL_E10value_typeEPSM_NS1_7vsmem_tEENKUlT_SK_SL_SM_E_clISE_PiSF_SF_EESJ_SZ_SK_SL_SM_EUlSZ_E1_NS1_11comp_targetILNS1_3genE2ELNS1_11target_archE906ELNS1_3gpuE6ELNS1_3repE0EEENS1_36merge_oddeven_config_static_selectorELNS0_4arch9wavefront6targetE0EEEvSL_: ; @_ZN7rocprim17ROCPRIM_400000_NS6detail17trampoline_kernelINS0_14default_configENS1_38merge_sort_block_merge_config_selectorIiNS0_10empty_typeEEEZZNS1_27merge_sort_block_merge_implIS3_N6thrust23THRUST_200600_302600_NS6detail15normal_iteratorINS9_10device_ptrIiEEEEPS5_jNS1_19radix_merge_compareILb1ELb0EiNS0_19identity_decomposerEEEEE10hipError_tT0_T1_T2_jT3_P12ihipStream_tbPNSt15iterator_traitsISK_E10value_typeEPNSQ_ISL_E10value_typeEPSM_NS1_7vsmem_tEENKUlT_SK_SL_SM_E_clISE_PiSF_SF_EESJ_SZ_SK_SL_SM_EUlSZ_E1_NS1_11comp_targetILNS1_3genE2ELNS1_11target_archE906ELNS1_3gpuE6ELNS1_3repE0EEENS1_36merge_oddeven_config_static_selectorELNS0_4arch9wavefront6targetE0EEEvSL_
; %bb.0:
	.section	.rodata,"a",@progbits
	.p2align	6, 0x0
	.amdhsa_kernel _ZN7rocprim17ROCPRIM_400000_NS6detail17trampoline_kernelINS0_14default_configENS1_38merge_sort_block_merge_config_selectorIiNS0_10empty_typeEEEZZNS1_27merge_sort_block_merge_implIS3_N6thrust23THRUST_200600_302600_NS6detail15normal_iteratorINS9_10device_ptrIiEEEEPS5_jNS1_19radix_merge_compareILb1ELb0EiNS0_19identity_decomposerEEEEE10hipError_tT0_T1_T2_jT3_P12ihipStream_tbPNSt15iterator_traitsISK_E10value_typeEPNSQ_ISL_E10value_typeEPSM_NS1_7vsmem_tEENKUlT_SK_SL_SM_E_clISE_PiSF_SF_EESJ_SZ_SK_SL_SM_EUlSZ_E1_NS1_11comp_targetILNS1_3genE2ELNS1_11target_archE906ELNS1_3gpuE6ELNS1_3repE0EEENS1_36merge_oddeven_config_static_selectorELNS0_4arch9wavefront6targetE0EEEvSL_
		.amdhsa_group_segment_fixed_size 0
		.amdhsa_private_segment_fixed_size 0
		.amdhsa_kernarg_size 48
		.amdhsa_user_sgpr_count 6
		.amdhsa_user_sgpr_private_segment_buffer 1
		.amdhsa_user_sgpr_dispatch_ptr 0
		.amdhsa_user_sgpr_queue_ptr 0
		.amdhsa_user_sgpr_kernarg_segment_ptr 1
		.amdhsa_user_sgpr_dispatch_id 0
		.amdhsa_user_sgpr_flat_scratch_init 0
		.amdhsa_user_sgpr_private_segment_size 0
		.amdhsa_wavefront_size32 1
		.amdhsa_uses_dynamic_stack 0
		.amdhsa_system_sgpr_private_segment_wavefront_offset 0
		.amdhsa_system_sgpr_workgroup_id_x 1
		.amdhsa_system_sgpr_workgroup_id_y 0
		.amdhsa_system_sgpr_workgroup_id_z 0
		.amdhsa_system_sgpr_workgroup_info 0
		.amdhsa_system_vgpr_workitem_id 0
		.amdhsa_next_free_vgpr 1
		.amdhsa_next_free_sgpr 1
		.amdhsa_reserve_vcc 0
		.amdhsa_reserve_flat_scratch 0
		.amdhsa_float_round_mode_32 0
		.amdhsa_float_round_mode_16_64 0
		.amdhsa_float_denorm_mode_32 3
		.amdhsa_float_denorm_mode_16_64 3
		.amdhsa_dx10_clamp 1
		.amdhsa_ieee_mode 1
		.amdhsa_fp16_overflow 0
		.amdhsa_workgroup_processor_mode 1
		.amdhsa_memory_ordered 1
		.amdhsa_forward_progress 1
		.amdhsa_shared_vgpr_count 0
		.amdhsa_exception_fp_ieee_invalid_op 0
		.amdhsa_exception_fp_denorm_src 0
		.amdhsa_exception_fp_ieee_div_zero 0
		.amdhsa_exception_fp_ieee_overflow 0
		.amdhsa_exception_fp_ieee_underflow 0
		.amdhsa_exception_fp_ieee_inexact 0
		.amdhsa_exception_int_div_zero 0
	.end_amdhsa_kernel
	.section	.text._ZN7rocprim17ROCPRIM_400000_NS6detail17trampoline_kernelINS0_14default_configENS1_38merge_sort_block_merge_config_selectorIiNS0_10empty_typeEEEZZNS1_27merge_sort_block_merge_implIS3_N6thrust23THRUST_200600_302600_NS6detail15normal_iteratorINS9_10device_ptrIiEEEEPS5_jNS1_19radix_merge_compareILb1ELb0EiNS0_19identity_decomposerEEEEE10hipError_tT0_T1_T2_jT3_P12ihipStream_tbPNSt15iterator_traitsISK_E10value_typeEPNSQ_ISL_E10value_typeEPSM_NS1_7vsmem_tEENKUlT_SK_SL_SM_E_clISE_PiSF_SF_EESJ_SZ_SK_SL_SM_EUlSZ_E1_NS1_11comp_targetILNS1_3genE2ELNS1_11target_archE906ELNS1_3gpuE6ELNS1_3repE0EEENS1_36merge_oddeven_config_static_selectorELNS0_4arch9wavefront6targetE0EEEvSL_,"axG",@progbits,_ZN7rocprim17ROCPRIM_400000_NS6detail17trampoline_kernelINS0_14default_configENS1_38merge_sort_block_merge_config_selectorIiNS0_10empty_typeEEEZZNS1_27merge_sort_block_merge_implIS3_N6thrust23THRUST_200600_302600_NS6detail15normal_iteratorINS9_10device_ptrIiEEEEPS5_jNS1_19radix_merge_compareILb1ELb0EiNS0_19identity_decomposerEEEEE10hipError_tT0_T1_T2_jT3_P12ihipStream_tbPNSt15iterator_traitsISK_E10value_typeEPNSQ_ISL_E10value_typeEPSM_NS1_7vsmem_tEENKUlT_SK_SL_SM_E_clISE_PiSF_SF_EESJ_SZ_SK_SL_SM_EUlSZ_E1_NS1_11comp_targetILNS1_3genE2ELNS1_11target_archE906ELNS1_3gpuE6ELNS1_3repE0EEENS1_36merge_oddeven_config_static_selectorELNS0_4arch9wavefront6targetE0EEEvSL_,comdat
.Lfunc_end267:
	.size	_ZN7rocprim17ROCPRIM_400000_NS6detail17trampoline_kernelINS0_14default_configENS1_38merge_sort_block_merge_config_selectorIiNS0_10empty_typeEEEZZNS1_27merge_sort_block_merge_implIS3_N6thrust23THRUST_200600_302600_NS6detail15normal_iteratorINS9_10device_ptrIiEEEEPS5_jNS1_19radix_merge_compareILb1ELb0EiNS0_19identity_decomposerEEEEE10hipError_tT0_T1_T2_jT3_P12ihipStream_tbPNSt15iterator_traitsISK_E10value_typeEPNSQ_ISL_E10value_typeEPSM_NS1_7vsmem_tEENKUlT_SK_SL_SM_E_clISE_PiSF_SF_EESJ_SZ_SK_SL_SM_EUlSZ_E1_NS1_11comp_targetILNS1_3genE2ELNS1_11target_archE906ELNS1_3gpuE6ELNS1_3repE0EEENS1_36merge_oddeven_config_static_selectorELNS0_4arch9wavefront6targetE0EEEvSL_, .Lfunc_end267-_ZN7rocprim17ROCPRIM_400000_NS6detail17trampoline_kernelINS0_14default_configENS1_38merge_sort_block_merge_config_selectorIiNS0_10empty_typeEEEZZNS1_27merge_sort_block_merge_implIS3_N6thrust23THRUST_200600_302600_NS6detail15normal_iteratorINS9_10device_ptrIiEEEEPS5_jNS1_19radix_merge_compareILb1ELb0EiNS0_19identity_decomposerEEEEE10hipError_tT0_T1_T2_jT3_P12ihipStream_tbPNSt15iterator_traitsISK_E10value_typeEPNSQ_ISL_E10value_typeEPSM_NS1_7vsmem_tEENKUlT_SK_SL_SM_E_clISE_PiSF_SF_EESJ_SZ_SK_SL_SM_EUlSZ_E1_NS1_11comp_targetILNS1_3genE2ELNS1_11target_archE906ELNS1_3gpuE6ELNS1_3repE0EEENS1_36merge_oddeven_config_static_selectorELNS0_4arch9wavefront6targetE0EEEvSL_
                                        ; -- End function
	.set _ZN7rocprim17ROCPRIM_400000_NS6detail17trampoline_kernelINS0_14default_configENS1_38merge_sort_block_merge_config_selectorIiNS0_10empty_typeEEEZZNS1_27merge_sort_block_merge_implIS3_N6thrust23THRUST_200600_302600_NS6detail15normal_iteratorINS9_10device_ptrIiEEEEPS5_jNS1_19radix_merge_compareILb1ELb0EiNS0_19identity_decomposerEEEEE10hipError_tT0_T1_T2_jT3_P12ihipStream_tbPNSt15iterator_traitsISK_E10value_typeEPNSQ_ISL_E10value_typeEPSM_NS1_7vsmem_tEENKUlT_SK_SL_SM_E_clISE_PiSF_SF_EESJ_SZ_SK_SL_SM_EUlSZ_E1_NS1_11comp_targetILNS1_3genE2ELNS1_11target_archE906ELNS1_3gpuE6ELNS1_3repE0EEENS1_36merge_oddeven_config_static_selectorELNS0_4arch9wavefront6targetE0EEEvSL_.num_vgpr, 0
	.set _ZN7rocprim17ROCPRIM_400000_NS6detail17trampoline_kernelINS0_14default_configENS1_38merge_sort_block_merge_config_selectorIiNS0_10empty_typeEEEZZNS1_27merge_sort_block_merge_implIS3_N6thrust23THRUST_200600_302600_NS6detail15normal_iteratorINS9_10device_ptrIiEEEEPS5_jNS1_19radix_merge_compareILb1ELb0EiNS0_19identity_decomposerEEEEE10hipError_tT0_T1_T2_jT3_P12ihipStream_tbPNSt15iterator_traitsISK_E10value_typeEPNSQ_ISL_E10value_typeEPSM_NS1_7vsmem_tEENKUlT_SK_SL_SM_E_clISE_PiSF_SF_EESJ_SZ_SK_SL_SM_EUlSZ_E1_NS1_11comp_targetILNS1_3genE2ELNS1_11target_archE906ELNS1_3gpuE6ELNS1_3repE0EEENS1_36merge_oddeven_config_static_selectorELNS0_4arch9wavefront6targetE0EEEvSL_.num_agpr, 0
	.set _ZN7rocprim17ROCPRIM_400000_NS6detail17trampoline_kernelINS0_14default_configENS1_38merge_sort_block_merge_config_selectorIiNS0_10empty_typeEEEZZNS1_27merge_sort_block_merge_implIS3_N6thrust23THRUST_200600_302600_NS6detail15normal_iteratorINS9_10device_ptrIiEEEEPS5_jNS1_19radix_merge_compareILb1ELb0EiNS0_19identity_decomposerEEEEE10hipError_tT0_T1_T2_jT3_P12ihipStream_tbPNSt15iterator_traitsISK_E10value_typeEPNSQ_ISL_E10value_typeEPSM_NS1_7vsmem_tEENKUlT_SK_SL_SM_E_clISE_PiSF_SF_EESJ_SZ_SK_SL_SM_EUlSZ_E1_NS1_11comp_targetILNS1_3genE2ELNS1_11target_archE906ELNS1_3gpuE6ELNS1_3repE0EEENS1_36merge_oddeven_config_static_selectorELNS0_4arch9wavefront6targetE0EEEvSL_.numbered_sgpr, 0
	.set _ZN7rocprim17ROCPRIM_400000_NS6detail17trampoline_kernelINS0_14default_configENS1_38merge_sort_block_merge_config_selectorIiNS0_10empty_typeEEEZZNS1_27merge_sort_block_merge_implIS3_N6thrust23THRUST_200600_302600_NS6detail15normal_iteratorINS9_10device_ptrIiEEEEPS5_jNS1_19radix_merge_compareILb1ELb0EiNS0_19identity_decomposerEEEEE10hipError_tT0_T1_T2_jT3_P12ihipStream_tbPNSt15iterator_traitsISK_E10value_typeEPNSQ_ISL_E10value_typeEPSM_NS1_7vsmem_tEENKUlT_SK_SL_SM_E_clISE_PiSF_SF_EESJ_SZ_SK_SL_SM_EUlSZ_E1_NS1_11comp_targetILNS1_3genE2ELNS1_11target_archE906ELNS1_3gpuE6ELNS1_3repE0EEENS1_36merge_oddeven_config_static_selectorELNS0_4arch9wavefront6targetE0EEEvSL_.num_named_barrier, 0
	.set _ZN7rocprim17ROCPRIM_400000_NS6detail17trampoline_kernelINS0_14default_configENS1_38merge_sort_block_merge_config_selectorIiNS0_10empty_typeEEEZZNS1_27merge_sort_block_merge_implIS3_N6thrust23THRUST_200600_302600_NS6detail15normal_iteratorINS9_10device_ptrIiEEEEPS5_jNS1_19radix_merge_compareILb1ELb0EiNS0_19identity_decomposerEEEEE10hipError_tT0_T1_T2_jT3_P12ihipStream_tbPNSt15iterator_traitsISK_E10value_typeEPNSQ_ISL_E10value_typeEPSM_NS1_7vsmem_tEENKUlT_SK_SL_SM_E_clISE_PiSF_SF_EESJ_SZ_SK_SL_SM_EUlSZ_E1_NS1_11comp_targetILNS1_3genE2ELNS1_11target_archE906ELNS1_3gpuE6ELNS1_3repE0EEENS1_36merge_oddeven_config_static_selectorELNS0_4arch9wavefront6targetE0EEEvSL_.private_seg_size, 0
	.set _ZN7rocprim17ROCPRIM_400000_NS6detail17trampoline_kernelINS0_14default_configENS1_38merge_sort_block_merge_config_selectorIiNS0_10empty_typeEEEZZNS1_27merge_sort_block_merge_implIS3_N6thrust23THRUST_200600_302600_NS6detail15normal_iteratorINS9_10device_ptrIiEEEEPS5_jNS1_19radix_merge_compareILb1ELb0EiNS0_19identity_decomposerEEEEE10hipError_tT0_T1_T2_jT3_P12ihipStream_tbPNSt15iterator_traitsISK_E10value_typeEPNSQ_ISL_E10value_typeEPSM_NS1_7vsmem_tEENKUlT_SK_SL_SM_E_clISE_PiSF_SF_EESJ_SZ_SK_SL_SM_EUlSZ_E1_NS1_11comp_targetILNS1_3genE2ELNS1_11target_archE906ELNS1_3gpuE6ELNS1_3repE0EEENS1_36merge_oddeven_config_static_selectorELNS0_4arch9wavefront6targetE0EEEvSL_.uses_vcc, 0
	.set _ZN7rocprim17ROCPRIM_400000_NS6detail17trampoline_kernelINS0_14default_configENS1_38merge_sort_block_merge_config_selectorIiNS0_10empty_typeEEEZZNS1_27merge_sort_block_merge_implIS3_N6thrust23THRUST_200600_302600_NS6detail15normal_iteratorINS9_10device_ptrIiEEEEPS5_jNS1_19radix_merge_compareILb1ELb0EiNS0_19identity_decomposerEEEEE10hipError_tT0_T1_T2_jT3_P12ihipStream_tbPNSt15iterator_traitsISK_E10value_typeEPNSQ_ISL_E10value_typeEPSM_NS1_7vsmem_tEENKUlT_SK_SL_SM_E_clISE_PiSF_SF_EESJ_SZ_SK_SL_SM_EUlSZ_E1_NS1_11comp_targetILNS1_3genE2ELNS1_11target_archE906ELNS1_3gpuE6ELNS1_3repE0EEENS1_36merge_oddeven_config_static_selectorELNS0_4arch9wavefront6targetE0EEEvSL_.uses_flat_scratch, 0
	.set _ZN7rocprim17ROCPRIM_400000_NS6detail17trampoline_kernelINS0_14default_configENS1_38merge_sort_block_merge_config_selectorIiNS0_10empty_typeEEEZZNS1_27merge_sort_block_merge_implIS3_N6thrust23THRUST_200600_302600_NS6detail15normal_iteratorINS9_10device_ptrIiEEEEPS5_jNS1_19radix_merge_compareILb1ELb0EiNS0_19identity_decomposerEEEEE10hipError_tT0_T1_T2_jT3_P12ihipStream_tbPNSt15iterator_traitsISK_E10value_typeEPNSQ_ISL_E10value_typeEPSM_NS1_7vsmem_tEENKUlT_SK_SL_SM_E_clISE_PiSF_SF_EESJ_SZ_SK_SL_SM_EUlSZ_E1_NS1_11comp_targetILNS1_3genE2ELNS1_11target_archE906ELNS1_3gpuE6ELNS1_3repE0EEENS1_36merge_oddeven_config_static_selectorELNS0_4arch9wavefront6targetE0EEEvSL_.has_dyn_sized_stack, 0
	.set _ZN7rocprim17ROCPRIM_400000_NS6detail17trampoline_kernelINS0_14default_configENS1_38merge_sort_block_merge_config_selectorIiNS0_10empty_typeEEEZZNS1_27merge_sort_block_merge_implIS3_N6thrust23THRUST_200600_302600_NS6detail15normal_iteratorINS9_10device_ptrIiEEEEPS5_jNS1_19radix_merge_compareILb1ELb0EiNS0_19identity_decomposerEEEEE10hipError_tT0_T1_T2_jT3_P12ihipStream_tbPNSt15iterator_traitsISK_E10value_typeEPNSQ_ISL_E10value_typeEPSM_NS1_7vsmem_tEENKUlT_SK_SL_SM_E_clISE_PiSF_SF_EESJ_SZ_SK_SL_SM_EUlSZ_E1_NS1_11comp_targetILNS1_3genE2ELNS1_11target_archE906ELNS1_3gpuE6ELNS1_3repE0EEENS1_36merge_oddeven_config_static_selectorELNS0_4arch9wavefront6targetE0EEEvSL_.has_recursion, 0
	.set _ZN7rocprim17ROCPRIM_400000_NS6detail17trampoline_kernelINS0_14default_configENS1_38merge_sort_block_merge_config_selectorIiNS0_10empty_typeEEEZZNS1_27merge_sort_block_merge_implIS3_N6thrust23THRUST_200600_302600_NS6detail15normal_iteratorINS9_10device_ptrIiEEEEPS5_jNS1_19radix_merge_compareILb1ELb0EiNS0_19identity_decomposerEEEEE10hipError_tT0_T1_T2_jT3_P12ihipStream_tbPNSt15iterator_traitsISK_E10value_typeEPNSQ_ISL_E10value_typeEPSM_NS1_7vsmem_tEENKUlT_SK_SL_SM_E_clISE_PiSF_SF_EESJ_SZ_SK_SL_SM_EUlSZ_E1_NS1_11comp_targetILNS1_3genE2ELNS1_11target_archE906ELNS1_3gpuE6ELNS1_3repE0EEENS1_36merge_oddeven_config_static_selectorELNS0_4arch9wavefront6targetE0EEEvSL_.has_indirect_call, 0
	.section	.AMDGPU.csdata,"",@progbits
; Kernel info:
; codeLenInByte = 0
; TotalNumSgprs: 0
; NumVgprs: 0
; ScratchSize: 0
; MemoryBound: 0
; FloatMode: 240
; IeeeMode: 1
; LDSByteSize: 0 bytes/workgroup (compile time only)
; SGPRBlocks: 0
; VGPRBlocks: 0
; NumSGPRsForWavesPerEU: 1
; NumVGPRsForWavesPerEU: 1
; Occupancy: 16
; WaveLimiterHint : 0
; COMPUTE_PGM_RSRC2:SCRATCH_EN: 0
; COMPUTE_PGM_RSRC2:USER_SGPR: 6
; COMPUTE_PGM_RSRC2:TRAP_HANDLER: 0
; COMPUTE_PGM_RSRC2:TGID_X_EN: 1
; COMPUTE_PGM_RSRC2:TGID_Y_EN: 0
; COMPUTE_PGM_RSRC2:TGID_Z_EN: 0
; COMPUTE_PGM_RSRC2:TIDIG_COMP_CNT: 0
	.section	.text._ZN7rocprim17ROCPRIM_400000_NS6detail17trampoline_kernelINS0_14default_configENS1_38merge_sort_block_merge_config_selectorIiNS0_10empty_typeEEEZZNS1_27merge_sort_block_merge_implIS3_N6thrust23THRUST_200600_302600_NS6detail15normal_iteratorINS9_10device_ptrIiEEEEPS5_jNS1_19radix_merge_compareILb1ELb0EiNS0_19identity_decomposerEEEEE10hipError_tT0_T1_T2_jT3_P12ihipStream_tbPNSt15iterator_traitsISK_E10value_typeEPNSQ_ISL_E10value_typeEPSM_NS1_7vsmem_tEENKUlT_SK_SL_SM_E_clISE_PiSF_SF_EESJ_SZ_SK_SL_SM_EUlSZ_E1_NS1_11comp_targetILNS1_3genE9ELNS1_11target_archE1100ELNS1_3gpuE3ELNS1_3repE0EEENS1_36merge_oddeven_config_static_selectorELNS0_4arch9wavefront6targetE0EEEvSL_,"axG",@progbits,_ZN7rocprim17ROCPRIM_400000_NS6detail17trampoline_kernelINS0_14default_configENS1_38merge_sort_block_merge_config_selectorIiNS0_10empty_typeEEEZZNS1_27merge_sort_block_merge_implIS3_N6thrust23THRUST_200600_302600_NS6detail15normal_iteratorINS9_10device_ptrIiEEEEPS5_jNS1_19radix_merge_compareILb1ELb0EiNS0_19identity_decomposerEEEEE10hipError_tT0_T1_T2_jT3_P12ihipStream_tbPNSt15iterator_traitsISK_E10value_typeEPNSQ_ISL_E10value_typeEPSM_NS1_7vsmem_tEENKUlT_SK_SL_SM_E_clISE_PiSF_SF_EESJ_SZ_SK_SL_SM_EUlSZ_E1_NS1_11comp_targetILNS1_3genE9ELNS1_11target_archE1100ELNS1_3gpuE3ELNS1_3repE0EEENS1_36merge_oddeven_config_static_selectorELNS0_4arch9wavefront6targetE0EEEvSL_,comdat
	.protected	_ZN7rocprim17ROCPRIM_400000_NS6detail17trampoline_kernelINS0_14default_configENS1_38merge_sort_block_merge_config_selectorIiNS0_10empty_typeEEEZZNS1_27merge_sort_block_merge_implIS3_N6thrust23THRUST_200600_302600_NS6detail15normal_iteratorINS9_10device_ptrIiEEEEPS5_jNS1_19radix_merge_compareILb1ELb0EiNS0_19identity_decomposerEEEEE10hipError_tT0_T1_T2_jT3_P12ihipStream_tbPNSt15iterator_traitsISK_E10value_typeEPNSQ_ISL_E10value_typeEPSM_NS1_7vsmem_tEENKUlT_SK_SL_SM_E_clISE_PiSF_SF_EESJ_SZ_SK_SL_SM_EUlSZ_E1_NS1_11comp_targetILNS1_3genE9ELNS1_11target_archE1100ELNS1_3gpuE3ELNS1_3repE0EEENS1_36merge_oddeven_config_static_selectorELNS0_4arch9wavefront6targetE0EEEvSL_ ; -- Begin function _ZN7rocprim17ROCPRIM_400000_NS6detail17trampoline_kernelINS0_14default_configENS1_38merge_sort_block_merge_config_selectorIiNS0_10empty_typeEEEZZNS1_27merge_sort_block_merge_implIS3_N6thrust23THRUST_200600_302600_NS6detail15normal_iteratorINS9_10device_ptrIiEEEEPS5_jNS1_19radix_merge_compareILb1ELb0EiNS0_19identity_decomposerEEEEE10hipError_tT0_T1_T2_jT3_P12ihipStream_tbPNSt15iterator_traitsISK_E10value_typeEPNSQ_ISL_E10value_typeEPSM_NS1_7vsmem_tEENKUlT_SK_SL_SM_E_clISE_PiSF_SF_EESJ_SZ_SK_SL_SM_EUlSZ_E1_NS1_11comp_targetILNS1_3genE9ELNS1_11target_archE1100ELNS1_3gpuE3ELNS1_3repE0EEENS1_36merge_oddeven_config_static_selectorELNS0_4arch9wavefront6targetE0EEEvSL_
	.globl	_ZN7rocprim17ROCPRIM_400000_NS6detail17trampoline_kernelINS0_14default_configENS1_38merge_sort_block_merge_config_selectorIiNS0_10empty_typeEEEZZNS1_27merge_sort_block_merge_implIS3_N6thrust23THRUST_200600_302600_NS6detail15normal_iteratorINS9_10device_ptrIiEEEEPS5_jNS1_19radix_merge_compareILb1ELb0EiNS0_19identity_decomposerEEEEE10hipError_tT0_T1_T2_jT3_P12ihipStream_tbPNSt15iterator_traitsISK_E10value_typeEPNSQ_ISL_E10value_typeEPSM_NS1_7vsmem_tEENKUlT_SK_SL_SM_E_clISE_PiSF_SF_EESJ_SZ_SK_SL_SM_EUlSZ_E1_NS1_11comp_targetILNS1_3genE9ELNS1_11target_archE1100ELNS1_3gpuE3ELNS1_3repE0EEENS1_36merge_oddeven_config_static_selectorELNS0_4arch9wavefront6targetE0EEEvSL_
	.p2align	8
	.type	_ZN7rocprim17ROCPRIM_400000_NS6detail17trampoline_kernelINS0_14default_configENS1_38merge_sort_block_merge_config_selectorIiNS0_10empty_typeEEEZZNS1_27merge_sort_block_merge_implIS3_N6thrust23THRUST_200600_302600_NS6detail15normal_iteratorINS9_10device_ptrIiEEEEPS5_jNS1_19radix_merge_compareILb1ELb0EiNS0_19identity_decomposerEEEEE10hipError_tT0_T1_T2_jT3_P12ihipStream_tbPNSt15iterator_traitsISK_E10value_typeEPNSQ_ISL_E10value_typeEPSM_NS1_7vsmem_tEENKUlT_SK_SL_SM_E_clISE_PiSF_SF_EESJ_SZ_SK_SL_SM_EUlSZ_E1_NS1_11comp_targetILNS1_3genE9ELNS1_11target_archE1100ELNS1_3gpuE3ELNS1_3repE0EEENS1_36merge_oddeven_config_static_selectorELNS0_4arch9wavefront6targetE0EEEvSL_,@function
_ZN7rocprim17ROCPRIM_400000_NS6detail17trampoline_kernelINS0_14default_configENS1_38merge_sort_block_merge_config_selectorIiNS0_10empty_typeEEEZZNS1_27merge_sort_block_merge_implIS3_N6thrust23THRUST_200600_302600_NS6detail15normal_iteratorINS9_10device_ptrIiEEEEPS5_jNS1_19radix_merge_compareILb1ELb0EiNS0_19identity_decomposerEEEEE10hipError_tT0_T1_T2_jT3_P12ihipStream_tbPNSt15iterator_traitsISK_E10value_typeEPNSQ_ISL_E10value_typeEPSM_NS1_7vsmem_tEENKUlT_SK_SL_SM_E_clISE_PiSF_SF_EESJ_SZ_SK_SL_SM_EUlSZ_E1_NS1_11comp_targetILNS1_3genE9ELNS1_11target_archE1100ELNS1_3gpuE3ELNS1_3repE0EEENS1_36merge_oddeven_config_static_selectorELNS0_4arch9wavefront6targetE0EEEvSL_: ; @_ZN7rocprim17ROCPRIM_400000_NS6detail17trampoline_kernelINS0_14default_configENS1_38merge_sort_block_merge_config_selectorIiNS0_10empty_typeEEEZZNS1_27merge_sort_block_merge_implIS3_N6thrust23THRUST_200600_302600_NS6detail15normal_iteratorINS9_10device_ptrIiEEEEPS5_jNS1_19radix_merge_compareILb1ELb0EiNS0_19identity_decomposerEEEEE10hipError_tT0_T1_T2_jT3_P12ihipStream_tbPNSt15iterator_traitsISK_E10value_typeEPNSQ_ISL_E10value_typeEPSM_NS1_7vsmem_tEENKUlT_SK_SL_SM_E_clISE_PiSF_SF_EESJ_SZ_SK_SL_SM_EUlSZ_E1_NS1_11comp_targetILNS1_3genE9ELNS1_11target_archE1100ELNS1_3gpuE3ELNS1_3repE0EEENS1_36merge_oddeven_config_static_selectorELNS0_4arch9wavefront6targetE0EEEvSL_
; %bb.0:
	.section	.rodata,"a",@progbits
	.p2align	6, 0x0
	.amdhsa_kernel _ZN7rocprim17ROCPRIM_400000_NS6detail17trampoline_kernelINS0_14default_configENS1_38merge_sort_block_merge_config_selectorIiNS0_10empty_typeEEEZZNS1_27merge_sort_block_merge_implIS3_N6thrust23THRUST_200600_302600_NS6detail15normal_iteratorINS9_10device_ptrIiEEEEPS5_jNS1_19radix_merge_compareILb1ELb0EiNS0_19identity_decomposerEEEEE10hipError_tT0_T1_T2_jT3_P12ihipStream_tbPNSt15iterator_traitsISK_E10value_typeEPNSQ_ISL_E10value_typeEPSM_NS1_7vsmem_tEENKUlT_SK_SL_SM_E_clISE_PiSF_SF_EESJ_SZ_SK_SL_SM_EUlSZ_E1_NS1_11comp_targetILNS1_3genE9ELNS1_11target_archE1100ELNS1_3gpuE3ELNS1_3repE0EEENS1_36merge_oddeven_config_static_selectorELNS0_4arch9wavefront6targetE0EEEvSL_
		.amdhsa_group_segment_fixed_size 0
		.amdhsa_private_segment_fixed_size 0
		.amdhsa_kernarg_size 48
		.amdhsa_user_sgpr_count 6
		.amdhsa_user_sgpr_private_segment_buffer 1
		.amdhsa_user_sgpr_dispatch_ptr 0
		.amdhsa_user_sgpr_queue_ptr 0
		.amdhsa_user_sgpr_kernarg_segment_ptr 1
		.amdhsa_user_sgpr_dispatch_id 0
		.amdhsa_user_sgpr_flat_scratch_init 0
		.amdhsa_user_sgpr_private_segment_size 0
		.amdhsa_wavefront_size32 1
		.amdhsa_uses_dynamic_stack 0
		.amdhsa_system_sgpr_private_segment_wavefront_offset 0
		.amdhsa_system_sgpr_workgroup_id_x 1
		.amdhsa_system_sgpr_workgroup_id_y 0
		.amdhsa_system_sgpr_workgroup_id_z 0
		.amdhsa_system_sgpr_workgroup_info 0
		.amdhsa_system_vgpr_workitem_id 0
		.amdhsa_next_free_vgpr 1
		.amdhsa_next_free_sgpr 1
		.amdhsa_reserve_vcc 0
		.amdhsa_reserve_flat_scratch 0
		.amdhsa_float_round_mode_32 0
		.amdhsa_float_round_mode_16_64 0
		.amdhsa_float_denorm_mode_32 3
		.amdhsa_float_denorm_mode_16_64 3
		.amdhsa_dx10_clamp 1
		.amdhsa_ieee_mode 1
		.amdhsa_fp16_overflow 0
		.amdhsa_workgroup_processor_mode 1
		.amdhsa_memory_ordered 1
		.amdhsa_forward_progress 1
		.amdhsa_shared_vgpr_count 0
		.amdhsa_exception_fp_ieee_invalid_op 0
		.amdhsa_exception_fp_denorm_src 0
		.amdhsa_exception_fp_ieee_div_zero 0
		.amdhsa_exception_fp_ieee_overflow 0
		.amdhsa_exception_fp_ieee_underflow 0
		.amdhsa_exception_fp_ieee_inexact 0
		.amdhsa_exception_int_div_zero 0
	.end_amdhsa_kernel
	.section	.text._ZN7rocprim17ROCPRIM_400000_NS6detail17trampoline_kernelINS0_14default_configENS1_38merge_sort_block_merge_config_selectorIiNS0_10empty_typeEEEZZNS1_27merge_sort_block_merge_implIS3_N6thrust23THRUST_200600_302600_NS6detail15normal_iteratorINS9_10device_ptrIiEEEEPS5_jNS1_19radix_merge_compareILb1ELb0EiNS0_19identity_decomposerEEEEE10hipError_tT0_T1_T2_jT3_P12ihipStream_tbPNSt15iterator_traitsISK_E10value_typeEPNSQ_ISL_E10value_typeEPSM_NS1_7vsmem_tEENKUlT_SK_SL_SM_E_clISE_PiSF_SF_EESJ_SZ_SK_SL_SM_EUlSZ_E1_NS1_11comp_targetILNS1_3genE9ELNS1_11target_archE1100ELNS1_3gpuE3ELNS1_3repE0EEENS1_36merge_oddeven_config_static_selectorELNS0_4arch9wavefront6targetE0EEEvSL_,"axG",@progbits,_ZN7rocprim17ROCPRIM_400000_NS6detail17trampoline_kernelINS0_14default_configENS1_38merge_sort_block_merge_config_selectorIiNS0_10empty_typeEEEZZNS1_27merge_sort_block_merge_implIS3_N6thrust23THRUST_200600_302600_NS6detail15normal_iteratorINS9_10device_ptrIiEEEEPS5_jNS1_19radix_merge_compareILb1ELb0EiNS0_19identity_decomposerEEEEE10hipError_tT0_T1_T2_jT3_P12ihipStream_tbPNSt15iterator_traitsISK_E10value_typeEPNSQ_ISL_E10value_typeEPSM_NS1_7vsmem_tEENKUlT_SK_SL_SM_E_clISE_PiSF_SF_EESJ_SZ_SK_SL_SM_EUlSZ_E1_NS1_11comp_targetILNS1_3genE9ELNS1_11target_archE1100ELNS1_3gpuE3ELNS1_3repE0EEENS1_36merge_oddeven_config_static_selectorELNS0_4arch9wavefront6targetE0EEEvSL_,comdat
.Lfunc_end268:
	.size	_ZN7rocprim17ROCPRIM_400000_NS6detail17trampoline_kernelINS0_14default_configENS1_38merge_sort_block_merge_config_selectorIiNS0_10empty_typeEEEZZNS1_27merge_sort_block_merge_implIS3_N6thrust23THRUST_200600_302600_NS6detail15normal_iteratorINS9_10device_ptrIiEEEEPS5_jNS1_19radix_merge_compareILb1ELb0EiNS0_19identity_decomposerEEEEE10hipError_tT0_T1_T2_jT3_P12ihipStream_tbPNSt15iterator_traitsISK_E10value_typeEPNSQ_ISL_E10value_typeEPSM_NS1_7vsmem_tEENKUlT_SK_SL_SM_E_clISE_PiSF_SF_EESJ_SZ_SK_SL_SM_EUlSZ_E1_NS1_11comp_targetILNS1_3genE9ELNS1_11target_archE1100ELNS1_3gpuE3ELNS1_3repE0EEENS1_36merge_oddeven_config_static_selectorELNS0_4arch9wavefront6targetE0EEEvSL_, .Lfunc_end268-_ZN7rocprim17ROCPRIM_400000_NS6detail17trampoline_kernelINS0_14default_configENS1_38merge_sort_block_merge_config_selectorIiNS0_10empty_typeEEEZZNS1_27merge_sort_block_merge_implIS3_N6thrust23THRUST_200600_302600_NS6detail15normal_iteratorINS9_10device_ptrIiEEEEPS5_jNS1_19radix_merge_compareILb1ELb0EiNS0_19identity_decomposerEEEEE10hipError_tT0_T1_T2_jT3_P12ihipStream_tbPNSt15iterator_traitsISK_E10value_typeEPNSQ_ISL_E10value_typeEPSM_NS1_7vsmem_tEENKUlT_SK_SL_SM_E_clISE_PiSF_SF_EESJ_SZ_SK_SL_SM_EUlSZ_E1_NS1_11comp_targetILNS1_3genE9ELNS1_11target_archE1100ELNS1_3gpuE3ELNS1_3repE0EEENS1_36merge_oddeven_config_static_selectorELNS0_4arch9wavefront6targetE0EEEvSL_
                                        ; -- End function
	.set _ZN7rocprim17ROCPRIM_400000_NS6detail17trampoline_kernelINS0_14default_configENS1_38merge_sort_block_merge_config_selectorIiNS0_10empty_typeEEEZZNS1_27merge_sort_block_merge_implIS3_N6thrust23THRUST_200600_302600_NS6detail15normal_iteratorINS9_10device_ptrIiEEEEPS5_jNS1_19radix_merge_compareILb1ELb0EiNS0_19identity_decomposerEEEEE10hipError_tT0_T1_T2_jT3_P12ihipStream_tbPNSt15iterator_traitsISK_E10value_typeEPNSQ_ISL_E10value_typeEPSM_NS1_7vsmem_tEENKUlT_SK_SL_SM_E_clISE_PiSF_SF_EESJ_SZ_SK_SL_SM_EUlSZ_E1_NS1_11comp_targetILNS1_3genE9ELNS1_11target_archE1100ELNS1_3gpuE3ELNS1_3repE0EEENS1_36merge_oddeven_config_static_selectorELNS0_4arch9wavefront6targetE0EEEvSL_.num_vgpr, 0
	.set _ZN7rocprim17ROCPRIM_400000_NS6detail17trampoline_kernelINS0_14default_configENS1_38merge_sort_block_merge_config_selectorIiNS0_10empty_typeEEEZZNS1_27merge_sort_block_merge_implIS3_N6thrust23THRUST_200600_302600_NS6detail15normal_iteratorINS9_10device_ptrIiEEEEPS5_jNS1_19radix_merge_compareILb1ELb0EiNS0_19identity_decomposerEEEEE10hipError_tT0_T1_T2_jT3_P12ihipStream_tbPNSt15iterator_traitsISK_E10value_typeEPNSQ_ISL_E10value_typeEPSM_NS1_7vsmem_tEENKUlT_SK_SL_SM_E_clISE_PiSF_SF_EESJ_SZ_SK_SL_SM_EUlSZ_E1_NS1_11comp_targetILNS1_3genE9ELNS1_11target_archE1100ELNS1_3gpuE3ELNS1_3repE0EEENS1_36merge_oddeven_config_static_selectorELNS0_4arch9wavefront6targetE0EEEvSL_.num_agpr, 0
	.set _ZN7rocprim17ROCPRIM_400000_NS6detail17trampoline_kernelINS0_14default_configENS1_38merge_sort_block_merge_config_selectorIiNS0_10empty_typeEEEZZNS1_27merge_sort_block_merge_implIS3_N6thrust23THRUST_200600_302600_NS6detail15normal_iteratorINS9_10device_ptrIiEEEEPS5_jNS1_19radix_merge_compareILb1ELb0EiNS0_19identity_decomposerEEEEE10hipError_tT0_T1_T2_jT3_P12ihipStream_tbPNSt15iterator_traitsISK_E10value_typeEPNSQ_ISL_E10value_typeEPSM_NS1_7vsmem_tEENKUlT_SK_SL_SM_E_clISE_PiSF_SF_EESJ_SZ_SK_SL_SM_EUlSZ_E1_NS1_11comp_targetILNS1_3genE9ELNS1_11target_archE1100ELNS1_3gpuE3ELNS1_3repE0EEENS1_36merge_oddeven_config_static_selectorELNS0_4arch9wavefront6targetE0EEEvSL_.numbered_sgpr, 0
	.set _ZN7rocprim17ROCPRIM_400000_NS6detail17trampoline_kernelINS0_14default_configENS1_38merge_sort_block_merge_config_selectorIiNS0_10empty_typeEEEZZNS1_27merge_sort_block_merge_implIS3_N6thrust23THRUST_200600_302600_NS6detail15normal_iteratorINS9_10device_ptrIiEEEEPS5_jNS1_19radix_merge_compareILb1ELb0EiNS0_19identity_decomposerEEEEE10hipError_tT0_T1_T2_jT3_P12ihipStream_tbPNSt15iterator_traitsISK_E10value_typeEPNSQ_ISL_E10value_typeEPSM_NS1_7vsmem_tEENKUlT_SK_SL_SM_E_clISE_PiSF_SF_EESJ_SZ_SK_SL_SM_EUlSZ_E1_NS1_11comp_targetILNS1_3genE9ELNS1_11target_archE1100ELNS1_3gpuE3ELNS1_3repE0EEENS1_36merge_oddeven_config_static_selectorELNS0_4arch9wavefront6targetE0EEEvSL_.num_named_barrier, 0
	.set _ZN7rocprim17ROCPRIM_400000_NS6detail17trampoline_kernelINS0_14default_configENS1_38merge_sort_block_merge_config_selectorIiNS0_10empty_typeEEEZZNS1_27merge_sort_block_merge_implIS3_N6thrust23THRUST_200600_302600_NS6detail15normal_iteratorINS9_10device_ptrIiEEEEPS5_jNS1_19radix_merge_compareILb1ELb0EiNS0_19identity_decomposerEEEEE10hipError_tT0_T1_T2_jT3_P12ihipStream_tbPNSt15iterator_traitsISK_E10value_typeEPNSQ_ISL_E10value_typeEPSM_NS1_7vsmem_tEENKUlT_SK_SL_SM_E_clISE_PiSF_SF_EESJ_SZ_SK_SL_SM_EUlSZ_E1_NS1_11comp_targetILNS1_3genE9ELNS1_11target_archE1100ELNS1_3gpuE3ELNS1_3repE0EEENS1_36merge_oddeven_config_static_selectorELNS0_4arch9wavefront6targetE0EEEvSL_.private_seg_size, 0
	.set _ZN7rocprim17ROCPRIM_400000_NS6detail17trampoline_kernelINS0_14default_configENS1_38merge_sort_block_merge_config_selectorIiNS0_10empty_typeEEEZZNS1_27merge_sort_block_merge_implIS3_N6thrust23THRUST_200600_302600_NS6detail15normal_iteratorINS9_10device_ptrIiEEEEPS5_jNS1_19radix_merge_compareILb1ELb0EiNS0_19identity_decomposerEEEEE10hipError_tT0_T1_T2_jT3_P12ihipStream_tbPNSt15iterator_traitsISK_E10value_typeEPNSQ_ISL_E10value_typeEPSM_NS1_7vsmem_tEENKUlT_SK_SL_SM_E_clISE_PiSF_SF_EESJ_SZ_SK_SL_SM_EUlSZ_E1_NS1_11comp_targetILNS1_3genE9ELNS1_11target_archE1100ELNS1_3gpuE3ELNS1_3repE0EEENS1_36merge_oddeven_config_static_selectorELNS0_4arch9wavefront6targetE0EEEvSL_.uses_vcc, 0
	.set _ZN7rocprim17ROCPRIM_400000_NS6detail17trampoline_kernelINS0_14default_configENS1_38merge_sort_block_merge_config_selectorIiNS0_10empty_typeEEEZZNS1_27merge_sort_block_merge_implIS3_N6thrust23THRUST_200600_302600_NS6detail15normal_iteratorINS9_10device_ptrIiEEEEPS5_jNS1_19radix_merge_compareILb1ELb0EiNS0_19identity_decomposerEEEEE10hipError_tT0_T1_T2_jT3_P12ihipStream_tbPNSt15iterator_traitsISK_E10value_typeEPNSQ_ISL_E10value_typeEPSM_NS1_7vsmem_tEENKUlT_SK_SL_SM_E_clISE_PiSF_SF_EESJ_SZ_SK_SL_SM_EUlSZ_E1_NS1_11comp_targetILNS1_3genE9ELNS1_11target_archE1100ELNS1_3gpuE3ELNS1_3repE0EEENS1_36merge_oddeven_config_static_selectorELNS0_4arch9wavefront6targetE0EEEvSL_.uses_flat_scratch, 0
	.set _ZN7rocprim17ROCPRIM_400000_NS6detail17trampoline_kernelINS0_14default_configENS1_38merge_sort_block_merge_config_selectorIiNS0_10empty_typeEEEZZNS1_27merge_sort_block_merge_implIS3_N6thrust23THRUST_200600_302600_NS6detail15normal_iteratorINS9_10device_ptrIiEEEEPS5_jNS1_19radix_merge_compareILb1ELb0EiNS0_19identity_decomposerEEEEE10hipError_tT0_T1_T2_jT3_P12ihipStream_tbPNSt15iterator_traitsISK_E10value_typeEPNSQ_ISL_E10value_typeEPSM_NS1_7vsmem_tEENKUlT_SK_SL_SM_E_clISE_PiSF_SF_EESJ_SZ_SK_SL_SM_EUlSZ_E1_NS1_11comp_targetILNS1_3genE9ELNS1_11target_archE1100ELNS1_3gpuE3ELNS1_3repE0EEENS1_36merge_oddeven_config_static_selectorELNS0_4arch9wavefront6targetE0EEEvSL_.has_dyn_sized_stack, 0
	.set _ZN7rocprim17ROCPRIM_400000_NS6detail17trampoline_kernelINS0_14default_configENS1_38merge_sort_block_merge_config_selectorIiNS0_10empty_typeEEEZZNS1_27merge_sort_block_merge_implIS3_N6thrust23THRUST_200600_302600_NS6detail15normal_iteratorINS9_10device_ptrIiEEEEPS5_jNS1_19radix_merge_compareILb1ELb0EiNS0_19identity_decomposerEEEEE10hipError_tT0_T1_T2_jT3_P12ihipStream_tbPNSt15iterator_traitsISK_E10value_typeEPNSQ_ISL_E10value_typeEPSM_NS1_7vsmem_tEENKUlT_SK_SL_SM_E_clISE_PiSF_SF_EESJ_SZ_SK_SL_SM_EUlSZ_E1_NS1_11comp_targetILNS1_3genE9ELNS1_11target_archE1100ELNS1_3gpuE3ELNS1_3repE0EEENS1_36merge_oddeven_config_static_selectorELNS0_4arch9wavefront6targetE0EEEvSL_.has_recursion, 0
	.set _ZN7rocprim17ROCPRIM_400000_NS6detail17trampoline_kernelINS0_14default_configENS1_38merge_sort_block_merge_config_selectorIiNS0_10empty_typeEEEZZNS1_27merge_sort_block_merge_implIS3_N6thrust23THRUST_200600_302600_NS6detail15normal_iteratorINS9_10device_ptrIiEEEEPS5_jNS1_19radix_merge_compareILb1ELb0EiNS0_19identity_decomposerEEEEE10hipError_tT0_T1_T2_jT3_P12ihipStream_tbPNSt15iterator_traitsISK_E10value_typeEPNSQ_ISL_E10value_typeEPSM_NS1_7vsmem_tEENKUlT_SK_SL_SM_E_clISE_PiSF_SF_EESJ_SZ_SK_SL_SM_EUlSZ_E1_NS1_11comp_targetILNS1_3genE9ELNS1_11target_archE1100ELNS1_3gpuE3ELNS1_3repE0EEENS1_36merge_oddeven_config_static_selectorELNS0_4arch9wavefront6targetE0EEEvSL_.has_indirect_call, 0
	.section	.AMDGPU.csdata,"",@progbits
; Kernel info:
; codeLenInByte = 0
; TotalNumSgprs: 0
; NumVgprs: 0
; ScratchSize: 0
; MemoryBound: 0
; FloatMode: 240
; IeeeMode: 1
; LDSByteSize: 0 bytes/workgroup (compile time only)
; SGPRBlocks: 0
; VGPRBlocks: 0
; NumSGPRsForWavesPerEU: 1
; NumVGPRsForWavesPerEU: 1
; Occupancy: 16
; WaveLimiterHint : 0
; COMPUTE_PGM_RSRC2:SCRATCH_EN: 0
; COMPUTE_PGM_RSRC2:USER_SGPR: 6
; COMPUTE_PGM_RSRC2:TRAP_HANDLER: 0
; COMPUTE_PGM_RSRC2:TGID_X_EN: 1
; COMPUTE_PGM_RSRC2:TGID_Y_EN: 0
; COMPUTE_PGM_RSRC2:TGID_Z_EN: 0
; COMPUTE_PGM_RSRC2:TIDIG_COMP_CNT: 0
	.section	.text._ZN7rocprim17ROCPRIM_400000_NS6detail17trampoline_kernelINS0_14default_configENS1_38merge_sort_block_merge_config_selectorIiNS0_10empty_typeEEEZZNS1_27merge_sort_block_merge_implIS3_N6thrust23THRUST_200600_302600_NS6detail15normal_iteratorINS9_10device_ptrIiEEEEPS5_jNS1_19radix_merge_compareILb1ELb0EiNS0_19identity_decomposerEEEEE10hipError_tT0_T1_T2_jT3_P12ihipStream_tbPNSt15iterator_traitsISK_E10value_typeEPNSQ_ISL_E10value_typeEPSM_NS1_7vsmem_tEENKUlT_SK_SL_SM_E_clISE_PiSF_SF_EESJ_SZ_SK_SL_SM_EUlSZ_E1_NS1_11comp_targetILNS1_3genE8ELNS1_11target_archE1030ELNS1_3gpuE2ELNS1_3repE0EEENS1_36merge_oddeven_config_static_selectorELNS0_4arch9wavefront6targetE0EEEvSL_,"axG",@progbits,_ZN7rocprim17ROCPRIM_400000_NS6detail17trampoline_kernelINS0_14default_configENS1_38merge_sort_block_merge_config_selectorIiNS0_10empty_typeEEEZZNS1_27merge_sort_block_merge_implIS3_N6thrust23THRUST_200600_302600_NS6detail15normal_iteratorINS9_10device_ptrIiEEEEPS5_jNS1_19radix_merge_compareILb1ELb0EiNS0_19identity_decomposerEEEEE10hipError_tT0_T1_T2_jT3_P12ihipStream_tbPNSt15iterator_traitsISK_E10value_typeEPNSQ_ISL_E10value_typeEPSM_NS1_7vsmem_tEENKUlT_SK_SL_SM_E_clISE_PiSF_SF_EESJ_SZ_SK_SL_SM_EUlSZ_E1_NS1_11comp_targetILNS1_3genE8ELNS1_11target_archE1030ELNS1_3gpuE2ELNS1_3repE0EEENS1_36merge_oddeven_config_static_selectorELNS0_4arch9wavefront6targetE0EEEvSL_,comdat
	.protected	_ZN7rocprim17ROCPRIM_400000_NS6detail17trampoline_kernelINS0_14default_configENS1_38merge_sort_block_merge_config_selectorIiNS0_10empty_typeEEEZZNS1_27merge_sort_block_merge_implIS3_N6thrust23THRUST_200600_302600_NS6detail15normal_iteratorINS9_10device_ptrIiEEEEPS5_jNS1_19radix_merge_compareILb1ELb0EiNS0_19identity_decomposerEEEEE10hipError_tT0_T1_T2_jT3_P12ihipStream_tbPNSt15iterator_traitsISK_E10value_typeEPNSQ_ISL_E10value_typeEPSM_NS1_7vsmem_tEENKUlT_SK_SL_SM_E_clISE_PiSF_SF_EESJ_SZ_SK_SL_SM_EUlSZ_E1_NS1_11comp_targetILNS1_3genE8ELNS1_11target_archE1030ELNS1_3gpuE2ELNS1_3repE0EEENS1_36merge_oddeven_config_static_selectorELNS0_4arch9wavefront6targetE0EEEvSL_ ; -- Begin function _ZN7rocprim17ROCPRIM_400000_NS6detail17trampoline_kernelINS0_14default_configENS1_38merge_sort_block_merge_config_selectorIiNS0_10empty_typeEEEZZNS1_27merge_sort_block_merge_implIS3_N6thrust23THRUST_200600_302600_NS6detail15normal_iteratorINS9_10device_ptrIiEEEEPS5_jNS1_19radix_merge_compareILb1ELb0EiNS0_19identity_decomposerEEEEE10hipError_tT0_T1_T2_jT3_P12ihipStream_tbPNSt15iterator_traitsISK_E10value_typeEPNSQ_ISL_E10value_typeEPSM_NS1_7vsmem_tEENKUlT_SK_SL_SM_E_clISE_PiSF_SF_EESJ_SZ_SK_SL_SM_EUlSZ_E1_NS1_11comp_targetILNS1_3genE8ELNS1_11target_archE1030ELNS1_3gpuE2ELNS1_3repE0EEENS1_36merge_oddeven_config_static_selectorELNS0_4arch9wavefront6targetE0EEEvSL_
	.globl	_ZN7rocprim17ROCPRIM_400000_NS6detail17trampoline_kernelINS0_14default_configENS1_38merge_sort_block_merge_config_selectorIiNS0_10empty_typeEEEZZNS1_27merge_sort_block_merge_implIS3_N6thrust23THRUST_200600_302600_NS6detail15normal_iteratorINS9_10device_ptrIiEEEEPS5_jNS1_19radix_merge_compareILb1ELb0EiNS0_19identity_decomposerEEEEE10hipError_tT0_T1_T2_jT3_P12ihipStream_tbPNSt15iterator_traitsISK_E10value_typeEPNSQ_ISL_E10value_typeEPSM_NS1_7vsmem_tEENKUlT_SK_SL_SM_E_clISE_PiSF_SF_EESJ_SZ_SK_SL_SM_EUlSZ_E1_NS1_11comp_targetILNS1_3genE8ELNS1_11target_archE1030ELNS1_3gpuE2ELNS1_3repE0EEENS1_36merge_oddeven_config_static_selectorELNS0_4arch9wavefront6targetE0EEEvSL_
	.p2align	8
	.type	_ZN7rocprim17ROCPRIM_400000_NS6detail17trampoline_kernelINS0_14default_configENS1_38merge_sort_block_merge_config_selectorIiNS0_10empty_typeEEEZZNS1_27merge_sort_block_merge_implIS3_N6thrust23THRUST_200600_302600_NS6detail15normal_iteratorINS9_10device_ptrIiEEEEPS5_jNS1_19radix_merge_compareILb1ELb0EiNS0_19identity_decomposerEEEEE10hipError_tT0_T1_T2_jT3_P12ihipStream_tbPNSt15iterator_traitsISK_E10value_typeEPNSQ_ISL_E10value_typeEPSM_NS1_7vsmem_tEENKUlT_SK_SL_SM_E_clISE_PiSF_SF_EESJ_SZ_SK_SL_SM_EUlSZ_E1_NS1_11comp_targetILNS1_3genE8ELNS1_11target_archE1030ELNS1_3gpuE2ELNS1_3repE0EEENS1_36merge_oddeven_config_static_selectorELNS0_4arch9wavefront6targetE0EEEvSL_,@function
_ZN7rocprim17ROCPRIM_400000_NS6detail17trampoline_kernelINS0_14default_configENS1_38merge_sort_block_merge_config_selectorIiNS0_10empty_typeEEEZZNS1_27merge_sort_block_merge_implIS3_N6thrust23THRUST_200600_302600_NS6detail15normal_iteratorINS9_10device_ptrIiEEEEPS5_jNS1_19radix_merge_compareILb1ELb0EiNS0_19identity_decomposerEEEEE10hipError_tT0_T1_T2_jT3_P12ihipStream_tbPNSt15iterator_traitsISK_E10value_typeEPNSQ_ISL_E10value_typeEPSM_NS1_7vsmem_tEENKUlT_SK_SL_SM_E_clISE_PiSF_SF_EESJ_SZ_SK_SL_SM_EUlSZ_E1_NS1_11comp_targetILNS1_3genE8ELNS1_11target_archE1030ELNS1_3gpuE2ELNS1_3repE0EEENS1_36merge_oddeven_config_static_selectorELNS0_4arch9wavefront6targetE0EEEvSL_: ; @_ZN7rocprim17ROCPRIM_400000_NS6detail17trampoline_kernelINS0_14default_configENS1_38merge_sort_block_merge_config_selectorIiNS0_10empty_typeEEEZZNS1_27merge_sort_block_merge_implIS3_N6thrust23THRUST_200600_302600_NS6detail15normal_iteratorINS9_10device_ptrIiEEEEPS5_jNS1_19radix_merge_compareILb1ELb0EiNS0_19identity_decomposerEEEEE10hipError_tT0_T1_T2_jT3_P12ihipStream_tbPNSt15iterator_traitsISK_E10value_typeEPNSQ_ISL_E10value_typeEPSM_NS1_7vsmem_tEENKUlT_SK_SL_SM_E_clISE_PiSF_SF_EESJ_SZ_SK_SL_SM_EUlSZ_E1_NS1_11comp_targetILNS1_3genE8ELNS1_11target_archE1030ELNS1_3gpuE2ELNS1_3repE0EEENS1_36merge_oddeven_config_static_selectorELNS0_4arch9wavefront6targetE0EEEvSL_
; %bb.0:
	s_load_dword s7, s[4:5], 0x20
	s_waitcnt lgkmcnt(0)
	s_lshr_b32 s0, s7, 8
	s_cmp_lg_u32 s6, s0
	s_cselect_b32 s13, -1, 0
	s_cmp_eq_u32 s6, s0
	s_cselect_b32 s12, -1, 0
	s_lshl_b32 s2, s6, 8
	s_sub_i32 s0, s7, s2
	v_cmp_gt_u32_e64 s1, s0, v0
	s_or_b32 s0, s13, s1
	s_and_saveexec_b32 s3, s0
	s_cbranch_execz .LBB269_20
; %bb.1:
	s_load_dwordx4 s[8:11], s[4:5], 0x0
	s_mov_b32 s3, 0
	v_lshlrev_b32_e32 v1, 2, v0
	s_lshl_b64 s[14:15], s[2:3], 2
	s_load_dword s5, s[4:5], 0x24
	v_add_nc_u32_e32 v0, s2, v0
	s_waitcnt lgkmcnt(0)
	s_add_u32 s14, s8, s14
	s_addc_u32 s15, s9, s15
	global_load_dword v2, v1, s[14:15]
	s_lshr_b32 s0, s5, 8
	s_sub_i32 s4, 0, s0
	s_and_b32 s4, s6, s4
	s_and_b32 s0, s4, s0
	s_lshl_b32 s6, s4, 8
	s_sub_i32 s4, 0, s5
	s_cmp_eq_u32 s0, 0
	s_cselect_b32 s0, -1, 0
	s_and_b32 s14, s0, exec_lo
	s_cselect_b32 s4, s5, s4
	s_add_i32 s4, s4, s6
	s_cmp_gt_u32 s7, s4
	s_cbranch_scc1 .LBB269_3
; %bb.2:
	v_cmp_gt_u32_e32 vcc_lo, s7, v0
	s_or_b32 s3, vcc_lo, s13
	s_and_b32 s3, s3, exec_lo
	s_cbranch_execz .LBB269_4
	s_branch .LBB269_18
.LBB269_3:
.LBB269_4:
	s_min_u32 s2, s4, s7
	s_and_b32 vcc_lo, exec_lo, s12
	s_add_i32 s13, s6, s2
	s_min_u32 s6, s6, s2
	v_subrev_nc_u32_e32 v0, s13, v0
	s_add_i32 s5, s2, s5
	s_min_u32 s5, s5, s7
	v_add_nc_u32_e32 v3, s6, v0
	s_cbranch_vccz .LBB269_12
; %bb.5:
                                        ; implicit-def: $vgpr0
	s_and_saveexec_b32 s6, s1
	s_cbranch_execz .LBB269_11
; %bb.6:
	v_mov_b32_e32 v4, s2
	s_cmp_ge_u32 s4, s5
	s_cbranch_scc1 .LBB269_10
; %bb.7:
	v_mov_b32_e32 v5, s5
	v_mov_b32_e32 v4, s2
	v_mov_b32_e32 v1, 0
	s_mov_b32 s1, 0
	.p2align	6
.LBB269_8:                              ; =>This Inner Loop Header: Depth=1
	v_add_nc_u32_e32 v0, v4, v5
	v_lshrrev_b32_e32 v0, 1, v0
	v_lshlrev_b64 v[6:7], 2, v[0:1]
	v_add_co_u32 v6, vcc_lo, s8, v6
	v_add_co_ci_u32_e64 v7, null, s9, v7, vcc_lo
	global_load_dword v6, v[6:7], off
	s_waitcnt vmcnt(0)
	v_cmp_gt_i32_e32 vcc_lo, v6, v2
	v_cndmask_b32_e64 v7, 0, 1, vcc_lo
	v_cmp_le_i32_e32 vcc_lo, v2, v6
	v_cndmask_b32_e64 v6, 0, 1, vcc_lo
	v_cndmask_b32_e64 v6, v6, v7, s0
	v_add_nc_u32_e32 v7, 1, v0
	v_and_b32_e32 v6, 1, v6
	v_cmp_eq_u32_e32 vcc_lo, 1, v6
	v_cndmask_b32_e32 v5, v0, v5, vcc_lo
	v_cndmask_b32_e32 v4, v4, v7, vcc_lo
	v_cmp_ge_u32_e32 vcc_lo, v4, v5
	s_or_b32 s1, vcc_lo, s1
	s_andn2_b32 exec_lo, exec_lo, s1
	s_cbranch_execnz .LBB269_8
; %bb.9:
	s_or_b32 exec_lo, exec_lo, s1
.LBB269_10:
	v_add_nc_u32_e32 v0, v4, v3
	s_or_b32 s3, s3, exec_lo
.LBB269_11:
	s_or_b32 exec_lo, exec_lo, s6
	s_branch .LBB269_18
.LBB269_12:
                                        ; implicit-def: $vgpr0
	s_cbranch_execz .LBB269_18
; %bb.13:
	v_mov_b32_e32 v4, s2
	s_cmp_ge_u32 s4, s5
	s_cbranch_scc1 .LBB269_17
; %bb.14:
	v_mov_b32_e32 v5, s5
	v_mov_b32_e32 v4, s2
	;; [unrolled: 1-line block ×3, first 2 shown]
	s_mov_b32 s1, 0
	.p2align	6
.LBB269_15:                             ; =>This Inner Loop Header: Depth=1
	v_add_nc_u32_e32 v0, v4, v5
	v_lshrrev_b32_e32 v0, 1, v0
	v_lshlrev_b64 v[6:7], 2, v[0:1]
	v_add_co_u32 v6, vcc_lo, s8, v6
	v_add_co_ci_u32_e64 v7, null, s9, v7, vcc_lo
	global_load_dword v6, v[6:7], off
	s_waitcnt vmcnt(0)
	v_cmp_gt_i32_e32 vcc_lo, v6, v2
	v_cndmask_b32_e64 v7, 0, 1, vcc_lo
	v_cmp_le_i32_e32 vcc_lo, v2, v6
	v_cndmask_b32_e64 v6, 0, 1, vcc_lo
	v_cndmask_b32_e64 v6, v6, v7, s0
	v_add_nc_u32_e32 v7, 1, v0
	v_and_b32_e32 v6, 1, v6
	v_cmp_eq_u32_e32 vcc_lo, 1, v6
	v_cndmask_b32_e32 v5, v0, v5, vcc_lo
	v_cndmask_b32_e32 v4, v4, v7, vcc_lo
	v_cmp_ge_u32_e32 vcc_lo, v4, v5
	s_or_b32 s1, vcc_lo, s1
	s_andn2_b32 exec_lo, exec_lo, s1
	s_cbranch_execnz .LBB269_15
; %bb.16:
	s_or_b32 exec_lo, exec_lo, s1
.LBB269_17:
	v_add_nc_u32_e32 v0, v4, v3
	s_mov_b32 s3, -1
.LBB269_18:
	s_and_b32 exec_lo, exec_lo, s3
	s_cbranch_execz .LBB269_20
; %bb.19:
	v_mov_b32_e32 v1, 0
	v_lshlrev_b64 v[0:1], 2, v[0:1]
	v_add_co_u32 v0, vcc_lo, s10, v0
	v_add_co_ci_u32_e64 v1, null, s11, v1, vcc_lo
	s_waitcnt vmcnt(0)
	global_store_dword v[0:1], v2, off
.LBB269_20:
	s_endpgm
	.section	.rodata,"a",@progbits
	.p2align	6, 0x0
	.amdhsa_kernel _ZN7rocprim17ROCPRIM_400000_NS6detail17trampoline_kernelINS0_14default_configENS1_38merge_sort_block_merge_config_selectorIiNS0_10empty_typeEEEZZNS1_27merge_sort_block_merge_implIS3_N6thrust23THRUST_200600_302600_NS6detail15normal_iteratorINS9_10device_ptrIiEEEEPS5_jNS1_19radix_merge_compareILb1ELb0EiNS0_19identity_decomposerEEEEE10hipError_tT0_T1_T2_jT3_P12ihipStream_tbPNSt15iterator_traitsISK_E10value_typeEPNSQ_ISL_E10value_typeEPSM_NS1_7vsmem_tEENKUlT_SK_SL_SM_E_clISE_PiSF_SF_EESJ_SZ_SK_SL_SM_EUlSZ_E1_NS1_11comp_targetILNS1_3genE8ELNS1_11target_archE1030ELNS1_3gpuE2ELNS1_3repE0EEENS1_36merge_oddeven_config_static_selectorELNS0_4arch9wavefront6targetE0EEEvSL_
		.amdhsa_group_segment_fixed_size 0
		.amdhsa_private_segment_fixed_size 0
		.amdhsa_kernarg_size 48
		.amdhsa_user_sgpr_count 6
		.amdhsa_user_sgpr_private_segment_buffer 1
		.amdhsa_user_sgpr_dispatch_ptr 0
		.amdhsa_user_sgpr_queue_ptr 0
		.amdhsa_user_sgpr_kernarg_segment_ptr 1
		.amdhsa_user_sgpr_dispatch_id 0
		.amdhsa_user_sgpr_flat_scratch_init 0
		.amdhsa_user_sgpr_private_segment_size 0
		.amdhsa_wavefront_size32 1
		.amdhsa_uses_dynamic_stack 0
		.amdhsa_system_sgpr_private_segment_wavefront_offset 0
		.amdhsa_system_sgpr_workgroup_id_x 1
		.amdhsa_system_sgpr_workgroup_id_y 0
		.amdhsa_system_sgpr_workgroup_id_z 0
		.amdhsa_system_sgpr_workgroup_info 0
		.amdhsa_system_vgpr_workitem_id 0
		.amdhsa_next_free_vgpr 8
		.amdhsa_next_free_sgpr 16
		.amdhsa_reserve_vcc 1
		.amdhsa_reserve_flat_scratch 0
		.amdhsa_float_round_mode_32 0
		.amdhsa_float_round_mode_16_64 0
		.amdhsa_float_denorm_mode_32 3
		.amdhsa_float_denorm_mode_16_64 3
		.amdhsa_dx10_clamp 1
		.amdhsa_ieee_mode 1
		.amdhsa_fp16_overflow 0
		.amdhsa_workgroup_processor_mode 1
		.amdhsa_memory_ordered 1
		.amdhsa_forward_progress 1
		.amdhsa_shared_vgpr_count 0
		.amdhsa_exception_fp_ieee_invalid_op 0
		.amdhsa_exception_fp_denorm_src 0
		.amdhsa_exception_fp_ieee_div_zero 0
		.amdhsa_exception_fp_ieee_overflow 0
		.amdhsa_exception_fp_ieee_underflow 0
		.amdhsa_exception_fp_ieee_inexact 0
		.amdhsa_exception_int_div_zero 0
	.end_amdhsa_kernel
	.section	.text._ZN7rocprim17ROCPRIM_400000_NS6detail17trampoline_kernelINS0_14default_configENS1_38merge_sort_block_merge_config_selectorIiNS0_10empty_typeEEEZZNS1_27merge_sort_block_merge_implIS3_N6thrust23THRUST_200600_302600_NS6detail15normal_iteratorINS9_10device_ptrIiEEEEPS5_jNS1_19radix_merge_compareILb1ELb0EiNS0_19identity_decomposerEEEEE10hipError_tT0_T1_T2_jT3_P12ihipStream_tbPNSt15iterator_traitsISK_E10value_typeEPNSQ_ISL_E10value_typeEPSM_NS1_7vsmem_tEENKUlT_SK_SL_SM_E_clISE_PiSF_SF_EESJ_SZ_SK_SL_SM_EUlSZ_E1_NS1_11comp_targetILNS1_3genE8ELNS1_11target_archE1030ELNS1_3gpuE2ELNS1_3repE0EEENS1_36merge_oddeven_config_static_selectorELNS0_4arch9wavefront6targetE0EEEvSL_,"axG",@progbits,_ZN7rocprim17ROCPRIM_400000_NS6detail17trampoline_kernelINS0_14default_configENS1_38merge_sort_block_merge_config_selectorIiNS0_10empty_typeEEEZZNS1_27merge_sort_block_merge_implIS3_N6thrust23THRUST_200600_302600_NS6detail15normal_iteratorINS9_10device_ptrIiEEEEPS5_jNS1_19radix_merge_compareILb1ELb0EiNS0_19identity_decomposerEEEEE10hipError_tT0_T1_T2_jT3_P12ihipStream_tbPNSt15iterator_traitsISK_E10value_typeEPNSQ_ISL_E10value_typeEPSM_NS1_7vsmem_tEENKUlT_SK_SL_SM_E_clISE_PiSF_SF_EESJ_SZ_SK_SL_SM_EUlSZ_E1_NS1_11comp_targetILNS1_3genE8ELNS1_11target_archE1030ELNS1_3gpuE2ELNS1_3repE0EEENS1_36merge_oddeven_config_static_selectorELNS0_4arch9wavefront6targetE0EEEvSL_,comdat
.Lfunc_end269:
	.size	_ZN7rocprim17ROCPRIM_400000_NS6detail17trampoline_kernelINS0_14default_configENS1_38merge_sort_block_merge_config_selectorIiNS0_10empty_typeEEEZZNS1_27merge_sort_block_merge_implIS3_N6thrust23THRUST_200600_302600_NS6detail15normal_iteratorINS9_10device_ptrIiEEEEPS5_jNS1_19radix_merge_compareILb1ELb0EiNS0_19identity_decomposerEEEEE10hipError_tT0_T1_T2_jT3_P12ihipStream_tbPNSt15iterator_traitsISK_E10value_typeEPNSQ_ISL_E10value_typeEPSM_NS1_7vsmem_tEENKUlT_SK_SL_SM_E_clISE_PiSF_SF_EESJ_SZ_SK_SL_SM_EUlSZ_E1_NS1_11comp_targetILNS1_3genE8ELNS1_11target_archE1030ELNS1_3gpuE2ELNS1_3repE0EEENS1_36merge_oddeven_config_static_selectorELNS0_4arch9wavefront6targetE0EEEvSL_, .Lfunc_end269-_ZN7rocprim17ROCPRIM_400000_NS6detail17trampoline_kernelINS0_14default_configENS1_38merge_sort_block_merge_config_selectorIiNS0_10empty_typeEEEZZNS1_27merge_sort_block_merge_implIS3_N6thrust23THRUST_200600_302600_NS6detail15normal_iteratorINS9_10device_ptrIiEEEEPS5_jNS1_19radix_merge_compareILb1ELb0EiNS0_19identity_decomposerEEEEE10hipError_tT0_T1_T2_jT3_P12ihipStream_tbPNSt15iterator_traitsISK_E10value_typeEPNSQ_ISL_E10value_typeEPSM_NS1_7vsmem_tEENKUlT_SK_SL_SM_E_clISE_PiSF_SF_EESJ_SZ_SK_SL_SM_EUlSZ_E1_NS1_11comp_targetILNS1_3genE8ELNS1_11target_archE1030ELNS1_3gpuE2ELNS1_3repE0EEENS1_36merge_oddeven_config_static_selectorELNS0_4arch9wavefront6targetE0EEEvSL_
                                        ; -- End function
	.set _ZN7rocprim17ROCPRIM_400000_NS6detail17trampoline_kernelINS0_14default_configENS1_38merge_sort_block_merge_config_selectorIiNS0_10empty_typeEEEZZNS1_27merge_sort_block_merge_implIS3_N6thrust23THRUST_200600_302600_NS6detail15normal_iteratorINS9_10device_ptrIiEEEEPS5_jNS1_19radix_merge_compareILb1ELb0EiNS0_19identity_decomposerEEEEE10hipError_tT0_T1_T2_jT3_P12ihipStream_tbPNSt15iterator_traitsISK_E10value_typeEPNSQ_ISL_E10value_typeEPSM_NS1_7vsmem_tEENKUlT_SK_SL_SM_E_clISE_PiSF_SF_EESJ_SZ_SK_SL_SM_EUlSZ_E1_NS1_11comp_targetILNS1_3genE8ELNS1_11target_archE1030ELNS1_3gpuE2ELNS1_3repE0EEENS1_36merge_oddeven_config_static_selectorELNS0_4arch9wavefront6targetE0EEEvSL_.num_vgpr, 8
	.set _ZN7rocprim17ROCPRIM_400000_NS6detail17trampoline_kernelINS0_14default_configENS1_38merge_sort_block_merge_config_selectorIiNS0_10empty_typeEEEZZNS1_27merge_sort_block_merge_implIS3_N6thrust23THRUST_200600_302600_NS6detail15normal_iteratorINS9_10device_ptrIiEEEEPS5_jNS1_19radix_merge_compareILb1ELb0EiNS0_19identity_decomposerEEEEE10hipError_tT0_T1_T2_jT3_P12ihipStream_tbPNSt15iterator_traitsISK_E10value_typeEPNSQ_ISL_E10value_typeEPSM_NS1_7vsmem_tEENKUlT_SK_SL_SM_E_clISE_PiSF_SF_EESJ_SZ_SK_SL_SM_EUlSZ_E1_NS1_11comp_targetILNS1_3genE8ELNS1_11target_archE1030ELNS1_3gpuE2ELNS1_3repE0EEENS1_36merge_oddeven_config_static_selectorELNS0_4arch9wavefront6targetE0EEEvSL_.num_agpr, 0
	.set _ZN7rocprim17ROCPRIM_400000_NS6detail17trampoline_kernelINS0_14default_configENS1_38merge_sort_block_merge_config_selectorIiNS0_10empty_typeEEEZZNS1_27merge_sort_block_merge_implIS3_N6thrust23THRUST_200600_302600_NS6detail15normal_iteratorINS9_10device_ptrIiEEEEPS5_jNS1_19radix_merge_compareILb1ELb0EiNS0_19identity_decomposerEEEEE10hipError_tT0_T1_T2_jT3_P12ihipStream_tbPNSt15iterator_traitsISK_E10value_typeEPNSQ_ISL_E10value_typeEPSM_NS1_7vsmem_tEENKUlT_SK_SL_SM_E_clISE_PiSF_SF_EESJ_SZ_SK_SL_SM_EUlSZ_E1_NS1_11comp_targetILNS1_3genE8ELNS1_11target_archE1030ELNS1_3gpuE2ELNS1_3repE0EEENS1_36merge_oddeven_config_static_selectorELNS0_4arch9wavefront6targetE0EEEvSL_.numbered_sgpr, 16
	.set _ZN7rocprim17ROCPRIM_400000_NS6detail17trampoline_kernelINS0_14default_configENS1_38merge_sort_block_merge_config_selectorIiNS0_10empty_typeEEEZZNS1_27merge_sort_block_merge_implIS3_N6thrust23THRUST_200600_302600_NS6detail15normal_iteratorINS9_10device_ptrIiEEEEPS5_jNS1_19radix_merge_compareILb1ELb0EiNS0_19identity_decomposerEEEEE10hipError_tT0_T1_T2_jT3_P12ihipStream_tbPNSt15iterator_traitsISK_E10value_typeEPNSQ_ISL_E10value_typeEPSM_NS1_7vsmem_tEENKUlT_SK_SL_SM_E_clISE_PiSF_SF_EESJ_SZ_SK_SL_SM_EUlSZ_E1_NS1_11comp_targetILNS1_3genE8ELNS1_11target_archE1030ELNS1_3gpuE2ELNS1_3repE0EEENS1_36merge_oddeven_config_static_selectorELNS0_4arch9wavefront6targetE0EEEvSL_.num_named_barrier, 0
	.set _ZN7rocprim17ROCPRIM_400000_NS6detail17trampoline_kernelINS0_14default_configENS1_38merge_sort_block_merge_config_selectorIiNS0_10empty_typeEEEZZNS1_27merge_sort_block_merge_implIS3_N6thrust23THRUST_200600_302600_NS6detail15normal_iteratorINS9_10device_ptrIiEEEEPS5_jNS1_19radix_merge_compareILb1ELb0EiNS0_19identity_decomposerEEEEE10hipError_tT0_T1_T2_jT3_P12ihipStream_tbPNSt15iterator_traitsISK_E10value_typeEPNSQ_ISL_E10value_typeEPSM_NS1_7vsmem_tEENKUlT_SK_SL_SM_E_clISE_PiSF_SF_EESJ_SZ_SK_SL_SM_EUlSZ_E1_NS1_11comp_targetILNS1_3genE8ELNS1_11target_archE1030ELNS1_3gpuE2ELNS1_3repE0EEENS1_36merge_oddeven_config_static_selectorELNS0_4arch9wavefront6targetE0EEEvSL_.private_seg_size, 0
	.set _ZN7rocprim17ROCPRIM_400000_NS6detail17trampoline_kernelINS0_14default_configENS1_38merge_sort_block_merge_config_selectorIiNS0_10empty_typeEEEZZNS1_27merge_sort_block_merge_implIS3_N6thrust23THRUST_200600_302600_NS6detail15normal_iteratorINS9_10device_ptrIiEEEEPS5_jNS1_19radix_merge_compareILb1ELb0EiNS0_19identity_decomposerEEEEE10hipError_tT0_T1_T2_jT3_P12ihipStream_tbPNSt15iterator_traitsISK_E10value_typeEPNSQ_ISL_E10value_typeEPSM_NS1_7vsmem_tEENKUlT_SK_SL_SM_E_clISE_PiSF_SF_EESJ_SZ_SK_SL_SM_EUlSZ_E1_NS1_11comp_targetILNS1_3genE8ELNS1_11target_archE1030ELNS1_3gpuE2ELNS1_3repE0EEENS1_36merge_oddeven_config_static_selectorELNS0_4arch9wavefront6targetE0EEEvSL_.uses_vcc, 1
	.set _ZN7rocprim17ROCPRIM_400000_NS6detail17trampoline_kernelINS0_14default_configENS1_38merge_sort_block_merge_config_selectorIiNS0_10empty_typeEEEZZNS1_27merge_sort_block_merge_implIS3_N6thrust23THRUST_200600_302600_NS6detail15normal_iteratorINS9_10device_ptrIiEEEEPS5_jNS1_19radix_merge_compareILb1ELb0EiNS0_19identity_decomposerEEEEE10hipError_tT0_T1_T2_jT3_P12ihipStream_tbPNSt15iterator_traitsISK_E10value_typeEPNSQ_ISL_E10value_typeEPSM_NS1_7vsmem_tEENKUlT_SK_SL_SM_E_clISE_PiSF_SF_EESJ_SZ_SK_SL_SM_EUlSZ_E1_NS1_11comp_targetILNS1_3genE8ELNS1_11target_archE1030ELNS1_3gpuE2ELNS1_3repE0EEENS1_36merge_oddeven_config_static_selectorELNS0_4arch9wavefront6targetE0EEEvSL_.uses_flat_scratch, 0
	.set _ZN7rocprim17ROCPRIM_400000_NS6detail17trampoline_kernelINS0_14default_configENS1_38merge_sort_block_merge_config_selectorIiNS0_10empty_typeEEEZZNS1_27merge_sort_block_merge_implIS3_N6thrust23THRUST_200600_302600_NS6detail15normal_iteratorINS9_10device_ptrIiEEEEPS5_jNS1_19radix_merge_compareILb1ELb0EiNS0_19identity_decomposerEEEEE10hipError_tT0_T1_T2_jT3_P12ihipStream_tbPNSt15iterator_traitsISK_E10value_typeEPNSQ_ISL_E10value_typeEPSM_NS1_7vsmem_tEENKUlT_SK_SL_SM_E_clISE_PiSF_SF_EESJ_SZ_SK_SL_SM_EUlSZ_E1_NS1_11comp_targetILNS1_3genE8ELNS1_11target_archE1030ELNS1_3gpuE2ELNS1_3repE0EEENS1_36merge_oddeven_config_static_selectorELNS0_4arch9wavefront6targetE0EEEvSL_.has_dyn_sized_stack, 0
	.set _ZN7rocprim17ROCPRIM_400000_NS6detail17trampoline_kernelINS0_14default_configENS1_38merge_sort_block_merge_config_selectorIiNS0_10empty_typeEEEZZNS1_27merge_sort_block_merge_implIS3_N6thrust23THRUST_200600_302600_NS6detail15normal_iteratorINS9_10device_ptrIiEEEEPS5_jNS1_19radix_merge_compareILb1ELb0EiNS0_19identity_decomposerEEEEE10hipError_tT0_T1_T2_jT3_P12ihipStream_tbPNSt15iterator_traitsISK_E10value_typeEPNSQ_ISL_E10value_typeEPSM_NS1_7vsmem_tEENKUlT_SK_SL_SM_E_clISE_PiSF_SF_EESJ_SZ_SK_SL_SM_EUlSZ_E1_NS1_11comp_targetILNS1_3genE8ELNS1_11target_archE1030ELNS1_3gpuE2ELNS1_3repE0EEENS1_36merge_oddeven_config_static_selectorELNS0_4arch9wavefront6targetE0EEEvSL_.has_recursion, 0
	.set _ZN7rocprim17ROCPRIM_400000_NS6detail17trampoline_kernelINS0_14default_configENS1_38merge_sort_block_merge_config_selectorIiNS0_10empty_typeEEEZZNS1_27merge_sort_block_merge_implIS3_N6thrust23THRUST_200600_302600_NS6detail15normal_iteratorINS9_10device_ptrIiEEEEPS5_jNS1_19radix_merge_compareILb1ELb0EiNS0_19identity_decomposerEEEEE10hipError_tT0_T1_T2_jT3_P12ihipStream_tbPNSt15iterator_traitsISK_E10value_typeEPNSQ_ISL_E10value_typeEPSM_NS1_7vsmem_tEENKUlT_SK_SL_SM_E_clISE_PiSF_SF_EESJ_SZ_SK_SL_SM_EUlSZ_E1_NS1_11comp_targetILNS1_3genE8ELNS1_11target_archE1030ELNS1_3gpuE2ELNS1_3repE0EEENS1_36merge_oddeven_config_static_selectorELNS0_4arch9wavefront6targetE0EEEvSL_.has_indirect_call, 0
	.section	.AMDGPU.csdata,"",@progbits
; Kernel info:
; codeLenInByte = 624
; TotalNumSgprs: 18
; NumVgprs: 8
; ScratchSize: 0
; MemoryBound: 0
; FloatMode: 240
; IeeeMode: 1
; LDSByteSize: 0 bytes/workgroup (compile time only)
; SGPRBlocks: 0
; VGPRBlocks: 0
; NumSGPRsForWavesPerEU: 18
; NumVGPRsForWavesPerEU: 8
; Occupancy: 16
; WaveLimiterHint : 0
; COMPUTE_PGM_RSRC2:SCRATCH_EN: 0
; COMPUTE_PGM_RSRC2:USER_SGPR: 6
; COMPUTE_PGM_RSRC2:TRAP_HANDLER: 0
; COMPUTE_PGM_RSRC2:TGID_X_EN: 1
; COMPUTE_PGM_RSRC2:TGID_Y_EN: 0
; COMPUTE_PGM_RSRC2:TGID_Z_EN: 0
; COMPUTE_PGM_RSRC2:TIDIG_COMP_CNT: 0
	.section	.text._ZN7rocprim17ROCPRIM_400000_NS6detail17trampoline_kernelINS0_14default_configENS1_38merge_sort_block_merge_config_selectorIiNS0_10empty_typeEEEZZNS1_27merge_sort_block_merge_implIS3_N6thrust23THRUST_200600_302600_NS6detail15normal_iteratorINS9_10device_ptrIiEEEEPS5_jNS1_19radix_merge_compareILb1ELb1EiNS0_19identity_decomposerEEEEE10hipError_tT0_T1_T2_jT3_P12ihipStream_tbPNSt15iterator_traitsISK_E10value_typeEPNSQ_ISL_E10value_typeEPSM_NS1_7vsmem_tEENKUlT_SK_SL_SM_E_clIPiSE_SF_SF_EESJ_SZ_SK_SL_SM_EUlSZ_E_NS1_11comp_targetILNS1_3genE0ELNS1_11target_archE4294967295ELNS1_3gpuE0ELNS1_3repE0EEENS1_48merge_mergepath_partition_config_static_selectorELNS0_4arch9wavefront6targetE0EEEvSL_,"axG",@progbits,_ZN7rocprim17ROCPRIM_400000_NS6detail17trampoline_kernelINS0_14default_configENS1_38merge_sort_block_merge_config_selectorIiNS0_10empty_typeEEEZZNS1_27merge_sort_block_merge_implIS3_N6thrust23THRUST_200600_302600_NS6detail15normal_iteratorINS9_10device_ptrIiEEEEPS5_jNS1_19radix_merge_compareILb1ELb1EiNS0_19identity_decomposerEEEEE10hipError_tT0_T1_T2_jT3_P12ihipStream_tbPNSt15iterator_traitsISK_E10value_typeEPNSQ_ISL_E10value_typeEPSM_NS1_7vsmem_tEENKUlT_SK_SL_SM_E_clIPiSE_SF_SF_EESJ_SZ_SK_SL_SM_EUlSZ_E_NS1_11comp_targetILNS1_3genE0ELNS1_11target_archE4294967295ELNS1_3gpuE0ELNS1_3repE0EEENS1_48merge_mergepath_partition_config_static_selectorELNS0_4arch9wavefront6targetE0EEEvSL_,comdat
	.protected	_ZN7rocprim17ROCPRIM_400000_NS6detail17trampoline_kernelINS0_14default_configENS1_38merge_sort_block_merge_config_selectorIiNS0_10empty_typeEEEZZNS1_27merge_sort_block_merge_implIS3_N6thrust23THRUST_200600_302600_NS6detail15normal_iteratorINS9_10device_ptrIiEEEEPS5_jNS1_19radix_merge_compareILb1ELb1EiNS0_19identity_decomposerEEEEE10hipError_tT0_T1_T2_jT3_P12ihipStream_tbPNSt15iterator_traitsISK_E10value_typeEPNSQ_ISL_E10value_typeEPSM_NS1_7vsmem_tEENKUlT_SK_SL_SM_E_clIPiSE_SF_SF_EESJ_SZ_SK_SL_SM_EUlSZ_E_NS1_11comp_targetILNS1_3genE0ELNS1_11target_archE4294967295ELNS1_3gpuE0ELNS1_3repE0EEENS1_48merge_mergepath_partition_config_static_selectorELNS0_4arch9wavefront6targetE0EEEvSL_ ; -- Begin function _ZN7rocprim17ROCPRIM_400000_NS6detail17trampoline_kernelINS0_14default_configENS1_38merge_sort_block_merge_config_selectorIiNS0_10empty_typeEEEZZNS1_27merge_sort_block_merge_implIS3_N6thrust23THRUST_200600_302600_NS6detail15normal_iteratorINS9_10device_ptrIiEEEEPS5_jNS1_19radix_merge_compareILb1ELb1EiNS0_19identity_decomposerEEEEE10hipError_tT0_T1_T2_jT3_P12ihipStream_tbPNSt15iterator_traitsISK_E10value_typeEPNSQ_ISL_E10value_typeEPSM_NS1_7vsmem_tEENKUlT_SK_SL_SM_E_clIPiSE_SF_SF_EESJ_SZ_SK_SL_SM_EUlSZ_E_NS1_11comp_targetILNS1_3genE0ELNS1_11target_archE4294967295ELNS1_3gpuE0ELNS1_3repE0EEENS1_48merge_mergepath_partition_config_static_selectorELNS0_4arch9wavefront6targetE0EEEvSL_
	.globl	_ZN7rocprim17ROCPRIM_400000_NS6detail17trampoline_kernelINS0_14default_configENS1_38merge_sort_block_merge_config_selectorIiNS0_10empty_typeEEEZZNS1_27merge_sort_block_merge_implIS3_N6thrust23THRUST_200600_302600_NS6detail15normal_iteratorINS9_10device_ptrIiEEEEPS5_jNS1_19radix_merge_compareILb1ELb1EiNS0_19identity_decomposerEEEEE10hipError_tT0_T1_T2_jT3_P12ihipStream_tbPNSt15iterator_traitsISK_E10value_typeEPNSQ_ISL_E10value_typeEPSM_NS1_7vsmem_tEENKUlT_SK_SL_SM_E_clIPiSE_SF_SF_EESJ_SZ_SK_SL_SM_EUlSZ_E_NS1_11comp_targetILNS1_3genE0ELNS1_11target_archE4294967295ELNS1_3gpuE0ELNS1_3repE0EEENS1_48merge_mergepath_partition_config_static_selectorELNS0_4arch9wavefront6targetE0EEEvSL_
	.p2align	8
	.type	_ZN7rocprim17ROCPRIM_400000_NS6detail17trampoline_kernelINS0_14default_configENS1_38merge_sort_block_merge_config_selectorIiNS0_10empty_typeEEEZZNS1_27merge_sort_block_merge_implIS3_N6thrust23THRUST_200600_302600_NS6detail15normal_iteratorINS9_10device_ptrIiEEEEPS5_jNS1_19radix_merge_compareILb1ELb1EiNS0_19identity_decomposerEEEEE10hipError_tT0_T1_T2_jT3_P12ihipStream_tbPNSt15iterator_traitsISK_E10value_typeEPNSQ_ISL_E10value_typeEPSM_NS1_7vsmem_tEENKUlT_SK_SL_SM_E_clIPiSE_SF_SF_EESJ_SZ_SK_SL_SM_EUlSZ_E_NS1_11comp_targetILNS1_3genE0ELNS1_11target_archE4294967295ELNS1_3gpuE0ELNS1_3repE0EEENS1_48merge_mergepath_partition_config_static_selectorELNS0_4arch9wavefront6targetE0EEEvSL_,@function
_ZN7rocprim17ROCPRIM_400000_NS6detail17trampoline_kernelINS0_14default_configENS1_38merge_sort_block_merge_config_selectorIiNS0_10empty_typeEEEZZNS1_27merge_sort_block_merge_implIS3_N6thrust23THRUST_200600_302600_NS6detail15normal_iteratorINS9_10device_ptrIiEEEEPS5_jNS1_19radix_merge_compareILb1ELb1EiNS0_19identity_decomposerEEEEE10hipError_tT0_T1_T2_jT3_P12ihipStream_tbPNSt15iterator_traitsISK_E10value_typeEPNSQ_ISL_E10value_typeEPSM_NS1_7vsmem_tEENKUlT_SK_SL_SM_E_clIPiSE_SF_SF_EESJ_SZ_SK_SL_SM_EUlSZ_E_NS1_11comp_targetILNS1_3genE0ELNS1_11target_archE4294967295ELNS1_3gpuE0ELNS1_3repE0EEENS1_48merge_mergepath_partition_config_static_selectorELNS0_4arch9wavefront6targetE0EEEvSL_: ; @_ZN7rocprim17ROCPRIM_400000_NS6detail17trampoline_kernelINS0_14default_configENS1_38merge_sort_block_merge_config_selectorIiNS0_10empty_typeEEEZZNS1_27merge_sort_block_merge_implIS3_N6thrust23THRUST_200600_302600_NS6detail15normal_iteratorINS9_10device_ptrIiEEEEPS5_jNS1_19radix_merge_compareILb1ELb1EiNS0_19identity_decomposerEEEEE10hipError_tT0_T1_T2_jT3_P12ihipStream_tbPNSt15iterator_traitsISK_E10value_typeEPNSQ_ISL_E10value_typeEPSM_NS1_7vsmem_tEENKUlT_SK_SL_SM_E_clIPiSE_SF_SF_EESJ_SZ_SK_SL_SM_EUlSZ_E_NS1_11comp_targetILNS1_3genE0ELNS1_11target_archE4294967295ELNS1_3gpuE0ELNS1_3repE0EEENS1_48merge_mergepath_partition_config_static_selectorELNS0_4arch9wavefront6targetE0EEEvSL_
; %bb.0:
	.section	.rodata,"a",@progbits
	.p2align	6, 0x0
	.amdhsa_kernel _ZN7rocprim17ROCPRIM_400000_NS6detail17trampoline_kernelINS0_14default_configENS1_38merge_sort_block_merge_config_selectorIiNS0_10empty_typeEEEZZNS1_27merge_sort_block_merge_implIS3_N6thrust23THRUST_200600_302600_NS6detail15normal_iteratorINS9_10device_ptrIiEEEEPS5_jNS1_19radix_merge_compareILb1ELb1EiNS0_19identity_decomposerEEEEE10hipError_tT0_T1_T2_jT3_P12ihipStream_tbPNSt15iterator_traitsISK_E10value_typeEPNSQ_ISL_E10value_typeEPSM_NS1_7vsmem_tEENKUlT_SK_SL_SM_E_clIPiSE_SF_SF_EESJ_SZ_SK_SL_SM_EUlSZ_E_NS1_11comp_targetILNS1_3genE0ELNS1_11target_archE4294967295ELNS1_3gpuE0ELNS1_3repE0EEENS1_48merge_mergepath_partition_config_static_selectorELNS0_4arch9wavefront6targetE0EEEvSL_
		.amdhsa_group_segment_fixed_size 0
		.amdhsa_private_segment_fixed_size 0
		.amdhsa_kernarg_size 40
		.amdhsa_user_sgpr_count 6
		.amdhsa_user_sgpr_private_segment_buffer 1
		.amdhsa_user_sgpr_dispatch_ptr 0
		.amdhsa_user_sgpr_queue_ptr 0
		.amdhsa_user_sgpr_kernarg_segment_ptr 1
		.amdhsa_user_sgpr_dispatch_id 0
		.amdhsa_user_sgpr_flat_scratch_init 0
		.amdhsa_user_sgpr_private_segment_size 0
		.amdhsa_wavefront_size32 1
		.amdhsa_uses_dynamic_stack 0
		.amdhsa_system_sgpr_private_segment_wavefront_offset 0
		.amdhsa_system_sgpr_workgroup_id_x 1
		.amdhsa_system_sgpr_workgroup_id_y 0
		.amdhsa_system_sgpr_workgroup_id_z 0
		.amdhsa_system_sgpr_workgroup_info 0
		.amdhsa_system_vgpr_workitem_id 0
		.amdhsa_next_free_vgpr 1
		.amdhsa_next_free_sgpr 1
		.amdhsa_reserve_vcc 0
		.amdhsa_reserve_flat_scratch 0
		.amdhsa_float_round_mode_32 0
		.amdhsa_float_round_mode_16_64 0
		.amdhsa_float_denorm_mode_32 3
		.amdhsa_float_denorm_mode_16_64 3
		.amdhsa_dx10_clamp 1
		.amdhsa_ieee_mode 1
		.amdhsa_fp16_overflow 0
		.amdhsa_workgroup_processor_mode 1
		.amdhsa_memory_ordered 1
		.amdhsa_forward_progress 1
		.amdhsa_shared_vgpr_count 0
		.amdhsa_exception_fp_ieee_invalid_op 0
		.amdhsa_exception_fp_denorm_src 0
		.amdhsa_exception_fp_ieee_div_zero 0
		.amdhsa_exception_fp_ieee_overflow 0
		.amdhsa_exception_fp_ieee_underflow 0
		.amdhsa_exception_fp_ieee_inexact 0
		.amdhsa_exception_int_div_zero 0
	.end_amdhsa_kernel
	.section	.text._ZN7rocprim17ROCPRIM_400000_NS6detail17trampoline_kernelINS0_14default_configENS1_38merge_sort_block_merge_config_selectorIiNS0_10empty_typeEEEZZNS1_27merge_sort_block_merge_implIS3_N6thrust23THRUST_200600_302600_NS6detail15normal_iteratorINS9_10device_ptrIiEEEEPS5_jNS1_19radix_merge_compareILb1ELb1EiNS0_19identity_decomposerEEEEE10hipError_tT0_T1_T2_jT3_P12ihipStream_tbPNSt15iterator_traitsISK_E10value_typeEPNSQ_ISL_E10value_typeEPSM_NS1_7vsmem_tEENKUlT_SK_SL_SM_E_clIPiSE_SF_SF_EESJ_SZ_SK_SL_SM_EUlSZ_E_NS1_11comp_targetILNS1_3genE0ELNS1_11target_archE4294967295ELNS1_3gpuE0ELNS1_3repE0EEENS1_48merge_mergepath_partition_config_static_selectorELNS0_4arch9wavefront6targetE0EEEvSL_,"axG",@progbits,_ZN7rocprim17ROCPRIM_400000_NS6detail17trampoline_kernelINS0_14default_configENS1_38merge_sort_block_merge_config_selectorIiNS0_10empty_typeEEEZZNS1_27merge_sort_block_merge_implIS3_N6thrust23THRUST_200600_302600_NS6detail15normal_iteratorINS9_10device_ptrIiEEEEPS5_jNS1_19radix_merge_compareILb1ELb1EiNS0_19identity_decomposerEEEEE10hipError_tT0_T1_T2_jT3_P12ihipStream_tbPNSt15iterator_traitsISK_E10value_typeEPNSQ_ISL_E10value_typeEPSM_NS1_7vsmem_tEENKUlT_SK_SL_SM_E_clIPiSE_SF_SF_EESJ_SZ_SK_SL_SM_EUlSZ_E_NS1_11comp_targetILNS1_3genE0ELNS1_11target_archE4294967295ELNS1_3gpuE0ELNS1_3repE0EEENS1_48merge_mergepath_partition_config_static_selectorELNS0_4arch9wavefront6targetE0EEEvSL_,comdat
.Lfunc_end270:
	.size	_ZN7rocprim17ROCPRIM_400000_NS6detail17trampoline_kernelINS0_14default_configENS1_38merge_sort_block_merge_config_selectorIiNS0_10empty_typeEEEZZNS1_27merge_sort_block_merge_implIS3_N6thrust23THRUST_200600_302600_NS6detail15normal_iteratorINS9_10device_ptrIiEEEEPS5_jNS1_19radix_merge_compareILb1ELb1EiNS0_19identity_decomposerEEEEE10hipError_tT0_T1_T2_jT3_P12ihipStream_tbPNSt15iterator_traitsISK_E10value_typeEPNSQ_ISL_E10value_typeEPSM_NS1_7vsmem_tEENKUlT_SK_SL_SM_E_clIPiSE_SF_SF_EESJ_SZ_SK_SL_SM_EUlSZ_E_NS1_11comp_targetILNS1_3genE0ELNS1_11target_archE4294967295ELNS1_3gpuE0ELNS1_3repE0EEENS1_48merge_mergepath_partition_config_static_selectorELNS0_4arch9wavefront6targetE0EEEvSL_, .Lfunc_end270-_ZN7rocprim17ROCPRIM_400000_NS6detail17trampoline_kernelINS0_14default_configENS1_38merge_sort_block_merge_config_selectorIiNS0_10empty_typeEEEZZNS1_27merge_sort_block_merge_implIS3_N6thrust23THRUST_200600_302600_NS6detail15normal_iteratorINS9_10device_ptrIiEEEEPS5_jNS1_19radix_merge_compareILb1ELb1EiNS0_19identity_decomposerEEEEE10hipError_tT0_T1_T2_jT3_P12ihipStream_tbPNSt15iterator_traitsISK_E10value_typeEPNSQ_ISL_E10value_typeEPSM_NS1_7vsmem_tEENKUlT_SK_SL_SM_E_clIPiSE_SF_SF_EESJ_SZ_SK_SL_SM_EUlSZ_E_NS1_11comp_targetILNS1_3genE0ELNS1_11target_archE4294967295ELNS1_3gpuE0ELNS1_3repE0EEENS1_48merge_mergepath_partition_config_static_selectorELNS0_4arch9wavefront6targetE0EEEvSL_
                                        ; -- End function
	.set _ZN7rocprim17ROCPRIM_400000_NS6detail17trampoline_kernelINS0_14default_configENS1_38merge_sort_block_merge_config_selectorIiNS0_10empty_typeEEEZZNS1_27merge_sort_block_merge_implIS3_N6thrust23THRUST_200600_302600_NS6detail15normal_iteratorINS9_10device_ptrIiEEEEPS5_jNS1_19radix_merge_compareILb1ELb1EiNS0_19identity_decomposerEEEEE10hipError_tT0_T1_T2_jT3_P12ihipStream_tbPNSt15iterator_traitsISK_E10value_typeEPNSQ_ISL_E10value_typeEPSM_NS1_7vsmem_tEENKUlT_SK_SL_SM_E_clIPiSE_SF_SF_EESJ_SZ_SK_SL_SM_EUlSZ_E_NS1_11comp_targetILNS1_3genE0ELNS1_11target_archE4294967295ELNS1_3gpuE0ELNS1_3repE0EEENS1_48merge_mergepath_partition_config_static_selectorELNS0_4arch9wavefront6targetE0EEEvSL_.num_vgpr, 0
	.set _ZN7rocprim17ROCPRIM_400000_NS6detail17trampoline_kernelINS0_14default_configENS1_38merge_sort_block_merge_config_selectorIiNS0_10empty_typeEEEZZNS1_27merge_sort_block_merge_implIS3_N6thrust23THRUST_200600_302600_NS6detail15normal_iteratorINS9_10device_ptrIiEEEEPS5_jNS1_19radix_merge_compareILb1ELb1EiNS0_19identity_decomposerEEEEE10hipError_tT0_T1_T2_jT3_P12ihipStream_tbPNSt15iterator_traitsISK_E10value_typeEPNSQ_ISL_E10value_typeEPSM_NS1_7vsmem_tEENKUlT_SK_SL_SM_E_clIPiSE_SF_SF_EESJ_SZ_SK_SL_SM_EUlSZ_E_NS1_11comp_targetILNS1_3genE0ELNS1_11target_archE4294967295ELNS1_3gpuE0ELNS1_3repE0EEENS1_48merge_mergepath_partition_config_static_selectorELNS0_4arch9wavefront6targetE0EEEvSL_.num_agpr, 0
	.set _ZN7rocprim17ROCPRIM_400000_NS6detail17trampoline_kernelINS0_14default_configENS1_38merge_sort_block_merge_config_selectorIiNS0_10empty_typeEEEZZNS1_27merge_sort_block_merge_implIS3_N6thrust23THRUST_200600_302600_NS6detail15normal_iteratorINS9_10device_ptrIiEEEEPS5_jNS1_19radix_merge_compareILb1ELb1EiNS0_19identity_decomposerEEEEE10hipError_tT0_T1_T2_jT3_P12ihipStream_tbPNSt15iterator_traitsISK_E10value_typeEPNSQ_ISL_E10value_typeEPSM_NS1_7vsmem_tEENKUlT_SK_SL_SM_E_clIPiSE_SF_SF_EESJ_SZ_SK_SL_SM_EUlSZ_E_NS1_11comp_targetILNS1_3genE0ELNS1_11target_archE4294967295ELNS1_3gpuE0ELNS1_3repE0EEENS1_48merge_mergepath_partition_config_static_selectorELNS0_4arch9wavefront6targetE0EEEvSL_.numbered_sgpr, 0
	.set _ZN7rocprim17ROCPRIM_400000_NS6detail17trampoline_kernelINS0_14default_configENS1_38merge_sort_block_merge_config_selectorIiNS0_10empty_typeEEEZZNS1_27merge_sort_block_merge_implIS3_N6thrust23THRUST_200600_302600_NS6detail15normal_iteratorINS9_10device_ptrIiEEEEPS5_jNS1_19radix_merge_compareILb1ELb1EiNS0_19identity_decomposerEEEEE10hipError_tT0_T1_T2_jT3_P12ihipStream_tbPNSt15iterator_traitsISK_E10value_typeEPNSQ_ISL_E10value_typeEPSM_NS1_7vsmem_tEENKUlT_SK_SL_SM_E_clIPiSE_SF_SF_EESJ_SZ_SK_SL_SM_EUlSZ_E_NS1_11comp_targetILNS1_3genE0ELNS1_11target_archE4294967295ELNS1_3gpuE0ELNS1_3repE0EEENS1_48merge_mergepath_partition_config_static_selectorELNS0_4arch9wavefront6targetE0EEEvSL_.num_named_barrier, 0
	.set _ZN7rocprim17ROCPRIM_400000_NS6detail17trampoline_kernelINS0_14default_configENS1_38merge_sort_block_merge_config_selectorIiNS0_10empty_typeEEEZZNS1_27merge_sort_block_merge_implIS3_N6thrust23THRUST_200600_302600_NS6detail15normal_iteratorINS9_10device_ptrIiEEEEPS5_jNS1_19radix_merge_compareILb1ELb1EiNS0_19identity_decomposerEEEEE10hipError_tT0_T1_T2_jT3_P12ihipStream_tbPNSt15iterator_traitsISK_E10value_typeEPNSQ_ISL_E10value_typeEPSM_NS1_7vsmem_tEENKUlT_SK_SL_SM_E_clIPiSE_SF_SF_EESJ_SZ_SK_SL_SM_EUlSZ_E_NS1_11comp_targetILNS1_3genE0ELNS1_11target_archE4294967295ELNS1_3gpuE0ELNS1_3repE0EEENS1_48merge_mergepath_partition_config_static_selectorELNS0_4arch9wavefront6targetE0EEEvSL_.private_seg_size, 0
	.set _ZN7rocprim17ROCPRIM_400000_NS6detail17trampoline_kernelINS0_14default_configENS1_38merge_sort_block_merge_config_selectorIiNS0_10empty_typeEEEZZNS1_27merge_sort_block_merge_implIS3_N6thrust23THRUST_200600_302600_NS6detail15normal_iteratorINS9_10device_ptrIiEEEEPS5_jNS1_19radix_merge_compareILb1ELb1EiNS0_19identity_decomposerEEEEE10hipError_tT0_T1_T2_jT3_P12ihipStream_tbPNSt15iterator_traitsISK_E10value_typeEPNSQ_ISL_E10value_typeEPSM_NS1_7vsmem_tEENKUlT_SK_SL_SM_E_clIPiSE_SF_SF_EESJ_SZ_SK_SL_SM_EUlSZ_E_NS1_11comp_targetILNS1_3genE0ELNS1_11target_archE4294967295ELNS1_3gpuE0ELNS1_3repE0EEENS1_48merge_mergepath_partition_config_static_selectorELNS0_4arch9wavefront6targetE0EEEvSL_.uses_vcc, 0
	.set _ZN7rocprim17ROCPRIM_400000_NS6detail17trampoline_kernelINS0_14default_configENS1_38merge_sort_block_merge_config_selectorIiNS0_10empty_typeEEEZZNS1_27merge_sort_block_merge_implIS3_N6thrust23THRUST_200600_302600_NS6detail15normal_iteratorINS9_10device_ptrIiEEEEPS5_jNS1_19radix_merge_compareILb1ELb1EiNS0_19identity_decomposerEEEEE10hipError_tT0_T1_T2_jT3_P12ihipStream_tbPNSt15iterator_traitsISK_E10value_typeEPNSQ_ISL_E10value_typeEPSM_NS1_7vsmem_tEENKUlT_SK_SL_SM_E_clIPiSE_SF_SF_EESJ_SZ_SK_SL_SM_EUlSZ_E_NS1_11comp_targetILNS1_3genE0ELNS1_11target_archE4294967295ELNS1_3gpuE0ELNS1_3repE0EEENS1_48merge_mergepath_partition_config_static_selectorELNS0_4arch9wavefront6targetE0EEEvSL_.uses_flat_scratch, 0
	.set _ZN7rocprim17ROCPRIM_400000_NS6detail17trampoline_kernelINS0_14default_configENS1_38merge_sort_block_merge_config_selectorIiNS0_10empty_typeEEEZZNS1_27merge_sort_block_merge_implIS3_N6thrust23THRUST_200600_302600_NS6detail15normal_iteratorINS9_10device_ptrIiEEEEPS5_jNS1_19radix_merge_compareILb1ELb1EiNS0_19identity_decomposerEEEEE10hipError_tT0_T1_T2_jT3_P12ihipStream_tbPNSt15iterator_traitsISK_E10value_typeEPNSQ_ISL_E10value_typeEPSM_NS1_7vsmem_tEENKUlT_SK_SL_SM_E_clIPiSE_SF_SF_EESJ_SZ_SK_SL_SM_EUlSZ_E_NS1_11comp_targetILNS1_3genE0ELNS1_11target_archE4294967295ELNS1_3gpuE0ELNS1_3repE0EEENS1_48merge_mergepath_partition_config_static_selectorELNS0_4arch9wavefront6targetE0EEEvSL_.has_dyn_sized_stack, 0
	.set _ZN7rocprim17ROCPRIM_400000_NS6detail17trampoline_kernelINS0_14default_configENS1_38merge_sort_block_merge_config_selectorIiNS0_10empty_typeEEEZZNS1_27merge_sort_block_merge_implIS3_N6thrust23THRUST_200600_302600_NS6detail15normal_iteratorINS9_10device_ptrIiEEEEPS5_jNS1_19radix_merge_compareILb1ELb1EiNS0_19identity_decomposerEEEEE10hipError_tT0_T1_T2_jT3_P12ihipStream_tbPNSt15iterator_traitsISK_E10value_typeEPNSQ_ISL_E10value_typeEPSM_NS1_7vsmem_tEENKUlT_SK_SL_SM_E_clIPiSE_SF_SF_EESJ_SZ_SK_SL_SM_EUlSZ_E_NS1_11comp_targetILNS1_3genE0ELNS1_11target_archE4294967295ELNS1_3gpuE0ELNS1_3repE0EEENS1_48merge_mergepath_partition_config_static_selectorELNS0_4arch9wavefront6targetE0EEEvSL_.has_recursion, 0
	.set _ZN7rocprim17ROCPRIM_400000_NS6detail17trampoline_kernelINS0_14default_configENS1_38merge_sort_block_merge_config_selectorIiNS0_10empty_typeEEEZZNS1_27merge_sort_block_merge_implIS3_N6thrust23THRUST_200600_302600_NS6detail15normal_iteratorINS9_10device_ptrIiEEEEPS5_jNS1_19radix_merge_compareILb1ELb1EiNS0_19identity_decomposerEEEEE10hipError_tT0_T1_T2_jT3_P12ihipStream_tbPNSt15iterator_traitsISK_E10value_typeEPNSQ_ISL_E10value_typeEPSM_NS1_7vsmem_tEENKUlT_SK_SL_SM_E_clIPiSE_SF_SF_EESJ_SZ_SK_SL_SM_EUlSZ_E_NS1_11comp_targetILNS1_3genE0ELNS1_11target_archE4294967295ELNS1_3gpuE0ELNS1_3repE0EEENS1_48merge_mergepath_partition_config_static_selectorELNS0_4arch9wavefront6targetE0EEEvSL_.has_indirect_call, 0
	.section	.AMDGPU.csdata,"",@progbits
; Kernel info:
; codeLenInByte = 0
; TotalNumSgprs: 0
; NumVgprs: 0
; ScratchSize: 0
; MemoryBound: 0
; FloatMode: 240
; IeeeMode: 1
; LDSByteSize: 0 bytes/workgroup (compile time only)
; SGPRBlocks: 0
; VGPRBlocks: 0
; NumSGPRsForWavesPerEU: 1
; NumVGPRsForWavesPerEU: 1
; Occupancy: 16
; WaveLimiterHint : 0
; COMPUTE_PGM_RSRC2:SCRATCH_EN: 0
; COMPUTE_PGM_RSRC2:USER_SGPR: 6
; COMPUTE_PGM_RSRC2:TRAP_HANDLER: 0
; COMPUTE_PGM_RSRC2:TGID_X_EN: 1
; COMPUTE_PGM_RSRC2:TGID_Y_EN: 0
; COMPUTE_PGM_RSRC2:TGID_Z_EN: 0
; COMPUTE_PGM_RSRC2:TIDIG_COMP_CNT: 0
	.section	.text._ZN7rocprim17ROCPRIM_400000_NS6detail17trampoline_kernelINS0_14default_configENS1_38merge_sort_block_merge_config_selectorIiNS0_10empty_typeEEEZZNS1_27merge_sort_block_merge_implIS3_N6thrust23THRUST_200600_302600_NS6detail15normal_iteratorINS9_10device_ptrIiEEEEPS5_jNS1_19radix_merge_compareILb1ELb1EiNS0_19identity_decomposerEEEEE10hipError_tT0_T1_T2_jT3_P12ihipStream_tbPNSt15iterator_traitsISK_E10value_typeEPNSQ_ISL_E10value_typeEPSM_NS1_7vsmem_tEENKUlT_SK_SL_SM_E_clIPiSE_SF_SF_EESJ_SZ_SK_SL_SM_EUlSZ_E_NS1_11comp_targetILNS1_3genE10ELNS1_11target_archE1201ELNS1_3gpuE5ELNS1_3repE0EEENS1_48merge_mergepath_partition_config_static_selectorELNS0_4arch9wavefront6targetE0EEEvSL_,"axG",@progbits,_ZN7rocprim17ROCPRIM_400000_NS6detail17trampoline_kernelINS0_14default_configENS1_38merge_sort_block_merge_config_selectorIiNS0_10empty_typeEEEZZNS1_27merge_sort_block_merge_implIS3_N6thrust23THRUST_200600_302600_NS6detail15normal_iteratorINS9_10device_ptrIiEEEEPS5_jNS1_19radix_merge_compareILb1ELb1EiNS0_19identity_decomposerEEEEE10hipError_tT0_T1_T2_jT3_P12ihipStream_tbPNSt15iterator_traitsISK_E10value_typeEPNSQ_ISL_E10value_typeEPSM_NS1_7vsmem_tEENKUlT_SK_SL_SM_E_clIPiSE_SF_SF_EESJ_SZ_SK_SL_SM_EUlSZ_E_NS1_11comp_targetILNS1_3genE10ELNS1_11target_archE1201ELNS1_3gpuE5ELNS1_3repE0EEENS1_48merge_mergepath_partition_config_static_selectorELNS0_4arch9wavefront6targetE0EEEvSL_,comdat
	.protected	_ZN7rocprim17ROCPRIM_400000_NS6detail17trampoline_kernelINS0_14default_configENS1_38merge_sort_block_merge_config_selectorIiNS0_10empty_typeEEEZZNS1_27merge_sort_block_merge_implIS3_N6thrust23THRUST_200600_302600_NS6detail15normal_iteratorINS9_10device_ptrIiEEEEPS5_jNS1_19radix_merge_compareILb1ELb1EiNS0_19identity_decomposerEEEEE10hipError_tT0_T1_T2_jT3_P12ihipStream_tbPNSt15iterator_traitsISK_E10value_typeEPNSQ_ISL_E10value_typeEPSM_NS1_7vsmem_tEENKUlT_SK_SL_SM_E_clIPiSE_SF_SF_EESJ_SZ_SK_SL_SM_EUlSZ_E_NS1_11comp_targetILNS1_3genE10ELNS1_11target_archE1201ELNS1_3gpuE5ELNS1_3repE0EEENS1_48merge_mergepath_partition_config_static_selectorELNS0_4arch9wavefront6targetE0EEEvSL_ ; -- Begin function _ZN7rocprim17ROCPRIM_400000_NS6detail17trampoline_kernelINS0_14default_configENS1_38merge_sort_block_merge_config_selectorIiNS0_10empty_typeEEEZZNS1_27merge_sort_block_merge_implIS3_N6thrust23THRUST_200600_302600_NS6detail15normal_iteratorINS9_10device_ptrIiEEEEPS5_jNS1_19radix_merge_compareILb1ELb1EiNS0_19identity_decomposerEEEEE10hipError_tT0_T1_T2_jT3_P12ihipStream_tbPNSt15iterator_traitsISK_E10value_typeEPNSQ_ISL_E10value_typeEPSM_NS1_7vsmem_tEENKUlT_SK_SL_SM_E_clIPiSE_SF_SF_EESJ_SZ_SK_SL_SM_EUlSZ_E_NS1_11comp_targetILNS1_3genE10ELNS1_11target_archE1201ELNS1_3gpuE5ELNS1_3repE0EEENS1_48merge_mergepath_partition_config_static_selectorELNS0_4arch9wavefront6targetE0EEEvSL_
	.globl	_ZN7rocprim17ROCPRIM_400000_NS6detail17trampoline_kernelINS0_14default_configENS1_38merge_sort_block_merge_config_selectorIiNS0_10empty_typeEEEZZNS1_27merge_sort_block_merge_implIS3_N6thrust23THRUST_200600_302600_NS6detail15normal_iteratorINS9_10device_ptrIiEEEEPS5_jNS1_19radix_merge_compareILb1ELb1EiNS0_19identity_decomposerEEEEE10hipError_tT0_T1_T2_jT3_P12ihipStream_tbPNSt15iterator_traitsISK_E10value_typeEPNSQ_ISL_E10value_typeEPSM_NS1_7vsmem_tEENKUlT_SK_SL_SM_E_clIPiSE_SF_SF_EESJ_SZ_SK_SL_SM_EUlSZ_E_NS1_11comp_targetILNS1_3genE10ELNS1_11target_archE1201ELNS1_3gpuE5ELNS1_3repE0EEENS1_48merge_mergepath_partition_config_static_selectorELNS0_4arch9wavefront6targetE0EEEvSL_
	.p2align	8
	.type	_ZN7rocprim17ROCPRIM_400000_NS6detail17trampoline_kernelINS0_14default_configENS1_38merge_sort_block_merge_config_selectorIiNS0_10empty_typeEEEZZNS1_27merge_sort_block_merge_implIS3_N6thrust23THRUST_200600_302600_NS6detail15normal_iteratorINS9_10device_ptrIiEEEEPS5_jNS1_19radix_merge_compareILb1ELb1EiNS0_19identity_decomposerEEEEE10hipError_tT0_T1_T2_jT3_P12ihipStream_tbPNSt15iterator_traitsISK_E10value_typeEPNSQ_ISL_E10value_typeEPSM_NS1_7vsmem_tEENKUlT_SK_SL_SM_E_clIPiSE_SF_SF_EESJ_SZ_SK_SL_SM_EUlSZ_E_NS1_11comp_targetILNS1_3genE10ELNS1_11target_archE1201ELNS1_3gpuE5ELNS1_3repE0EEENS1_48merge_mergepath_partition_config_static_selectorELNS0_4arch9wavefront6targetE0EEEvSL_,@function
_ZN7rocprim17ROCPRIM_400000_NS6detail17trampoline_kernelINS0_14default_configENS1_38merge_sort_block_merge_config_selectorIiNS0_10empty_typeEEEZZNS1_27merge_sort_block_merge_implIS3_N6thrust23THRUST_200600_302600_NS6detail15normal_iteratorINS9_10device_ptrIiEEEEPS5_jNS1_19radix_merge_compareILb1ELb1EiNS0_19identity_decomposerEEEEE10hipError_tT0_T1_T2_jT3_P12ihipStream_tbPNSt15iterator_traitsISK_E10value_typeEPNSQ_ISL_E10value_typeEPSM_NS1_7vsmem_tEENKUlT_SK_SL_SM_E_clIPiSE_SF_SF_EESJ_SZ_SK_SL_SM_EUlSZ_E_NS1_11comp_targetILNS1_3genE10ELNS1_11target_archE1201ELNS1_3gpuE5ELNS1_3repE0EEENS1_48merge_mergepath_partition_config_static_selectorELNS0_4arch9wavefront6targetE0EEEvSL_: ; @_ZN7rocprim17ROCPRIM_400000_NS6detail17trampoline_kernelINS0_14default_configENS1_38merge_sort_block_merge_config_selectorIiNS0_10empty_typeEEEZZNS1_27merge_sort_block_merge_implIS3_N6thrust23THRUST_200600_302600_NS6detail15normal_iteratorINS9_10device_ptrIiEEEEPS5_jNS1_19radix_merge_compareILb1ELb1EiNS0_19identity_decomposerEEEEE10hipError_tT0_T1_T2_jT3_P12ihipStream_tbPNSt15iterator_traitsISK_E10value_typeEPNSQ_ISL_E10value_typeEPSM_NS1_7vsmem_tEENKUlT_SK_SL_SM_E_clIPiSE_SF_SF_EESJ_SZ_SK_SL_SM_EUlSZ_E_NS1_11comp_targetILNS1_3genE10ELNS1_11target_archE1201ELNS1_3gpuE5ELNS1_3repE0EEENS1_48merge_mergepath_partition_config_static_selectorELNS0_4arch9wavefront6targetE0EEEvSL_
; %bb.0:
	.section	.rodata,"a",@progbits
	.p2align	6, 0x0
	.amdhsa_kernel _ZN7rocprim17ROCPRIM_400000_NS6detail17trampoline_kernelINS0_14default_configENS1_38merge_sort_block_merge_config_selectorIiNS0_10empty_typeEEEZZNS1_27merge_sort_block_merge_implIS3_N6thrust23THRUST_200600_302600_NS6detail15normal_iteratorINS9_10device_ptrIiEEEEPS5_jNS1_19radix_merge_compareILb1ELb1EiNS0_19identity_decomposerEEEEE10hipError_tT0_T1_T2_jT3_P12ihipStream_tbPNSt15iterator_traitsISK_E10value_typeEPNSQ_ISL_E10value_typeEPSM_NS1_7vsmem_tEENKUlT_SK_SL_SM_E_clIPiSE_SF_SF_EESJ_SZ_SK_SL_SM_EUlSZ_E_NS1_11comp_targetILNS1_3genE10ELNS1_11target_archE1201ELNS1_3gpuE5ELNS1_3repE0EEENS1_48merge_mergepath_partition_config_static_selectorELNS0_4arch9wavefront6targetE0EEEvSL_
		.amdhsa_group_segment_fixed_size 0
		.amdhsa_private_segment_fixed_size 0
		.amdhsa_kernarg_size 40
		.amdhsa_user_sgpr_count 6
		.amdhsa_user_sgpr_private_segment_buffer 1
		.amdhsa_user_sgpr_dispatch_ptr 0
		.amdhsa_user_sgpr_queue_ptr 0
		.amdhsa_user_sgpr_kernarg_segment_ptr 1
		.amdhsa_user_sgpr_dispatch_id 0
		.amdhsa_user_sgpr_flat_scratch_init 0
		.amdhsa_user_sgpr_private_segment_size 0
		.amdhsa_wavefront_size32 1
		.amdhsa_uses_dynamic_stack 0
		.amdhsa_system_sgpr_private_segment_wavefront_offset 0
		.amdhsa_system_sgpr_workgroup_id_x 1
		.amdhsa_system_sgpr_workgroup_id_y 0
		.amdhsa_system_sgpr_workgroup_id_z 0
		.amdhsa_system_sgpr_workgroup_info 0
		.amdhsa_system_vgpr_workitem_id 0
		.amdhsa_next_free_vgpr 1
		.amdhsa_next_free_sgpr 1
		.amdhsa_reserve_vcc 0
		.amdhsa_reserve_flat_scratch 0
		.amdhsa_float_round_mode_32 0
		.amdhsa_float_round_mode_16_64 0
		.amdhsa_float_denorm_mode_32 3
		.amdhsa_float_denorm_mode_16_64 3
		.amdhsa_dx10_clamp 1
		.amdhsa_ieee_mode 1
		.amdhsa_fp16_overflow 0
		.amdhsa_workgroup_processor_mode 1
		.amdhsa_memory_ordered 1
		.amdhsa_forward_progress 1
		.amdhsa_shared_vgpr_count 0
		.amdhsa_exception_fp_ieee_invalid_op 0
		.amdhsa_exception_fp_denorm_src 0
		.amdhsa_exception_fp_ieee_div_zero 0
		.amdhsa_exception_fp_ieee_overflow 0
		.amdhsa_exception_fp_ieee_underflow 0
		.amdhsa_exception_fp_ieee_inexact 0
		.amdhsa_exception_int_div_zero 0
	.end_amdhsa_kernel
	.section	.text._ZN7rocprim17ROCPRIM_400000_NS6detail17trampoline_kernelINS0_14default_configENS1_38merge_sort_block_merge_config_selectorIiNS0_10empty_typeEEEZZNS1_27merge_sort_block_merge_implIS3_N6thrust23THRUST_200600_302600_NS6detail15normal_iteratorINS9_10device_ptrIiEEEEPS5_jNS1_19radix_merge_compareILb1ELb1EiNS0_19identity_decomposerEEEEE10hipError_tT0_T1_T2_jT3_P12ihipStream_tbPNSt15iterator_traitsISK_E10value_typeEPNSQ_ISL_E10value_typeEPSM_NS1_7vsmem_tEENKUlT_SK_SL_SM_E_clIPiSE_SF_SF_EESJ_SZ_SK_SL_SM_EUlSZ_E_NS1_11comp_targetILNS1_3genE10ELNS1_11target_archE1201ELNS1_3gpuE5ELNS1_3repE0EEENS1_48merge_mergepath_partition_config_static_selectorELNS0_4arch9wavefront6targetE0EEEvSL_,"axG",@progbits,_ZN7rocprim17ROCPRIM_400000_NS6detail17trampoline_kernelINS0_14default_configENS1_38merge_sort_block_merge_config_selectorIiNS0_10empty_typeEEEZZNS1_27merge_sort_block_merge_implIS3_N6thrust23THRUST_200600_302600_NS6detail15normal_iteratorINS9_10device_ptrIiEEEEPS5_jNS1_19radix_merge_compareILb1ELb1EiNS0_19identity_decomposerEEEEE10hipError_tT0_T1_T2_jT3_P12ihipStream_tbPNSt15iterator_traitsISK_E10value_typeEPNSQ_ISL_E10value_typeEPSM_NS1_7vsmem_tEENKUlT_SK_SL_SM_E_clIPiSE_SF_SF_EESJ_SZ_SK_SL_SM_EUlSZ_E_NS1_11comp_targetILNS1_3genE10ELNS1_11target_archE1201ELNS1_3gpuE5ELNS1_3repE0EEENS1_48merge_mergepath_partition_config_static_selectorELNS0_4arch9wavefront6targetE0EEEvSL_,comdat
.Lfunc_end271:
	.size	_ZN7rocprim17ROCPRIM_400000_NS6detail17trampoline_kernelINS0_14default_configENS1_38merge_sort_block_merge_config_selectorIiNS0_10empty_typeEEEZZNS1_27merge_sort_block_merge_implIS3_N6thrust23THRUST_200600_302600_NS6detail15normal_iteratorINS9_10device_ptrIiEEEEPS5_jNS1_19radix_merge_compareILb1ELb1EiNS0_19identity_decomposerEEEEE10hipError_tT0_T1_T2_jT3_P12ihipStream_tbPNSt15iterator_traitsISK_E10value_typeEPNSQ_ISL_E10value_typeEPSM_NS1_7vsmem_tEENKUlT_SK_SL_SM_E_clIPiSE_SF_SF_EESJ_SZ_SK_SL_SM_EUlSZ_E_NS1_11comp_targetILNS1_3genE10ELNS1_11target_archE1201ELNS1_3gpuE5ELNS1_3repE0EEENS1_48merge_mergepath_partition_config_static_selectorELNS0_4arch9wavefront6targetE0EEEvSL_, .Lfunc_end271-_ZN7rocprim17ROCPRIM_400000_NS6detail17trampoline_kernelINS0_14default_configENS1_38merge_sort_block_merge_config_selectorIiNS0_10empty_typeEEEZZNS1_27merge_sort_block_merge_implIS3_N6thrust23THRUST_200600_302600_NS6detail15normal_iteratorINS9_10device_ptrIiEEEEPS5_jNS1_19radix_merge_compareILb1ELb1EiNS0_19identity_decomposerEEEEE10hipError_tT0_T1_T2_jT3_P12ihipStream_tbPNSt15iterator_traitsISK_E10value_typeEPNSQ_ISL_E10value_typeEPSM_NS1_7vsmem_tEENKUlT_SK_SL_SM_E_clIPiSE_SF_SF_EESJ_SZ_SK_SL_SM_EUlSZ_E_NS1_11comp_targetILNS1_3genE10ELNS1_11target_archE1201ELNS1_3gpuE5ELNS1_3repE0EEENS1_48merge_mergepath_partition_config_static_selectorELNS0_4arch9wavefront6targetE0EEEvSL_
                                        ; -- End function
	.set _ZN7rocprim17ROCPRIM_400000_NS6detail17trampoline_kernelINS0_14default_configENS1_38merge_sort_block_merge_config_selectorIiNS0_10empty_typeEEEZZNS1_27merge_sort_block_merge_implIS3_N6thrust23THRUST_200600_302600_NS6detail15normal_iteratorINS9_10device_ptrIiEEEEPS5_jNS1_19radix_merge_compareILb1ELb1EiNS0_19identity_decomposerEEEEE10hipError_tT0_T1_T2_jT3_P12ihipStream_tbPNSt15iterator_traitsISK_E10value_typeEPNSQ_ISL_E10value_typeEPSM_NS1_7vsmem_tEENKUlT_SK_SL_SM_E_clIPiSE_SF_SF_EESJ_SZ_SK_SL_SM_EUlSZ_E_NS1_11comp_targetILNS1_3genE10ELNS1_11target_archE1201ELNS1_3gpuE5ELNS1_3repE0EEENS1_48merge_mergepath_partition_config_static_selectorELNS0_4arch9wavefront6targetE0EEEvSL_.num_vgpr, 0
	.set _ZN7rocprim17ROCPRIM_400000_NS6detail17trampoline_kernelINS0_14default_configENS1_38merge_sort_block_merge_config_selectorIiNS0_10empty_typeEEEZZNS1_27merge_sort_block_merge_implIS3_N6thrust23THRUST_200600_302600_NS6detail15normal_iteratorINS9_10device_ptrIiEEEEPS5_jNS1_19radix_merge_compareILb1ELb1EiNS0_19identity_decomposerEEEEE10hipError_tT0_T1_T2_jT3_P12ihipStream_tbPNSt15iterator_traitsISK_E10value_typeEPNSQ_ISL_E10value_typeEPSM_NS1_7vsmem_tEENKUlT_SK_SL_SM_E_clIPiSE_SF_SF_EESJ_SZ_SK_SL_SM_EUlSZ_E_NS1_11comp_targetILNS1_3genE10ELNS1_11target_archE1201ELNS1_3gpuE5ELNS1_3repE0EEENS1_48merge_mergepath_partition_config_static_selectorELNS0_4arch9wavefront6targetE0EEEvSL_.num_agpr, 0
	.set _ZN7rocprim17ROCPRIM_400000_NS6detail17trampoline_kernelINS0_14default_configENS1_38merge_sort_block_merge_config_selectorIiNS0_10empty_typeEEEZZNS1_27merge_sort_block_merge_implIS3_N6thrust23THRUST_200600_302600_NS6detail15normal_iteratorINS9_10device_ptrIiEEEEPS5_jNS1_19radix_merge_compareILb1ELb1EiNS0_19identity_decomposerEEEEE10hipError_tT0_T1_T2_jT3_P12ihipStream_tbPNSt15iterator_traitsISK_E10value_typeEPNSQ_ISL_E10value_typeEPSM_NS1_7vsmem_tEENKUlT_SK_SL_SM_E_clIPiSE_SF_SF_EESJ_SZ_SK_SL_SM_EUlSZ_E_NS1_11comp_targetILNS1_3genE10ELNS1_11target_archE1201ELNS1_3gpuE5ELNS1_3repE0EEENS1_48merge_mergepath_partition_config_static_selectorELNS0_4arch9wavefront6targetE0EEEvSL_.numbered_sgpr, 0
	.set _ZN7rocprim17ROCPRIM_400000_NS6detail17trampoline_kernelINS0_14default_configENS1_38merge_sort_block_merge_config_selectorIiNS0_10empty_typeEEEZZNS1_27merge_sort_block_merge_implIS3_N6thrust23THRUST_200600_302600_NS6detail15normal_iteratorINS9_10device_ptrIiEEEEPS5_jNS1_19radix_merge_compareILb1ELb1EiNS0_19identity_decomposerEEEEE10hipError_tT0_T1_T2_jT3_P12ihipStream_tbPNSt15iterator_traitsISK_E10value_typeEPNSQ_ISL_E10value_typeEPSM_NS1_7vsmem_tEENKUlT_SK_SL_SM_E_clIPiSE_SF_SF_EESJ_SZ_SK_SL_SM_EUlSZ_E_NS1_11comp_targetILNS1_3genE10ELNS1_11target_archE1201ELNS1_3gpuE5ELNS1_3repE0EEENS1_48merge_mergepath_partition_config_static_selectorELNS0_4arch9wavefront6targetE0EEEvSL_.num_named_barrier, 0
	.set _ZN7rocprim17ROCPRIM_400000_NS6detail17trampoline_kernelINS0_14default_configENS1_38merge_sort_block_merge_config_selectorIiNS0_10empty_typeEEEZZNS1_27merge_sort_block_merge_implIS3_N6thrust23THRUST_200600_302600_NS6detail15normal_iteratorINS9_10device_ptrIiEEEEPS5_jNS1_19radix_merge_compareILb1ELb1EiNS0_19identity_decomposerEEEEE10hipError_tT0_T1_T2_jT3_P12ihipStream_tbPNSt15iterator_traitsISK_E10value_typeEPNSQ_ISL_E10value_typeEPSM_NS1_7vsmem_tEENKUlT_SK_SL_SM_E_clIPiSE_SF_SF_EESJ_SZ_SK_SL_SM_EUlSZ_E_NS1_11comp_targetILNS1_3genE10ELNS1_11target_archE1201ELNS1_3gpuE5ELNS1_3repE0EEENS1_48merge_mergepath_partition_config_static_selectorELNS0_4arch9wavefront6targetE0EEEvSL_.private_seg_size, 0
	.set _ZN7rocprim17ROCPRIM_400000_NS6detail17trampoline_kernelINS0_14default_configENS1_38merge_sort_block_merge_config_selectorIiNS0_10empty_typeEEEZZNS1_27merge_sort_block_merge_implIS3_N6thrust23THRUST_200600_302600_NS6detail15normal_iteratorINS9_10device_ptrIiEEEEPS5_jNS1_19radix_merge_compareILb1ELb1EiNS0_19identity_decomposerEEEEE10hipError_tT0_T1_T2_jT3_P12ihipStream_tbPNSt15iterator_traitsISK_E10value_typeEPNSQ_ISL_E10value_typeEPSM_NS1_7vsmem_tEENKUlT_SK_SL_SM_E_clIPiSE_SF_SF_EESJ_SZ_SK_SL_SM_EUlSZ_E_NS1_11comp_targetILNS1_3genE10ELNS1_11target_archE1201ELNS1_3gpuE5ELNS1_3repE0EEENS1_48merge_mergepath_partition_config_static_selectorELNS0_4arch9wavefront6targetE0EEEvSL_.uses_vcc, 0
	.set _ZN7rocprim17ROCPRIM_400000_NS6detail17trampoline_kernelINS0_14default_configENS1_38merge_sort_block_merge_config_selectorIiNS0_10empty_typeEEEZZNS1_27merge_sort_block_merge_implIS3_N6thrust23THRUST_200600_302600_NS6detail15normal_iteratorINS9_10device_ptrIiEEEEPS5_jNS1_19radix_merge_compareILb1ELb1EiNS0_19identity_decomposerEEEEE10hipError_tT0_T1_T2_jT3_P12ihipStream_tbPNSt15iterator_traitsISK_E10value_typeEPNSQ_ISL_E10value_typeEPSM_NS1_7vsmem_tEENKUlT_SK_SL_SM_E_clIPiSE_SF_SF_EESJ_SZ_SK_SL_SM_EUlSZ_E_NS1_11comp_targetILNS1_3genE10ELNS1_11target_archE1201ELNS1_3gpuE5ELNS1_3repE0EEENS1_48merge_mergepath_partition_config_static_selectorELNS0_4arch9wavefront6targetE0EEEvSL_.uses_flat_scratch, 0
	.set _ZN7rocprim17ROCPRIM_400000_NS6detail17trampoline_kernelINS0_14default_configENS1_38merge_sort_block_merge_config_selectorIiNS0_10empty_typeEEEZZNS1_27merge_sort_block_merge_implIS3_N6thrust23THRUST_200600_302600_NS6detail15normal_iteratorINS9_10device_ptrIiEEEEPS5_jNS1_19radix_merge_compareILb1ELb1EiNS0_19identity_decomposerEEEEE10hipError_tT0_T1_T2_jT3_P12ihipStream_tbPNSt15iterator_traitsISK_E10value_typeEPNSQ_ISL_E10value_typeEPSM_NS1_7vsmem_tEENKUlT_SK_SL_SM_E_clIPiSE_SF_SF_EESJ_SZ_SK_SL_SM_EUlSZ_E_NS1_11comp_targetILNS1_3genE10ELNS1_11target_archE1201ELNS1_3gpuE5ELNS1_3repE0EEENS1_48merge_mergepath_partition_config_static_selectorELNS0_4arch9wavefront6targetE0EEEvSL_.has_dyn_sized_stack, 0
	.set _ZN7rocprim17ROCPRIM_400000_NS6detail17trampoline_kernelINS0_14default_configENS1_38merge_sort_block_merge_config_selectorIiNS0_10empty_typeEEEZZNS1_27merge_sort_block_merge_implIS3_N6thrust23THRUST_200600_302600_NS6detail15normal_iteratorINS9_10device_ptrIiEEEEPS5_jNS1_19radix_merge_compareILb1ELb1EiNS0_19identity_decomposerEEEEE10hipError_tT0_T1_T2_jT3_P12ihipStream_tbPNSt15iterator_traitsISK_E10value_typeEPNSQ_ISL_E10value_typeEPSM_NS1_7vsmem_tEENKUlT_SK_SL_SM_E_clIPiSE_SF_SF_EESJ_SZ_SK_SL_SM_EUlSZ_E_NS1_11comp_targetILNS1_3genE10ELNS1_11target_archE1201ELNS1_3gpuE5ELNS1_3repE0EEENS1_48merge_mergepath_partition_config_static_selectorELNS0_4arch9wavefront6targetE0EEEvSL_.has_recursion, 0
	.set _ZN7rocprim17ROCPRIM_400000_NS6detail17trampoline_kernelINS0_14default_configENS1_38merge_sort_block_merge_config_selectorIiNS0_10empty_typeEEEZZNS1_27merge_sort_block_merge_implIS3_N6thrust23THRUST_200600_302600_NS6detail15normal_iteratorINS9_10device_ptrIiEEEEPS5_jNS1_19radix_merge_compareILb1ELb1EiNS0_19identity_decomposerEEEEE10hipError_tT0_T1_T2_jT3_P12ihipStream_tbPNSt15iterator_traitsISK_E10value_typeEPNSQ_ISL_E10value_typeEPSM_NS1_7vsmem_tEENKUlT_SK_SL_SM_E_clIPiSE_SF_SF_EESJ_SZ_SK_SL_SM_EUlSZ_E_NS1_11comp_targetILNS1_3genE10ELNS1_11target_archE1201ELNS1_3gpuE5ELNS1_3repE0EEENS1_48merge_mergepath_partition_config_static_selectorELNS0_4arch9wavefront6targetE0EEEvSL_.has_indirect_call, 0
	.section	.AMDGPU.csdata,"",@progbits
; Kernel info:
; codeLenInByte = 0
; TotalNumSgprs: 0
; NumVgprs: 0
; ScratchSize: 0
; MemoryBound: 0
; FloatMode: 240
; IeeeMode: 1
; LDSByteSize: 0 bytes/workgroup (compile time only)
; SGPRBlocks: 0
; VGPRBlocks: 0
; NumSGPRsForWavesPerEU: 1
; NumVGPRsForWavesPerEU: 1
; Occupancy: 16
; WaveLimiterHint : 0
; COMPUTE_PGM_RSRC2:SCRATCH_EN: 0
; COMPUTE_PGM_RSRC2:USER_SGPR: 6
; COMPUTE_PGM_RSRC2:TRAP_HANDLER: 0
; COMPUTE_PGM_RSRC2:TGID_X_EN: 1
; COMPUTE_PGM_RSRC2:TGID_Y_EN: 0
; COMPUTE_PGM_RSRC2:TGID_Z_EN: 0
; COMPUTE_PGM_RSRC2:TIDIG_COMP_CNT: 0
	.section	.text._ZN7rocprim17ROCPRIM_400000_NS6detail17trampoline_kernelINS0_14default_configENS1_38merge_sort_block_merge_config_selectorIiNS0_10empty_typeEEEZZNS1_27merge_sort_block_merge_implIS3_N6thrust23THRUST_200600_302600_NS6detail15normal_iteratorINS9_10device_ptrIiEEEEPS5_jNS1_19radix_merge_compareILb1ELb1EiNS0_19identity_decomposerEEEEE10hipError_tT0_T1_T2_jT3_P12ihipStream_tbPNSt15iterator_traitsISK_E10value_typeEPNSQ_ISL_E10value_typeEPSM_NS1_7vsmem_tEENKUlT_SK_SL_SM_E_clIPiSE_SF_SF_EESJ_SZ_SK_SL_SM_EUlSZ_E_NS1_11comp_targetILNS1_3genE5ELNS1_11target_archE942ELNS1_3gpuE9ELNS1_3repE0EEENS1_48merge_mergepath_partition_config_static_selectorELNS0_4arch9wavefront6targetE0EEEvSL_,"axG",@progbits,_ZN7rocprim17ROCPRIM_400000_NS6detail17trampoline_kernelINS0_14default_configENS1_38merge_sort_block_merge_config_selectorIiNS0_10empty_typeEEEZZNS1_27merge_sort_block_merge_implIS3_N6thrust23THRUST_200600_302600_NS6detail15normal_iteratorINS9_10device_ptrIiEEEEPS5_jNS1_19radix_merge_compareILb1ELb1EiNS0_19identity_decomposerEEEEE10hipError_tT0_T1_T2_jT3_P12ihipStream_tbPNSt15iterator_traitsISK_E10value_typeEPNSQ_ISL_E10value_typeEPSM_NS1_7vsmem_tEENKUlT_SK_SL_SM_E_clIPiSE_SF_SF_EESJ_SZ_SK_SL_SM_EUlSZ_E_NS1_11comp_targetILNS1_3genE5ELNS1_11target_archE942ELNS1_3gpuE9ELNS1_3repE0EEENS1_48merge_mergepath_partition_config_static_selectorELNS0_4arch9wavefront6targetE0EEEvSL_,comdat
	.protected	_ZN7rocprim17ROCPRIM_400000_NS6detail17trampoline_kernelINS0_14default_configENS1_38merge_sort_block_merge_config_selectorIiNS0_10empty_typeEEEZZNS1_27merge_sort_block_merge_implIS3_N6thrust23THRUST_200600_302600_NS6detail15normal_iteratorINS9_10device_ptrIiEEEEPS5_jNS1_19radix_merge_compareILb1ELb1EiNS0_19identity_decomposerEEEEE10hipError_tT0_T1_T2_jT3_P12ihipStream_tbPNSt15iterator_traitsISK_E10value_typeEPNSQ_ISL_E10value_typeEPSM_NS1_7vsmem_tEENKUlT_SK_SL_SM_E_clIPiSE_SF_SF_EESJ_SZ_SK_SL_SM_EUlSZ_E_NS1_11comp_targetILNS1_3genE5ELNS1_11target_archE942ELNS1_3gpuE9ELNS1_3repE0EEENS1_48merge_mergepath_partition_config_static_selectorELNS0_4arch9wavefront6targetE0EEEvSL_ ; -- Begin function _ZN7rocprim17ROCPRIM_400000_NS6detail17trampoline_kernelINS0_14default_configENS1_38merge_sort_block_merge_config_selectorIiNS0_10empty_typeEEEZZNS1_27merge_sort_block_merge_implIS3_N6thrust23THRUST_200600_302600_NS6detail15normal_iteratorINS9_10device_ptrIiEEEEPS5_jNS1_19radix_merge_compareILb1ELb1EiNS0_19identity_decomposerEEEEE10hipError_tT0_T1_T2_jT3_P12ihipStream_tbPNSt15iterator_traitsISK_E10value_typeEPNSQ_ISL_E10value_typeEPSM_NS1_7vsmem_tEENKUlT_SK_SL_SM_E_clIPiSE_SF_SF_EESJ_SZ_SK_SL_SM_EUlSZ_E_NS1_11comp_targetILNS1_3genE5ELNS1_11target_archE942ELNS1_3gpuE9ELNS1_3repE0EEENS1_48merge_mergepath_partition_config_static_selectorELNS0_4arch9wavefront6targetE0EEEvSL_
	.globl	_ZN7rocprim17ROCPRIM_400000_NS6detail17trampoline_kernelINS0_14default_configENS1_38merge_sort_block_merge_config_selectorIiNS0_10empty_typeEEEZZNS1_27merge_sort_block_merge_implIS3_N6thrust23THRUST_200600_302600_NS6detail15normal_iteratorINS9_10device_ptrIiEEEEPS5_jNS1_19radix_merge_compareILb1ELb1EiNS0_19identity_decomposerEEEEE10hipError_tT0_T1_T2_jT3_P12ihipStream_tbPNSt15iterator_traitsISK_E10value_typeEPNSQ_ISL_E10value_typeEPSM_NS1_7vsmem_tEENKUlT_SK_SL_SM_E_clIPiSE_SF_SF_EESJ_SZ_SK_SL_SM_EUlSZ_E_NS1_11comp_targetILNS1_3genE5ELNS1_11target_archE942ELNS1_3gpuE9ELNS1_3repE0EEENS1_48merge_mergepath_partition_config_static_selectorELNS0_4arch9wavefront6targetE0EEEvSL_
	.p2align	8
	.type	_ZN7rocprim17ROCPRIM_400000_NS6detail17trampoline_kernelINS0_14default_configENS1_38merge_sort_block_merge_config_selectorIiNS0_10empty_typeEEEZZNS1_27merge_sort_block_merge_implIS3_N6thrust23THRUST_200600_302600_NS6detail15normal_iteratorINS9_10device_ptrIiEEEEPS5_jNS1_19radix_merge_compareILb1ELb1EiNS0_19identity_decomposerEEEEE10hipError_tT0_T1_T2_jT3_P12ihipStream_tbPNSt15iterator_traitsISK_E10value_typeEPNSQ_ISL_E10value_typeEPSM_NS1_7vsmem_tEENKUlT_SK_SL_SM_E_clIPiSE_SF_SF_EESJ_SZ_SK_SL_SM_EUlSZ_E_NS1_11comp_targetILNS1_3genE5ELNS1_11target_archE942ELNS1_3gpuE9ELNS1_3repE0EEENS1_48merge_mergepath_partition_config_static_selectorELNS0_4arch9wavefront6targetE0EEEvSL_,@function
_ZN7rocprim17ROCPRIM_400000_NS6detail17trampoline_kernelINS0_14default_configENS1_38merge_sort_block_merge_config_selectorIiNS0_10empty_typeEEEZZNS1_27merge_sort_block_merge_implIS3_N6thrust23THRUST_200600_302600_NS6detail15normal_iteratorINS9_10device_ptrIiEEEEPS5_jNS1_19radix_merge_compareILb1ELb1EiNS0_19identity_decomposerEEEEE10hipError_tT0_T1_T2_jT3_P12ihipStream_tbPNSt15iterator_traitsISK_E10value_typeEPNSQ_ISL_E10value_typeEPSM_NS1_7vsmem_tEENKUlT_SK_SL_SM_E_clIPiSE_SF_SF_EESJ_SZ_SK_SL_SM_EUlSZ_E_NS1_11comp_targetILNS1_3genE5ELNS1_11target_archE942ELNS1_3gpuE9ELNS1_3repE0EEENS1_48merge_mergepath_partition_config_static_selectorELNS0_4arch9wavefront6targetE0EEEvSL_: ; @_ZN7rocprim17ROCPRIM_400000_NS6detail17trampoline_kernelINS0_14default_configENS1_38merge_sort_block_merge_config_selectorIiNS0_10empty_typeEEEZZNS1_27merge_sort_block_merge_implIS3_N6thrust23THRUST_200600_302600_NS6detail15normal_iteratorINS9_10device_ptrIiEEEEPS5_jNS1_19radix_merge_compareILb1ELb1EiNS0_19identity_decomposerEEEEE10hipError_tT0_T1_T2_jT3_P12ihipStream_tbPNSt15iterator_traitsISK_E10value_typeEPNSQ_ISL_E10value_typeEPSM_NS1_7vsmem_tEENKUlT_SK_SL_SM_E_clIPiSE_SF_SF_EESJ_SZ_SK_SL_SM_EUlSZ_E_NS1_11comp_targetILNS1_3genE5ELNS1_11target_archE942ELNS1_3gpuE9ELNS1_3repE0EEENS1_48merge_mergepath_partition_config_static_selectorELNS0_4arch9wavefront6targetE0EEEvSL_
; %bb.0:
	.section	.rodata,"a",@progbits
	.p2align	6, 0x0
	.amdhsa_kernel _ZN7rocprim17ROCPRIM_400000_NS6detail17trampoline_kernelINS0_14default_configENS1_38merge_sort_block_merge_config_selectorIiNS0_10empty_typeEEEZZNS1_27merge_sort_block_merge_implIS3_N6thrust23THRUST_200600_302600_NS6detail15normal_iteratorINS9_10device_ptrIiEEEEPS5_jNS1_19radix_merge_compareILb1ELb1EiNS0_19identity_decomposerEEEEE10hipError_tT0_T1_T2_jT3_P12ihipStream_tbPNSt15iterator_traitsISK_E10value_typeEPNSQ_ISL_E10value_typeEPSM_NS1_7vsmem_tEENKUlT_SK_SL_SM_E_clIPiSE_SF_SF_EESJ_SZ_SK_SL_SM_EUlSZ_E_NS1_11comp_targetILNS1_3genE5ELNS1_11target_archE942ELNS1_3gpuE9ELNS1_3repE0EEENS1_48merge_mergepath_partition_config_static_selectorELNS0_4arch9wavefront6targetE0EEEvSL_
		.amdhsa_group_segment_fixed_size 0
		.amdhsa_private_segment_fixed_size 0
		.amdhsa_kernarg_size 40
		.amdhsa_user_sgpr_count 6
		.amdhsa_user_sgpr_private_segment_buffer 1
		.amdhsa_user_sgpr_dispatch_ptr 0
		.amdhsa_user_sgpr_queue_ptr 0
		.amdhsa_user_sgpr_kernarg_segment_ptr 1
		.amdhsa_user_sgpr_dispatch_id 0
		.amdhsa_user_sgpr_flat_scratch_init 0
		.amdhsa_user_sgpr_private_segment_size 0
		.amdhsa_wavefront_size32 1
		.amdhsa_uses_dynamic_stack 0
		.amdhsa_system_sgpr_private_segment_wavefront_offset 0
		.amdhsa_system_sgpr_workgroup_id_x 1
		.amdhsa_system_sgpr_workgroup_id_y 0
		.amdhsa_system_sgpr_workgroup_id_z 0
		.amdhsa_system_sgpr_workgroup_info 0
		.amdhsa_system_vgpr_workitem_id 0
		.amdhsa_next_free_vgpr 1
		.amdhsa_next_free_sgpr 1
		.amdhsa_reserve_vcc 0
		.amdhsa_reserve_flat_scratch 0
		.amdhsa_float_round_mode_32 0
		.amdhsa_float_round_mode_16_64 0
		.amdhsa_float_denorm_mode_32 3
		.amdhsa_float_denorm_mode_16_64 3
		.amdhsa_dx10_clamp 1
		.amdhsa_ieee_mode 1
		.amdhsa_fp16_overflow 0
		.amdhsa_workgroup_processor_mode 1
		.amdhsa_memory_ordered 1
		.amdhsa_forward_progress 1
		.amdhsa_shared_vgpr_count 0
		.amdhsa_exception_fp_ieee_invalid_op 0
		.amdhsa_exception_fp_denorm_src 0
		.amdhsa_exception_fp_ieee_div_zero 0
		.amdhsa_exception_fp_ieee_overflow 0
		.amdhsa_exception_fp_ieee_underflow 0
		.amdhsa_exception_fp_ieee_inexact 0
		.amdhsa_exception_int_div_zero 0
	.end_amdhsa_kernel
	.section	.text._ZN7rocprim17ROCPRIM_400000_NS6detail17trampoline_kernelINS0_14default_configENS1_38merge_sort_block_merge_config_selectorIiNS0_10empty_typeEEEZZNS1_27merge_sort_block_merge_implIS3_N6thrust23THRUST_200600_302600_NS6detail15normal_iteratorINS9_10device_ptrIiEEEEPS5_jNS1_19radix_merge_compareILb1ELb1EiNS0_19identity_decomposerEEEEE10hipError_tT0_T1_T2_jT3_P12ihipStream_tbPNSt15iterator_traitsISK_E10value_typeEPNSQ_ISL_E10value_typeEPSM_NS1_7vsmem_tEENKUlT_SK_SL_SM_E_clIPiSE_SF_SF_EESJ_SZ_SK_SL_SM_EUlSZ_E_NS1_11comp_targetILNS1_3genE5ELNS1_11target_archE942ELNS1_3gpuE9ELNS1_3repE0EEENS1_48merge_mergepath_partition_config_static_selectorELNS0_4arch9wavefront6targetE0EEEvSL_,"axG",@progbits,_ZN7rocprim17ROCPRIM_400000_NS6detail17trampoline_kernelINS0_14default_configENS1_38merge_sort_block_merge_config_selectorIiNS0_10empty_typeEEEZZNS1_27merge_sort_block_merge_implIS3_N6thrust23THRUST_200600_302600_NS6detail15normal_iteratorINS9_10device_ptrIiEEEEPS5_jNS1_19radix_merge_compareILb1ELb1EiNS0_19identity_decomposerEEEEE10hipError_tT0_T1_T2_jT3_P12ihipStream_tbPNSt15iterator_traitsISK_E10value_typeEPNSQ_ISL_E10value_typeEPSM_NS1_7vsmem_tEENKUlT_SK_SL_SM_E_clIPiSE_SF_SF_EESJ_SZ_SK_SL_SM_EUlSZ_E_NS1_11comp_targetILNS1_3genE5ELNS1_11target_archE942ELNS1_3gpuE9ELNS1_3repE0EEENS1_48merge_mergepath_partition_config_static_selectorELNS0_4arch9wavefront6targetE0EEEvSL_,comdat
.Lfunc_end272:
	.size	_ZN7rocprim17ROCPRIM_400000_NS6detail17trampoline_kernelINS0_14default_configENS1_38merge_sort_block_merge_config_selectorIiNS0_10empty_typeEEEZZNS1_27merge_sort_block_merge_implIS3_N6thrust23THRUST_200600_302600_NS6detail15normal_iteratorINS9_10device_ptrIiEEEEPS5_jNS1_19radix_merge_compareILb1ELb1EiNS0_19identity_decomposerEEEEE10hipError_tT0_T1_T2_jT3_P12ihipStream_tbPNSt15iterator_traitsISK_E10value_typeEPNSQ_ISL_E10value_typeEPSM_NS1_7vsmem_tEENKUlT_SK_SL_SM_E_clIPiSE_SF_SF_EESJ_SZ_SK_SL_SM_EUlSZ_E_NS1_11comp_targetILNS1_3genE5ELNS1_11target_archE942ELNS1_3gpuE9ELNS1_3repE0EEENS1_48merge_mergepath_partition_config_static_selectorELNS0_4arch9wavefront6targetE0EEEvSL_, .Lfunc_end272-_ZN7rocprim17ROCPRIM_400000_NS6detail17trampoline_kernelINS0_14default_configENS1_38merge_sort_block_merge_config_selectorIiNS0_10empty_typeEEEZZNS1_27merge_sort_block_merge_implIS3_N6thrust23THRUST_200600_302600_NS6detail15normal_iteratorINS9_10device_ptrIiEEEEPS5_jNS1_19radix_merge_compareILb1ELb1EiNS0_19identity_decomposerEEEEE10hipError_tT0_T1_T2_jT3_P12ihipStream_tbPNSt15iterator_traitsISK_E10value_typeEPNSQ_ISL_E10value_typeEPSM_NS1_7vsmem_tEENKUlT_SK_SL_SM_E_clIPiSE_SF_SF_EESJ_SZ_SK_SL_SM_EUlSZ_E_NS1_11comp_targetILNS1_3genE5ELNS1_11target_archE942ELNS1_3gpuE9ELNS1_3repE0EEENS1_48merge_mergepath_partition_config_static_selectorELNS0_4arch9wavefront6targetE0EEEvSL_
                                        ; -- End function
	.set _ZN7rocprim17ROCPRIM_400000_NS6detail17trampoline_kernelINS0_14default_configENS1_38merge_sort_block_merge_config_selectorIiNS0_10empty_typeEEEZZNS1_27merge_sort_block_merge_implIS3_N6thrust23THRUST_200600_302600_NS6detail15normal_iteratorINS9_10device_ptrIiEEEEPS5_jNS1_19radix_merge_compareILb1ELb1EiNS0_19identity_decomposerEEEEE10hipError_tT0_T1_T2_jT3_P12ihipStream_tbPNSt15iterator_traitsISK_E10value_typeEPNSQ_ISL_E10value_typeEPSM_NS1_7vsmem_tEENKUlT_SK_SL_SM_E_clIPiSE_SF_SF_EESJ_SZ_SK_SL_SM_EUlSZ_E_NS1_11comp_targetILNS1_3genE5ELNS1_11target_archE942ELNS1_3gpuE9ELNS1_3repE0EEENS1_48merge_mergepath_partition_config_static_selectorELNS0_4arch9wavefront6targetE0EEEvSL_.num_vgpr, 0
	.set _ZN7rocprim17ROCPRIM_400000_NS6detail17trampoline_kernelINS0_14default_configENS1_38merge_sort_block_merge_config_selectorIiNS0_10empty_typeEEEZZNS1_27merge_sort_block_merge_implIS3_N6thrust23THRUST_200600_302600_NS6detail15normal_iteratorINS9_10device_ptrIiEEEEPS5_jNS1_19radix_merge_compareILb1ELb1EiNS0_19identity_decomposerEEEEE10hipError_tT0_T1_T2_jT3_P12ihipStream_tbPNSt15iterator_traitsISK_E10value_typeEPNSQ_ISL_E10value_typeEPSM_NS1_7vsmem_tEENKUlT_SK_SL_SM_E_clIPiSE_SF_SF_EESJ_SZ_SK_SL_SM_EUlSZ_E_NS1_11comp_targetILNS1_3genE5ELNS1_11target_archE942ELNS1_3gpuE9ELNS1_3repE0EEENS1_48merge_mergepath_partition_config_static_selectorELNS0_4arch9wavefront6targetE0EEEvSL_.num_agpr, 0
	.set _ZN7rocprim17ROCPRIM_400000_NS6detail17trampoline_kernelINS0_14default_configENS1_38merge_sort_block_merge_config_selectorIiNS0_10empty_typeEEEZZNS1_27merge_sort_block_merge_implIS3_N6thrust23THRUST_200600_302600_NS6detail15normal_iteratorINS9_10device_ptrIiEEEEPS5_jNS1_19radix_merge_compareILb1ELb1EiNS0_19identity_decomposerEEEEE10hipError_tT0_T1_T2_jT3_P12ihipStream_tbPNSt15iterator_traitsISK_E10value_typeEPNSQ_ISL_E10value_typeEPSM_NS1_7vsmem_tEENKUlT_SK_SL_SM_E_clIPiSE_SF_SF_EESJ_SZ_SK_SL_SM_EUlSZ_E_NS1_11comp_targetILNS1_3genE5ELNS1_11target_archE942ELNS1_3gpuE9ELNS1_3repE0EEENS1_48merge_mergepath_partition_config_static_selectorELNS0_4arch9wavefront6targetE0EEEvSL_.numbered_sgpr, 0
	.set _ZN7rocprim17ROCPRIM_400000_NS6detail17trampoline_kernelINS0_14default_configENS1_38merge_sort_block_merge_config_selectorIiNS0_10empty_typeEEEZZNS1_27merge_sort_block_merge_implIS3_N6thrust23THRUST_200600_302600_NS6detail15normal_iteratorINS9_10device_ptrIiEEEEPS5_jNS1_19radix_merge_compareILb1ELb1EiNS0_19identity_decomposerEEEEE10hipError_tT0_T1_T2_jT3_P12ihipStream_tbPNSt15iterator_traitsISK_E10value_typeEPNSQ_ISL_E10value_typeEPSM_NS1_7vsmem_tEENKUlT_SK_SL_SM_E_clIPiSE_SF_SF_EESJ_SZ_SK_SL_SM_EUlSZ_E_NS1_11comp_targetILNS1_3genE5ELNS1_11target_archE942ELNS1_3gpuE9ELNS1_3repE0EEENS1_48merge_mergepath_partition_config_static_selectorELNS0_4arch9wavefront6targetE0EEEvSL_.num_named_barrier, 0
	.set _ZN7rocprim17ROCPRIM_400000_NS6detail17trampoline_kernelINS0_14default_configENS1_38merge_sort_block_merge_config_selectorIiNS0_10empty_typeEEEZZNS1_27merge_sort_block_merge_implIS3_N6thrust23THRUST_200600_302600_NS6detail15normal_iteratorINS9_10device_ptrIiEEEEPS5_jNS1_19radix_merge_compareILb1ELb1EiNS0_19identity_decomposerEEEEE10hipError_tT0_T1_T2_jT3_P12ihipStream_tbPNSt15iterator_traitsISK_E10value_typeEPNSQ_ISL_E10value_typeEPSM_NS1_7vsmem_tEENKUlT_SK_SL_SM_E_clIPiSE_SF_SF_EESJ_SZ_SK_SL_SM_EUlSZ_E_NS1_11comp_targetILNS1_3genE5ELNS1_11target_archE942ELNS1_3gpuE9ELNS1_3repE0EEENS1_48merge_mergepath_partition_config_static_selectorELNS0_4arch9wavefront6targetE0EEEvSL_.private_seg_size, 0
	.set _ZN7rocprim17ROCPRIM_400000_NS6detail17trampoline_kernelINS0_14default_configENS1_38merge_sort_block_merge_config_selectorIiNS0_10empty_typeEEEZZNS1_27merge_sort_block_merge_implIS3_N6thrust23THRUST_200600_302600_NS6detail15normal_iteratorINS9_10device_ptrIiEEEEPS5_jNS1_19radix_merge_compareILb1ELb1EiNS0_19identity_decomposerEEEEE10hipError_tT0_T1_T2_jT3_P12ihipStream_tbPNSt15iterator_traitsISK_E10value_typeEPNSQ_ISL_E10value_typeEPSM_NS1_7vsmem_tEENKUlT_SK_SL_SM_E_clIPiSE_SF_SF_EESJ_SZ_SK_SL_SM_EUlSZ_E_NS1_11comp_targetILNS1_3genE5ELNS1_11target_archE942ELNS1_3gpuE9ELNS1_3repE0EEENS1_48merge_mergepath_partition_config_static_selectorELNS0_4arch9wavefront6targetE0EEEvSL_.uses_vcc, 0
	.set _ZN7rocprim17ROCPRIM_400000_NS6detail17trampoline_kernelINS0_14default_configENS1_38merge_sort_block_merge_config_selectorIiNS0_10empty_typeEEEZZNS1_27merge_sort_block_merge_implIS3_N6thrust23THRUST_200600_302600_NS6detail15normal_iteratorINS9_10device_ptrIiEEEEPS5_jNS1_19radix_merge_compareILb1ELb1EiNS0_19identity_decomposerEEEEE10hipError_tT0_T1_T2_jT3_P12ihipStream_tbPNSt15iterator_traitsISK_E10value_typeEPNSQ_ISL_E10value_typeEPSM_NS1_7vsmem_tEENKUlT_SK_SL_SM_E_clIPiSE_SF_SF_EESJ_SZ_SK_SL_SM_EUlSZ_E_NS1_11comp_targetILNS1_3genE5ELNS1_11target_archE942ELNS1_3gpuE9ELNS1_3repE0EEENS1_48merge_mergepath_partition_config_static_selectorELNS0_4arch9wavefront6targetE0EEEvSL_.uses_flat_scratch, 0
	.set _ZN7rocprim17ROCPRIM_400000_NS6detail17trampoline_kernelINS0_14default_configENS1_38merge_sort_block_merge_config_selectorIiNS0_10empty_typeEEEZZNS1_27merge_sort_block_merge_implIS3_N6thrust23THRUST_200600_302600_NS6detail15normal_iteratorINS9_10device_ptrIiEEEEPS5_jNS1_19radix_merge_compareILb1ELb1EiNS0_19identity_decomposerEEEEE10hipError_tT0_T1_T2_jT3_P12ihipStream_tbPNSt15iterator_traitsISK_E10value_typeEPNSQ_ISL_E10value_typeEPSM_NS1_7vsmem_tEENKUlT_SK_SL_SM_E_clIPiSE_SF_SF_EESJ_SZ_SK_SL_SM_EUlSZ_E_NS1_11comp_targetILNS1_3genE5ELNS1_11target_archE942ELNS1_3gpuE9ELNS1_3repE0EEENS1_48merge_mergepath_partition_config_static_selectorELNS0_4arch9wavefront6targetE0EEEvSL_.has_dyn_sized_stack, 0
	.set _ZN7rocprim17ROCPRIM_400000_NS6detail17trampoline_kernelINS0_14default_configENS1_38merge_sort_block_merge_config_selectorIiNS0_10empty_typeEEEZZNS1_27merge_sort_block_merge_implIS3_N6thrust23THRUST_200600_302600_NS6detail15normal_iteratorINS9_10device_ptrIiEEEEPS5_jNS1_19radix_merge_compareILb1ELb1EiNS0_19identity_decomposerEEEEE10hipError_tT0_T1_T2_jT3_P12ihipStream_tbPNSt15iterator_traitsISK_E10value_typeEPNSQ_ISL_E10value_typeEPSM_NS1_7vsmem_tEENKUlT_SK_SL_SM_E_clIPiSE_SF_SF_EESJ_SZ_SK_SL_SM_EUlSZ_E_NS1_11comp_targetILNS1_3genE5ELNS1_11target_archE942ELNS1_3gpuE9ELNS1_3repE0EEENS1_48merge_mergepath_partition_config_static_selectorELNS0_4arch9wavefront6targetE0EEEvSL_.has_recursion, 0
	.set _ZN7rocprim17ROCPRIM_400000_NS6detail17trampoline_kernelINS0_14default_configENS1_38merge_sort_block_merge_config_selectorIiNS0_10empty_typeEEEZZNS1_27merge_sort_block_merge_implIS3_N6thrust23THRUST_200600_302600_NS6detail15normal_iteratorINS9_10device_ptrIiEEEEPS5_jNS1_19radix_merge_compareILb1ELb1EiNS0_19identity_decomposerEEEEE10hipError_tT0_T1_T2_jT3_P12ihipStream_tbPNSt15iterator_traitsISK_E10value_typeEPNSQ_ISL_E10value_typeEPSM_NS1_7vsmem_tEENKUlT_SK_SL_SM_E_clIPiSE_SF_SF_EESJ_SZ_SK_SL_SM_EUlSZ_E_NS1_11comp_targetILNS1_3genE5ELNS1_11target_archE942ELNS1_3gpuE9ELNS1_3repE0EEENS1_48merge_mergepath_partition_config_static_selectorELNS0_4arch9wavefront6targetE0EEEvSL_.has_indirect_call, 0
	.section	.AMDGPU.csdata,"",@progbits
; Kernel info:
; codeLenInByte = 0
; TotalNumSgprs: 0
; NumVgprs: 0
; ScratchSize: 0
; MemoryBound: 0
; FloatMode: 240
; IeeeMode: 1
; LDSByteSize: 0 bytes/workgroup (compile time only)
; SGPRBlocks: 0
; VGPRBlocks: 0
; NumSGPRsForWavesPerEU: 1
; NumVGPRsForWavesPerEU: 1
; Occupancy: 16
; WaveLimiterHint : 0
; COMPUTE_PGM_RSRC2:SCRATCH_EN: 0
; COMPUTE_PGM_RSRC2:USER_SGPR: 6
; COMPUTE_PGM_RSRC2:TRAP_HANDLER: 0
; COMPUTE_PGM_RSRC2:TGID_X_EN: 1
; COMPUTE_PGM_RSRC2:TGID_Y_EN: 0
; COMPUTE_PGM_RSRC2:TGID_Z_EN: 0
; COMPUTE_PGM_RSRC2:TIDIG_COMP_CNT: 0
	.section	.text._ZN7rocprim17ROCPRIM_400000_NS6detail17trampoline_kernelINS0_14default_configENS1_38merge_sort_block_merge_config_selectorIiNS0_10empty_typeEEEZZNS1_27merge_sort_block_merge_implIS3_N6thrust23THRUST_200600_302600_NS6detail15normal_iteratorINS9_10device_ptrIiEEEEPS5_jNS1_19radix_merge_compareILb1ELb1EiNS0_19identity_decomposerEEEEE10hipError_tT0_T1_T2_jT3_P12ihipStream_tbPNSt15iterator_traitsISK_E10value_typeEPNSQ_ISL_E10value_typeEPSM_NS1_7vsmem_tEENKUlT_SK_SL_SM_E_clIPiSE_SF_SF_EESJ_SZ_SK_SL_SM_EUlSZ_E_NS1_11comp_targetILNS1_3genE4ELNS1_11target_archE910ELNS1_3gpuE8ELNS1_3repE0EEENS1_48merge_mergepath_partition_config_static_selectorELNS0_4arch9wavefront6targetE0EEEvSL_,"axG",@progbits,_ZN7rocprim17ROCPRIM_400000_NS6detail17trampoline_kernelINS0_14default_configENS1_38merge_sort_block_merge_config_selectorIiNS0_10empty_typeEEEZZNS1_27merge_sort_block_merge_implIS3_N6thrust23THRUST_200600_302600_NS6detail15normal_iteratorINS9_10device_ptrIiEEEEPS5_jNS1_19radix_merge_compareILb1ELb1EiNS0_19identity_decomposerEEEEE10hipError_tT0_T1_T2_jT3_P12ihipStream_tbPNSt15iterator_traitsISK_E10value_typeEPNSQ_ISL_E10value_typeEPSM_NS1_7vsmem_tEENKUlT_SK_SL_SM_E_clIPiSE_SF_SF_EESJ_SZ_SK_SL_SM_EUlSZ_E_NS1_11comp_targetILNS1_3genE4ELNS1_11target_archE910ELNS1_3gpuE8ELNS1_3repE0EEENS1_48merge_mergepath_partition_config_static_selectorELNS0_4arch9wavefront6targetE0EEEvSL_,comdat
	.protected	_ZN7rocprim17ROCPRIM_400000_NS6detail17trampoline_kernelINS0_14default_configENS1_38merge_sort_block_merge_config_selectorIiNS0_10empty_typeEEEZZNS1_27merge_sort_block_merge_implIS3_N6thrust23THRUST_200600_302600_NS6detail15normal_iteratorINS9_10device_ptrIiEEEEPS5_jNS1_19radix_merge_compareILb1ELb1EiNS0_19identity_decomposerEEEEE10hipError_tT0_T1_T2_jT3_P12ihipStream_tbPNSt15iterator_traitsISK_E10value_typeEPNSQ_ISL_E10value_typeEPSM_NS1_7vsmem_tEENKUlT_SK_SL_SM_E_clIPiSE_SF_SF_EESJ_SZ_SK_SL_SM_EUlSZ_E_NS1_11comp_targetILNS1_3genE4ELNS1_11target_archE910ELNS1_3gpuE8ELNS1_3repE0EEENS1_48merge_mergepath_partition_config_static_selectorELNS0_4arch9wavefront6targetE0EEEvSL_ ; -- Begin function _ZN7rocprim17ROCPRIM_400000_NS6detail17trampoline_kernelINS0_14default_configENS1_38merge_sort_block_merge_config_selectorIiNS0_10empty_typeEEEZZNS1_27merge_sort_block_merge_implIS3_N6thrust23THRUST_200600_302600_NS6detail15normal_iteratorINS9_10device_ptrIiEEEEPS5_jNS1_19radix_merge_compareILb1ELb1EiNS0_19identity_decomposerEEEEE10hipError_tT0_T1_T2_jT3_P12ihipStream_tbPNSt15iterator_traitsISK_E10value_typeEPNSQ_ISL_E10value_typeEPSM_NS1_7vsmem_tEENKUlT_SK_SL_SM_E_clIPiSE_SF_SF_EESJ_SZ_SK_SL_SM_EUlSZ_E_NS1_11comp_targetILNS1_3genE4ELNS1_11target_archE910ELNS1_3gpuE8ELNS1_3repE0EEENS1_48merge_mergepath_partition_config_static_selectorELNS0_4arch9wavefront6targetE0EEEvSL_
	.globl	_ZN7rocprim17ROCPRIM_400000_NS6detail17trampoline_kernelINS0_14default_configENS1_38merge_sort_block_merge_config_selectorIiNS0_10empty_typeEEEZZNS1_27merge_sort_block_merge_implIS3_N6thrust23THRUST_200600_302600_NS6detail15normal_iteratorINS9_10device_ptrIiEEEEPS5_jNS1_19radix_merge_compareILb1ELb1EiNS0_19identity_decomposerEEEEE10hipError_tT0_T1_T2_jT3_P12ihipStream_tbPNSt15iterator_traitsISK_E10value_typeEPNSQ_ISL_E10value_typeEPSM_NS1_7vsmem_tEENKUlT_SK_SL_SM_E_clIPiSE_SF_SF_EESJ_SZ_SK_SL_SM_EUlSZ_E_NS1_11comp_targetILNS1_3genE4ELNS1_11target_archE910ELNS1_3gpuE8ELNS1_3repE0EEENS1_48merge_mergepath_partition_config_static_selectorELNS0_4arch9wavefront6targetE0EEEvSL_
	.p2align	8
	.type	_ZN7rocprim17ROCPRIM_400000_NS6detail17trampoline_kernelINS0_14default_configENS1_38merge_sort_block_merge_config_selectorIiNS0_10empty_typeEEEZZNS1_27merge_sort_block_merge_implIS3_N6thrust23THRUST_200600_302600_NS6detail15normal_iteratorINS9_10device_ptrIiEEEEPS5_jNS1_19radix_merge_compareILb1ELb1EiNS0_19identity_decomposerEEEEE10hipError_tT0_T1_T2_jT3_P12ihipStream_tbPNSt15iterator_traitsISK_E10value_typeEPNSQ_ISL_E10value_typeEPSM_NS1_7vsmem_tEENKUlT_SK_SL_SM_E_clIPiSE_SF_SF_EESJ_SZ_SK_SL_SM_EUlSZ_E_NS1_11comp_targetILNS1_3genE4ELNS1_11target_archE910ELNS1_3gpuE8ELNS1_3repE0EEENS1_48merge_mergepath_partition_config_static_selectorELNS0_4arch9wavefront6targetE0EEEvSL_,@function
_ZN7rocprim17ROCPRIM_400000_NS6detail17trampoline_kernelINS0_14default_configENS1_38merge_sort_block_merge_config_selectorIiNS0_10empty_typeEEEZZNS1_27merge_sort_block_merge_implIS3_N6thrust23THRUST_200600_302600_NS6detail15normal_iteratorINS9_10device_ptrIiEEEEPS5_jNS1_19radix_merge_compareILb1ELb1EiNS0_19identity_decomposerEEEEE10hipError_tT0_T1_T2_jT3_P12ihipStream_tbPNSt15iterator_traitsISK_E10value_typeEPNSQ_ISL_E10value_typeEPSM_NS1_7vsmem_tEENKUlT_SK_SL_SM_E_clIPiSE_SF_SF_EESJ_SZ_SK_SL_SM_EUlSZ_E_NS1_11comp_targetILNS1_3genE4ELNS1_11target_archE910ELNS1_3gpuE8ELNS1_3repE0EEENS1_48merge_mergepath_partition_config_static_selectorELNS0_4arch9wavefront6targetE0EEEvSL_: ; @_ZN7rocprim17ROCPRIM_400000_NS6detail17trampoline_kernelINS0_14default_configENS1_38merge_sort_block_merge_config_selectorIiNS0_10empty_typeEEEZZNS1_27merge_sort_block_merge_implIS3_N6thrust23THRUST_200600_302600_NS6detail15normal_iteratorINS9_10device_ptrIiEEEEPS5_jNS1_19radix_merge_compareILb1ELb1EiNS0_19identity_decomposerEEEEE10hipError_tT0_T1_T2_jT3_P12ihipStream_tbPNSt15iterator_traitsISK_E10value_typeEPNSQ_ISL_E10value_typeEPSM_NS1_7vsmem_tEENKUlT_SK_SL_SM_E_clIPiSE_SF_SF_EESJ_SZ_SK_SL_SM_EUlSZ_E_NS1_11comp_targetILNS1_3genE4ELNS1_11target_archE910ELNS1_3gpuE8ELNS1_3repE0EEENS1_48merge_mergepath_partition_config_static_selectorELNS0_4arch9wavefront6targetE0EEEvSL_
; %bb.0:
	.section	.rodata,"a",@progbits
	.p2align	6, 0x0
	.amdhsa_kernel _ZN7rocprim17ROCPRIM_400000_NS6detail17trampoline_kernelINS0_14default_configENS1_38merge_sort_block_merge_config_selectorIiNS0_10empty_typeEEEZZNS1_27merge_sort_block_merge_implIS3_N6thrust23THRUST_200600_302600_NS6detail15normal_iteratorINS9_10device_ptrIiEEEEPS5_jNS1_19radix_merge_compareILb1ELb1EiNS0_19identity_decomposerEEEEE10hipError_tT0_T1_T2_jT3_P12ihipStream_tbPNSt15iterator_traitsISK_E10value_typeEPNSQ_ISL_E10value_typeEPSM_NS1_7vsmem_tEENKUlT_SK_SL_SM_E_clIPiSE_SF_SF_EESJ_SZ_SK_SL_SM_EUlSZ_E_NS1_11comp_targetILNS1_3genE4ELNS1_11target_archE910ELNS1_3gpuE8ELNS1_3repE0EEENS1_48merge_mergepath_partition_config_static_selectorELNS0_4arch9wavefront6targetE0EEEvSL_
		.amdhsa_group_segment_fixed_size 0
		.amdhsa_private_segment_fixed_size 0
		.amdhsa_kernarg_size 40
		.amdhsa_user_sgpr_count 6
		.amdhsa_user_sgpr_private_segment_buffer 1
		.amdhsa_user_sgpr_dispatch_ptr 0
		.amdhsa_user_sgpr_queue_ptr 0
		.amdhsa_user_sgpr_kernarg_segment_ptr 1
		.amdhsa_user_sgpr_dispatch_id 0
		.amdhsa_user_sgpr_flat_scratch_init 0
		.amdhsa_user_sgpr_private_segment_size 0
		.amdhsa_wavefront_size32 1
		.amdhsa_uses_dynamic_stack 0
		.amdhsa_system_sgpr_private_segment_wavefront_offset 0
		.amdhsa_system_sgpr_workgroup_id_x 1
		.amdhsa_system_sgpr_workgroup_id_y 0
		.amdhsa_system_sgpr_workgroup_id_z 0
		.amdhsa_system_sgpr_workgroup_info 0
		.amdhsa_system_vgpr_workitem_id 0
		.amdhsa_next_free_vgpr 1
		.amdhsa_next_free_sgpr 1
		.amdhsa_reserve_vcc 0
		.amdhsa_reserve_flat_scratch 0
		.amdhsa_float_round_mode_32 0
		.amdhsa_float_round_mode_16_64 0
		.amdhsa_float_denorm_mode_32 3
		.amdhsa_float_denorm_mode_16_64 3
		.amdhsa_dx10_clamp 1
		.amdhsa_ieee_mode 1
		.amdhsa_fp16_overflow 0
		.amdhsa_workgroup_processor_mode 1
		.amdhsa_memory_ordered 1
		.amdhsa_forward_progress 1
		.amdhsa_shared_vgpr_count 0
		.amdhsa_exception_fp_ieee_invalid_op 0
		.amdhsa_exception_fp_denorm_src 0
		.amdhsa_exception_fp_ieee_div_zero 0
		.amdhsa_exception_fp_ieee_overflow 0
		.amdhsa_exception_fp_ieee_underflow 0
		.amdhsa_exception_fp_ieee_inexact 0
		.amdhsa_exception_int_div_zero 0
	.end_amdhsa_kernel
	.section	.text._ZN7rocprim17ROCPRIM_400000_NS6detail17trampoline_kernelINS0_14default_configENS1_38merge_sort_block_merge_config_selectorIiNS0_10empty_typeEEEZZNS1_27merge_sort_block_merge_implIS3_N6thrust23THRUST_200600_302600_NS6detail15normal_iteratorINS9_10device_ptrIiEEEEPS5_jNS1_19radix_merge_compareILb1ELb1EiNS0_19identity_decomposerEEEEE10hipError_tT0_T1_T2_jT3_P12ihipStream_tbPNSt15iterator_traitsISK_E10value_typeEPNSQ_ISL_E10value_typeEPSM_NS1_7vsmem_tEENKUlT_SK_SL_SM_E_clIPiSE_SF_SF_EESJ_SZ_SK_SL_SM_EUlSZ_E_NS1_11comp_targetILNS1_3genE4ELNS1_11target_archE910ELNS1_3gpuE8ELNS1_3repE0EEENS1_48merge_mergepath_partition_config_static_selectorELNS0_4arch9wavefront6targetE0EEEvSL_,"axG",@progbits,_ZN7rocprim17ROCPRIM_400000_NS6detail17trampoline_kernelINS0_14default_configENS1_38merge_sort_block_merge_config_selectorIiNS0_10empty_typeEEEZZNS1_27merge_sort_block_merge_implIS3_N6thrust23THRUST_200600_302600_NS6detail15normal_iteratorINS9_10device_ptrIiEEEEPS5_jNS1_19radix_merge_compareILb1ELb1EiNS0_19identity_decomposerEEEEE10hipError_tT0_T1_T2_jT3_P12ihipStream_tbPNSt15iterator_traitsISK_E10value_typeEPNSQ_ISL_E10value_typeEPSM_NS1_7vsmem_tEENKUlT_SK_SL_SM_E_clIPiSE_SF_SF_EESJ_SZ_SK_SL_SM_EUlSZ_E_NS1_11comp_targetILNS1_3genE4ELNS1_11target_archE910ELNS1_3gpuE8ELNS1_3repE0EEENS1_48merge_mergepath_partition_config_static_selectorELNS0_4arch9wavefront6targetE0EEEvSL_,comdat
.Lfunc_end273:
	.size	_ZN7rocprim17ROCPRIM_400000_NS6detail17trampoline_kernelINS0_14default_configENS1_38merge_sort_block_merge_config_selectorIiNS0_10empty_typeEEEZZNS1_27merge_sort_block_merge_implIS3_N6thrust23THRUST_200600_302600_NS6detail15normal_iteratorINS9_10device_ptrIiEEEEPS5_jNS1_19radix_merge_compareILb1ELb1EiNS0_19identity_decomposerEEEEE10hipError_tT0_T1_T2_jT3_P12ihipStream_tbPNSt15iterator_traitsISK_E10value_typeEPNSQ_ISL_E10value_typeEPSM_NS1_7vsmem_tEENKUlT_SK_SL_SM_E_clIPiSE_SF_SF_EESJ_SZ_SK_SL_SM_EUlSZ_E_NS1_11comp_targetILNS1_3genE4ELNS1_11target_archE910ELNS1_3gpuE8ELNS1_3repE0EEENS1_48merge_mergepath_partition_config_static_selectorELNS0_4arch9wavefront6targetE0EEEvSL_, .Lfunc_end273-_ZN7rocprim17ROCPRIM_400000_NS6detail17trampoline_kernelINS0_14default_configENS1_38merge_sort_block_merge_config_selectorIiNS0_10empty_typeEEEZZNS1_27merge_sort_block_merge_implIS3_N6thrust23THRUST_200600_302600_NS6detail15normal_iteratorINS9_10device_ptrIiEEEEPS5_jNS1_19radix_merge_compareILb1ELb1EiNS0_19identity_decomposerEEEEE10hipError_tT0_T1_T2_jT3_P12ihipStream_tbPNSt15iterator_traitsISK_E10value_typeEPNSQ_ISL_E10value_typeEPSM_NS1_7vsmem_tEENKUlT_SK_SL_SM_E_clIPiSE_SF_SF_EESJ_SZ_SK_SL_SM_EUlSZ_E_NS1_11comp_targetILNS1_3genE4ELNS1_11target_archE910ELNS1_3gpuE8ELNS1_3repE0EEENS1_48merge_mergepath_partition_config_static_selectorELNS0_4arch9wavefront6targetE0EEEvSL_
                                        ; -- End function
	.set _ZN7rocprim17ROCPRIM_400000_NS6detail17trampoline_kernelINS0_14default_configENS1_38merge_sort_block_merge_config_selectorIiNS0_10empty_typeEEEZZNS1_27merge_sort_block_merge_implIS3_N6thrust23THRUST_200600_302600_NS6detail15normal_iteratorINS9_10device_ptrIiEEEEPS5_jNS1_19radix_merge_compareILb1ELb1EiNS0_19identity_decomposerEEEEE10hipError_tT0_T1_T2_jT3_P12ihipStream_tbPNSt15iterator_traitsISK_E10value_typeEPNSQ_ISL_E10value_typeEPSM_NS1_7vsmem_tEENKUlT_SK_SL_SM_E_clIPiSE_SF_SF_EESJ_SZ_SK_SL_SM_EUlSZ_E_NS1_11comp_targetILNS1_3genE4ELNS1_11target_archE910ELNS1_3gpuE8ELNS1_3repE0EEENS1_48merge_mergepath_partition_config_static_selectorELNS0_4arch9wavefront6targetE0EEEvSL_.num_vgpr, 0
	.set _ZN7rocprim17ROCPRIM_400000_NS6detail17trampoline_kernelINS0_14default_configENS1_38merge_sort_block_merge_config_selectorIiNS0_10empty_typeEEEZZNS1_27merge_sort_block_merge_implIS3_N6thrust23THRUST_200600_302600_NS6detail15normal_iteratorINS9_10device_ptrIiEEEEPS5_jNS1_19radix_merge_compareILb1ELb1EiNS0_19identity_decomposerEEEEE10hipError_tT0_T1_T2_jT3_P12ihipStream_tbPNSt15iterator_traitsISK_E10value_typeEPNSQ_ISL_E10value_typeEPSM_NS1_7vsmem_tEENKUlT_SK_SL_SM_E_clIPiSE_SF_SF_EESJ_SZ_SK_SL_SM_EUlSZ_E_NS1_11comp_targetILNS1_3genE4ELNS1_11target_archE910ELNS1_3gpuE8ELNS1_3repE0EEENS1_48merge_mergepath_partition_config_static_selectorELNS0_4arch9wavefront6targetE0EEEvSL_.num_agpr, 0
	.set _ZN7rocprim17ROCPRIM_400000_NS6detail17trampoline_kernelINS0_14default_configENS1_38merge_sort_block_merge_config_selectorIiNS0_10empty_typeEEEZZNS1_27merge_sort_block_merge_implIS3_N6thrust23THRUST_200600_302600_NS6detail15normal_iteratorINS9_10device_ptrIiEEEEPS5_jNS1_19radix_merge_compareILb1ELb1EiNS0_19identity_decomposerEEEEE10hipError_tT0_T1_T2_jT3_P12ihipStream_tbPNSt15iterator_traitsISK_E10value_typeEPNSQ_ISL_E10value_typeEPSM_NS1_7vsmem_tEENKUlT_SK_SL_SM_E_clIPiSE_SF_SF_EESJ_SZ_SK_SL_SM_EUlSZ_E_NS1_11comp_targetILNS1_3genE4ELNS1_11target_archE910ELNS1_3gpuE8ELNS1_3repE0EEENS1_48merge_mergepath_partition_config_static_selectorELNS0_4arch9wavefront6targetE0EEEvSL_.numbered_sgpr, 0
	.set _ZN7rocprim17ROCPRIM_400000_NS6detail17trampoline_kernelINS0_14default_configENS1_38merge_sort_block_merge_config_selectorIiNS0_10empty_typeEEEZZNS1_27merge_sort_block_merge_implIS3_N6thrust23THRUST_200600_302600_NS6detail15normal_iteratorINS9_10device_ptrIiEEEEPS5_jNS1_19radix_merge_compareILb1ELb1EiNS0_19identity_decomposerEEEEE10hipError_tT0_T1_T2_jT3_P12ihipStream_tbPNSt15iterator_traitsISK_E10value_typeEPNSQ_ISL_E10value_typeEPSM_NS1_7vsmem_tEENKUlT_SK_SL_SM_E_clIPiSE_SF_SF_EESJ_SZ_SK_SL_SM_EUlSZ_E_NS1_11comp_targetILNS1_3genE4ELNS1_11target_archE910ELNS1_3gpuE8ELNS1_3repE0EEENS1_48merge_mergepath_partition_config_static_selectorELNS0_4arch9wavefront6targetE0EEEvSL_.num_named_barrier, 0
	.set _ZN7rocprim17ROCPRIM_400000_NS6detail17trampoline_kernelINS0_14default_configENS1_38merge_sort_block_merge_config_selectorIiNS0_10empty_typeEEEZZNS1_27merge_sort_block_merge_implIS3_N6thrust23THRUST_200600_302600_NS6detail15normal_iteratorINS9_10device_ptrIiEEEEPS5_jNS1_19radix_merge_compareILb1ELb1EiNS0_19identity_decomposerEEEEE10hipError_tT0_T1_T2_jT3_P12ihipStream_tbPNSt15iterator_traitsISK_E10value_typeEPNSQ_ISL_E10value_typeEPSM_NS1_7vsmem_tEENKUlT_SK_SL_SM_E_clIPiSE_SF_SF_EESJ_SZ_SK_SL_SM_EUlSZ_E_NS1_11comp_targetILNS1_3genE4ELNS1_11target_archE910ELNS1_3gpuE8ELNS1_3repE0EEENS1_48merge_mergepath_partition_config_static_selectorELNS0_4arch9wavefront6targetE0EEEvSL_.private_seg_size, 0
	.set _ZN7rocprim17ROCPRIM_400000_NS6detail17trampoline_kernelINS0_14default_configENS1_38merge_sort_block_merge_config_selectorIiNS0_10empty_typeEEEZZNS1_27merge_sort_block_merge_implIS3_N6thrust23THRUST_200600_302600_NS6detail15normal_iteratorINS9_10device_ptrIiEEEEPS5_jNS1_19radix_merge_compareILb1ELb1EiNS0_19identity_decomposerEEEEE10hipError_tT0_T1_T2_jT3_P12ihipStream_tbPNSt15iterator_traitsISK_E10value_typeEPNSQ_ISL_E10value_typeEPSM_NS1_7vsmem_tEENKUlT_SK_SL_SM_E_clIPiSE_SF_SF_EESJ_SZ_SK_SL_SM_EUlSZ_E_NS1_11comp_targetILNS1_3genE4ELNS1_11target_archE910ELNS1_3gpuE8ELNS1_3repE0EEENS1_48merge_mergepath_partition_config_static_selectorELNS0_4arch9wavefront6targetE0EEEvSL_.uses_vcc, 0
	.set _ZN7rocprim17ROCPRIM_400000_NS6detail17trampoline_kernelINS0_14default_configENS1_38merge_sort_block_merge_config_selectorIiNS0_10empty_typeEEEZZNS1_27merge_sort_block_merge_implIS3_N6thrust23THRUST_200600_302600_NS6detail15normal_iteratorINS9_10device_ptrIiEEEEPS5_jNS1_19radix_merge_compareILb1ELb1EiNS0_19identity_decomposerEEEEE10hipError_tT0_T1_T2_jT3_P12ihipStream_tbPNSt15iterator_traitsISK_E10value_typeEPNSQ_ISL_E10value_typeEPSM_NS1_7vsmem_tEENKUlT_SK_SL_SM_E_clIPiSE_SF_SF_EESJ_SZ_SK_SL_SM_EUlSZ_E_NS1_11comp_targetILNS1_3genE4ELNS1_11target_archE910ELNS1_3gpuE8ELNS1_3repE0EEENS1_48merge_mergepath_partition_config_static_selectorELNS0_4arch9wavefront6targetE0EEEvSL_.uses_flat_scratch, 0
	.set _ZN7rocprim17ROCPRIM_400000_NS6detail17trampoline_kernelINS0_14default_configENS1_38merge_sort_block_merge_config_selectorIiNS0_10empty_typeEEEZZNS1_27merge_sort_block_merge_implIS3_N6thrust23THRUST_200600_302600_NS6detail15normal_iteratorINS9_10device_ptrIiEEEEPS5_jNS1_19radix_merge_compareILb1ELb1EiNS0_19identity_decomposerEEEEE10hipError_tT0_T1_T2_jT3_P12ihipStream_tbPNSt15iterator_traitsISK_E10value_typeEPNSQ_ISL_E10value_typeEPSM_NS1_7vsmem_tEENKUlT_SK_SL_SM_E_clIPiSE_SF_SF_EESJ_SZ_SK_SL_SM_EUlSZ_E_NS1_11comp_targetILNS1_3genE4ELNS1_11target_archE910ELNS1_3gpuE8ELNS1_3repE0EEENS1_48merge_mergepath_partition_config_static_selectorELNS0_4arch9wavefront6targetE0EEEvSL_.has_dyn_sized_stack, 0
	.set _ZN7rocprim17ROCPRIM_400000_NS6detail17trampoline_kernelINS0_14default_configENS1_38merge_sort_block_merge_config_selectorIiNS0_10empty_typeEEEZZNS1_27merge_sort_block_merge_implIS3_N6thrust23THRUST_200600_302600_NS6detail15normal_iteratorINS9_10device_ptrIiEEEEPS5_jNS1_19radix_merge_compareILb1ELb1EiNS0_19identity_decomposerEEEEE10hipError_tT0_T1_T2_jT3_P12ihipStream_tbPNSt15iterator_traitsISK_E10value_typeEPNSQ_ISL_E10value_typeEPSM_NS1_7vsmem_tEENKUlT_SK_SL_SM_E_clIPiSE_SF_SF_EESJ_SZ_SK_SL_SM_EUlSZ_E_NS1_11comp_targetILNS1_3genE4ELNS1_11target_archE910ELNS1_3gpuE8ELNS1_3repE0EEENS1_48merge_mergepath_partition_config_static_selectorELNS0_4arch9wavefront6targetE0EEEvSL_.has_recursion, 0
	.set _ZN7rocprim17ROCPRIM_400000_NS6detail17trampoline_kernelINS0_14default_configENS1_38merge_sort_block_merge_config_selectorIiNS0_10empty_typeEEEZZNS1_27merge_sort_block_merge_implIS3_N6thrust23THRUST_200600_302600_NS6detail15normal_iteratorINS9_10device_ptrIiEEEEPS5_jNS1_19radix_merge_compareILb1ELb1EiNS0_19identity_decomposerEEEEE10hipError_tT0_T1_T2_jT3_P12ihipStream_tbPNSt15iterator_traitsISK_E10value_typeEPNSQ_ISL_E10value_typeEPSM_NS1_7vsmem_tEENKUlT_SK_SL_SM_E_clIPiSE_SF_SF_EESJ_SZ_SK_SL_SM_EUlSZ_E_NS1_11comp_targetILNS1_3genE4ELNS1_11target_archE910ELNS1_3gpuE8ELNS1_3repE0EEENS1_48merge_mergepath_partition_config_static_selectorELNS0_4arch9wavefront6targetE0EEEvSL_.has_indirect_call, 0
	.section	.AMDGPU.csdata,"",@progbits
; Kernel info:
; codeLenInByte = 0
; TotalNumSgprs: 0
; NumVgprs: 0
; ScratchSize: 0
; MemoryBound: 0
; FloatMode: 240
; IeeeMode: 1
; LDSByteSize: 0 bytes/workgroup (compile time only)
; SGPRBlocks: 0
; VGPRBlocks: 0
; NumSGPRsForWavesPerEU: 1
; NumVGPRsForWavesPerEU: 1
; Occupancy: 16
; WaveLimiterHint : 0
; COMPUTE_PGM_RSRC2:SCRATCH_EN: 0
; COMPUTE_PGM_RSRC2:USER_SGPR: 6
; COMPUTE_PGM_RSRC2:TRAP_HANDLER: 0
; COMPUTE_PGM_RSRC2:TGID_X_EN: 1
; COMPUTE_PGM_RSRC2:TGID_Y_EN: 0
; COMPUTE_PGM_RSRC2:TGID_Z_EN: 0
; COMPUTE_PGM_RSRC2:TIDIG_COMP_CNT: 0
	.section	.text._ZN7rocprim17ROCPRIM_400000_NS6detail17trampoline_kernelINS0_14default_configENS1_38merge_sort_block_merge_config_selectorIiNS0_10empty_typeEEEZZNS1_27merge_sort_block_merge_implIS3_N6thrust23THRUST_200600_302600_NS6detail15normal_iteratorINS9_10device_ptrIiEEEEPS5_jNS1_19radix_merge_compareILb1ELb1EiNS0_19identity_decomposerEEEEE10hipError_tT0_T1_T2_jT3_P12ihipStream_tbPNSt15iterator_traitsISK_E10value_typeEPNSQ_ISL_E10value_typeEPSM_NS1_7vsmem_tEENKUlT_SK_SL_SM_E_clIPiSE_SF_SF_EESJ_SZ_SK_SL_SM_EUlSZ_E_NS1_11comp_targetILNS1_3genE3ELNS1_11target_archE908ELNS1_3gpuE7ELNS1_3repE0EEENS1_48merge_mergepath_partition_config_static_selectorELNS0_4arch9wavefront6targetE0EEEvSL_,"axG",@progbits,_ZN7rocprim17ROCPRIM_400000_NS6detail17trampoline_kernelINS0_14default_configENS1_38merge_sort_block_merge_config_selectorIiNS0_10empty_typeEEEZZNS1_27merge_sort_block_merge_implIS3_N6thrust23THRUST_200600_302600_NS6detail15normal_iteratorINS9_10device_ptrIiEEEEPS5_jNS1_19radix_merge_compareILb1ELb1EiNS0_19identity_decomposerEEEEE10hipError_tT0_T1_T2_jT3_P12ihipStream_tbPNSt15iterator_traitsISK_E10value_typeEPNSQ_ISL_E10value_typeEPSM_NS1_7vsmem_tEENKUlT_SK_SL_SM_E_clIPiSE_SF_SF_EESJ_SZ_SK_SL_SM_EUlSZ_E_NS1_11comp_targetILNS1_3genE3ELNS1_11target_archE908ELNS1_3gpuE7ELNS1_3repE0EEENS1_48merge_mergepath_partition_config_static_selectorELNS0_4arch9wavefront6targetE0EEEvSL_,comdat
	.protected	_ZN7rocprim17ROCPRIM_400000_NS6detail17trampoline_kernelINS0_14default_configENS1_38merge_sort_block_merge_config_selectorIiNS0_10empty_typeEEEZZNS1_27merge_sort_block_merge_implIS3_N6thrust23THRUST_200600_302600_NS6detail15normal_iteratorINS9_10device_ptrIiEEEEPS5_jNS1_19radix_merge_compareILb1ELb1EiNS0_19identity_decomposerEEEEE10hipError_tT0_T1_T2_jT3_P12ihipStream_tbPNSt15iterator_traitsISK_E10value_typeEPNSQ_ISL_E10value_typeEPSM_NS1_7vsmem_tEENKUlT_SK_SL_SM_E_clIPiSE_SF_SF_EESJ_SZ_SK_SL_SM_EUlSZ_E_NS1_11comp_targetILNS1_3genE3ELNS1_11target_archE908ELNS1_3gpuE7ELNS1_3repE0EEENS1_48merge_mergepath_partition_config_static_selectorELNS0_4arch9wavefront6targetE0EEEvSL_ ; -- Begin function _ZN7rocprim17ROCPRIM_400000_NS6detail17trampoline_kernelINS0_14default_configENS1_38merge_sort_block_merge_config_selectorIiNS0_10empty_typeEEEZZNS1_27merge_sort_block_merge_implIS3_N6thrust23THRUST_200600_302600_NS6detail15normal_iteratorINS9_10device_ptrIiEEEEPS5_jNS1_19radix_merge_compareILb1ELb1EiNS0_19identity_decomposerEEEEE10hipError_tT0_T1_T2_jT3_P12ihipStream_tbPNSt15iterator_traitsISK_E10value_typeEPNSQ_ISL_E10value_typeEPSM_NS1_7vsmem_tEENKUlT_SK_SL_SM_E_clIPiSE_SF_SF_EESJ_SZ_SK_SL_SM_EUlSZ_E_NS1_11comp_targetILNS1_3genE3ELNS1_11target_archE908ELNS1_3gpuE7ELNS1_3repE0EEENS1_48merge_mergepath_partition_config_static_selectorELNS0_4arch9wavefront6targetE0EEEvSL_
	.globl	_ZN7rocprim17ROCPRIM_400000_NS6detail17trampoline_kernelINS0_14default_configENS1_38merge_sort_block_merge_config_selectorIiNS0_10empty_typeEEEZZNS1_27merge_sort_block_merge_implIS3_N6thrust23THRUST_200600_302600_NS6detail15normal_iteratorINS9_10device_ptrIiEEEEPS5_jNS1_19radix_merge_compareILb1ELb1EiNS0_19identity_decomposerEEEEE10hipError_tT0_T1_T2_jT3_P12ihipStream_tbPNSt15iterator_traitsISK_E10value_typeEPNSQ_ISL_E10value_typeEPSM_NS1_7vsmem_tEENKUlT_SK_SL_SM_E_clIPiSE_SF_SF_EESJ_SZ_SK_SL_SM_EUlSZ_E_NS1_11comp_targetILNS1_3genE3ELNS1_11target_archE908ELNS1_3gpuE7ELNS1_3repE0EEENS1_48merge_mergepath_partition_config_static_selectorELNS0_4arch9wavefront6targetE0EEEvSL_
	.p2align	8
	.type	_ZN7rocprim17ROCPRIM_400000_NS6detail17trampoline_kernelINS0_14default_configENS1_38merge_sort_block_merge_config_selectorIiNS0_10empty_typeEEEZZNS1_27merge_sort_block_merge_implIS3_N6thrust23THRUST_200600_302600_NS6detail15normal_iteratorINS9_10device_ptrIiEEEEPS5_jNS1_19radix_merge_compareILb1ELb1EiNS0_19identity_decomposerEEEEE10hipError_tT0_T1_T2_jT3_P12ihipStream_tbPNSt15iterator_traitsISK_E10value_typeEPNSQ_ISL_E10value_typeEPSM_NS1_7vsmem_tEENKUlT_SK_SL_SM_E_clIPiSE_SF_SF_EESJ_SZ_SK_SL_SM_EUlSZ_E_NS1_11comp_targetILNS1_3genE3ELNS1_11target_archE908ELNS1_3gpuE7ELNS1_3repE0EEENS1_48merge_mergepath_partition_config_static_selectorELNS0_4arch9wavefront6targetE0EEEvSL_,@function
_ZN7rocprim17ROCPRIM_400000_NS6detail17trampoline_kernelINS0_14default_configENS1_38merge_sort_block_merge_config_selectorIiNS0_10empty_typeEEEZZNS1_27merge_sort_block_merge_implIS3_N6thrust23THRUST_200600_302600_NS6detail15normal_iteratorINS9_10device_ptrIiEEEEPS5_jNS1_19radix_merge_compareILb1ELb1EiNS0_19identity_decomposerEEEEE10hipError_tT0_T1_T2_jT3_P12ihipStream_tbPNSt15iterator_traitsISK_E10value_typeEPNSQ_ISL_E10value_typeEPSM_NS1_7vsmem_tEENKUlT_SK_SL_SM_E_clIPiSE_SF_SF_EESJ_SZ_SK_SL_SM_EUlSZ_E_NS1_11comp_targetILNS1_3genE3ELNS1_11target_archE908ELNS1_3gpuE7ELNS1_3repE0EEENS1_48merge_mergepath_partition_config_static_selectorELNS0_4arch9wavefront6targetE0EEEvSL_: ; @_ZN7rocprim17ROCPRIM_400000_NS6detail17trampoline_kernelINS0_14default_configENS1_38merge_sort_block_merge_config_selectorIiNS0_10empty_typeEEEZZNS1_27merge_sort_block_merge_implIS3_N6thrust23THRUST_200600_302600_NS6detail15normal_iteratorINS9_10device_ptrIiEEEEPS5_jNS1_19radix_merge_compareILb1ELb1EiNS0_19identity_decomposerEEEEE10hipError_tT0_T1_T2_jT3_P12ihipStream_tbPNSt15iterator_traitsISK_E10value_typeEPNSQ_ISL_E10value_typeEPSM_NS1_7vsmem_tEENKUlT_SK_SL_SM_E_clIPiSE_SF_SF_EESJ_SZ_SK_SL_SM_EUlSZ_E_NS1_11comp_targetILNS1_3genE3ELNS1_11target_archE908ELNS1_3gpuE7ELNS1_3repE0EEENS1_48merge_mergepath_partition_config_static_selectorELNS0_4arch9wavefront6targetE0EEEvSL_
; %bb.0:
	.section	.rodata,"a",@progbits
	.p2align	6, 0x0
	.amdhsa_kernel _ZN7rocprim17ROCPRIM_400000_NS6detail17trampoline_kernelINS0_14default_configENS1_38merge_sort_block_merge_config_selectorIiNS0_10empty_typeEEEZZNS1_27merge_sort_block_merge_implIS3_N6thrust23THRUST_200600_302600_NS6detail15normal_iteratorINS9_10device_ptrIiEEEEPS5_jNS1_19radix_merge_compareILb1ELb1EiNS0_19identity_decomposerEEEEE10hipError_tT0_T1_T2_jT3_P12ihipStream_tbPNSt15iterator_traitsISK_E10value_typeEPNSQ_ISL_E10value_typeEPSM_NS1_7vsmem_tEENKUlT_SK_SL_SM_E_clIPiSE_SF_SF_EESJ_SZ_SK_SL_SM_EUlSZ_E_NS1_11comp_targetILNS1_3genE3ELNS1_11target_archE908ELNS1_3gpuE7ELNS1_3repE0EEENS1_48merge_mergepath_partition_config_static_selectorELNS0_4arch9wavefront6targetE0EEEvSL_
		.amdhsa_group_segment_fixed_size 0
		.amdhsa_private_segment_fixed_size 0
		.amdhsa_kernarg_size 40
		.amdhsa_user_sgpr_count 6
		.amdhsa_user_sgpr_private_segment_buffer 1
		.amdhsa_user_sgpr_dispatch_ptr 0
		.amdhsa_user_sgpr_queue_ptr 0
		.amdhsa_user_sgpr_kernarg_segment_ptr 1
		.amdhsa_user_sgpr_dispatch_id 0
		.amdhsa_user_sgpr_flat_scratch_init 0
		.amdhsa_user_sgpr_private_segment_size 0
		.amdhsa_wavefront_size32 1
		.amdhsa_uses_dynamic_stack 0
		.amdhsa_system_sgpr_private_segment_wavefront_offset 0
		.amdhsa_system_sgpr_workgroup_id_x 1
		.amdhsa_system_sgpr_workgroup_id_y 0
		.amdhsa_system_sgpr_workgroup_id_z 0
		.amdhsa_system_sgpr_workgroup_info 0
		.amdhsa_system_vgpr_workitem_id 0
		.amdhsa_next_free_vgpr 1
		.amdhsa_next_free_sgpr 1
		.amdhsa_reserve_vcc 0
		.amdhsa_reserve_flat_scratch 0
		.amdhsa_float_round_mode_32 0
		.amdhsa_float_round_mode_16_64 0
		.amdhsa_float_denorm_mode_32 3
		.amdhsa_float_denorm_mode_16_64 3
		.amdhsa_dx10_clamp 1
		.amdhsa_ieee_mode 1
		.amdhsa_fp16_overflow 0
		.amdhsa_workgroup_processor_mode 1
		.amdhsa_memory_ordered 1
		.amdhsa_forward_progress 1
		.amdhsa_shared_vgpr_count 0
		.amdhsa_exception_fp_ieee_invalid_op 0
		.amdhsa_exception_fp_denorm_src 0
		.amdhsa_exception_fp_ieee_div_zero 0
		.amdhsa_exception_fp_ieee_overflow 0
		.amdhsa_exception_fp_ieee_underflow 0
		.amdhsa_exception_fp_ieee_inexact 0
		.amdhsa_exception_int_div_zero 0
	.end_amdhsa_kernel
	.section	.text._ZN7rocprim17ROCPRIM_400000_NS6detail17trampoline_kernelINS0_14default_configENS1_38merge_sort_block_merge_config_selectorIiNS0_10empty_typeEEEZZNS1_27merge_sort_block_merge_implIS3_N6thrust23THRUST_200600_302600_NS6detail15normal_iteratorINS9_10device_ptrIiEEEEPS5_jNS1_19radix_merge_compareILb1ELb1EiNS0_19identity_decomposerEEEEE10hipError_tT0_T1_T2_jT3_P12ihipStream_tbPNSt15iterator_traitsISK_E10value_typeEPNSQ_ISL_E10value_typeEPSM_NS1_7vsmem_tEENKUlT_SK_SL_SM_E_clIPiSE_SF_SF_EESJ_SZ_SK_SL_SM_EUlSZ_E_NS1_11comp_targetILNS1_3genE3ELNS1_11target_archE908ELNS1_3gpuE7ELNS1_3repE0EEENS1_48merge_mergepath_partition_config_static_selectorELNS0_4arch9wavefront6targetE0EEEvSL_,"axG",@progbits,_ZN7rocprim17ROCPRIM_400000_NS6detail17trampoline_kernelINS0_14default_configENS1_38merge_sort_block_merge_config_selectorIiNS0_10empty_typeEEEZZNS1_27merge_sort_block_merge_implIS3_N6thrust23THRUST_200600_302600_NS6detail15normal_iteratorINS9_10device_ptrIiEEEEPS5_jNS1_19radix_merge_compareILb1ELb1EiNS0_19identity_decomposerEEEEE10hipError_tT0_T1_T2_jT3_P12ihipStream_tbPNSt15iterator_traitsISK_E10value_typeEPNSQ_ISL_E10value_typeEPSM_NS1_7vsmem_tEENKUlT_SK_SL_SM_E_clIPiSE_SF_SF_EESJ_SZ_SK_SL_SM_EUlSZ_E_NS1_11comp_targetILNS1_3genE3ELNS1_11target_archE908ELNS1_3gpuE7ELNS1_3repE0EEENS1_48merge_mergepath_partition_config_static_selectorELNS0_4arch9wavefront6targetE0EEEvSL_,comdat
.Lfunc_end274:
	.size	_ZN7rocprim17ROCPRIM_400000_NS6detail17trampoline_kernelINS0_14default_configENS1_38merge_sort_block_merge_config_selectorIiNS0_10empty_typeEEEZZNS1_27merge_sort_block_merge_implIS3_N6thrust23THRUST_200600_302600_NS6detail15normal_iteratorINS9_10device_ptrIiEEEEPS5_jNS1_19radix_merge_compareILb1ELb1EiNS0_19identity_decomposerEEEEE10hipError_tT0_T1_T2_jT3_P12ihipStream_tbPNSt15iterator_traitsISK_E10value_typeEPNSQ_ISL_E10value_typeEPSM_NS1_7vsmem_tEENKUlT_SK_SL_SM_E_clIPiSE_SF_SF_EESJ_SZ_SK_SL_SM_EUlSZ_E_NS1_11comp_targetILNS1_3genE3ELNS1_11target_archE908ELNS1_3gpuE7ELNS1_3repE0EEENS1_48merge_mergepath_partition_config_static_selectorELNS0_4arch9wavefront6targetE0EEEvSL_, .Lfunc_end274-_ZN7rocprim17ROCPRIM_400000_NS6detail17trampoline_kernelINS0_14default_configENS1_38merge_sort_block_merge_config_selectorIiNS0_10empty_typeEEEZZNS1_27merge_sort_block_merge_implIS3_N6thrust23THRUST_200600_302600_NS6detail15normal_iteratorINS9_10device_ptrIiEEEEPS5_jNS1_19radix_merge_compareILb1ELb1EiNS0_19identity_decomposerEEEEE10hipError_tT0_T1_T2_jT3_P12ihipStream_tbPNSt15iterator_traitsISK_E10value_typeEPNSQ_ISL_E10value_typeEPSM_NS1_7vsmem_tEENKUlT_SK_SL_SM_E_clIPiSE_SF_SF_EESJ_SZ_SK_SL_SM_EUlSZ_E_NS1_11comp_targetILNS1_3genE3ELNS1_11target_archE908ELNS1_3gpuE7ELNS1_3repE0EEENS1_48merge_mergepath_partition_config_static_selectorELNS0_4arch9wavefront6targetE0EEEvSL_
                                        ; -- End function
	.set _ZN7rocprim17ROCPRIM_400000_NS6detail17trampoline_kernelINS0_14default_configENS1_38merge_sort_block_merge_config_selectorIiNS0_10empty_typeEEEZZNS1_27merge_sort_block_merge_implIS3_N6thrust23THRUST_200600_302600_NS6detail15normal_iteratorINS9_10device_ptrIiEEEEPS5_jNS1_19radix_merge_compareILb1ELb1EiNS0_19identity_decomposerEEEEE10hipError_tT0_T1_T2_jT3_P12ihipStream_tbPNSt15iterator_traitsISK_E10value_typeEPNSQ_ISL_E10value_typeEPSM_NS1_7vsmem_tEENKUlT_SK_SL_SM_E_clIPiSE_SF_SF_EESJ_SZ_SK_SL_SM_EUlSZ_E_NS1_11comp_targetILNS1_3genE3ELNS1_11target_archE908ELNS1_3gpuE7ELNS1_3repE0EEENS1_48merge_mergepath_partition_config_static_selectorELNS0_4arch9wavefront6targetE0EEEvSL_.num_vgpr, 0
	.set _ZN7rocprim17ROCPRIM_400000_NS6detail17trampoline_kernelINS0_14default_configENS1_38merge_sort_block_merge_config_selectorIiNS0_10empty_typeEEEZZNS1_27merge_sort_block_merge_implIS3_N6thrust23THRUST_200600_302600_NS6detail15normal_iteratorINS9_10device_ptrIiEEEEPS5_jNS1_19radix_merge_compareILb1ELb1EiNS0_19identity_decomposerEEEEE10hipError_tT0_T1_T2_jT3_P12ihipStream_tbPNSt15iterator_traitsISK_E10value_typeEPNSQ_ISL_E10value_typeEPSM_NS1_7vsmem_tEENKUlT_SK_SL_SM_E_clIPiSE_SF_SF_EESJ_SZ_SK_SL_SM_EUlSZ_E_NS1_11comp_targetILNS1_3genE3ELNS1_11target_archE908ELNS1_3gpuE7ELNS1_3repE0EEENS1_48merge_mergepath_partition_config_static_selectorELNS0_4arch9wavefront6targetE0EEEvSL_.num_agpr, 0
	.set _ZN7rocprim17ROCPRIM_400000_NS6detail17trampoline_kernelINS0_14default_configENS1_38merge_sort_block_merge_config_selectorIiNS0_10empty_typeEEEZZNS1_27merge_sort_block_merge_implIS3_N6thrust23THRUST_200600_302600_NS6detail15normal_iteratorINS9_10device_ptrIiEEEEPS5_jNS1_19radix_merge_compareILb1ELb1EiNS0_19identity_decomposerEEEEE10hipError_tT0_T1_T2_jT3_P12ihipStream_tbPNSt15iterator_traitsISK_E10value_typeEPNSQ_ISL_E10value_typeEPSM_NS1_7vsmem_tEENKUlT_SK_SL_SM_E_clIPiSE_SF_SF_EESJ_SZ_SK_SL_SM_EUlSZ_E_NS1_11comp_targetILNS1_3genE3ELNS1_11target_archE908ELNS1_3gpuE7ELNS1_3repE0EEENS1_48merge_mergepath_partition_config_static_selectorELNS0_4arch9wavefront6targetE0EEEvSL_.numbered_sgpr, 0
	.set _ZN7rocprim17ROCPRIM_400000_NS6detail17trampoline_kernelINS0_14default_configENS1_38merge_sort_block_merge_config_selectorIiNS0_10empty_typeEEEZZNS1_27merge_sort_block_merge_implIS3_N6thrust23THRUST_200600_302600_NS6detail15normal_iteratorINS9_10device_ptrIiEEEEPS5_jNS1_19radix_merge_compareILb1ELb1EiNS0_19identity_decomposerEEEEE10hipError_tT0_T1_T2_jT3_P12ihipStream_tbPNSt15iterator_traitsISK_E10value_typeEPNSQ_ISL_E10value_typeEPSM_NS1_7vsmem_tEENKUlT_SK_SL_SM_E_clIPiSE_SF_SF_EESJ_SZ_SK_SL_SM_EUlSZ_E_NS1_11comp_targetILNS1_3genE3ELNS1_11target_archE908ELNS1_3gpuE7ELNS1_3repE0EEENS1_48merge_mergepath_partition_config_static_selectorELNS0_4arch9wavefront6targetE0EEEvSL_.num_named_barrier, 0
	.set _ZN7rocprim17ROCPRIM_400000_NS6detail17trampoline_kernelINS0_14default_configENS1_38merge_sort_block_merge_config_selectorIiNS0_10empty_typeEEEZZNS1_27merge_sort_block_merge_implIS3_N6thrust23THRUST_200600_302600_NS6detail15normal_iteratorINS9_10device_ptrIiEEEEPS5_jNS1_19radix_merge_compareILb1ELb1EiNS0_19identity_decomposerEEEEE10hipError_tT0_T1_T2_jT3_P12ihipStream_tbPNSt15iterator_traitsISK_E10value_typeEPNSQ_ISL_E10value_typeEPSM_NS1_7vsmem_tEENKUlT_SK_SL_SM_E_clIPiSE_SF_SF_EESJ_SZ_SK_SL_SM_EUlSZ_E_NS1_11comp_targetILNS1_3genE3ELNS1_11target_archE908ELNS1_3gpuE7ELNS1_3repE0EEENS1_48merge_mergepath_partition_config_static_selectorELNS0_4arch9wavefront6targetE0EEEvSL_.private_seg_size, 0
	.set _ZN7rocprim17ROCPRIM_400000_NS6detail17trampoline_kernelINS0_14default_configENS1_38merge_sort_block_merge_config_selectorIiNS0_10empty_typeEEEZZNS1_27merge_sort_block_merge_implIS3_N6thrust23THRUST_200600_302600_NS6detail15normal_iteratorINS9_10device_ptrIiEEEEPS5_jNS1_19radix_merge_compareILb1ELb1EiNS0_19identity_decomposerEEEEE10hipError_tT0_T1_T2_jT3_P12ihipStream_tbPNSt15iterator_traitsISK_E10value_typeEPNSQ_ISL_E10value_typeEPSM_NS1_7vsmem_tEENKUlT_SK_SL_SM_E_clIPiSE_SF_SF_EESJ_SZ_SK_SL_SM_EUlSZ_E_NS1_11comp_targetILNS1_3genE3ELNS1_11target_archE908ELNS1_3gpuE7ELNS1_3repE0EEENS1_48merge_mergepath_partition_config_static_selectorELNS0_4arch9wavefront6targetE0EEEvSL_.uses_vcc, 0
	.set _ZN7rocprim17ROCPRIM_400000_NS6detail17trampoline_kernelINS0_14default_configENS1_38merge_sort_block_merge_config_selectorIiNS0_10empty_typeEEEZZNS1_27merge_sort_block_merge_implIS3_N6thrust23THRUST_200600_302600_NS6detail15normal_iteratorINS9_10device_ptrIiEEEEPS5_jNS1_19radix_merge_compareILb1ELb1EiNS0_19identity_decomposerEEEEE10hipError_tT0_T1_T2_jT3_P12ihipStream_tbPNSt15iterator_traitsISK_E10value_typeEPNSQ_ISL_E10value_typeEPSM_NS1_7vsmem_tEENKUlT_SK_SL_SM_E_clIPiSE_SF_SF_EESJ_SZ_SK_SL_SM_EUlSZ_E_NS1_11comp_targetILNS1_3genE3ELNS1_11target_archE908ELNS1_3gpuE7ELNS1_3repE0EEENS1_48merge_mergepath_partition_config_static_selectorELNS0_4arch9wavefront6targetE0EEEvSL_.uses_flat_scratch, 0
	.set _ZN7rocprim17ROCPRIM_400000_NS6detail17trampoline_kernelINS0_14default_configENS1_38merge_sort_block_merge_config_selectorIiNS0_10empty_typeEEEZZNS1_27merge_sort_block_merge_implIS3_N6thrust23THRUST_200600_302600_NS6detail15normal_iteratorINS9_10device_ptrIiEEEEPS5_jNS1_19radix_merge_compareILb1ELb1EiNS0_19identity_decomposerEEEEE10hipError_tT0_T1_T2_jT3_P12ihipStream_tbPNSt15iterator_traitsISK_E10value_typeEPNSQ_ISL_E10value_typeEPSM_NS1_7vsmem_tEENKUlT_SK_SL_SM_E_clIPiSE_SF_SF_EESJ_SZ_SK_SL_SM_EUlSZ_E_NS1_11comp_targetILNS1_3genE3ELNS1_11target_archE908ELNS1_3gpuE7ELNS1_3repE0EEENS1_48merge_mergepath_partition_config_static_selectorELNS0_4arch9wavefront6targetE0EEEvSL_.has_dyn_sized_stack, 0
	.set _ZN7rocprim17ROCPRIM_400000_NS6detail17trampoline_kernelINS0_14default_configENS1_38merge_sort_block_merge_config_selectorIiNS0_10empty_typeEEEZZNS1_27merge_sort_block_merge_implIS3_N6thrust23THRUST_200600_302600_NS6detail15normal_iteratorINS9_10device_ptrIiEEEEPS5_jNS1_19radix_merge_compareILb1ELb1EiNS0_19identity_decomposerEEEEE10hipError_tT0_T1_T2_jT3_P12ihipStream_tbPNSt15iterator_traitsISK_E10value_typeEPNSQ_ISL_E10value_typeEPSM_NS1_7vsmem_tEENKUlT_SK_SL_SM_E_clIPiSE_SF_SF_EESJ_SZ_SK_SL_SM_EUlSZ_E_NS1_11comp_targetILNS1_3genE3ELNS1_11target_archE908ELNS1_3gpuE7ELNS1_3repE0EEENS1_48merge_mergepath_partition_config_static_selectorELNS0_4arch9wavefront6targetE0EEEvSL_.has_recursion, 0
	.set _ZN7rocprim17ROCPRIM_400000_NS6detail17trampoline_kernelINS0_14default_configENS1_38merge_sort_block_merge_config_selectorIiNS0_10empty_typeEEEZZNS1_27merge_sort_block_merge_implIS3_N6thrust23THRUST_200600_302600_NS6detail15normal_iteratorINS9_10device_ptrIiEEEEPS5_jNS1_19radix_merge_compareILb1ELb1EiNS0_19identity_decomposerEEEEE10hipError_tT0_T1_T2_jT3_P12ihipStream_tbPNSt15iterator_traitsISK_E10value_typeEPNSQ_ISL_E10value_typeEPSM_NS1_7vsmem_tEENKUlT_SK_SL_SM_E_clIPiSE_SF_SF_EESJ_SZ_SK_SL_SM_EUlSZ_E_NS1_11comp_targetILNS1_3genE3ELNS1_11target_archE908ELNS1_3gpuE7ELNS1_3repE0EEENS1_48merge_mergepath_partition_config_static_selectorELNS0_4arch9wavefront6targetE0EEEvSL_.has_indirect_call, 0
	.section	.AMDGPU.csdata,"",@progbits
; Kernel info:
; codeLenInByte = 0
; TotalNumSgprs: 0
; NumVgprs: 0
; ScratchSize: 0
; MemoryBound: 0
; FloatMode: 240
; IeeeMode: 1
; LDSByteSize: 0 bytes/workgroup (compile time only)
; SGPRBlocks: 0
; VGPRBlocks: 0
; NumSGPRsForWavesPerEU: 1
; NumVGPRsForWavesPerEU: 1
; Occupancy: 16
; WaveLimiterHint : 0
; COMPUTE_PGM_RSRC2:SCRATCH_EN: 0
; COMPUTE_PGM_RSRC2:USER_SGPR: 6
; COMPUTE_PGM_RSRC2:TRAP_HANDLER: 0
; COMPUTE_PGM_RSRC2:TGID_X_EN: 1
; COMPUTE_PGM_RSRC2:TGID_Y_EN: 0
; COMPUTE_PGM_RSRC2:TGID_Z_EN: 0
; COMPUTE_PGM_RSRC2:TIDIG_COMP_CNT: 0
	.section	.text._ZN7rocprim17ROCPRIM_400000_NS6detail17trampoline_kernelINS0_14default_configENS1_38merge_sort_block_merge_config_selectorIiNS0_10empty_typeEEEZZNS1_27merge_sort_block_merge_implIS3_N6thrust23THRUST_200600_302600_NS6detail15normal_iteratorINS9_10device_ptrIiEEEEPS5_jNS1_19radix_merge_compareILb1ELb1EiNS0_19identity_decomposerEEEEE10hipError_tT0_T1_T2_jT3_P12ihipStream_tbPNSt15iterator_traitsISK_E10value_typeEPNSQ_ISL_E10value_typeEPSM_NS1_7vsmem_tEENKUlT_SK_SL_SM_E_clIPiSE_SF_SF_EESJ_SZ_SK_SL_SM_EUlSZ_E_NS1_11comp_targetILNS1_3genE2ELNS1_11target_archE906ELNS1_3gpuE6ELNS1_3repE0EEENS1_48merge_mergepath_partition_config_static_selectorELNS0_4arch9wavefront6targetE0EEEvSL_,"axG",@progbits,_ZN7rocprim17ROCPRIM_400000_NS6detail17trampoline_kernelINS0_14default_configENS1_38merge_sort_block_merge_config_selectorIiNS0_10empty_typeEEEZZNS1_27merge_sort_block_merge_implIS3_N6thrust23THRUST_200600_302600_NS6detail15normal_iteratorINS9_10device_ptrIiEEEEPS5_jNS1_19radix_merge_compareILb1ELb1EiNS0_19identity_decomposerEEEEE10hipError_tT0_T1_T2_jT3_P12ihipStream_tbPNSt15iterator_traitsISK_E10value_typeEPNSQ_ISL_E10value_typeEPSM_NS1_7vsmem_tEENKUlT_SK_SL_SM_E_clIPiSE_SF_SF_EESJ_SZ_SK_SL_SM_EUlSZ_E_NS1_11comp_targetILNS1_3genE2ELNS1_11target_archE906ELNS1_3gpuE6ELNS1_3repE0EEENS1_48merge_mergepath_partition_config_static_selectorELNS0_4arch9wavefront6targetE0EEEvSL_,comdat
	.protected	_ZN7rocprim17ROCPRIM_400000_NS6detail17trampoline_kernelINS0_14default_configENS1_38merge_sort_block_merge_config_selectorIiNS0_10empty_typeEEEZZNS1_27merge_sort_block_merge_implIS3_N6thrust23THRUST_200600_302600_NS6detail15normal_iteratorINS9_10device_ptrIiEEEEPS5_jNS1_19radix_merge_compareILb1ELb1EiNS0_19identity_decomposerEEEEE10hipError_tT0_T1_T2_jT3_P12ihipStream_tbPNSt15iterator_traitsISK_E10value_typeEPNSQ_ISL_E10value_typeEPSM_NS1_7vsmem_tEENKUlT_SK_SL_SM_E_clIPiSE_SF_SF_EESJ_SZ_SK_SL_SM_EUlSZ_E_NS1_11comp_targetILNS1_3genE2ELNS1_11target_archE906ELNS1_3gpuE6ELNS1_3repE0EEENS1_48merge_mergepath_partition_config_static_selectorELNS0_4arch9wavefront6targetE0EEEvSL_ ; -- Begin function _ZN7rocprim17ROCPRIM_400000_NS6detail17trampoline_kernelINS0_14default_configENS1_38merge_sort_block_merge_config_selectorIiNS0_10empty_typeEEEZZNS1_27merge_sort_block_merge_implIS3_N6thrust23THRUST_200600_302600_NS6detail15normal_iteratorINS9_10device_ptrIiEEEEPS5_jNS1_19radix_merge_compareILb1ELb1EiNS0_19identity_decomposerEEEEE10hipError_tT0_T1_T2_jT3_P12ihipStream_tbPNSt15iterator_traitsISK_E10value_typeEPNSQ_ISL_E10value_typeEPSM_NS1_7vsmem_tEENKUlT_SK_SL_SM_E_clIPiSE_SF_SF_EESJ_SZ_SK_SL_SM_EUlSZ_E_NS1_11comp_targetILNS1_3genE2ELNS1_11target_archE906ELNS1_3gpuE6ELNS1_3repE0EEENS1_48merge_mergepath_partition_config_static_selectorELNS0_4arch9wavefront6targetE0EEEvSL_
	.globl	_ZN7rocprim17ROCPRIM_400000_NS6detail17trampoline_kernelINS0_14default_configENS1_38merge_sort_block_merge_config_selectorIiNS0_10empty_typeEEEZZNS1_27merge_sort_block_merge_implIS3_N6thrust23THRUST_200600_302600_NS6detail15normal_iteratorINS9_10device_ptrIiEEEEPS5_jNS1_19radix_merge_compareILb1ELb1EiNS0_19identity_decomposerEEEEE10hipError_tT0_T1_T2_jT3_P12ihipStream_tbPNSt15iterator_traitsISK_E10value_typeEPNSQ_ISL_E10value_typeEPSM_NS1_7vsmem_tEENKUlT_SK_SL_SM_E_clIPiSE_SF_SF_EESJ_SZ_SK_SL_SM_EUlSZ_E_NS1_11comp_targetILNS1_3genE2ELNS1_11target_archE906ELNS1_3gpuE6ELNS1_3repE0EEENS1_48merge_mergepath_partition_config_static_selectorELNS0_4arch9wavefront6targetE0EEEvSL_
	.p2align	8
	.type	_ZN7rocprim17ROCPRIM_400000_NS6detail17trampoline_kernelINS0_14default_configENS1_38merge_sort_block_merge_config_selectorIiNS0_10empty_typeEEEZZNS1_27merge_sort_block_merge_implIS3_N6thrust23THRUST_200600_302600_NS6detail15normal_iteratorINS9_10device_ptrIiEEEEPS5_jNS1_19radix_merge_compareILb1ELb1EiNS0_19identity_decomposerEEEEE10hipError_tT0_T1_T2_jT3_P12ihipStream_tbPNSt15iterator_traitsISK_E10value_typeEPNSQ_ISL_E10value_typeEPSM_NS1_7vsmem_tEENKUlT_SK_SL_SM_E_clIPiSE_SF_SF_EESJ_SZ_SK_SL_SM_EUlSZ_E_NS1_11comp_targetILNS1_3genE2ELNS1_11target_archE906ELNS1_3gpuE6ELNS1_3repE0EEENS1_48merge_mergepath_partition_config_static_selectorELNS0_4arch9wavefront6targetE0EEEvSL_,@function
_ZN7rocprim17ROCPRIM_400000_NS6detail17trampoline_kernelINS0_14default_configENS1_38merge_sort_block_merge_config_selectorIiNS0_10empty_typeEEEZZNS1_27merge_sort_block_merge_implIS3_N6thrust23THRUST_200600_302600_NS6detail15normal_iteratorINS9_10device_ptrIiEEEEPS5_jNS1_19radix_merge_compareILb1ELb1EiNS0_19identity_decomposerEEEEE10hipError_tT0_T1_T2_jT3_P12ihipStream_tbPNSt15iterator_traitsISK_E10value_typeEPNSQ_ISL_E10value_typeEPSM_NS1_7vsmem_tEENKUlT_SK_SL_SM_E_clIPiSE_SF_SF_EESJ_SZ_SK_SL_SM_EUlSZ_E_NS1_11comp_targetILNS1_3genE2ELNS1_11target_archE906ELNS1_3gpuE6ELNS1_3repE0EEENS1_48merge_mergepath_partition_config_static_selectorELNS0_4arch9wavefront6targetE0EEEvSL_: ; @_ZN7rocprim17ROCPRIM_400000_NS6detail17trampoline_kernelINS0_14default_configENS1_38merge_sort_block_merge_config_selectorIiNS0_10empty_typeEEEZZNS1_27merge_sort_block_merge_implIS3_N6thrust23THRUST_200600_302600_NS6detail15normal_iteratorINS9_10device_ptrIiEEEEPS5_jNS1_19radix_merge_compareILb1ELb1EiNS0_19identity_decomposerEEEEE10hipError_tT0_T1_T2_jT3_P12ihipStream_tbPNSt15iterator_traitsISK_E10value_typeEPNSQ_ISL_E10value_typeEPSM_NS1_7vsmem_tEENKUlT_SK_SL_SM_E_clIPiSE_SF_SF_EESJ_SZ_SK_SL_SM_EUlSZ_E_NS1_11comp_targetILNS1_3genE2ELNS1_11target_archE906ELNS1_3gpuE6ELNS1_3repE0EEENS1_48merge_mergepath_partition_config_static_selectorELNS0_4arch9wavefront6targetE0EEEvSL_
; %bb.0:
	.section	.rodata,"a",@progbits
	.p2align	6, 0x0
	.amdhsa_kernel _ZN7rocprim17ROCPRIM_400000_NS6detail17trampoline_kernelINS0_14default_configENS1_38merge_sort_block_merge_config_selectorIiNS0_10empty_typeEEEZZNS1_27merge_sort_block_merge_implIS3_N6thrust23THRUST_200600_302600_NS6detail15normal_iteratorINS9_10device_ptrIiEEEEPS5_jNS1_19radix_merge_compareILb1ELb1EiNS0_19identity_decomposerEEEEE10hipError_tT0_T1_T2_jT3_P12ihipStream_tbPNSt15iterator_traitsISK_E10value_typeEPNSQ_ISL_E10value_typeEPSM_NS1_7vsmem_tEENKUlT_SK_SL_SM_E_clIPiSE_SF_SF_EESJ_SZ_SK_SL_SM_EUlSZ_E_NS1_11comp_targetILNS1_3genE2ELNS1_11target_archE906ELNS1_3gpuE6ELNS1_3repE0EEENS1_48merge_mergepath_partition_config_static_selectorELNS0_4arch9wavefront6targetE0EEEvSL_
		.amdhsa_group_segment_fixed_size 0
		.amdhsa_private_segment_fixed_size 0
		.amdhsa_kernarg_size 40
		.amdhsa_user_sgpr_count 6
		.amdhsa_user_sgpr_private_segment_buffer 1
		.amdhsa_user_sgpr_dispatch_ptr 0
		.amdhsa_user_sgpr_queue_ptr 0
		.amdhsa_user_sgpr_kernarg_segment_ptr 1
		.amdhsa_user_sgpr_dispatch_id 0
		.amdhsa_user_sgpr_flat_scratch_init 0
		.amdhsa_user_sgpr_private_segment_size 0
		.amdhsa_wavefront_size32 1
		.amdhsa_uses_dynamic_stack 0
		.amdhsa_system_sgpr_private_segment_wavefront_offset 0
		.amdhsa_system_sgpr_workgroup_id_x 1
		.amdhsa_system_sgpr_workgroup_id_y 0
		.amdhsa_system_sgpr_workgroup_id_z 0
		.amdhsa_system_sgpr_workgroup_info 0
		.amdhsa_system_vgpr_workitem_id 0
		.amdhsa_next_free_vgpr 1
		.amdhsa_next_free_sgpr 1
		.amdhsa_reserve_vcc 0
		.amdhsa_reserve_flat_scratch 0
		.amdhsa_float_round_mode_32 0
		.amdhsa_float_round_mode_16_64 0
		.amdhsa_float_denorm_mode_32 3
		.amdhsa_float_denorm_mode_16_64 3
		.amdhsa_dx10_clamp 1
		.amdhsa_ieee_mode 1
		.amdhsa_fp16_overflow 0
		.amdhsa_workgroup_processor_mode 1
		.amdhsa_memory_ordered 1
		.amdhsa_forward_progress 1
		.amdhsa_shared_vgpr_count 0
		.amdhsa_exception_fp_ieee_invalid_op 0
		.amdhsa_exception_fp_denorm_src 0
		.amdhsa_exception_fp_ieee_div_zero 0
		.amdhsa_exception_fp_ieee_overflow 0
		.amdhsa_exception_fp_ieee_underflow 0
		.amdhsa_exception_fp_ieee_inexact 0
		.amdhsa_exception_int_div_zero 0
	.end_amdhsa_kernel
	.section	.text._ZN7rocprim17ROCPRIM_400000_NS6detail17trampoline_kernelINS0_14default_configENS1_38merge_sort_block_merge_config_selectorIiNS0_10empty_typeEEEZZNS1_27merge_sort_block_merge_implIS3_N6thrust23THRUST_200600_302600_NS6detail15normal_iteratorINS9_10device_ptrIiEEEEPS5_jNS1_19radix_merge_compareILb1ELb1EiNS0_19identity_decomposerEEEEE10hipError_tT0_T1_T2_jT3_P12ihipStream_tbPNSt15iterator_traitsISK_E10value_typeEPNSQ_ISL_E10value_typeEPSM_NS1_7vsmem_tEENKUlT_SK_SL_SM_E_clIPiSE_SF_SF_EESJ_SZ_SK_SL_SM_EUlSZ_E_NS1_11comp_targetILNS1_3genE2ELNS1_11target_archE906ELNS1_3gpuE6ELNS1_3repE0EEENS1_48merge_mergepath_partition_config_static_selectorELNS0_4arch9wavefront6targetE0EEEvSL_,"axG",@progbits,_ZN7rocprim17ROCPRIM_400000_NS6detail17trampoline_kernelINS0_14default_configENS1_38merge_sort_block_merge_config_selectorIiNS0_10empty_typeEEEZZNS1_27merge_sort_block_merge_implIS3_N6thrust23THRUST_200600_302600_NS6detail15normal_iteratorINS9_10device_ptrIiEEEEPS5_jNS1_19radix_merge_compareILb1ELb1EiNS0_19identity_decomposerEEEEE10hipError_tT0_T1_T2_jT3_P12ihipStream_tbPNSt15iterator_traitsISK_E10value_typeEPNSQ_ISL_E10value_typeEPSM_NS1_7vsmem_tEENKUlT_SK_SL_SM_E_clIPiSE_SF_SF_EESJ_SZ_SK_SL_SM_EUlSZ_E_NS1_11comp_targetILNS1_3genE2ELNS1_11target_archE906ELNS1_3gpuE6ELNS1_3repE0EEENS1_48merge_mergepath_partition_config_static_selectorELNS0_4arch9wavefront6targetE0EEEvSL_,comdat
.Lfunc_end275:
	.size	_ZN7rocprim17ROCPRIM_400000_NS6detail17trampoline_kernelINS0_14default_configENS1_38merge_sort_block_merge_config_selectorIiNS0_10empty_typeEEEZZNS1_27merge_sort_block_merge_implIS3_N6thrust23THRUST_200600_302600_NS6detail15normal_iteratorINS9_10device_ptrIiEEEEPS5_jNS1_19radix_merge_compareILb1ELb1EiNS0_19identity_decomposerEEEEE10hipError_tT0_T1_T2_jT3_P12ihipStream_tbPNSt15iterator_traitsISK_E10value_typeEPNSQ_ISL_E10value_typeEPSM_NS1_7vsmem_tEENKUlT_SK_SL_SM_E_clIPiSE_SF_SF_EESJ_SZ_SK_SL_SM_EUlSZ_E_NS1_11comp_targetILNS1_3genE2ELNS1_11target_archE906ELNS1_3gpuE6ELNS1_3repE0EEENS1_48merge_mergepath_partition_config_static_selectorELNS0_4arch9wavefront6targetE0EEEvSL_, .Lfunc_end275-_ZN7rocprim17ROCPRIM_400000_NS6detail17trampoline_kernelINS0_14default_configENS1_38merge_sort_block_merge_config_selectorIiNS0_10empty_typeEEEZZNS1_27merge_sort_block_merge_implIS3_N6thrust23THRUST_200600_302600_NS6detail15normal_iteratorINS9_10device_ptrIiEEEEPS5_jNS1_19radix_merge_compareILb1ELb1EiNS0_19identity_decomposerEEEEE10hipError_tT0_T1_T2_jT3_P12ihipStream_tbPNSt15iterator_traitsISK_E10value_typeEPNSQ_ISL_E10value_typeEPSM_NS1_7vsmem_tEENKUlT_SK_SL_SM_E_clIPiSE_SF_SF_EESJ_SZ_SK_SL_SM_EUlSZ_E_NS1_11comp_targetILNS1_3genE2ELNS1_11target_archE906ELNS1_3gpuE6ELNS1_3repE0EEENS1_48merge_mergepath_partition_config_static_selectorELNS0_4arch9wavefront6targetE0EEEvSL_
                                        ; -- End function
	.set _ZN7rocprim17ROCPRIM_400000_NS6detail17trampoline_kernelINS0_14default_configENS1_38merge_sort_block_merge_config_selectorIiNS0_10empty_typeEEEZZNS1_27merge_sort_block_merge_implIS3_N6thrust23THRUST_200600_302600_NS6detail15normal_iteratorINS9_10device_ptrIiEEEEPS5_jNS1_19radix_merge_compareILb1ELb1EiNS0_19identity_decomposerEEEEE10hipError_tT0_T1_T2_jT3_P12ihipStream_tbPNSt15iterator_traitsISK_E10value_typeEPNSQ_ISL_E10value_typeEPSM_NS1_7vsmem_tEENKUlT_SK_SL_SM_E_clIPiSE_SF_SF_EESJ_SZ_SK_SL_SM_EUlSZ_E_NS1_11comp_targetILNS1_3genE2ELNS1_11target_archE906ELNS1_3gpuE6ELNS1_3repE0EEENS1_48merge_mergepath_partition_config_static_selectorELNS0_4arch9wavefront6targetE0EEEvSL_.num_vgpr, 0
	.set _ZN7rocprim17ROCPRIM_400000_NS6detail17trampoline_kernelINS0_14default_configENS1_38merge_sort_block_merge_config_selectorIiNS0_10empty_typeEEEZZNS1_27merge_sort_block_merge_implIS3_N6thrust23THRUST_200600_302600_NS6detail15normal_iteratorINS9_10device_ptrIiEEEEPS5_jNS1_19radix_merge_compareILb1ELb1EiNS0_19identity_decomposerEEEEE10hipError_tT0_T1_T2_jT3_P12ihipStream_tbPNSt15iterator_traitsISK_E10value_typeEPNSQ_ISL_E10value_typeEPSM_NS1_7vsmem_tEENKUlT_SK_SL_SM_E_clIPiSE_SF_SF_EESJ_SZ_SK_SL_SM_EUlSZ_E_NS1_11comp_targetILNS1_3genE2ELNS1_11target_archE906ELNS1_3gpuE6ELNS1_3repE0EEENS1_48merge_mergepath_partition_config_static_selectorELNS0_4arch9wavefront6targetE0EEEvSL_.num_agpr, 0
	.set _ZN7rocprim17ROCPRIM_400000_NS6detail17trampoline_kernelINS0_14default_configENS1_38merge_sort_block_merge_config_selectorIiNS0_10empty_typeEEEZZNS1_27merge_sort_block_merge_implIS3_N6thrust23THRUST_200600_302600_NS6detail15normal_iteratorINS9_10device_ptrIiEEEEPS5_jNS1_19radix_merge_compareILb1ELb1EiNS0_19identity_decomposerEEEEE10hipError_tT0_T1_T2_jT3_P12ihipStream_tbPNSt15iterator_traitsISK_E10value_typeEPNSQ_ISL_E10value_typeEPSM_NS1_7vsmem_tEENKUlT_SK_SL_SM_E_clIPiSE_SF_SF_EESJ_SZ_SK_SL_SM_EUlSZ_E_NS1_11comp_targetILNS1_3genE2ELNS1_11target_archE906ELNS1_3gpuE6ELNS1_3repE0EEENS1_48merge_mergepath_partition_config_static_selectorELNS0_4arch9wavefront6targetE0EEEvSL_.numbered_sgpr, 0
	.set _ZN7rocprim17ROCPRIM_400000_NS6detail17trampoline_kernelINS0_14default_configENS1_38merge_sort_block_merge_config_selectorIiNS0_10empty_typeEEEZZNS1_27merge_sort_block_merge_implIS3_N6thrust23THRUST_200600_302600_NS6detail15normal_iteratorINS9_10device_ptrIiEEEEPS5_jNS1_19radix_merge_compareILb1ELb1EiNS0_19identity_decomposerEEEEE10hipError_tT0_T1_T2_jT3_P12ihipStream_tbPNSt15iterator_traitsISK_E10value_typeEPNSQ_ISL_E10value_typeEPSM_NS1_7vsmem_tEENKUlT_SK_SL_SM_E_clIPiSE_SF_SF_EESJ_SZ_SK_SL_SM_EUlSZ_E_NS1_11comp_targetILNS1_3genE2ELNS1_11target_archE906ELNS1_3gpuE6ELNS1_3repE0EEENS1_48merge_mergepath_partition_config_static_selectorELNS0_4arch9wavefront6targetE0EEEvSL_.num_named_barrier, 0
	.set _ZN7rocprim17ROCPRIM_400000_NS6detail17trampoline_kernelINS0_14default_configENS1_38merge_sort_block_merge_config_selectorIiNS0_10empty_typeEEEZZNS1_27merge_sort_block_merge_implIS3_N6thrust23THRUST_200600_302600_NS6detail15normal_iteratorINS9_10device_ptrIiEEEEPS5_jNS1_19radix_merge_compareILb1ELb1EiNS0_19identity_decomposerEEEEE10hipError_tT0_T1_T2_jT3_P12ihipStream_tbPNSt15iterator_traitsISK_E10value_typeEPNSQ_ISL_E10value_typeEPSM_NS1_7vsmem_tEENKUlT_SK_SL_SM_E_clIPiSE_SF_SF_EESJ_SZ_SK_SL_SM_EUlSZ_E_NS1_11comp_targetILNS1_3genE2ELNS1_11target_archE906ELNS1_3gpuE6ELNS1_3repE0EEENS1_48merge_mergepath_partition_config_static_selectorELNS0_4arch9wavefront6targetE0EEEvSL_.private_seg_size, 0
	.set _ZN7rocprim17ROCPRIM_400000_NS6detail17trampoline_kernelINS0_14default_configENS1_38merge_sort_block_merge_config_selectorIiNS0_10empty_typeEEEZZNS1_27merge_sort_block_merge_implIS3_N6thrust23THRUST_200600_302600_NS6detail15normal_iteratorINS9_10device_ptrIiEEEEPS5_jNS1_19radix_merge_compareILb1ELb1EiNS0_19identity_decomposerEEEEE10hipError_tT0_T1_T2_jT3_P12ihipStream_tbPNSt15iterator_traitsISK_E10value_typeEPNSQ_ISL_E10value_typeEPSM_NS1_7vsmem_tEENKUlT_SK_SL_SM_E_clIPiSE_SF_SF_EESJ_SZ_SK_SL_SM_EUlSZ_E_NS1_11comp_targetILNS1_3genE2ELNS1_11target_archE906ELNS1_3gpuE6ELNS1_3repE0EEENS1_48merge_mergepath_partition_config_static_selectorELNS0_4arch9wavefront6targetE0EEEvSL_.uses_vcc, 0
	.set _ZN7rocprim17ROCPRIM_400000_NS6detail17trampoline_kernelINS0_14default_configENS1_38merge_sort_block_merge_config_selectorIiNS0_10empty_typeEEEZZNS1_27merge_sort_block_merge_implIS3_N6thrust23THRUST_200600_302600_NS6detail15normal_iteratorINS9_10device_ptrIiEEEEPS5_jNS1_19radix_merge_compareILb1ELb1EiNS0_19identity_decomposerEEEEE10hipError_tT0_T1_T2_jT3_P12ihipStream_tbPNSt15iterator_traitsISK_E10value_typeEPNSQ_ISL_E10value_typeEPSM_NS1_7vsmem_tEENKUlT_SK_SL_SM_E_clIPiSE_SF_SF_EESJ_SZ_SK_SL_SM_EUlSZ_E_NS1_11comp_targetILNS1_3genE2ELNS1_11target_archE906ELNS1_3gpuE6ELNS1_3repE0EEENS1_48merge_mergepath_partition_config_static_selectorELNS0_4arch9wavefront6targetE0EEEvSL_.uses_flat_scratch, 0
	.set _ZN7rocprim17ROCPRIM_400000_NS6detail17trampoline_kernelINS0_14default_configENS1_38merge_sort_block_merge_config_selectorIiNS0_10empty_typeEEEZZNS1_27merge_sort_block_merge_implIS3_N6thrust23THRUST_200600_302600_NS6detail15normal_iteratorINS9_10device_ptrIiEEEEPS5_jNS1_19radix_merge_compareILb1ELb1EiNS0_19identity_decomposerEEEEE10hipError_tT0_T1_T2_jT3_P12ihipStream_tbPNSt15iterator_traitsISK_E10value_typeEPNSQ_ISL_E10value_typeEPSM_NS1_7vsmem_tEENKUlT_SK_SL_SM_E_clIPiSE_SF_SF_EESJ_SZ_SK_SL_SM_EUlSZ_E_NS1_11comp_targetILNS1_3genE2ELNS1_11target_archE906ELNS1_3gpuE6ELNS1_3repE0EEENS1_48merge_mergepath_partition_config_static_selectorELNS0_4arch9wavefront6targetE0EEEvSL_.has_dyn_sized_stack, 0
	.set _ZN7rocprim17ROCPRIM_400000_NS6detail17trampoline_kernelINS0_14default_configENS1_38merge_sort_block_merge_config_selectorIiNS0_10empty_typeEEEZZNS1_27merge_sort_block_merge_implIS3_N6thrust23THRUST_200600_302600_NS6detail15normal_iteratorINS9_10device_ptrIiEEEEPS5_jNS1_19radix_merge_compareILb1ELb1EiNS0_19identity_decomposerEEEEE10hipError_tT0_T1_T2_jT3_P12ihipStream_tbPNSt15iterator_traitsISK_E10value_typeEPNSQ_ISL_E10value_typeEPSM_NS1_7vsmem_tEENKUlT_SK_SL_SM_E_clIPiSE_SF_SF_EESJ_SZ_SK_SL_SM_EUlSZ_E_NS1_11comp_targetILNS1_3genE2ELNS1_11target_archE906ELNS1_3gpuE6ELNS1_3repE0EEENS1_48merge_mergepath_partition_config_static_selectorELNS0_4arch9wavefront6targetE0EEEvSL_.has_recursion, 0
	.set _ZN7rocprim17ROCPRIM_400000_NS6detail17trampoline_kernelINS0_14default_configENS1_38merge_sort_block_merge_config_selectorIiNS0_10empty_typeEEEZZNS1_27merge_sort_block_merge_implIS3_N6thrust23THRUST_200600_302600_NS6detail15normal_iteratorINS9_10device_ptrIiEEEEPS5_jNS1_19radix_merge_compareILb1ELb1EiNS0_19identity_decomposerEEEEE10hipError_tT0_T1_T2_jT3_P12ihipStream_tbPNSt15iterator_traitsISK_E10value_typeEPNSQ_ISL_E10value_typeEPSM_NS1_7vsmem_tEENKUlT_SK_SL_SM_E_clIPiSE_SF_SF_EESJ_SZ_SK_SL_SM_EUlSZ_E_NS1_11comp_targetILNS1_3genE2ELNS1_11target_archE906ELNS1_3gpuE6ELNS1_3repE0EEENS1_48merge_mergepath_partition_config_static_selectorELNS0_4arch9wavefront6targetE0EEEvSL_.has_indirect_call, 0
	.section	.AMDGPU.csdata,"",@progbits
; Kernel info:
; codeLenInByte = 0
; TotalNumSgprs: 0
; NumVgprs: 0
; ScratchSize: 0
; MemoryBound: 0
; FloatMode: 240
; IeeeMode: 1
; LDSByteSize: 0 bytes/workgroup (compile time only)
; SGPRBlocks: 0
; VGPRBlocks: 0
; NumSGPRsForWavesPerEU: 1
; NumVGPRsForWavesPerEU: 1
; Occupancy: 16
; WaveLimiterHint : 0
; COMPUTE_PGM_RSRC2:SCRATCH_EN: 0
; COMPUTE_PGM_RSRC2:USER_SGPR: 6
; COMPUTE_PGM_RSRC2:TRAP_HANDLER: 0
; COMPUTE_PGM_RSRC2:TGID_X_EN: 1
; COMPUTE_PGM_RSRC2:TGID_Y_EN: 0
; COMPUTE_PGM_RSRC2:TGID_Z_EN: 0
; COMPUTE_PGM_RSRC2:TIDIG_COMP_CNT: 0
	.section	.text._ZN7rocprim17ROCPRIM_400000_NS6detail17trampoline_kernelINS0_14default_configENS1_38merge_sort_block_merge_config_selectorIiNS0_10empty_typeEEEZZNS1_27merge_sort_block_merge_implIS3_N6thrust23THRUST_200600_302600_NS6detail15normal_iteratorINS9_10device_ptrIiEEEEPS5_jNS1_19radix_merge_compareILb1ELb1EiNS0_19identity_decomposerEEEEE10hipError_tT0_T1_T2_jT3_P12ihipStream_tbPNSt15iterator_traitsISK_E10value_typeEPNSQ_ISL_E10value_typeEPSM_NS1_7vsmem_tEENKUlT_SK_SL_SM_E_clIPiSE_SF_SF_EESJ_SZ_SK_SL_SM_EUlSZ_E_NS1_11comp_targetILNS1_3genE9ELNS1_11target_archE1100ELNS1_3gpuE3ELNS1_3repE0EEENS1_48merge_mergepath_partition_config_static_selectorELNS0_4arch9wavefront6targetE0EEEvSL_,"axG",@progbits,_ZN7rocprim17ROCPRIM_400000_NS6detail17trampoline_kernelINS0_14default_configENS1_38merge_sort_block_merge_config_selectorIiNS0_10empty_typeEEEZZNS1_27merge_sort_block_merge_implIS3_N6thrust23THRUST_200600_302600_NS6detail15normal_iteratorINS9_10device_ptrIiEEEEPS5_jNS1_19radix_merge_compareILb1ELb1EiNS0_19identity_decomposerEEEEE10hipError_tT0_T1_T2_jT3_P12ihipStream_tbPNSt15iterator_traitsISK_E10value_typeEPNSQ_ISL_E10value_typeEPSM_NS1_7vsmem_tEENKUlT_SK_SL_SM_E_clIPiSE_SF_SF_EESJ_SZ_SK_SL_SM_EUlSZ_E_NS1_11comp_targetILNS1_3genE9ELNS1_11target_archE1100ELNS1_3gpuE3ELNS1_3repE0EEENS1_48merge_mergepath_partition_config_static_selectorELNS0_4arch9wavefront6targetE0EEEvSL_,comdat
	.protected	_ZN7rocprim17ROCPRIM_400000_NS6detail17trampoline_kernelINS0_14default_configENS1_38merge_sort_block_merge_config_selectorIiNS0_10empty_typeEEEZZNS1_27merge_sort_block_merge_implIS3_N6thrust23THRUST_200600_302600_NS6detail15normal_iteratorINS9_10device_ptrIiEEEEPS5_jNS1_19radix_merge_compareILb1ELb1EiNS0_19identity_decomposerEEEEE10hipError_tT0_T1_T2_jT3_P12ihipStream_tbPNSt15iterator_traitsISK_E10value_typeEPNSQ_ISL_E10value_typeEPSM_NS1_7vsmem_tEENKUlT_SK_SL_SM_E_clIPiSE_SF_SF_EESJ_SZ_SK_SL_SM_EUlSZ_E_NS1_11comp_targetILNS1_3genE9ELNS1_11target_archE1100ELNS1_3gpuE3ELNS1_3repE0EEENS1_48merge_mergepath_partition_config_static_selectorELNS0_4arch9wavefront6targetE0EEEvSL_ ; -- Begin function _ZN7rocprim17ROCPRIM_400000_NS6detail17trampoline_kernelINS0_14default_configENS1_38merge_sort_block_merge_config_selectorIiNS0_10empty_typeEEEZZNS1_27merge_sort_block_merge_implIS3_N6thrust23THRUST_200600_302600_NS6detail15normal_iteratorINS9_10device_ptrIiEEEEPS5_jNS1_19radix_merge_compareILb1ELb1EiNS0_19identity_decomposerEEEEE10hipError_tT0_T1_T2_jT3_P12ihipStream_tbPNSt15iterator_traitsISK_E10value_typeEPNSQ_ISL_E10value_typeEPSM_NS1_7vsmem_tEENKUlT_SK_SL_SM_E_clIPiSE_SF_SF_EESJ_SZ_SK_SL_SM_EUlSZ_E_NS1_11comp_targetILNS1_3genE9ELNS1_11target_archE1100ELNS1_3gpuE3ELNS1_3repE0EEENS1_48merge_mergepath_partition_config_static_selectorELNS0_4arch9wavefront6targetE0EEEvSL_
	.globl	_ZN7rocprim17ROCPRIM_400000_NS6detail17trampoline_kernelINS0_14default_configENS1_38merge_sort_block_merge_config_selectorIiNS0_10empty_typeEEEZZNS1_27merge_sort_block_merge_implIS3_N6thrust23THRUST_200600_302600_NS6detail15normal_iteratorINS9_10device_ptrIiEEEEPS5_jNS1_19radix_merge_compareILb1ELb1EiNS0_19identity_decomposerEEEEE10hipError_tT0_T1_T2_jT3_P12ihipStream_tbPNSt15iterator_traitsISK_E10value_typeEPNSQ_ISL_E10value_typeEPSM_NS1_7vsmem_tEENKUlT_SK_SL_SM_E_clIPiSE_SF_SF_EESJ_SZ_SK_SL_SM_EUlSZ_E_NS1_11comp_targetILNS1_3genE9ELNS1_11target_archE1100ELNS1_3gpuE3ELNS1_3repE0EEENS1_48merge_mergepath_partition_config_static_selectorELNS0_4arch9wavefront6targetE0EEEvSL_
	.p2align	8
	.type	_ZN7rocprim17ROCPRIM_400000_NS6detail17trampoline_kernelINS0_14default_configENS1_38merge_sort_block_merge_config_selectorIiNS0_10empty_typeEEEZZNS1_27merge_sort_block_merge_implIS3_N6thrust23THRUST_200600_302600_NS6detail15normal_iteratorINS9_10device_ptrIiEEEEPS5_jNS1_19radix_merge_compareILb1ELb1EiNS0_19identity_decomposerEEEEE10hipError_tT0_T1_T2_jT3_P12ihipStream_tbPNSt15iterator_traitsISK_E10value_typeEPNSQ_ISL_E10value_typeEPSM_NS1_7vsmem_tEENKUlT_SK_SL_SM_E_clIPiSE_SF_SF_EESJ_SZ_SK_SL_SM_EUlSZ_E_NS1_11comp_targetILNS1_3genE9ELNS1_11target_archE1100ELNS1_3gpuE3ELNS1_3repE0EEENS1_48merge_mergepath_partition_config_static_selectorELNS0_4arch9wavefront6targetE0EEEvSL_,@function
_ZN7rocprim17ROCPRIM_400000_NS6detail17trampoline_kernelINS0_14default_configENS1_38merge_sort_block_merge_config_selectorIiNS0_10empty_typeEEEZZNS1_27merge_sort_block_merge_implIS3_N6thrust23THRUST_200600_302600_NS6detail15normal_iteratorINS9_10device_ptrIiEEEEPS5_jNS1_19radix_merge_compareILb1ELb1EiNS0_19identity_decomposerEEEEE10hipError_tT0_T1_T2_jT3_P12ihipStream_tbPNSt15iterator_traitsISK_E10value_typeEPNSQ_ISL_E10value_typeEPSM_NS1_7vsmem_tEENKUlT_SK_SL_SM_E_clIPiSE_SF_SF_EESJ_SZ_SK_SL_SM_EUlSZ_E_NS1_11comp_targetILNS1_3genE9ELNS1_11target_archE1100ELNS1_3gpuE3ELNS1_3repE0EEENS1_48merge_mergepath_partition_config_static_selectorELNS0_4arch9wavefront6targetE0EEEvSL_: ; @_ZN7rocprim17ROCPRIM_400000_NS6detail17trampoline_kernelINS0_14default_configENS1_38merge_sort_block_merge_config_selectorIiNS0_10empty_typeEEEZZNS1_27merge_sort_block_merge_implIS3_N6thrust23THRUST_200600_302600_NS6detail15normal_iteratorINS9_10device_ptrIiEEEEPS5_jNS1_19radix_merge_compareILb1ELb1EiNS0_19identity_decomposerEEEEE10hipError_tT0_T1_T2_jT3_P12ihipStream_tbPNSt15iterator_traitsISK_E10value_typeEPNSQ_ISL_E10value_typeEPSM_NS1_7vsmem_tEENKUlT_SK_SL_SM_E_clIPiSE_SF_SF_EESJ_SZ_SK_SL_SM_EUlSZ_E_NS1_11comp_targetILNS1_3genE9ELNS1_11target_archE1100ELNS1_3gpuE3ELNS1_3repE0EEENS1_48merge_mergepath_partition_config_static_selectorELNS0_4arch9wavefront6targetE0EEEvSL_
; %bb.0:
	.section	.rodata,"a",@progbits
	.p2align	6, 0x0
	.amdhsa_kernel _ZN7rocprim17ROCPRIM_400000_NS6detail17trampoline_kernelINS0_14default_configENS1_38merge_sort_block_merge_config_selectorIiNS0_10empty_typeEEEZZNS1_27merge_sort_block_merge_implIS3_N6thrust23THRUST_200600_302600_NS6detail15normal_iteratorINS9_10device_ptrIiEEEEPS5_jNS1_19radix_merge_compareILb1ELb1EiNS0_19identity_decomposerEEEEE10hipError_tT0_T1_T2_jT3_P12ihipStream_tbPNSt15iterator_traitsISK_E10value_typeEPNSQ_ISL_E10value_typeEPSM_NS1_7vsmem_tEENKUlT_SK_SL_SM_E_clIPiSE_SF_SF_EESJ_SZ_SK_SL_SM_EUlSZ_E_NS1_11comp_targetILNS1_3genE9ELNS1_11target_archE1100ELNS1_3gpuE3ELNS1_3repE0EEENS1_48merge_mergepath_partition_config_static_selectorELNS0_4arch9wavefront6targetE0EEEvSL_
		.amdhsa_group_segment_fixed_size 0
		.amdhsa_private_segment_fixed_size 0
		.amdhsa_kernarg_size 40
		.amdhsa_user_sgpr_count 6
		.amdhsa_user_sgpr_private_segment_buffer 1
		.amdhsa_user_sgpr_dispatch_ptr 0
		.amdhsa_user_sgpr_queue_ptr 0
		.amdhsa_user_sgpr_kernarg_segment_ptr 1
		.amdhsa_user_sgpr_dispatch_id 0
		.amdhsa_user_sgpr_flat_scratch_init 0
		.amdhsa_user_sgpr_private_segment_size 0
		.amdhsa_wavefront_size32 1
		.amdhsa_uses_dynamic_stack 0
		.amdhsa_system_sgpr_private_segment_wavefront_offset 0
		.amdhsa_system_sgpr_workgroup_id_x 1
		.amdhsa_system_sgpr_workgroup_id_y 0
		.amdhsa_system_sgpr_workgroup_id_z 0
		.amdhsa_system_sgpr_workgroup_info 0
		.amdhsa_system_vgpr_workitem_id 0
		.amdhsa_next_free_vgpr 1
		.amdhsa_next_free_sgpr 1
		.amdhsa_reserve_vcc 0
		.amdhsa_reserve_flat_scratch 0
		.amdhsa_float_round_mode_32 0
		.amdhsa_float_round_mode_16_64 0
		.amdhsa_float_denorm_mode_32 3
		.amdhsa_float_denorm_mode_16_64 3
		.amdhsa_dx10_clamp 1
		.amdhsa_ieee_mode 1
		.amdhsa_fp16_overflow 0
		.amdhsa_workgroup_processor_mode 1
		.amdhsa_memory_ordered 1
		.amdhsa_forward_progress 1
		.amdhsa_shared_vgpr_count 0
		.amdhsa_exception_fp_ieee_invalid_op 0
		.amdhsa_exception_fp_denorm_src 0
		.amdhsa_exception_fp_ieee_div_zero 0
		.amdhsa_exception_fp_ieee_overflow 0
		.amdhsa_exception_fp_ieee_underflow 0
		.amdhsa_exception_fp_ieee_inexact 0
		.amdhsa_exception_int_div_zero 0
	.end_amdhsa_kernel
	.section	.text._ZN7rocprim17ROCPRIM_400000_NS6detail17trampoline_kernelINS0_14default_configENS1_38merge_sort_block_merge_config_selectorIiNS0_10empty_typeEEEZZNS1_27merge_sort_block_merge_implIS3_N6thrust23THRUST_200600_302600_NS6detail15normal_iteratorINS9_10device_ptrIiEEEEPS5_jNS1_19radix_merge_compareILb1ELb1EiNS0_19identity_decomposerEEEEE10hipError_tT0_T1_T2_jT3_P12ihipStream_tbPNSt15iterator_traitsISK_E10value_typeEPNSQ_ISL_E10value_typeEPSM_NS1_7vsmem_tEENKUlT_SK_SL_SM_E_clIPiSE_SF_SF_EESJ_SZ_SK_SL_SM_EUlSZ_E_NS1_11comp_targetILNS1_3genE9ELNS1_11target_archE1100ELNS1_3gpuE3ELNS1_3repE0EEENS1_48merge_mergepath_partition_config_static_selectorELNS0_4arch9wavefront6targetE0EEEvSL_,"axG",@progbits,_ZN7rocprim17ROCPRIM_400000_NS6detail17trampoline_kernelINS0_14default_configENS1_38merge_sort_block_merge_config_selectorIiNS0_10empty_typeEEEZZNS1_27merge_sort_block_merge_implIS3_N6thrust23THRUST_200600_302600_NS6detail15normal_iteratorINS9_10device_ptrIiEEEEPS5_jNS1_19radix_merge_compareILb1ELb1EiNS0_19identity_decomposerEEEEE10hipError_tT0_T1_T2_jT3_P12ihipStream_tbPNSt15iterator_traitsISK_E10value_typeEPNSQ_ISL_E10value_typeEPSM_NS1_7vsmem_tEENKUlT_SK_SL_SM_E_clIPiSE_SF_SF_EESJ_SZ_SK_SL_SM_EUlSZ_E_NS1_11comp_targetILNS1_3genE9ELNS1_11target_archE1100ELNS1_3gpuE3ELNS1_3repE0EEENS1_48merge_mergepath_partition_config_static_selectorELNS0_4arch9wavefront6targetE0EEEvSL_,comdat
.Lfunc_end276:
	.size	_ZN7rocprim17ROCPRIM_400000_NS6detail17trampoline_kernelINS0_14default_configENS1_38merge_sort_block_merge_config_selectorIiNS0_10empty_typeEEEZZNS1_27merge_sort_block_merge_implIS3_N6thrust23THRUST_200600_302600_NS6detail15normal_iteratorINS9_10device_ptrIiEEEEPS5_jNS1_19radix_merge_compareILb1ELb1EiNS0_19identity_decomposerEEEEE10hipError_tT0_T1_T2_jT3_P12ihipStream_tbPNSt15iterator_traitsISK_E10value_typeEPNSQ_ISL_E10value_typeEPSM_NS1_7vsmem_tEENKUlT_SK_SL_SM_E_clIPiSE_SF_SF_EESJ_SZ_SK_SL_SM_EUlSZ_E_NS1_11comp_targetILNS1_3genE9ELNS1_11target_archE1100ELNS1_3gpuE3ELNS1_3repE0EEENS1_48merge_mergepath_partition_config_static_selectorELNS0_4arch9wavefront6targetE0EEEvSL_, .Lfunc_end276-_ZN7rocprim17ROCPRIM_400000_NS6detail17trampoline_kernelINS0_14default_configENS1_38merge_sort_block_merge_config_selectorIiNS0_10empty_typeEEEZZNS1_27merge_sort_block_merge_implIS3_N6thrust23THRUST_200600_302600_NS6detail15normal_iteratorINS9_10device_ptrIiEEEEPS5_jNS1_19radix_merge_compareILb1ELb1EiNS0_19identity_decomposerEEEEE10hipError_tT0_T1_T2_jT3_P12ihipStream_tbPNSt15iterator_traitsISK_E10value_typeEPNSQ_ISL_E10value_typeEPSM_NS1_7vsmem_tEENKUlT_SK_SL_SM_E_clIPiSE_SF_SF_EESJ_SZ_SK_SL_SM_EUlSZ_E_NS1_11comp_targetILNS1_3genE9ELNS1_11target_archE1100ELNS1_3gpuE3ELNS1_3repE0EEENS1_48merge_mergepath_partition_config_static_selectorELNS0_4arch9wavefront6targetE0EEEvSL_
                                        ; -- End function
	.set _ZN7rocprim17ROCPRIM_400000_NS6detail17trampoline_kernelINS0_14default_configENS1_38merge_sort_block_merge_config_selectorIiNS0_10empty_typeEEEZZNS1_27merge_sort_block_merge_implIS3_N6thrust23THRUST_200600_302600_NS6detail15normal_iteratorINS9_10device_ptrIiEEEEPS5_jNS1_19radix_merge_compareILb1ELb1EiNS0_19identity_decomposerEEEEE10hipError_tT0_T1_T2_jT3_P12ihipStream_tbPNSt15iterator_traitsISK_E10value_typeEPNSQ_ISL_E10value_typeEPSM_NS1_7vsmem_tEENKUlT_SK_SL_SM_E_clIPiSE_SF_SF_EESJ_SZ_SK_SL_SM_EUlSZ_E_NS1_11comp_targetILNS1_3genE9ELNS1_11target_archE1100ELNS1_3gpuE3ELNS1_3repE0EEENS1_48merge_mergepath_partition_config_static_selectorELNS0_4arch9wavefront6targetE0EEEvSL_.num_vgpr, 0
	.set _ZN7rocprim17ROCPRIM_400000_NS6detail17trampoline_kernelINS0_14default_configENS1_38merge_sort_block_merge_config_selectorIiNS0_10empty_typeEEEZZNS1_27merge_sort_block_merge_implIS3_N6thrust23THRUST_200600_302600_NS6detail15normal_iteratorINS9_10device_ptrIiEEEEPS5_jNS1_19radix_merge_compareILb1ELb1EiNS0_19identity_decomposerEEEEE10hipError_tT0_T1_T2_jT3_P12ihipStream_tbPNSt15iterator_traitsISK_E10value_typeEPNSQ_ISL_E10value_typeEPSM_NS1_7vsmem_tEENKUlT_SK_SL_SM_E_clIPiSE_SF_SF_EESJ_SZ_SK_SL_SM_EUlSZ_E_NS1_11comp_targetILNS1_3genE9ELNS1_11target_archE1100ELNS1_3gpuE3ELNS1_3repE0EEENS1_48merge_mergepath_partition_config_static_selectorELNS0_4arch9wavefront6targetE0EEEvSL_.num_agpr, 0
	.set _ZN7rocprim17ROCPRIM_400000_NS6detail17trampoline_kernelINS0_14default_configENS1_38merge_sort_block_merge_config_selectorIiNS0_10empty_typeEEEZZNS1_27merge_sort_block_merge_implIS3_N6thrust23THRUST_200600_302600_NS6detail15normal_iteratorINS9_10device_ptrIiEEEEPS5_jNS1_19radix_merge_compareILb1ELb1EiNS0_19identity_decomposerEEEEE10hipError_tT0_T1_T2_jT3_P12ihipStream_tbPNSt15iterator_traitsISK_E10value_typeEPNSQ_ISL_E10value_typeEPSM_NS1_7vsmem_tEENKUlT_SK_SL_SM_E_clIPiSE_SF_SF_EESJ_SZ_SK_SL_SM_EUlSZ_E_NS1_11comp_targetILNS1_3genE9ELNS1_11target_archE1100ELNS1_3gpuE3ELNS1_3repE0EEENS1_48merge_mergepath_partition_config_static_selectorELNS0_4arch9wavefront6targetE0EEEvSL_.numbered_sgpr, 0
	.set _ZN7rocprim17ROCPRIM_400000_NS6detail17trampoline_kernelINS0_14default_configENS1_38merge_sort_block_merge_config_selectorIiNS0_10empty_typeEEEZZNS1_27merge_sort_block_merge_implIS3_N6thrust23THRUST_200600_302600_NS6detail15normal_iteratorINS9_10device_ptrIiEEEEPS5_jNS1_19radix_merge_compareILb1ELb1EiNS0_19identity_decomposerEEEEE10hipError_tT0_T1_T2_jT3_P12ihipStream_tbPNSt15iterator_traitsISK_E10value_typeEPNSQ_ISL_E10value_typeEPSM_NS1_7vsmem_tEENKUlT_SK_SL_SM_E_clIPiSE_SF_SF_EESJ_SZ_SK_SL_SM_EUlSZ_E_NS1_11comp_targetILNS1_3genE9ELNS1_11target_archE1100ELNS1_3gpuE3ELNS1_3repE0EEENS1_48merge_mergepath_partition_config_static_selectorELNS0_4arch9wavefront6targetE0EEEvSL_.num_named_barrier, 0
	.set _ZN7rocprim17ROCPRIM_400000_NS6detail17trampoline_kernelINS0_14default_configENS1_38merge_sort_block_merge_config_selectorIiNS0_10empty_typeEEEZZNS1_27merge_sort_block_merge_implIS3_N6thrust23THRUST_200600_302600_NS6detail15normal_iteratorINS9_10device_ptrIiEEEEPS5_jNS1_19radix_merge_compareILb1ELb1EiNS0_19identity_decomposerEEEEE10hipError_tT0_T1_T2_jT3_P12ihipStream_tbPNSt15iterator_traitsISK_E10value_typeEPNSQ_ISL_E10value_typeEPSM_NS1_7vsmem_tEENKUlT_SK_SL_SM_E_clIPiSE_SF_SF_EESJ_SZ_SK_SL_SM_EUlSZ_E_NS1_11comp_targetILNS1_3genE9ELNS1_11target_archE1100ELNS1_3gpuE3ELNS1_3repE0EEENS1_48merge_mergepath_partition_config_static_selectorELNS0_4arch9wavefront6targetE0EEEvSL_.private_seg_size, 0
	.set _ZN7rocprim17ROCPRIM_400000_NS6detail17trampoline_kernelINS0_14default_configENS1_38merge_sort_block_merge_config_selectorIiNS0_10empty_typeEEEZZNS1_27merge_sort_block_merge_implIS3_N6thrust23THRUST_200600_302600_NS6detail15normal_iteratorINS9_10device_ptrIiEEEEPS5_jNS1_19radix_merge_compareILb1ELb1EiNS0_19identity_decomposerEEEEE10hipError_tT0_T1_T2_jT3_P12ihipStream_tbPNSt15iterator_traitsISK_E10value_typeEPNSQ_ISL_E10value_typeEPSM_NS1_7vsmem_tEENKUlT_SK_SL_SM_E_clIPiSE_SF_SF_EESJ_SZ_SK_SL_SM_EUlSZ_E_NS1_11comp_targetILNS1_3genE9ELNS1_11target_archE1100ELNS1_3gpuE3ELNS1_3repE0EEENS1_48merge_mergepath_partition_config_static_selectorELNS0_4arch9wavefront6targetE0EEEvSL_.uses_vcc, 0
	.set _ZN7rocprim17ROCPRIM_400000_NS6detail17trampoline_kernelINS0_14default_configENS1_38merge_sort_block_merge_config_selectorIiNS0_10empty_typeEEEZZNS1_27merge_sort_block_merge_implIS3_N6thrust23THRUST_200600_302600_NS6detail15normal_iteratorINS9_10device_ptrIiEEEEPS5_jNS1_19radix_merge_compareILb1ELb1EiNS0_19identity_decomposerEEEEE10hipError_tT0_T1_T2_jT3_P12ihipStream_tbPNSt15iterator_traitsISK_E10value_typeEPNSQ_ISL_E10value_typeEPSM_NS1_7vsmem_tEENKUlT_SK_SL_SM_E_clIPiSE_SF_SF_EESJ_SZ_SK_SL_SM_EUlSZ_E_NS1_11comp_targetILNS1_3genE9ELNS1_11target_archE1100ELNS1_3gpuE3ELNS1_3repE0EEENS1_48merge_mergepath_partition_config_static_selectorELNS0_4arch9wavefront6targetE0EEEvSL_.uses_flat_scratch, 0
	.set _ZN7rocprim17ROCPRIM_400000_NS6detail17trampoline_kernelINS0_14default_configENS1_38merge_sort_block_merge_config_selectorIiNS0_10empty_typeEEEZZNS1_27merge_sort_block_merge_implIS3_N6thrust23THRUST_200600_302600_NS6detail15normal_iteratorINS9_10device_ptrIiEEEEPS5_jNS1_19radix_merge_compareILb1ELb1EiNS0_19identity_decomposerEEEEE10hipError_tT0_T1_T2_jT3_P12ihipStream_tbPNSt15iterator_traitsISK_E10value_typeEPNSQ_ISL_E10value_typeEPSM_NS1_7vsmem_tEENKUlT_SK_SL_SM_E_clIPiSE_SF_SF_EESJ_SZ_SK_SL_SM_EUlSZ_E_NS1_11comp_targetILNS1_3genE9ELNS1_11target_archE1100ELNS1_3gpuE3ELNS1_3repE0EEENS1_48merge_mergepath_partition_config_static_selectorELNS0_4arch9wavefront6targetE0EEEvSL_.has_dyn_sized_stack, 0
	.set _ZN7rocprim17ROCPRIM_400000_NS6detail17trampoline_kernelINS0_14default_configENS1_38merge_sort_block_merge_config_selectorIiNS0_10empty_typeEEEZZNS1_27merge_sort_block_merge_implIS3_N6thrust23THRUST_200600_302600_NS6detail15normal_iteratorINS9_10device_ptrIiEEEEPS5_jNS1_19radix_merge_compareILb1ELb1EiNS0_19identity_decomposerEEEEE10hipError_tT0_T1_T2_jT3_P12ihipStream_tbPNSt15iterator_traitsISK_E10value_typeEPNSQ_ISL_E10value_typeEPSM_NS1_7vsmem_tEENKUlT_SK_SL_SM_E_clIPiSE_SF_SF_EESJ_SZ_SK_SL_SM_EUlSZ_E_NS1_11comp_targetILNS1_3genE9ELNS1_11target_archE1100ELNS1_3gpuE3ELNS1_3repE0EEENS1_48merge_mergepath_partition_config_static_selectorELNS0_4arch9wavefront6targetE0EEEvSL_.has_recursion, 0
	.set _ZN7rocprim17ROCPRIM_400000_NS6detail17trampoline_kernelINS0_14default_configENS1_38merge_sort_block_merge_config_selectorIiNS0_10empty_typeEEEZZNS1_27merge_sort_block_merge_implIS3_N6thrust23THRUST_200600_302600_NS6detail15normal_iteratorINS9_10device_ptrIiEEEEPS5_jNS1_19radix_merge_compareILb1ELb1EiNS0_19identity_decomposerEEEEE10hipError_tT0_T1_T2_jT3_P12ihipStream_tbPNSt15iterator_traitsISK_E10value_typeEPNSQ_ISL_E10value_typeEPSM_NS1_7vsmem_tEENKUlT_SK_SL_SM_E_clIPiSE_SF_SF_EESJ_SZ_SK_SL_SM_EUlSZ_E_NS1_11comp_targetILNS1_3genE9ELNS1_11target_archE1100ELNS1_3gpuE3ELNS1_3repE0EEENS1_48merge_mergepath_partition_config_static_selectorELNS0_4arch9wavefront6targetE0EEEvSL_.has_indirect_call, 0
	.section	.AMDGPU.csdata,"",@progbits
; Kernel info:
; codeLenInByte = 0
; TotalNumSgprs: 0
; NumVgprs: 0
; ScratchSize: 0
; MemoryBound: 0
; FloatMode: 240
; IeeeMode: 1
; LDSByteSize: 0 bytes/workgroup (compile time only)
; SGPRBlocks: 0
; VGPRBlocks: 0
; NumSGPRsForWavesPerEU: 1
; NumVGPRsForWavesPerEU: 1
; Occupancy: 16
; WaveLimiterHint : 0
; COMPUTE_PGM_RSRC2:SCRATCH_EN: 0
; COMPUTE_PGM_RSRC2:USER_SGPR: 6
; COMPUTE_PGM_RSRC2:TRAP_HANDLER: 0
; COMPUTE_PGM_RSRC2:TGID_X_EN: 1
; COMPUTE_PGM_RSRC2:TGID_Y_EN: 0
; COMPUTE_PGM_RSRC2:TGID_Z_EN: 0
; COMPUTE_PGM_RSRC2:TIDIG_COMP_CNT: 0
	.section	.text._ZN7rocprim17ROCPRIM_400000_NS6detail17trampoline_kernelINS0_14default_configENS1_38merge_sort_block_merge_config_selectorIiNS0_10empty_typeEEEZZNS1_27merge_sort_block_merge_implIS3_N6thrust23THRUST_200600_302600_NS6detail15normal_iteratorINS9_10device_ptrIiEEEEPS5_jNS1_19radix_merge_compareILb1ELb1EiNS0_19identity_decomposerEEEEE10hipError_tT0_T1_T2_jT3_P12ihipStream_tbPNSt15iterator_traitsISK_E10value_typeEPNSQ_ISL_E10value_typeEPSM_NS1_7vsmem_tEENKUlT_SK_SL_SM_E_clIPiSE_SF_SF_EESJ_SZ_SK_SL_SM_EUlSZ_E_NS1_11comp_targetILNS1_3genE8ELNS1_11target_archE1030ELNS1_3gpuE2ELNS1_3repE0EEENS1_48merge_mergepath_partition_config_static_selectorELNS0_4arch9wavefront6targetE0EEEvSL_,"axG",@progbits,_ZN7rocprim17ROCPRIM_400000_NS6detail17trampoline_kernelINS0_14default_configENS1_38merge_sort_block_merge_config_selectorIiNS0_10empty_typeEEEZZNS1_27merge_sort_block_merge_implIS3_N6thrust23THRUST_200600_302600_NS6detail15normal_iteratorINS9_10device_ptrIiEEEEPS5_jNS1_19radix_merge_compareILb1ELb1EiNS0_19identity_decomposerEEEEE10hipError_tT0_T1_T2_jT3_P12ihipStream_tbPNSt15iterator_traitsISK_E10value_typeEPNSQ_ISL_E10value_typeEPSM_NS1_7vsmem_tEENKUlT_SK_SL_SM_E_clIPiSE_SF_SF_EESJ_SZ_SK_SL_SM_EUlSZ_E_NS1_11comp_targetILNS1_3genE8ELNS1_11target_archE1030ELNS1_3gpuE2ELNS1_3repE0EEENS1_48merge_mergepath_partition_config_static_selectorELNS0_4arch9wavefront6targetE0EEEvSL_,comdat
	.protected	_ZN7rocprim17ROCPRIM_400000_NS6detail17trampoline_kernelINS0_14default_configENS1_38merge_sort_block_merge_config_selectorIiNS0_10empty_typeEEEZZNS1_27merge_sort_block_merge_implIS3_N6thrust23THRUST_200600_302600_NS6detail15normal_iteratorINS9_10device_ptrIiEEEEPS5_jNS1_19radix_merge_compareILb1ELb1EiNS0_19identity_decomposerEEEEE10hipError_tT0_T1_T2_jT3_P12ihipStream_tbPNSt15iterator_traitsISK_E10value_typeEPNSQ_ISL_E10value_typeEPSM_NS1_7vsmem_tEENKUlT_SK_SL_SM_E_clIPiSE_SF_SF_EESJ_SZ_SK_SL_SM_EUlSZ_E_NS1_11comp_targetILNS1_3genE8ELNS1_11target_archE1030ELNS1_3gpuE2ELNS1_3repE0EEENS1_48merge_mergepath_partition_config_static_selectorELNS0_4arch9wavefront6targetE0EEEvSL_ ; -- Begin function _ZN7rocprim17ROCPRIM_400000_NS6detail17trampoline_kernelINS0_14default_configENS1_38merge_sort_block_merge_config_selectorIiNS0_10empty_typeEEEZZNS1_27merge_sort_block_merge_implIS3_N6thrust23THRUST_200600_302600_NS6detail15normal_iteratorINS9_10device_ptrIiEEEEPS5_jNS1_19radix_merge_compareILb1ELb1EiNS0_19identity_decomposerEEEEE10hipError_tT0_T1_T2_jT3_P12ihipStream_tbPNSt15iterator_traitsISK_E10value_typeEPNSQ_ISL_E10value_typeEPSM_NS1_7vsmem_tEENKUlT_SK_SL_SM_E_clIPiSE_SF_SF_EESJ_SZ_SK_SL_SM_EUlSZ_E_NS1_11comp_targetILNS1_3genE8ELNS1_11target_archE1030ELNS1_3gpuE2ELNS1_3repE0EEENS1_48merge_mergepath_partition_config_static_selectorELNS0_4arch9wavefront6targetE0EEEvSL_
	.globl	_ZN7rocprim17ROCPRIM_400000_NS6detail17trampoline_kernelINS0_14default_configENS1_38merge_sort_block_merge_config_selectorIiNS0_10empty_typeEEEZZNS1_27merge_sort_block_merge_implIS3_N6thrust23THRUST_200600_302600_NS6detail15normal_iteratorINS9_10device_ptrIiEEEEPS5_jNS1_19radix_merge_compareILb1ELb1EiNS0_19identity_decomposerEEEEE10hipError_tT0_T1_T2_jT3_P12ihipStream_tbPNSt15iterator_traitsISK_E10value_typeEPNSQ_ISL_E10value_typeEPSM_NS1_7vsmem_tEENKUlT_SK_SL_SM_E_clIPiSE_SF_SF_EESJ_SZ_SK_SL_SM_EUlSZ_E_NS1_11comp_targetILNS1_3genE8ELNS1_11target_archE1030ELNS1_3gpuE2ELNS1_3repE0EEENS1_48merge_mergepath_partition_config_static_selectorELNS0_4arch9wavefront6targetE0EEEvSL_
	.p2align	8
	.type	_ZN7rocprim17ROCPRIM_400000_NS6detail17trampoline_kernelINS0_14default_configENS1_38merge_sort_block_merge_config_selectorIiNS0_10empty_typeEEEZZNS1_27merge_sort_block_merge_implIS3_N6thrust23THRUST_200600_302600_NS6detail15normal_iteratorINS9_10device_ptrIiEEEEPS5_jNS1_19radix_merge_compareILb1ELb1EiNS0_19identity_decomposerEEEEE10hipError_tT0_T1_T2_jT3_P12ihipStream_tbPNSt15iterator_traitsISK_E10value_typeEPNSQ_ISL_E10value_typeEPSM_NS1_7vsmem_tEENKUlT_SK_SL_SM_E_clIPiSE_SF_SF_EESJ_SZ_SK_SL_SM_EUlSZ_E_NS1_11comp_targetILNS1_3genE8ELNS1_11target_archE1030ELNS1_3gpuE2ELNS1_3repE0EEENS1_48merge_mergepath_partition_config_static_selectorELNS0_4arch9wavefront6targetE0EEEvSL_,@function
_ZN7rocprim17ROCPRIM_400000_NS6detail17trampoline_kernelINS0_14default_configENS1_38merge_sort_block_merge_config_selectorIiNS0_10empty_typeEEEZZNS1_27merge_sort_block_merge_implIS3_N6thrust23THRUST_200600_302600_NS6detail15normal_iteratorINS9_10device_ptrIiEEEEPS5_jNS1_19radix_merge_compareILb1ELb1EiNS0_19identity_decomposerEEEEE10hipError_tT0_T1_T2_jT3_P12ihipStream_tbPNSt15iterator_traitsISK_E10value_typeEPNSQ_ISL_E10value_typeEPSM_NS1_7vsmem_tEENKUlT_SK_SL_SM_E_clIPiSE_SF_SF_EESJ_SZ_SK_SL_SM_EUlSZ_E_NS1_11comp_targetILNS1_3genE8ELNS1_11target_archE1030ELNS1_3gpuE2ELNS1_3repE0EEENS1_48merge_mergepath_partition_config_static_selectorELNS0_4arch9wavefront6targetE0EEEvSL_: ; @_ZN7rocprim17ROCPRIM_400000_NS6detail17trampoline_kernelINS0_14default_configENS1_38merge_sort_block_merge_config_selectorIiNS0_10empty_typeEEEZZNS1_27merge_sort_block_merge_implIS3_N6thrust23THRUST_200600_302600_NS6detail15normal_iteratorINS9_10device_ptrIiEEEEPS5_jNS1_19radix_merge_compareILb1ELb1EiNS0_19identity_decomposerEEEEE10hipError_tT0_T1_T2_jT3_P12ihipStream_tbPNSt15iterator_traitsISK_E10value_typeEPNSQ_ISL_E10value_typeEPSM_NS1_7vsmem_tEENKUlT_SK_SL_SM_E_clIPiSE_SF_SF_EESJ_SZ_SK_SL_SM_EUlSZ_E_NS1_11comp_targetILNS1_3genE8ELNS1_11target_archE1030ELNS1_3gpuE2ELNS1_3repE0EEENS1_48merge_mergepath_partition_config_static_selectorELNS0_4arch9wavefront6targetE0EEEvSL_
; %bb.0:
	s_load_dword s0, s[4:5], 0x0
	v_lshl_or_b32 v0, s6, 7, v0
	s_waitcnt lgkmcnt(0)
	v_cmp_gt_u32_e32 vcc_lo, s0, v0
	s_and_saveexec_b32 s0, vcc_lo
	s_cbranch_execz .LBB277_6
; %bb.1:
	s_load_dwordx2 s[0:1], s[4:5], 0x4
	s_waitcnt lgkmcnt(0)
	s_lshr_b32 s2, s0, 9
	s_and_b32 s2, s2, 0x7ffffe
	s_sub_i32 s3, 0, s2
	s_add_i32 s2, s2, -1
	v_and_b32_e32 v1, s3, v0
	v_and_b32_e32 v5, s2, v0
	s_mov_b32 s3, 0
	s_mov_b32 s2, exec_lo
	v_lshlrev_b32_e32 v1, 10, v1
	v_add_nc_u32_e32 v2, s0, v1
	v_min_u32_e32 v4, s1, v2
	v_min_u32_e32 v2, s1, v1
	v_add_nc_u32_e32 v3, s0, v4
	v_min_u32_e32 v1, s1, v3
	s_load_dwordx2 s[0:1], s[4:5], 0x20
	v_lshlrev_b32_e32 v3, 10, v5
	v_sub_nc_u32_e32 v5, v1, v2
	v_sub_nc_u32_e32 v6, v1, v4
	v_min_u32_e32 v1, v5, v3
	v_sub_nc_u32_e32 v3, v4, v2
	v_sub_nc_u32_e64 v6, v1, v6 clamp
	v_min_u32_e32 v7, v1, v3
	v_cmpx_lt_u32_e64 v6, v7
	s_cbranch_execz .LBB277_5
; %bb.2:
	s_load_dwordx2 s[6:7], s[4:5], 0x10
	v_mov_b32_e32 v5, 0
	s_load_dword s4, s[4:5], 0x18
	v_mov_b32_e32 v3, v5
	v_lshlrev_b64 v[10:11], 2, v[4:5]
	v_lshlrev_b64 v[8:9], 2, v[2:3]
	s_waitcnt lgkmcnt(0)
	v_add_co_u32 v3, vcc_lo, s6, v8
	v_add_co_ci_u32_e64 v8, null, s7, v9, vcc_lo
	v_add_co_u32 v9, vcc_lo, s6, v10
	v_add_co_ci_u32_e64 v10, null, s7, v11, vcc_lo
	.p2align	6
.LBB277_3:                              ; =>This Inner Loop Header: Depth=1
	v_add_nc_u32_e32 v4, v7, v6
	v_mov_b32_e32 v12, v5
	v_lshrrev_b32_e32 v4, 1, v4
	v_xad_u32 v11, v4, -1, v1
	v_lshlrev_b64 v[13:14], 2, v[4:5]
	v_lshlrev_b64 v[11:12], 2, v[11:12]
	v_add_co_u32 v13, vcc_lo, v3, v13
	v_add_co_ci_u32_e64 v14, null, v8, v14, vcc_lo
	v_add_co_u32 v11, vcc_lo, v9, v11
	v_add_co_ci_u32_e64 v12, null, v10, v12, vcc_lo
	s_clause 0x1
	global_load_dword v13, v[13:14], off
	global_load_dword v11, v[11:12], off
	s_waitcnt vmcnt(1)
	v_and_b32_e32 v12, s4, v13
	s_waitcnt vmcnt(0)
	v_and_b32_e32 v11, s4, v11
	v_add_nc_u32_e32 v13, 1, v4
	v_cmp_gt_i32_e32 vcc_lo, v11, v12
	v_cndmask_b32_e32 v7, v7, v4, vcc_lo
	v_cndmask_b32_e32 v6, v13, v6, vcc_lo
	v_cmp_ge_u32_e32 vcc_lo, v6, v7
	s_or_b32 s3, vcc_lo, s3
	s_andn2_b32 exec_lo, exec_lo, s3
	s_cbranch_execnz .LBB277_3
; %bb.4:
	s_or_b32 exec_lo, exec_lo, s3
.LBB277_5:
	s_or_b32 exec_lo, exec_lo, s2
	v_mov_b32_e32 v1, 0
	v_add_nc_u32_e32 v2, v6, v2
	v_lshlrev_b64 v[0:1], 2, v[0:1]
	s_waitcnt lgkmcnt(0)
	v_add_co_u32 v0, vcc_lo, s0, v0
	v_add_co_ci_u32_e64 v1, null, s1, v1, vcc_lo
	global_store_dword v[0:1], v2, off
.LBB277_6:
	s_endpgm
	.section	.rodata,"a",@progbits
	.p2align	6, 0x0
	.amdhsa_kernel _ZN7rocprim17ROCPRIM_400000_NS6detail17trampoline_kernelINS0_14default_configENS1_38merge_sort_block_merge_config_selectorIiNS0_10empty_typeEEEZZNS1_27merge_sort_block_merge_implIS3_N6thrust23THRUST_200600_302600_NS6detail15normal_iteratorINS9_10device_ptrIiEEEEPS5_jNS1_19radix_merge_compareILb1ELb1EiNS0_19identity_decomposerEEEEE10hipError_tT0_T1_T2_jT3_P12ihipStream_tbPNSt15iterator_traitsISK_E10value_typeEPNSQ_ISL_E10value_typeEPSM_NS1_7vsmem_tEENKUlT_SK_SL_SM_E_clIPiSE_SF_SF_EESJ_SZ_SK_SL_SM_EUlSZ_E_NS1_11comp_targetILNS1_3genE8ELNS1_11target_archE1030ELNS1_3gpuE2ELNS1_3repE0EEENS1_48merge_mergepath_partition_config_static_selectorELNS0_4arch9wavefront6targetE0EEEvSL_
		.amdhsa_group_segment_fixed_size 0
		.amdhsa_private_segment_fixed_size 0
		.amdhsa_kernarg_size 40
		.amdhsa_user_sgpr_count 6
		.amdhsa_user_sgpr_private_segment_buffer 1
		.amdhsa_user_sgpr_dispatch_ptr 0
		.amdhsa_user_sgpr_queue_ptr 0
		.amdhsa_user_sgpr_kernarg_segment_ptr 1
		.amdhsa_user_sgpr_dispatch_id 0
		.amdhsa_user_sgpr_flat_scratch_init 0
		.amdhsa_user_sgpr_private_segment_size 0
		.amdhsa_wavefront_size32 1
		.amdhsa_uses_dynamic_stack 0
		.amdhsa_system_sgpr_private_segment_wavefront_offset 0
		.amdhsa_system_sgpr_workgroup_id_x 1
		.amdhsa_system_sgpr_workgroup_id_y 0
		.amdhsa_system_sgpr_workgroup_id_z 0
		.amdhsa_system_sgpr_workgroup_info 0
		.amdhsa_system_vgpr_workitem_id 0
		.amdhsa_next_free_vgpr 15
		.amdhsa_next_free_sgpr 8
		.amdhsa_reserve_vcc 1
		.amdhsa_reserve_flat_scratch 0
		.amdhsa_float_round_mode_32 0
		.amdhsa_float_round_mode_16_64 0
		.amdhsa_float_denorm_mode_32 3
		.amdhsa_float_denorm_mode_16_64 3
		.amdhsa_dx10_clamp 1
		.amdhsa_ieee_mode 1
		.amdhsa_fp16_overflow 0
		.amdhsa_workgroup_processor_mode 1
		.amdhsa_memory_ordered 1
		.amdhsa_forward_progress 1
		.amdhsa_shared_vgpr_count 0
		.amdhsa_exception_fp_ieee_invalid_op 0
		.amdhsa_exception_fp_denorm_src 0
		.amdhsa_exception_fp_ieee_div_zero 0
		.amdhsa_exception_fp_ieee_overflow 0
		.amdhsa_exception_fp_ieee_underflow 0
		.amdhsa_exception_fp_ieee_inexact 0
		.amdhsa_exception_int_div_zero 0
	.end_amdhsa_kernel
	.section	.text._ZN7rocprim17ROCPRIM_400000_NS6detail17trampoline_kernelINS0_14default_configENS1_38merge_sort_block_merge_config_selectorIiNS0_10empty_typeEEEZZNS1_27merge_sort_block_merge_implIS3_N6thrust23THRUST_200600_302600_NS6detail15normal_iteratorINS9_10device_ptrIiEEEEPS5_jNS1_19radix_merge_compareILb1ELb1EiNS0_19identity_decomposerEEEEE10hipError_tT0_T1_T2_jT3_P12ihipStream_tbPNSt15iterator_traitsISK_E10value_typeEPNSQ_ISL_E10value_typeEPSM_NS1_7vsmem_tEENKUlT_SK_SL_SM_E_clIPiSE_SF_SF_EESJ_SZ_SK_SL_SM_EUlSZ_E_NS1_11comp_targetILNS1_3genE8ELNS1_11target_archE1030ELNS1_3gpuE2ELNS1_3repE0EEENS1_48merge_mergepath_partition_config_static_selectorELNS0_4arch9wavefront6targetE0EEEvSL_,"axG",@progbits,_ZN7rocprim17ROCPRIM_400000_NS6detail17trampoline_kernelINS0_14default_configENS1_38merge_sort_block_merge_config_selectorIiNS0_10empty_typeEEEZZNS1_27merge_sort_block_merge_implIS3_N6thrust23THRUST_200600_302600_NS6detail15normal_iteratorINS9_10device_ptrIiEEEEPS5_jNS1_19radix_merge_compareILb1ELb1EiNS0_19identity_decomposerEEEEE10hipError_tT0_T1_T2_jT3_P12ihipStream_tbPNSt15iterator_traitsISK_E10value_typeEPNSQ_ISL_E10value_typeEPSM_NS1_7vsmem_tEENKUlT_SK_SL_SM_E_clIPiSE_SF_SF_EESJ_SZ_SK_SL_SM_EUlSZ_E_NS1_11comp_targetILNS1_3genE8ELNS1_11target_archE1030ELNS1_3gpuE2ELNS1_3repE0EEENS1_48merge_mergepath_partition_config_static_selectorELNS0_4arch9wavefront6targetE0EEEvSL_,comdat
.Lfunc_end277:
	.size	_ZN7rocprim17ROCPRIM_400000_NS6detail17trampoline_kernelINS0_14default_configENS1_38merge_sort_block_merge_config_selectorIiNS0_10empty_typeEEEZZNS1_27merge_sort_block_merge_implIS3_N6thrust23THRUST_200600_302600_NS6detail15normal_iteratorINS9_10device_ptrIiEEEEPS5_jNS1_19radix_merge_compareILb1ELb1EiNS0_19identity_decomposerEEEEE10hipError_tT0_T1_T2_jT3_P12ihipStream_tbPNSt15iterator_traitsISK_E10value_typeEPNSQ_ISL_E10value_typeEPSM_NS1_7vsmem_tEENKUlT_SK_SL_SM_E_clIPiSE_SF_SF_EESJ_SZ_SK_SL_SM_EUlSZ_E_NS1_11comp_targetILNS1_3genE8ELNS1_11target_archE1030ELNS1_3gpuE2ELNS1_3repE0EEENS1_48merge_mergepath_partition_config_static_selectorELNS0_4arch9wavefront6targetE0EEEvSL_, .Lfunc_end277-_ZN7rocprim17ROCPRIM_400000_NS6detail17trampoline_kernelINS0_14default_configENS1_38merge_sort_block_merge_config_selectorIiNS0_10empty_typeEEEZZNS1_27merge_sort_block_merge_implIS3_N6thrust23THRUST_200600_302600_NS6detail15normal_iteratorINS9_10device_ptrIiEEEEPS5_jNS1_19radix_merge_compareILb1ELb1EiNS0_19identity_decomposerEEEEE10hipError_tT0_T1_T2_jT3_P12ihipStream_tbPNSt15iterator_traitsISK_E10value_typeEPNSQ_ISL_E10value_typeEPSM_NS1_7vsmem_tEENKUlT_SK_SL_SM_E_clIPiSE_SF_SF_EESJ_SZ_SK_SL_SM_EUlSZ_E_NS1_11comp_targetILNS1_3genE8ELNS1_11target_archE1030ELNS1_3gpuE2ELNS1_3repE0EEENS1_48merge_mergepath_partition_config_static_selectorELNS0_4arch9wavefront6targetE0EEEvSL_
                                        ; -- End function
	.set _ZN7rocprim17ROCPRIM_400000_NS6detail17trampoline_kernelINS0_14default_configENS1_38merge_sort_block_merge_config_selectorIiNS0_10empty_typeEEEZZNS1_27merge_sort_block_merge_implIS3_N6thrust23THRUST_200600_302600_NS6detail15normal_iteratorINS9_10device_ptrIiEEEEPS5_jNS1_19radix_merge_compareILb1ELb1EiNS0_19identity_decomposerEEEEE10hipError_tT0_T1_T2_jT3_P12ihipStream_tbPNSt15iterator_traitsISK_E10value_typeEPNSQ_ISL_E10value_typeEPSM_NS1_7vsmem_tEENKUlT_SK_SL_SM_E_clIPiSE_SF_SF_EESJ_SZ_SK_SL_SM_EUlSZ_E_NS1_11comp_targetILNS1_3genE8ELNS1_11target_archE1030ELNS1_3gpuE2ELNS1_3repE0EEENS1_48merge_mergepath_partition_config_static_selectorELNS0_4arch9wavefront6targetE0EEEvSL_.num_vgpr, 15
	.set _ZN7rocprim17ROCPRIM_400000_NS6detail17trampoline_kernelINS0_14default_configENS1_38merge_sort_block_merge_config_selectorIiNS0_10empty_typeEEEZZNS1_27merge_sort_block_merge_implIS3_N6thrust23THRUST_200600_302600_NS6detail15normal_iteratorINS9_10device_ptrIiEEEEPS5_jNS1_19radix_merge_compareILb1ELb1EiNS0_19identity_decomposerEEEEE10hipError_tT0_T1_T2_jT3_P12ihipStream_tbPNSt15iterator_traitsISK_E10value_typeEPNSQ_ISL_E10value_typeEPSM_NS1_7vsmem_tEENKUlT_SK_SL_SM_E_clIPiSE_SF_SF_EESJ_SZ_SK_SL_SM_EUlSZ_E_NS1_11comp_targetILNS1_3genE8ELNS1_11target_archE1030ELNS1_3gpuE2ELNS1_3repE0EEENS1_48merge_mergepath_partition_config_static_selectorELNS0_4arch9wavefront6targetE0EEEvSL_.num_agpr, 0
	.set _ZN7rocprim17ROCPRIM_400000_NS6detail17trampoline_kernelINS0_14default_configENS1_38merge_sort_block_merge_config_selectorIiNS0_10empty_typeEEEZZNS1_27merge_sort_block_merge_implIS3_N6thrust23THRUST_200600_302600_NS6detail15normal_iteratorINS9_10device_ptrIiEEEEPS5_jNS1_19radix_merge_compareILb1ELb1EiNS0_19identity_decomposerEEEEE10hipError_tT0_T1_T2_jT3_P12ihipStream_tbPNSt15iterator_traitsISK_E10value_typeEPNSQ_ISL_E10value_typeEPSM_NS1_7vsmem_tEENKUlT_SK_SL_SM_E_clIPiSE_SF_SF_EESJ_SZ_SK_SL_SM_EUlSZ_E_NS1_11comp_targetILNS1_3genE8ELNS1_11target_archE1030ELNS1_3gpuE2ELNS1_3repE0EEENS1_48merge_mergepath_partition_config_static_selectorELNS0_4arch9wavefront6targetE0EEEvSL_.numbered_sgpr, 8
	.set _ZN7rocprim17ROCPRIM_400000_NS6detail17trampoline_kernelINS0_14default_configENS1_38merge_sort_block_merge_config_selectorIiNS0_10empty_typeEEEZZNS1_27merge_sort_block_merge_implIS3_N6thrust23THRUST_200600_302600_NS6detail15normal_iteratorINS9_10device_ptrIiEEEEPS5_jNS1_19radix_merge_compareILb1ELb1EiNS0_19identity_decomposerEEEEE10hipError_tT0_T1_T2_jT3_P12ihipStream_tbPNSt15iterator_traitsISK_E10value_typeEPNSQ_ISL_E10value_typeEPSM_NS1_7vsmem_tEENKUlT_SK_SL_SM_E_clIPiSE_SF_SF_EESJ_SZ_SK_SL_SM_EUlSZ_E_NS1_11comp_targetILNS1_3genE8ELNS1_11target_archE1030ELNS1_3gpuE2ELNS1_3repE0EEENS1_48merge_mergepath_partition_config_static_selectorELNS0_4arch9wavefront6targetE0EEEvSL_.num_named_barrier, 0
	.set _ZN7rocprim17ROCPRIM_400000_NS6detail17trampoline_kernelINS0_14default_configENS1_38merge_sort_block_merge_config_selectorIiNS0_10empty_typeEEEZZNS1_27merge_sort_block_merge_implIS3_N6thrust23THRUST_200600_302600_NS6detail15normal_iteratorINS9_10device_ptrIiEEEEPS5_jNS1_19radix_merge_compareILb1ELb1EiNS0_19identity_decomposerEEEEE10hipError_tT0_T1_T2_jT3_P12ihipStream_tbPNSt15iterator_traitsISK_E10value_typeEPNSQ_ISL_E10value_typeEPSM_NS1_7vsmem_tEENKUlT_SK_SL_SM_E_clIPiSE_SF_SF_EESJ_SZ_SK_SL_SM_EUlSZ_E_NS1_11comp_targetILNS1_3genE8ELNS1_11target_archE1030ELNS1_3gpuE2ELNS1_3repE0EEENS1_48merge_mergepath_partition_config_static_selectorELNS0_4arch9wavefront6targetE0EEEvSL_.private_seg_size, 0
	.set _ZN7rocprim17ROCPRIM_400000_NS6detail17trampoline_kernelINS0_14default_configENS1_38merge_sort_block_merge_config_selectorIiNS0_10empty_typeEEEZZNS1_27merge_sort_block_merge_implIS3_N6thrust23THRUST_200600_302600_NS6detail15normal_iteratorINS9_10device_ptrIiEEEEPS5_jNS1_19radix_merge_compareILb1ELb1EiNS0_19identity_decomposerEEEEE10hipError_tT0_T1_T2_jT3_P12ihipStream_tbPNSt15iterator_traitsISK_E10value_typeEPNSQ_ISL_E10value_typeEPSM_NS1_7vsmem_tEENKUlT_SK_SL_SM_E_clIPiSE_SF_SF_EESJ_SZ_SK_SL_SM_EUlSZ_E_NS1_11comp_targetILNS1_3genE8ELNS1_11target_archE1030ELNS1_3gpuE2ELNS1_3repE0EEENS1_48merge_mergepath_partition_config_static_selectorELNS0_4arch9wavefront6targetE0EEEvSL_.uses_vcc, 1
	.set _ZN7rocprim17ROCPRIM_400000_NS6detail17trampoline_kernelINS0_14default_configENS1_38merge_sort_block_merge_config_selectorIiNS0_10empty_typeEEEZZNS1_27merge_sort_block_merge_implIS3_N6thrust23THRUST_200600_302600_NS6detail15normal_iteratorINS9_10device_ptrIiEEEEPS5_jNS1_19radix_merge_compareILb1ELb1EiNS0_19identity_decomposerEEEEE10hipError_tT0_T1_T2_jT3_P12ihipStream_tbPNSt15iterator_traitsISK_E10value_typeEPNSQ_ISL_E10value_typeEPSM_NS1_7vsmem_tEENKUlT_SK_SL_SM_E_clIPiSE_SF_SF_EESJ_SZ_SK_SL_SM_EUlSZ_E_NS1_11comp_targetILNS1_3genE8ELNS1_11target_archE1030ELNS1_3gpuE2ELNS1_3repE0EEENS1_48merge_mergepath_partition_config_static_selectorELNS0_4arch9wavefront6targetE0EEEvSL_.uses_flat_scratch, 0
	.set _ZN7rocprim17ROCPRIM_400000_NS6detail17trampoline_kernelINS0_14default_configENS1_38merge_sort_block_merge_config_selectorIiNS0_10empty_typeEEEZZNS1_27merge_sort_block_merge_implIS3_N6thrust23THRUST_200600_302600_NS6detail15normal_iteratorINS9_10device_ptrIiEEEEPS5_jNS1_19radix_merge_compareILb1ELb1EiNS0_19identity_decomposerEEEEE10hipError_tT0_T1_T2_jT3_P12ihipStream_tbPNSt15iterator_traitsISK_E10value_typeEPNSQ_ISL_E10value_typeEPSM_NS1_7vsmem_tEENKUlT_SK_SL_SM_E_clIPiSE_SF_SF_EESJ_SZ_SK_SL_SM_EUlSZ_E_NS1_11comp_targetILNS1_3genE8ELNS1_11target_archE1030ELNS1_3gpuE2ELNS1_3repE0EEENS1_48merge_mergepath_partition_config_static_selectorELNS0_4arch9wavefront6targetE0EEEvSL_.has_dyn_sized_stack, 0
	.set _ZN7rocprim17ROCPRIM_400000_NS6detail17trampoline_kernelINS0_14default_configENS1_38merge_sort_block_merge_config_selectorIiNS0_10empty_typeEEEZZNS1_27merge_sort_block_merge_implIS3_N6thrust23THRUST_200600_302600_NS6detail15normal_iteratorINS9_10device_ptrIiEEEEPS5_jNS1_19radix_merge_compareILb1ELb1EiNS0_19identity_decomposerEEEEE10hipError_tT0_T1_T2_jT3_P12ihipStream_tbPNSt15iterator_traitsISK_E10value_typeEPNSQ_ISL_E10value_typeEPSM_NS1_7vsmem_tEENKUlT_SK_SL_SM_E_clIPiSE_SF_SF_EESJ_SZ_SK_SL_SM_EUlSZ_E_NS1_11comp_targetILNS1_3genE8ELNS1_11target_archE1030ELNS1_3gpuE2ELNS1_3repE0EEENS1_48merge_mergepath_partition_config_static_selectorELNS0_4arch9wavefront6targetE0EEEvSL_.has_recursion, 0
	.set _ZN7rocprim17ROCPRIM_400000_NS6detail17trampoline_kernelINS0_14default_configENS1_38merge_sort_block_merge_config_selectorIiNS0_10empty_typeEEEZZNS1_27merge_sort_block_merge_implIS3_N6thrust23THRUST_200600_302600_NS6detail15normal_iteratorINS9_10device_ptrIiEEEEPS5_jNS1_19radix_merge_compareILb1ELb1EiNS0_19identity_decomposerEEEEE10hipError_tT0_T1_T2_jT3_P12ihipStream_tbPNSt15iterator_traitsISK_E10value_typeEPNSQ_ISL_E10value_typeEPSM_NS1_7vsmem_tEENKUlT_SK_SL_SM_E_clIPiSE_SF_SF_EESJ_SZ_SK_SL_SM_EUlSZ_E_NS1_11comp_targetILNS1_3genE8ELNS1_11target_archE1030ELNS1_3gpuE2ELNS1_3repE0EEENS1_48merge_mergepath_partition_config_static_selectorELNS0_4arch9wavefront6targetE0EEEvSL_.has_indirect_call, 0
	.section	.AMDGPU.csdata,"",@progbits
; Kernel info:
; codeLenInByte = 448
; TotalNumSgprs: 10
; NumVgprs: 15
; ScratchSize: 0
; MemoryBound: 0
; FloatMode: 240
; IeeeMode: 1
; LDSByteSize: 0 bytes/workgroup (compile time only)
; SGPRBlocks: 0
; VGPRBlocks: 1
; NumSGPRsForWavesPerEU: 10
; NumVGPRsForWavesPerEU: 15
; Occupancy: 16
; WaveLimiterHint : 0
; COMPUTE_PGM_RSRC2:SCRATCH_EN: 0
; COMPUTE_PGM_RSRC2:USER_SGPR: 6
; COMPUTE_PGM_RSRC2:TRAP_HANDLER: 0
; COMPUTE_PGM_RSRC2:TGID_X_EN: 1
; COMPUTE_PGM_RSRC2:TGID_Y_EN: 0
; COMPUTE_PGM_RSRC2:TGID_Z_EN: 0
; COMPUTE_PGM_RSRC2:TIDIG_COMP_CNT: 0
	.section	.text._ZN7rocprim17ROCPRIM_400000_NS6detail17trampoline_kernelINS0_14default_configENS1_38merge_sort_block_merge_config_selectorIiNS0_10empty_typeEEEZZNS1_27merge_sort_block_merge_implIS3_N6thrust23THRUST_200600_302600_NS6detail15normal_iteratorINS9_10device_ptrIiEEEEPS5_jNS1_19radix_merge_compareILb1ELb1EiNS0_19identity_decomposerEEEEE10hipError_tT0_T1_T2_jT3_P12ihipStream_tbPNSt15iterator_traitsISK_E10value_typeEPNSQ_ISL_E10value_typeEPSM_NS1_7vsmem_tEENKUlT_SK_SL_SM_E_clIPiSE_SF_SF_EESJ_SZ_SK_SL_SM_EUlSZ_E0_NS1_11comp_targetILNS1_3genE0ELNS1_11target_archE4294967295ELNS1_3gpuE0ELNS1_3repE0EEENS1_38merge_mergepath_config_static_selectorELNS0_4arch9wavefront6targetE0EEEvSL_,"axG",@progbits,_ZN7rocprim17ROCPRIM_400000_NS6detail17trampoline_kernelINS0_14default_configENS1_38merge_sort_block_merge_config_selectorIiNS0_10empty_typeEEEZZNS1_27merge_sort_block_merge_implIS3_N6thrust23THRUST_200600_302600_NS6detail15normal_iteratorINS9_10device_ptrIiEEEEPS5_jNS1_19radix_merge_compareILb1ELb1EiNS0_19identity_decomposerEEEEE10hipError_tT0_T1_T2_jT3_P12ihipStream_tbPNSt15iterator_traitsISK_E10value_typeEPNSQ_ISL_E10value_typeEPSM_NS1_7vsmem_tEENKUlT_SK_SL_SM_E_clIPiSE_SF_SF_EESJ_SZ_SK_SL_SM_EUlSZ_E0_NS1_11comp_targetILNS1_3genE0ELNS1_11target_archE4294967295ELNS1_3gpuE0ELNS1_3repE0EEENS1_38merge_mergepath_config_static_selectorELNS0_4arch9wavefront6targetE0EEEvSL_,comdat
	.protected	_ZN7rocprim17ROCPRIM_400000_NS6detail17trampoline_kernelINS0_14default_configENS1_38merge_sort_block_merge_config_selectorIiNS0_10empty_typeEEEZZNS1_27merge_sort_block_merge_implIS3_N6thrust23THRUST_200600_302600_NS6detail15normal_iteratorINS9_10device_ptrIiEEEEPS5_jNS1_19radix_merge_compareILb1ELb1EiNS0_19identity_decomposerEEEEE10hipError_tT0_T1_T2_jT3_P12ihipStream_tbPNSt15iterator_traitsISK_E10value_typeEPNSQ_ISL_E10value_typeEPSM_NS1_7vsmem_tEENKUlT_SK_SL_SM_E_clIPiSE_SF_SF_EESJ_SZ_SK_SL_SM_EUlSZ_E0_NS1_11comp_targetILNS1_3genE0ELNS1_11target_archE4294967295ELNS1_3gpuE0ELNS1_3repE0EEENS1_38merge_mergepath_config_static_selectorELNS0_4arch9wavefront6targetE0EEEvSL_ ; -- Begin function _ZN7rocprim17ROCPRIM_400000_NS6detail17trampoline_kernelINS0_14default_configENS1_38merge_sort_block_merge_config_selectorIiNS0_10empty_typeEEEZZNS1_27merge_sort_block_merge_implIS3_N6thrust23THRUST_200600_302600_NS6detail15normal_iteratorINS9_10device_ptrIiEEEEPS5_jNS1_19radix_merge_compareILb1ELb1EiNS0_19identity_decomposerEEEEE10hipError_tT0_T1_T2_jT3_P12ihipStream_tbPNSt15iterator_traitsISK_E10value_typeEPNSQ_ISL_E10value_typeEPSM_NS1_7vsmem_tEENKUlT_SK_SL_SM_E_clIPiSE_SF_SF_EESJ_SZ_SK_SL_SM_EUlSZ_E0_NS1_11comp_targetILNS1_3genE0ELNS1_11target_archE4294967295ELNS1_3gpuE0ELNS1_3repE0EEENS1_38merge_mergepath_config_static_selectorELNS0_4arch9wavefront6targetE0EEEvSL_
	.globl	_ZN7rocprim17ROCPRIM_400000_NS6detail17trampoline_kernelINS0_14default_configENS1_38merge_sort_block_merge_config_selectorIiNS0_10empty_typeEEEZZNS1_27merge_sort_block_merge_implIS3_N6thrust23THRUST_200600_302600_NS6detail15normal_iteratorINS9_10device_ptrIiEEEEPS5_jNS1_19radix_merge_compareILb1ELb1EiNS0_19identity_decomposerEEEEE10hipError_tT0_T1_T2_jT3_P12ihipStream_tbPNSt15iterator_traitsISK_E10value_typeEPNSQ_ISL_E10value_typeEPSM_NS1_7vsmem_tEENKUlT_SK_SL_SM_E_clIPiSE_SF_SF_EESJ_SZ_SK_SL_SM_EUlSZ_E0_NS1_11comp_targetILNS1_3genE0ELNS1_11target_archE4294967295ELNS1_3gpuE0ELNS1_3repE0EEENS1_38merge_mergepath_config_static_selectorELNS0_4arch9wavefront6targetE0EEEvSL_
	.p2align	8
	.type	_ZN7rocprim17ROCPRIM_400000_NS6detail17trampoline_kernelINS0_14default_configENS1_38merge_sort_block_merge_config_selectorIiNS0_10empty_typeEEEZZNS1_27merge_sort_block_merge_implIS3_N6thrust23THRUST_200600_302600_NS6detail15normal_iteratorINS9_10device_ptrIiEEEEPS5_jNS1_19radix_merge_compareILb1ELb1EiNS0_19identity_decomposerEEEEE10hipError_tT0_T1_T2_jT3_P12ihipStream_tbPNSt15iterator_traitsISK_E10value_typeEPNSQ_ISL_E10value_typeEPSM_NS1_7vsmem_tEENKUlT_SK_SL_SM_E_clIPiSE_SF_SF_EESJ_SZ_SK_SL_SM_EUlSZ_E0_NS1_11comp_targetILNS1_3genE0ELNS1_11target_archE4294967295ELNS1_3gpuE0ELNS1_3repE0EEENS1_38merge_mergepath_config_static_selectorELNS0_4arch9wavefront6targetE0EEEvSL_,@function
_ZN7rocprim17ROCPRIM_400000_NS6detail17trampoline_kernelINS0_14default_configENS1_38merge_sort_block_merge_config_selectorIiNS0_10empty_typeEEEZZNS1_27merge_sort_block_merge_implIS3_N6thrust23THRUST_200600_302600_NS6detail15normal_iteratorINS9_10device_ptrIiEEEEPS5_jNS1_19radix_merge_compareILb1ELb1EiNS0_19identity_decomposerEEEEE10hipError_tT0_T1_T2_jT3_P12ihipStream_tbPNSt15iterator_traitsISK_E10value_typeEPNSQ_ISL_E10value_typeEPSM_NS1_7vsmem_tEENKUlT_SK_SL_SM_E_clIPiSE_SF_SF_EESJ_SZ_SK_SL_SM_EUlSZ_E0_NS1_11comp_targetILNS1_3genE0ELNS1_11target_archE4294967295ELNS1_3gpuE0ELNS1_3repE0EEENS1_38merge_mergepath_config_static_selectorELNS0_4arch9wavefront6targetE0EEEvSL_: ; @_ZN7rocprim17ROCPRIM_400000_NS6detail17trampoline_kernelINS0_14default_configENS1_38merge_sort_block_merge_config_selectorIiNS0_10empty_typeEEEZZNS1_27merge_sort_block_merge_implIS3_N6thrust23THRUST_200600_302600_NS6detail15normal_iteratorINS9_10device_ptrIiEEEEPS5_jNS1_19radix_merge_compareILb1ELb1EiNS0_19identity_decomposerEEEEE10hipError_tT0_T1_T2_jT3_P12ihipStream_tbPNSt15iterator_traitsISK_E10value_typeEPNSQ_ISL_E10value_typeEPSM_NS1_7vsmem_tEENKUlT_SK_SL_SM_E_clIPiSE_SF_SF_EESJ_SZ_SK_SL_SM_EUlSZ_E0_NS1_11comp_targetILNS1_3genE0ELNS1_11target_archE4294967295ELNS1_3gpuE0ELNS1_3repE0EEENS1_38merge_mergepath_config_static_selectorELNS0_4arch9wavefront6targetE0EEEvSL_
; %bb.0:
	.section	.rodata,"a",@progbits
	.p2align	6, 0x0
	.amdhsa_kernel _ZN7rocprim17ROCPRIM_400000_NS6detail17trampoline_kernelINS0_14default_configENS1_38merge_sort_block_merge_config_selectorIiNS0_10empty_typeEEEZZNS1_27merge_sort_block_merge_implIS3_N6thrust23THRUST_200600_302600_NS6detail15normal_iteratorINS9_10device_ptrIiEEEEPS5_jNS1_19radix_merge_compareILb1ELb1EiNS0_19identity_decomposerEEEEE10hipError_tT0_T1_T2_jT3_P12ihipStream_tbPNSt15iterator_traitsISK_E10value_typeEPNSQ_ISL_E10value_typeEPSM_NS1_7vsmem_tEENKUlT_SK_SL_SM_E_clIPiSE_SF_SF_EESJ_SZ_SK_SL_SM_EUlSZ_E0_NS1_11comp_targetILNS1_3genE0ELNS1_11target_archE4294967295ELNS1_3gpuE0ELNS1_3repE0EEENS1_38merge_mergepath_config_static_selectorELNS0_4arch9wavefront6targetE0EEEvSL_
		.amdhsa_group_segment_fixed_size 0
		.amdhsa_private_segment_fixed_size 0
		.amdhsa_kernarg_size 64
		.amdhsa_user_sgpr_count 6
		.amdhsa_user_sgpr_private_segment_buffer 1
		.amdhsa_user_sgpr_dispatch_ptr 0
		.amdhsa_user_sgpr_queue_ptr 0
		.amdhsa_user_sgpr_kernarg_segment_ptr 1
		.amdhsa_user_sgpr_dispatch_id 0
		.amdhsa_user_sgpr_flat_scratch_init 0
		.amdhsa_user_sgpr_private_segment_size 0
		.amdhsa_wavefront_size32 1
		.amdhsa_uses_dynamic_stack 0
		.amdhsa_system_sgpr_private_segment_wavefront_offset 0
		.amdhsa_system_sgpr_workgroup_id_x 1
		.amdhsa_system_sgpr_workgroup_id_y 0
		.amdhsa_system_sgpr_workgroup_id_z 0
		.amdhsa_system_sgpr_workgroup_info 0
		.amdhsa_system_vgpr_workitem_id 0
		.amdhsa_next_free_vgpr 1
		.amdhsa_next_free_sgpr 1
		.amdhsa_reserve_vcc 0
		.amdhsa_reserve_flat_scratch 0
		.amdhsa_float_round_mode_32 0
		.amdhsa_float_round_mode_16_64 0
		.amdhsa_float_denorm_mode_32 3
		.amdhsa_float_denorm_mode_16_64 3
		.amdhsa_dx10_clamp 1
		.amdhsa_ieee_mode 1
		.amdhsa_fp16_overflow 0
		.amdhsa_workgroup_processor_mode 1
		.amdhsa_memory_ordered 1
		.amdhsa_forward_progress 1
		.amdhsa_shared_vgpr_count 0
		.amdhsa_exception_fp_ieee_invalid_op 0
		.amdhsa_exception_fp_denorm_src 0
		.amdhsa_exception_fp_ieee_div_zero 0
		.amdhsa_exception_fp_ieee_overflow 0
		.amdhsa_exception_fp_ieee_underflow 0
		.amdhsa_exception_fp_ieee_inexact 0
		.amdhsa_exception_int_div_zero 0
	.end_amdhsa_kernel
	.section	.text._ZN7rocprim17ROCPRIM_400000_NS6detail17trampoline_kernelINS0_14default_configENS1_38merge_sort_block_merge_config_selectorIiNS0_10empty_typeEEEZZNS1_27merge_sort_block_merge_implIS3_N6thrust23THRUST_200600_302600_NS6detail15normal_iteratorINS9_10device_ptrIiEEEEPS5_jNS1_19radix_merge_compareILb1ELb1EiNS0_19identity_decomposerEEEEE10hipError_tT0_T1_T2_jT3_P12ihipStream_tbPNSt15iterator_traitsISK_E10value_typeEPNSQ_ISL_E10value_typeEPSM_NS1_7vsmem_tEENKUlT_SK_SL_SM_E_clIPiSE_SF_SF_EESJ_SZ_SK_SL_SM_EUlSZ_E0_NS1_11comp_targetILNS1_3genE0ELNS1_11target_archE4294967295ELNS1_3gpuE0ELNS1_3repE0EEENS1_38merge_mergepath_config_static_selectorELNS0_4arch9wavefront6targetE0EEEvSL_,"axG",@progbits,_ZN7rocprim17ROCPRIM_400000_NS6detail17trampoline_kernelINS0_14default_configENS1_38merge_sort_block_merge_config_selectorIiNS0_10empty_typeEEEZZNS1_27merge_sort_block_merge_implIS3_N6thrust23THRUST_200600_302600_NS6detail15normal_iteratorINS9_10device_ptrIiEEEEPS5_jNS1_19radix_merge_compareILb1ELb1EiNS0_19identity_decomposerEEEEE10hipError_tT0_T1_T2_jT3_P12ihipStream_tbPNSt15iterator_traitsISK_E10value_typeEPNSQ_ISL_E10value_typeEPSM_NS1_7vsmem_tEENKUlT_SK_SL_SM_E_clIPiSE_SF_SF_EESJ_SZ_SK_SL_SM_EUlSZ_E0_NS1_11comp_targetILNS1_3genE0ELNS1_11target_archE4294967295ELNS1_3gpuE0ELNS1_3repE0EEENS1_38merge_mergepath_config_static_selectorELNS0_4arch9wavefront6targetE0EEEvSL_,comdat
.Lfunc_end278:
	.size	_ZN7rocprim17ROCPRIM_400000_NS6detail17trampoline_kernelINS0_14default_configENS1_38merge_sort_block_merge_config_selectorIiNS0_10empty_typeEEEZZNS1_27merge_sort_block_merge_implIS3_N6thrust23THRUST_200600_302600_NS6detail15normal_iteratorINS9_10device_ptrIiEEEEPS5_jNS1_19radix_merge_compareILb1ELb1EiNS0_19identity_decomposerEEEEE10hipError_tT0_T1_T2_jT3_P12ihipStream_tbPNSt15iterator_traitsISK_E10value_typeEPNSQ_ISL_E10value_typeEPSM_NS1_7vsmem_tEENKUlT_SK_SL_SM_E_clIPiSE_SF_SF_EESJ_SZ_SK_SL_SM_EUlSZ_E0_NS1_11comp_targetILNS1_3genE0ELNS1_11target_archE4294967295ELNS1_3gpuE0ELNS1_3repE0EEENS1_38merge_mergepath_config_static_selectorELNS0_4arch9wavefront6targetE0EEEvSL_, .Lfunc_end278-_ZN7rocprim17ROCPRIM_400000_NS6detail17trampoline_kernelINS0_14default_configENS1_38merge_sort_block_merge_config_selectorIiNS0_10empty_typeEEEZZNS1_27merge_sort_block_merge_implIS3_N6thrust23THRUST_200600_302600_NS6detail15normal_iteratorINS9_10device_ptrIiEEEEPS5_jNS1_19radix_merge_compareILb1ELb1EiNS0_19identity_decomposerEEEEE10hipError_tT0_T1_T2_jT3_P12ihipStream_tbPNSt15iterator_traitsISK_E10value_typeEPNSQ_ISL_E10value_typeEPSM_NS1_7vsmem_tEENKUlT_SK_SL_SM_E_clIPiSE_SF_SF_EESJ_SZ_SK_SL_SM_EUlSZ_E0_NS1_11comp_targetILNS1_3genE0ELNS1_11target_archE4294967295ELNS1_3gpuE0ELNS1_3repE0EEENS1_38merge_mergepath_config_static_selectorELNS0_4arch9wavefront6targetE0EEEvSL_
                                        ; -- End function
	.set _ZN7rocprim17ROCPRIM_400000_NS6detail17trampoline_kernelINS0_14default_configENS1_38merge_sort_block_merge_config_selectorIiNS0_10empty_typeEEEZZNS1_27merge_sort_block_merge_implIS3_N6thrust23THRUST_200600_302600_NS6detail15normal_iteratorINS9_10device_ptrIiEEEEPS5_jNS1_19radix_merge_compareILb1ELb1EiNS0_19identity_decomposerEEEEE10hipError_tT0_T1_T2_jT3_P12ihipStream_tbPNSt15iterator_traitsISK_E10value_typeEPNSQ_ISL_E10value_typeEPSM_NS1_7vsmem_tEENKUlT_SK_SL_SM_E_clIPiSE_SF_SF_EESJ_SZ_SK_SL_SM_EUlSZ_E0_NS1_11comp_targetILNS1_3genE0ELNS1_11target_archE4294967295ELNS1_3gpuE0ELNS1_3repE0EEENS1_38merge_mergepath_config_static_selectorELNS0_4arch9wavefront6targetE0EEEvSL_.num_vgpr, 0
	.set _ZN7rocprim17ROCPRIM_400000_NS6detail17trampoline_kernelINS0_14default_configENS1_38merge_sort_block_merge_config_selectorIiNS0_10empty_typeEEEZZNS1_27merge_sort_block_merge_implIS3_N6thrust23THRUST_200600_302600_NS6detail15normal_iteratorINS9_10device_ptrIiEEEEPS5_jNS1_19radix_merge_compareILb1ELb1EiNS0_19identity_decomposerEEEEE10hipError_tT0_T1_T2_jT3_P12ihipStream_tbPNSt15iterator_traitsISK_E10value_typeEPNSQ_ISL_E10value_typeEPSM_NS1_7vsmem_tEENKUlT_SK_SL_SM_E_clIPiSE_SF_SF_EESJ_SZ_SK_SL_SM_EUlSZ_E0_NS1_11comp_targetILNS1_3genE0ELNS1_11target_archE4294967295ELNS1_3gpuE0ELNS1_3repE0EEENS1_38merge_mergepath_config_static_selectorELNS0_4arch9wavefront6targetE0EEEvSL_.num_agpr, 0
	.set _ZN7rocprim17ROCPRIM_400000_NS6detail17trampoline_kernelINS0_14default_configENS1_38merge_sort_block_merge_config_selectorIiNS0_10empty_typeEEEZZNS1_27merge_sort_block_merge_implIS3_N6thrust23THRUST_200600_302600_NS6detail15normal_iteratorINS9_10device_ptrIiEEEEPS5_jNS1_19radix_merge_compareILb1ELb1EiNS0_19identity_decomposerEEEEE10hipError_tT0_T1_T2_jT3_P12ihipStream_tbPNSt15iterator_traitsISK_E10value_typeEPNSQ_ISL_E10value_typeEPSM_NS1_7vsmem_tEENKUlT_SK_SL_SM_E_clIPiSE_SF_SF_EESJ_SZ_SK_SL_SM_EUlSZ_E0_NS1_11comp_targetILNS1_3genE0ELNS1_11target_archE4294967295ELNS1_3gpuE0ELNS1_3repE0EEENS1_38merge_mergepath_config_static_selectorELNS0_4arch9wavefront6targetE0EEEvSL_.numbered_sgpr, 0
	.set _ZN7rocprim17ROCPRIM_400000_NS6detail17trampoline_kernelINS0_14default_configENS1_38merge_sort_block_merge_config_selectorIiNS0_10empty_typeEEEZZNS1_27merge_sort_block_merge_implIS3_N6thrust23THRUST_200600_302600_NS6detail15normal_iteratorINS9_10device_ptrIiEEEEPS5_jNS1_19radix_merge_compareILb1ELb1EiNS0_19identity_decomposerEEEEE10hipError_tT0_T1_T2_jT3_P12ihipStream_tbPNSt15iterator_traitsISK_E10value_typeEPNSQ_ISL_E10value_typeEPSM_NS1_7vsmem_tEENKUlT_SK_SL_SM_E_clIPiSE_SF_SF_EESJ_SZ_SK_SL_SM_EUlSZ_E0_NS1_11comp_targetILNS1_3genE0ELNS1_11target_archE4294967295ELNS1_3gpuE0ELNS1_3repE0EEENS1_38merge_mergepath_config_static_selectorELNS0_4arch9wavefront6targetE0EEEvSL_.num_named_barrier, 0
	.set _ZN7rocprim17ROCPRIM_400000_NS6detail17trampoline_kernelINS0_14default_configENS1_38merge_sort_block_merge_config_selectorIiNS0_10empty_typeEEEZZNS1_27merge_sort_block_merge_implIS3_N6thrust23THRUST_200600_302600_NS6detail15normal_iteratorINS9_10device_ptrIiEEEEPS5_jNS1_19radix_merge_compareILb1ELb1EiNS0_19identity_decomposerEEEEE10hipError_tT0_T1_T2_jT3_P12ihipStream_tbPNSt15iterator_traitsISK_E10value_typeEPNSQ_ISL_E10value_typeEPSM_NS1_7vsmem_tEENKUlT_SK_SL_SM_E_clIPiSE_SF_SF_EESJ_SZ_SK_SL_SM_EUlSZ_E0_NS1_11comp_targetILNS1_3genE0ELNS1_11target_archE4294967295ELNS1_3gpuE0ELNS1_3repE0EEENS1_38merge_mergepath_config_static_selectorELNS0_4arch9wavefront6targetE0EEEvSL_.private_seg_size, 0
	.set _ZN7rocprim17ROCPRIM_400000_NS6detail17trampoline_kernelINS0_14default_configENS1_38merge_sort_block_merge_config_selectorIiNS0_10empty_typeEEEZZNS1_27merge_sort_block_merge_implIS3_N6thrust23THRUST_200600_302600_NS6detail15normal_iteratorINS9_10device_ptrIiEEEEPS5_jNS1_19radix_merge_compareILb1ELb1EiNS0_19identity_decomposerEEEEE10hipError_tT0_T1_T2_jT3_P12ihipStream_tbPNSt15iterator_traitsISK_E10value_typeEPNSQ_ISL_E10value_typeEPSM_NS1_7vsmem_tEENKUlT_SK_SL_SM_E_clIPiSE_SF_SF_EESJ_SZ_SK_SL_SM_EUlSZ_E0_NS1_11comp_targetILNS1_3genE0ELNS1_11target_archE4294967295ELNS1_3gpuE0ELNS1_3repE0EEENS1_38merge_mergepath_config_static_selectorELNS0_4arch9wavefront6targetE0EEEvSL_.uses_vcc, 0
	.set _ZN7rocprim17ROCPRIM_400000_NS6detail17trampoline_kernelINS0_14default_configENS1_38merge_sort_block_merge_config_selectorIiNS0_10empty_typeEEEZZNS1_27merge_sort_block_merge_implIS3_N6thrust23THRUST_200600_302600_NS6detail15normal_iteratorINS9_10device_ptrIiEEEEPS5_jNS1_19radix_merge_compareILb1ELb1EiNS0_19identity_decomposerEEEEE10hipError_tT0_T1_T2_jT3_P12ihipStream_tbPNSt15iterator_traitsISK_E10value_typeEPNSQ_ISL_E10value_typeEPSM_NS1_7vsmem_tEENKUlT_SK_SL_SM_E_clIPiSE_SF_SF_EESJ_SZ_SK_SL_SM_EUlSZ_E0_NS1_11comp_targetILNS1_3genE0ELNS1_11target_archE4294967295ELNS1_3gpuE0ELNS1_3repE0EEENS1_38merge_mergepath_config_static_selectorELNS0_4arch9wavefront6targetE0EEEvSL_.uses_flat_scratch, 0
	.set _ZN7rocprim17ROCPRIM_400000_NS6detail17trampoline_kernelINS0_14default_configENS1_38merge_sort_block_merge_config_selectorIiNS0_10empty_typeEEEZZNS1_27merge_sort_block_merge_implIS3_N6thrust23THRUST_200600_302600_NS6detail15normal_iteratorINS9_10device_ptrIiEEEEPS5_jNS1_19radix_merge_compareILb1ELb1EiNS0_19identity_decomposerEEEEE10hipError_tT0_T1_T2_jT3_P12ihipStream_tbPNSt15iterator_traitsISK_E10value_typeEPNSQ_ISL_E10value_typeEPSM_NS1_7vsmem_tEENKUlT_SK_SL_SM_E_clIPiSE_SF_SF_EESJ_SZ_SK_SL_SM_EUlSZ_E0_NS1_11comp_targetILNS1_3genE0ELNS1_11target_archE4294967295ELNS1_3gpuE0ELNS1_3repE0EEENS1_38merge_mergepath_config_static_selectorELNS0_4arch9wavefront6targetE0EEEvSL_.has_dyn_sized_stack, 0
	.set _ZN7rocprim17ROCPRIM_400000_NS6detail17trampoline_kernelINS0_14default_configENS1_38merge_sort_block_merge_config_selectorIiNS0_10empty_typeEEEZZNS1_27merge_sort_block_merge_implIS3_N6thrust23THRUST_200600_302600_NS6detail15normal_iteratorINS9_10device_ptrIiEEEEPS5_jNS1_19radix_merge_compareILb1ELb1EiNS0_19identity_decomposerEEEEE10hipError_tT0_T1_T2_jT3_P12ihipStream_tbPNSt15iterator_traitsISK_E10value_typeEPNSQ_ISL_E10value_typeEPSM_NS1_7vsmem_tEENKUlT_SK_SL_SM_E_clIPiSE_SF_SF_EESJ_SZ_SK_SL_SM_EUlSZ_E0_NS1_11comp_targetILNS1_3genE0ELNS1_11target_archE4294967295ELNS1_3gpuE0ELNS1_3repE0EEENS1_38merge_mergepath_config_static_selectorELNS0_4arch9wavefront6targetE0EEEvSL_.has_recursion, 0
	.set _ZN7rocprim17ROCPRIM_400000_NS6detail17trampoline_kernelINS0_14default_configENS1_38merge_sort_block_merge_config_selectorIiNS0_10empty_typeEEEZZNS1_27merge_sort_block_merge_implIS3_N6thrust23THRUST_200600_302600_NS6detail15normal_iteratorINS9_10device_ptrIiEEEEPS5_jNS1_19radix_merge_compareILb1ELb1EiNS0_19identity_decomposerEEEEE10hipError_tT0_T1_T2_jT3_P12ihipStream_tbPNSt15iterator_traitsISK_E10value_typeEPNSQ_ISL_E10value_typeEPSM_NS1_7vsmem_tEENKUlT_SK_SL_SM_E_clIPiSE_SF_SF_EESJ_SZ_SK_SL_SM_EUlSZ_E0_NS1_11comp_targetILNS1_3genE0ELNS1_11target_archE4294967295ELNS1_3gpuE0ELNS1_3repE0EEENS1_38merge_mergepath_config_static_selectorELNS0_4arch9wavefront6targetE0EEEvSL_.has_indirect_call, 0
	.section	.AMDGPU.csdata,"",@progbits
; Kernel info:
; codeLenInByte = 0
; TotalNumSgprs: 0
; NumVgprs: 0
; ScratchSize: 0
; MemoryBound: 0
; FloatMode: 240
; IeeeMode: 1
; LDSByteSize: 0 bytes/workgroup (compile time only)
; SGPRBlocks: 0
; VGPRBlocks: 0
; NumSGPRsForWavesPerEU: 1
; NumVGPRsForWavesPerEU: 1
; Occupancy: 16
; WaveLimiterHint : 0
; COMPUTE_PGM_RSRC2:SCRATCH_EN: 0
; COMPUTE_PGM_RSRC2:USER_SGPR: 6
; COMPUTE_PGM_RSRC2:TRAP_HANDLER: 0
; COMPUTE_PGM_RSRC2:TGID_X_EN: 1
; COMPUTE_PGM_RSRC2:TGID_Y_EN: 0
; COMPUTE_PGM_RSRC2:TGID_Z_EN: 0
; COMPUTE_PGM_RSRC2:TIDIG_COMP_CNT: 0
	.section	.text._ZN7rocprim17ROCPRIM_400000_NS6detail17trampoline_kernelINS0_14default_configENS1_38merge_sort_block_merge_config_selectorIiNS0_10empty_typeEEEZZNS1_27merge_sort_block_merge_implIS3_N6thrust23THRUST_200600_302600_NS6detail15normal_iteratorINS9_10device_ptrIiEEEEPS5_jNS1_19radix_merge_compareILb1ELb1EiNS0_19identity_decomposerEEEEE10hipError_tT0_T1_T2_jT3_P12ihipStream_tbPNSt15iterator_traitsISK_E10value_typeEPNSQ_ISL_E10value_typeEPSM_NS1_7vsmem_tEENKUlT_SK_SL_SM_E_clIPiSE_SF_SF_EESJ_SZ_SK_SL_SM_EUlSZ_E0_NS1_11comp_targetILNS1_3genE10ELNS1_11target_archE1201ELNS1_3gpuE5ELNS1_3repE0EEENS1_38merge_mergepath_config_static_selectorELNS0_4arch9wavefront6targetE0EEEvSL_,"axG",@progbits,_ZN7rocprim17ROCPRIM_400000_NS6detail17trampoline_kernelINS0_14default_configENS1_38merge_sort_block_merge_config_selectorIiNS0_10empty_typeEEEZZNS1_27merge_sort_block_merge_implIS3_N6thrust23THRUST_200600_302600_NS6detail15normal_iteratorINS9_10device_ptrIiEEEEPS5_jNS1_19radix_merge_compareILb1ELb1EiNS0_19identity_decomposerEEEEE10hipError_tT0_T1_T2_jT3_P12ihipStream_tbPNSt15iterator_traitsISK_E10value_typeEPNSQ_ISL_E10value_typeEPSM_NS1_7vsmem_tEENKUlT_SK_SL_SM_E_clIPiSE_SF_SF_EESJ_SZ_SK_SL_SM_EUlSZ_E0_NS1_11comp_targetILNS1_3genE10ELNS1_11target_archE1201ELNS1_3gpuE5ELNS1_3repE0EEENS1_38merge_mergepath_config_static_selectorELNS0_4arch9wavefront6targetE0EEEvSL_,comdat
	.protected	_ZN7rocprim17ROCPRIM_400000_NS6detail17trampoline_kernelINS0_14default_configENS1_38merge_sort_block_merge_config_selectorIiNS0_10empty_typeEEEZZNS1_27merge_sort_block_merge_implIS3_N6thrust23THRUST_200600_302600_NS6detail15normal_iteratorINS9_10device_ptrIiEEEEPS5_jNS1_19radix_merge_compareILb1ELb1EiNS0_19identity_decomposerEEEEE10hipError_tT0_T1_T2_jT3_P12ihipStream_tbPNSt15iterator_traitsISK_E10value_typeEPNSQ_ISL_E10value_typeEPSM_NS1_7vsmem_tEENKUlT_SK_SL_SM_E_clIPiSE_SF_SF_EESJ_SZ_SK_SL_SM_EUlSZ_E0_NS1_11comp_targetILNS1_3genE10ELNS1_11target_archE1201ELNS1_3gpuE5ELNS1_3repE0EEENS1_38merge_mergepath_config_static_selectorELNS0_4arch9wavefront6targetE0EEEvSL_ ; -- Begin function _ZN7rocprim17ROCPRIM_400000_NS6detail17trampoline_kernelINS0_14default_configENS1_38merge_sort_block_merge_config_selectorIiNS0_10empty_typeEEEZZNS1_27merge_sort_block_merge_implIS3_N6thrust23THRUST_200600_302600_NS6detail15normal_iteratorINS9_10device_ptrIiEEEEPS5_jNS1_19radix_merge_compareILb1ELb1EiNS0_19identity_decomposerEEEEE10hipError_tT0_T1_T2_jT3_P12ihipStream_tbPNSt15iterator_traitsISK_E10value_typeEPNSQ_ISL_E10value_typeEPSM_NS1_7vsmem_tEENKUlT_SK_SL_SM_E_clIPiSE_SF_SF_EESJ_SZ_SK_SL_SM_EUlSZ_E0_NS1_11comp_targetILNS1_3genE10ELNS1_11target_archE1201ELNS1_3gpuE5ELNS1_3repE0EEENS1_38merge_mergepath_config_static_selectorELNS0_4arch9wavefront6targetE0EEEvSL_
	.globl	_ZN7rocprim17ROCPRIM_400000_NS6detail17trampoline_kernelINS0_14default_configENS1_38merge_sort_block_merge_config_selectorIiNS0_10empty_typeEEEZZNS1_27merge_sort_block_merge_implIS3_N6thrust23THRUST_200600_302600_NS6detail15normal_iteratorINS9_10device_ptrIiEEEEPS5_jNS1_19radix_merge_compareILb1ELb1EiNS0_19identity_decomposerEEEEE10hipError_tT0_T1_T2_jT3_P12ihipStream_tbPNSt15iterator_traitsISK_E10value_typeEPNSQ_ISL_E10value_typeEPSM_NS1_7vsmem_tEENKUlT_SK_SL_SM_E_clIPiSE_SF_SF_EESJ_SZ_SK_SL_SM_EUlSZ_E0_NS1_11comp_targetILNS1_3genE10ELNS1_11target_archE1201ELNS1_3gpuE5ELNS1_3repE0EEENS1_38merge_mergepath_config_static_selectorELNS0_4arch9wavefront6targetE0EEEvSL_
	.p2align	8
	.type	_ZN7rocprim17ROCPRIM_400000_NS6detail17trampoline_kernelINS0_14default_configENS1_38merge_sort_block_merge_config_selectorIiNS0_10empty_typeEEEZZNS1_27merge_sort_block_merge_implIS3_N6thrust23THRUST_200600_302600_NS6detail15normal_iteratorINS9_10device_ptrIiEEEEPS5_jNS1_19radix_merge_compareILb1ELb1EiNS0_19identity_decomposerEEEEE10hipError_tT0_T1_T2_jT3_P12ihipStream_tbPNSt15iterator_traitsISK_E10value_typeEPNSQ_ISL_E10value_typeEPSM_NS1_7vsmem_tEENKUlT_SK_SL_SM_E_clIPiSE_SF_SF_EESJ_SZ_SK_SL_SM_EUlSZ_E0_NS1_11comp_targetILNS1_3genE10ELNS1_11target_archE1201ELNS1_3gpuE5ELNS1_3repE0EEENS1_38merge_mergepath_config_static_selectorELNS0_4arch9wavefront6targetE0EEEvSL_,@function
_ZN7rocprim17ROCPRIM_400000_NS6detail17trampoline_kernelINS0_14default_configENS1_38merge_sort_block_merge_config_selectorIiNS0_10empty_typeEEEZZNS1_27merge_sort_block_merge_implIS3_N6thrust23THRUST_200600_302600_NS6detail15normal_iteratorINS9_10device_ptrIiEEEEPS5_jNS1_19radix_merge_compareILb1ELb1EiNS0_19identity_decomposerEEEEE10hipError_tT0_T1_T2_jT3_P12ihipStream_tbPNSt15iterator_traitsISK_E10value_typeEPNSQ_ISL_E10value_typeEPSM_NS1_7vsmem_tEENKUlT_SK_SL_SM_E_clIPiSE_SF_SF_EESJ_SZ_SK_SL_SM_EUlSZ_E0_NS1_11comp_targetILNS1_3genE10ELNS1_11target_archE1201ELNS1_3gpuE5ELNS1_3repE0EEENS1_38merge_mergepath_config_static_selectorELNS0_4arch9wavefront6targetE0EEEvSL_: ; @_ZN7rocprim17ROCPRIM_400000_NS6detail17trampoline_kernelINS0_14default_configENS1_38merge_sort_block_merge_config_selectorIiNS0_10empty_typeEEEZZNS1_27merge_sort_block_merge_implIS3_N6thrust23THRUST_200600_302600_NS6detail15normal_iteratorINS9_10device_ptrIiEEEEPS5_jNS1_19radix_merge_compareILb1ELb1EiNS0_19identity_decomposerEEEEE10hipError_tT0_T1_T2_jT3_P12ihipStream_tbPNSt15iterator_traitsISK_E10value_typeEPNSQ_ISL_E10value_typeEPSM_NS1_7vsmem_tEENKUlT_SK_SL_SM_E_clIPiSE_SF_SF_EESJ_SZ_SK_SL_SM_EUlSZ_E0_NS1_11comp_targetILNS1_3genE10ELNS1_11target_archE1201ELNS1_3gpuE5ELNS1_3repE0EEENS1_38merge_mergepath_config_static_selectorELNS0_4arch9wavefront6targetE0EEEvSL_
; %bb.0:
	.section	.rodata,"a",@progbits
	.p2align	6, 0x0
	.amdhsa_kernel _ZN7rocprim17ROCPRIM_400000_NS6detail17trampoline_kernelINS0_14default_configENS1_38merge_sort_block_merge_config_selectorIiNS0_10empty_typeEEEZZNS1_27merge_sort_block_merge_implIS3_N6thrust23THRUST_200600_302600_NS6detail15normal_iteratorINS9_10device_ptrIiEEEEPS5_jNS1_19radix_merge_compareILb1ELb1EiNS0_19identity_decomposerEEEEE10hipError_tT0_T1_T2_jT3_P12ihipStream_tbPNSt15iterator_traitsISK_E10value_typeEPNSQ_ISL_E10value_typeEPSM_NS1_7vsmem_tEENKUlT_SK_SL_SM_E_clIPiSE_SF_SF_EESJ_SZ_SK_SL_SM_EUlSZ_E0_NS1_11comp_targetILNS1_3genE10ELNS1_11target_archE1201ELNS1_3gpuE5ELNS1_3repE0EEENS1_38merge_mergepath_config_static_selectorELNS0_4arch9wavefront6targetE0EEEvSL_
		.amdhsa_group_segment_fixed_size 0
		.amdhsa_private_segment_fixed_size 0
		.amdhsa_kernarg_size 64
		.amdhsa_user_sgpr_count 6
		.amdhsa_user_sgpr_private_segment_buffer 1
		.amdhsa_user_sgpr_dispatch_ptr 0
		.amdhsa_user_sgpr_queue_ptr 0
		.amdhsa_user_sgpr_kernarg_segment_ptr 1
		.amdhsa_user_sgpr_dispatch_id 0
		.amdhsa_user_sgpr_flat_scratch_init 0
		.amdhsa_user_sgpr_private_segment_size 0
		.amdhsa_wavefront_size32 1
		.amdhsa_uses_dynamic_stack 0
		.amdhsa_system_sgpr_private_segment_wavefront_offset 0
		.amdhsa_system_sgpr_workgroup_id_x 1
		.amdhsa_system_sgpr_workgroup_id_y 0
		.amdhsa_system_sgpr_workgroup_id_z 0
		.amdhsa_system_sgpr_workgroup_info 0
		.amdhsa_system_vgpr_workitem_id 0
		.amdhsa_next_free_vgpr 1
		.amdhsa_next_free_sgpr 1
		.amdhsa_reserve_vcc 0
		.amdhsa_reserve_flat_scratch 0
		.amdhsa_float_round_mode_32 0
		.amdhsa_float_round_mode_16_64 0
		.amdhsa_float_denorm_mode_32 3
		.amdhsa_float_denorm_mode_16_64 3
		.amdhsa_dx10_clamp 1
		.amdhsa_ieee_mode 1
		.amdhsa_fp16_overflow 0
		.amdhsa_workgroup_processor_mode 1
		.amdhsa_memory_ordered 1
		.amdhsa_forward_progress 1
		.amdhsa_shared_vgpr_count 0
		.amdhsa_exception_fp_ieee_invalid_op 0
		.amdhsa_exception_fp_denorm_src 0
		.amdhsa_exception_fp_ieee_div_zero 0
		.amdhsa_exception_fp_ieee_overflow 0
		.amdhsa_exception_fp_ieee_underflow 0
		.amdhsa_exception_fp_ieee_inexact 0
		.amdhsa_exception_int_div_zero 0
	.end_amdhsa_kernel
	.section	.text._ZN7rocprim17ROCPRIM_400000_NS6detail17trampoline_kernelINS0_14default_configENS1_38merge_sort_block_merge_config_selectorIiNS0_10empty_typeEEEZZNS1_27merge_sort_block_merge_implIS3_N6thrust23THRUST_200600_302600_NS6detail15normal_iteratorINS9_10device_ptrIiEEEEPS5_jNS1_19radix_merge_compareILb1ELb1EiNS0_19identity_decomposerEEEEE10hipError_tT0_T1_T2_jT3_P12ihipStream_tbPNSt15iterator_traitsISK_E10value_typeEPNSQ_ISL_E10value_typeEPSM_NS1_7vsmem_tEENKUlT_SK_SL_SM_E_clIPiSE_SF_SF_EESJ_SZ_SK_SL_SM_EUlSZ_E0_NS1_11comp_targetILNS1_3genE10ELNS1_11target_archE1201ELNS1_3gpuE5ELNS1_3repE0EEENS1_38merge_mergepath_config_static_selectorELNS0_4arch9wavefront6targetE0EEEvSL_,"axG",@progbits,_ZN7rocprim17ROCPRIM_400000_NS6detail17trampoline_kernelINS0_14default_configENS1_38merge_sort_block_merge_config_selectorIiNS0_10empty_typeEEEZZNS1_27merge_sort_block_merge_implIS3_N6thrust23THRUST_200600_302600_NS6detail15normal_iteratorINS9_10device_ptrIiEEEEPS5_jNS1_19radix_merge_compareILb1ELb1EiNS0_19identity_decomposerEEEEE10hipError_tT0_T1_T2_jT3_P12ihipStream_tbPNSt15iterator_traitsISK_E10value_typeEPNSQ_ISL_E10value_typeEPSM_NS1_7vsmem_tEENKUlT_SK_SL_SM_E_clIPiSE_SF_SF_EESJ_SZ_SK_SL_SM_EUlSZ_E0_NS1_11comp_targetILNS1_3genE10ELNS1_11target_archE1201ELNS1_3gpuE5ELNS1_3repE0EEENS1_38merge_mergepath_config_static_selectorELNS0_4arch9wavefront6targetE0EEEvSL_,comdat
.Lfunc_end279:
	.size	_ZN7rocprim17ROCPRIM_400000_NS6detail17trampoline_kernelINS0_14default_configENS1_38merge_sort_block_merge_config_selectorIiNS0_10empty_typeEEEZZNS1_27merge_sort_block_merge_implIS3_N6thrust23THRUST_200600_302600_NS6detail15normal_iteratorINS9_10device_ptrIiEEEEPS5_jNS1_19radix_merge_compareILb1ELb1EiNS0_19identity_decomposerEEEEE10hipError_tT0_T1_T2_jT3_P12ihipStream_tbPNSt15iterator_traitsISK_E10value_typeEPNSQ_ISL_E10value_typeEPSM_NS1_7vsmem_tEENKUlT_SK_SL_SM_E_clIPiSE_SF_SF_EESJ_SZ_SK_SL_SM_EUlSZ_E0_NS1_11comp_targetILNS1_3genE10ELNS1_11target_archE1201ELNS1_3gpuE5ELNS1_3repE0EEENS1_38merge_mergepath_config_static_selectorELNS0_4arch9wavefront6targetE0EEEvSL_, .Lfunc_end279-_ZN7rocprim17ROCPRIM_400000_NS6detail17trampoline_kernelINS0_14default_configENS1_38merge_sort_block_merge_config_selectorIiNS0_10empty_typeEEEZZNS1_27merge_sort_block_merge_implIS3_N6thrust23THRUST_200600_302600_NS6detail15normal_iteratorINS9_10device_ptrIiEEEEPS5_jNS1_19radix_merge_compareILb1ELb1EiNS0_19identity_decomposerEEEEE10hipError_tT0_T1_T2_jT3_P12ihipStream_tbPNSt15iterator_traitsISK_E10value_typeEPNSQ_ISL_E10value_typeEPSM_NS1_7vsmem_tEENKUlT_SK_SL_SM_E_clIPiSE_SF_SF_EESJ_SZ_SK_SL_SM_EUlSZ_E0_NS1_11comp_targetILNS1_3genE10ELNS1_11target_archE1201ELNS1_3gpuE5ELNS1_3repE0EEENS1_38merge_mergepath_config_static_selectorELNS0_4arch9wavefront6targetE0EEEvSL_
                                        ; -- End function
	.set _ZN7rocprim17ROCPRIM_400000_NS6detail17trampoline_kernelINS0_14default_configENS1_38merge_sort_block_merge_config_selectorIiNS0_10empty_typeEEEZZNS1_27merge_sort_block_merge_implIS3_N6thrust23THRUST_200600_302600_NS6detail15normal_iteratorINS9_10device_ptrIiEEEEPS5_jNS1_19radix_merge_compareILb1ELb1EiNS0_19identity_decomposerEEEEE10hipError_tT0_T1_T2_jT3_P12ihipStream_tbPNSt15iterator_traitsISK_E10value_typeEPNSQ_ISL_E10value_typeEPSM_NS1_7vsmem_tEENKUlT_SK_SL_SM_E_clIPiSE_SF_SF_EESJ_SZ_SK_SL_SM_EUlSZ_E0_NS1_11comp_targetILNS1_3genE10ELNS1_11target_archE1201ELNS1_3gpuE5ELNS1_3repE0EEENS1_38merge_mergepath_config_static_selectorELNS0_4arch9wavefront6targetE0EEEvSL_.num_vgpr, 0
	.set _ZN7rocprim17ROCPRIM_400000_NS6detail17trampoline_kernelINS0_14default_configENS1_38merge_sort_block_merge_config_selectorIiNS0_10empty_typeEEEZZNS1_27merge_sort_block_merge_implIS3_N6thrust23THRUST_200600_302600_NS6detail15normal_iteratorINS9_10device_ptrIiEEEEPS5_jNS1_19radix_merge_compareILb1ELb1EiNS0_19identity_decomposerEEEEE10hipError_tT0_T1_T2_jT3_P12ihipStream_tbPNSt15iterator_traitsISK_E10value_typeEPNSQ_ISL_E10value_typeEPSM_NS1_7vsmem_tEENKUlT_SK_SL_SM_E_clIPiSE_SF_SF_EESJ_SZ_SK_SL_SM_EUlSZ_E0_NS1_11comp_targetILNS1_3genE10ELNS1_11target_archE1201ELNS1_3gpuE5ELNS1_3repE0EEENS1_38merge_mergepath_config_static_selectorELNS0_4arch9wavefront6targetE0EEEvSL_.num_agpr, 0
	.set _ZN7rocprim17ROCPRIM_400000_NS6detail17trampoline_kernelINS0_14default_configENS1_38merge_sort_block_merge_config_selectorIiNS0_10empty_typeEEEZZNS1_27merge_sort_block_merge_implIS3_N6thrust23THRUST_200600_302600_NS6detail15normal_iteratorINS9_10device_ptrIiEEEEPS5_jNS1_19radix_merge_compareILb1ELb1EiNS0_19identity_decomposerEEEEE10hipError_tT0_T1_T2_jT3_P12ihipStream_tbPNSt15iterator_traitsISK_E10value_typeEPNSQ_ISL_E10value_typeEPSM_NS1_7vsmem_tEENKUlT_SK_SL_SM_E_clIPiSE_SF_SF_EESJ_SZ_SK_SL_SM_EUlSZ_E0_NS1_11comp_targetILNS1_3genE10ELNS1_11target_archE1201ELNS1_3gpuE5ELNS1_3repE0EEENS1_38merge_mergepath_config_static_selectorELNS0_4arch9wavefront6targetE0EEEvSL_.numbered_sgpr, 0
	.set _ZN7rocprim17ROCPRIM_400000_NS6detail17trampoline_kernelINS0_14default_configENS1_38merge_sort_block_merge_config_selectorIiNS0_10empty_typeEEEZZNS1_27merge_sort_block_merge_implIS3_N6thrust23THRUST_200600_302600_NS6detail15normal_iteratorINS9_10device_ptrIiEEEEPS5_jNS1_19radix_merge_compareILb1ELb1EiNS0_19identity_decomposerEEEEE10hipError_tT0_T1_T2_jT3_P12ihipStream_tbPNSt15iterator_traitsISK_E10value_typeEPNSQ_ISL_E10value_typeEPSM_NS1_7vsmem_tEENKUlT_SK_SL_SM_E_clIPiSE_SF_SF_EESJ_SZ_SK_SL_SM_EUlSZ_E0_NS1_11comp_targetILNS1_3genE10ELNS1_11target_archE1201ELNS1_3gpuE5ELNS1_3repE0EEENS1_38merge_mergepath_config_static_selectorELNS0_4arch9wavefront6targetE0EEEvSL_.num_named_barrier, 0
	.set _ZN7rocprim17ROCPRIM_400000_NS6detail17trampoline_kernelINS0_14default_configENS1_38merge_sort_block_merge_config_selectorIiNS0_10empty_typeEEEZZNS1_27merge_sort_block_merge_implIS3_N6thrust23THRUST_200600_302600_NS6detail15normal_iteratorINS9_10device_ptrIiEEEEPS5_jNS1_19radix_merge_compareILb1ELb1EiNS0_19identity_decomposerEEEEE10hipError_tT0_T1_T2_jT3_P12ihipStream_tbPNSt15iterator_traitsISK_E10value_typeEPNSQ_ISL_E10value_typeEPSM_NS1_7vsmem_tEENKUlT_SK_SL_SM_E_clIPiSE_SF_SF_EESJ_SZ_SK_SL_SM_EUlSZ_E0_NS1_11comp_targetILNS1_3genE10ELNS1_11target_archE1201ELNS1_3gpuE5ELNS1_3repE0EEENS1_38merge_mergepath_config_static_selectorELNS0_4arch9wavefront6targetE0EEEvSL_.private_seg_size, 0
	.set _ZN7rocprim17ROCPRIM_400000_NS6detail17trampoline_kernelINS0_14default_configENS1_38merge_sort_block_merge_config_selectorIiNS0_10empty_typeEEEZZNS1_27merge_sort_block_merge_implIS3_N6thrust23THRUST_200600_302600_NS6detail15normal_iteratorINS9_10device_ptrIiEEEEPS5_jNS1_19radix_merge_compareILb1ELb1EiNS0_19identity_decomposerEEEEE10hipError_tT0_T1_T2_jT3_P12ihipStream_tbPNSt15iterator_traitsISK_E10value_typeEPNSQ_ISL_E10value_typeEPSM_NS1_7vsmem_tEENKUlT_SK_SL_SM_E_clIPiSE_SF_SF_EESJ_SZ_SK_SL_SM_EUlSZ_E0_NS1_11comp_targetILNS1_3genE10ELNS1_11target_archE1201ELNS1_3gpuE5ELNS1_3repE0EEENS1_38merge_mergepath_config_static_selectorELNS0_4arch9wavefront6targetE0EEEvSL_.uses_vcc, 0
	.set _ZN7rocprim17ROCPRIM_400000_NS6detail17trampoline_kernelINS0_14default_configENS1_38merge_sort_block_merge_config_selectorIiNS0_10empty_typeEEEZZNS1_27merge_sort_block_merge_implIS3_N6thrust23THRUST_200600_302600_NS6detail15normal_iteratorINS9_10device_ptrIiEEEEPS5_jNS1_19radix_merge_compareILb1ELb1EiNS0_19identity_decomposerEEEEE10hipError_tT0_T1_T2_jT3_P12ihipStream_tbPNSt15iterator_traitsISK_E10value_typeEPNSQ_ISL_E10value_typeEPSM_NS1_7vsmem_tEENKUlT_SK_SL_SM_E_clIPiSE_SF_SF_EESJ_SZ_SK_SL_SM_EUlSZ_E0_NS1_11comp_targetILNS1_3genE10ELNS1_11target_archE1201ELNS1_3gpuE5ELNS1_3repE0EEENS1_38merge_mergepath_config_static_selectorELNS0_4arch9wavefront6targetE0EEEvSL_.uses_flat_scratch, 0
	.set _ZN7rocprim17ROCPRIM_400000_NS6detail17trampoline_kernelINS0_14default_configENS1_38merge_sort_block_merge_config_selectorIiNS0_10empty_typeEEEZZNS1_27merge_sort_block_merge_implIS3_N6thrust23THRUST_200600_302600_NS6detail15normal_iteratorINS9_10device_ptrIiEEEEPS5_jNS1_19radix_merge_compareILb1ELb1EiNS0_19identity_decomposerEEEEE10hipError_tT0_T1_T2_jT3_P12ihipStream_tbPNSt15iterator_traitsISK_E10value_typeEPNSQ_ISL_E10value_typeEPSM_NS1_7vsmem_tEENKUlT_SK_SL_SM_E_clIPiSE_SF_SF_EESJ_SZ_SK_SL_SM_EUlSZ_E0_NS1_11comp_targetILNS1_3genE10ELNS1_11target_archE1201ELNS1_3gpuE5ELNS1_3repE0EEENS1_38merge_mergepath_config_static_selectorELNS0_4arch9wavefront6targetE0EEEvSL_.has_dyn_sized_stack, 0
	.set _ZN7rocprim17ROCPRIM_400000_NS6detail17trampoline_kernelINS0_14default_configENS1_38merge_sort_block_merge_config_selectorIiNS0_10empty_typeEEEZZNS1_27merge_sort_block_merge_implIS3_N6thrust23THRUST_200600_302600_NS6detail15normal_iteratorINS9_10device_ptrIiEEEEPS5_jNS1_19radix_merge_compareILb1ELb1EiNS0_19identity_decomposerEEEEE10hipError_tT0_T1_T2_jT3_P12ihipStream_tbPNSt15iterator_traitsISK_E10value_typeEPNSQ_ISL_E10value_typeEPSM_NS1_7vsmem_tEENKUlT_SK_SL_SM_E_clIPiSE_SF_SF_EESJ_SZ_SK_SL_SM_EUlSZ_E0_NS1_11comp_targetILNS1_3genE10ELNS1_11target_archE1201ELNS1_3gpuE5ELNS1_3repE0EEENS1_38merge_mergepath_config_static_selectorELNS0_4arch9wavefront6targetE0EEEvSL_.has_recursion, 0
	.set _ZN7rocprim17ROCPRIM_400000_NS6detail17trampoline_kernelINS0_14default_configENS1_38merge_sort_block_merge_config_selectorIiNS0_10empty_typeEEEZZNS1_27merge_sort_block_merge_implIS3_N6thrust23THRUST_200600_302600_NS6detail15normal_iteratorINS9_10device_ptrIiEEEEPS5_jNS1_19radix_merge_compareILb1ELb1EiNS0_19identity_decomposerEEEEE10hipError_tT0_T1_T2_jT3_P12ihipStream_tbPNSt15iterator_traitsISK_E10value_typeEPNSQ_ISL_E10value_typeEPSM_NS1_7vsmem_tEENKUlT_SK_SL_SM_E_clIPiSE_SF_SF_EESJ_SZ_SK_SL_SM_EUlSZ_E0_NS1_11comp_targetILNS1_3genE10ELNS1_11target_archE1201ELNS1_3gpuE5ELNS1_3repE0EEENS1_38merge_mergepath_config_static_selectorELNS0_4arch9wavefront6targetE0EEEvSL_.has_indirect_call, 0
	.section	.AMDGPU.csdata,"",@progbits
; Kernel info:
; codeLenInByte = 0
; TotalNumSgprs: 0
; NumVgprs: 0
; ScratchSize: 0
; MemoryBound: 0
; FloatMode: 240
; IeeeMode: 1
; LDSByteSize: 0 bytes/workgroup (compile time only)
; SGPRBlocks: 0
; VGPRBlocks: 0
; NumSGPRsForWavesPerEU: 1
; NumVGPRsForWavesPerEU: 1
; Occupancy: 16
; WaveLimiterHint : 0
; COMPUTE_PGM_RSRC2:SCRATCH_EN: 0
; COMPUTE_PGM_RSRC2:USER_SGPR: 6
; COMPUTE_PGM_RSRC2:TRAP_HANDLER: 0
; COMPUTE_PGM_RSRC2:TGID_X_EN: 1
; COMPUTE_PGM_RSRC2:TGID_Y_EN: 0
; COMPUTE_PGM_RSRC2:TGID_Z_EN: 0
; COMPUTE_PGM_RSRC2:TIDIG_COMP_CNT: 0
	.section	.text._ZN7rocprim17ROCPRIM_400000_NS6detail17trampoline_kernelINS0_14default_configENS1_38merge_sort_block_merge_config_selectorIiNS0_10empty_typeEEEZZNS1_27merge_sort_block_merge_implIS3_N6thrust23THRUST_200600_302600_NS6detail15normal_iteratorINS9_10device_ptrIiEEEEPS5_jNS1_19radix_merge_compareILb1ELb1EiNS0_19identity_decomposerEEEEE10hipError_tT0_T1_T2_jT3_P12ihipStream_tbPNSt15iterator_traitsISK_E10value_typeEPNSQ_ISL_E10value_typeEPSM_NS1_7vsmem_tEENKUlT_SK_SL_SM_E_clIPiSE_SF_SF_EESJ_SZ_SK_SL_SM_EUlSZ_E0_NS1_11comp_targetILNS1_3genE5ELNS1_11target_archE942ELNS1_3gpuE9ELNS1_3repE0EEENS1_38merge_mergepath_config_static_selectorELNS0_4arch9wavefront6targetE0EEEvSL_,"axG",@progbits,_ZN7rocprim17ROCPRIM_400000_NS6detail17trampoline_kernelINS0_14default_configENS1_38merge_sort_block_merge_config_selectorIiNS0_10empty_typeEEEZZNS1_27merge_sort_block_merge_implIS3_N6thrust23THRUST_200600_302600_NS6detail15normal_iteratorINS9_10device_ptrIiEEEEPS5_jNS1_19radix_merge_compareILb1ELb1EiNS0_19identity_decomposerEEEEE10hipError_tT0_T1_T2_jT3_P12ihipStream_tbPNSt15iterator_traitsISK_E10value_typeEPNSQ_ISL_E10value_typeEPSM_NS1_7vsmem_tEENKUlT_SK_SL_SM_E_clIPiSE_SF_SF_EESJ_SZ_SK_SL_SM_EUlSZ_E0_NS1_11comp_targetILNS1_3genE5ELNS1_11target_archE942ELNS1_3gpuE9ELNS1_3repE0EEENS1_38merge_mergepath_config_static_selectorELNS0_4arch9wavefront6targetE0EEEvSL_,comdat
	.protected	_ZN7rocprim17ROCPRIM_400000_NS6detail17trampoline_kernelINS0_14default_configENS1_38merge_sort_block_merge_config_selectorIiNS0_10empty_typeEEEZZNS1_27merge_sort_block_merge_implIS3_N6thrust23THRUST_200600_302600_NS6detail15normal_iteratorINS9_10device_ptrIiEEEEPS5_jNS1_19radix_merge_compareILb1ELb1EiNS0_19identity_decomposerEEEEE10hipError_tT0_T1_T2_jT3_P12ihipStream_tbPNSt15iterator_traitsISK_E10value_typeEPNSQ_ISL_E10value_typeEPSM_NS1_7vsmem_tEENKUlT_SK_SL_SM_E_clIPiSE_SF_SF_EESJ_SZ_SK_SL_SM_EUlSZ_E0_NS1_11comp_targetILNS1_3genE5ELNS1_11target_archE942ELNS1_3gpuE9ELNS1_3repE0EEENS1_38merge_mergepath_config_static_selectorELNS0_4arch9wavefront6targetE0EEEvSL_ ; -- Begin function _ZN7rocprim17ROCPRIM_400000_NS6detail17trampoline_kernelINS0_14default_configENS1_38merge_sort_block_merge_config_selectorIiNS0_10empty_typeEEEZZNS1_27merge_sort_block_merge_implIS3_N6thrust23THRUST_200600_302600_NS6detail15normal_iteratorINS9_10device_ptrIiEEEEPS5_jNS1_19radix_merge_compareILb1ELb1EiNS0_19identity_decomposerEEEEE10hipError_tT0_T1_T2_jT3_P12ihipStream_tbPNSt15iterator_traitsISK_E10value_typeEPNSQ_ISL_E10value_typeEPSM_NS1_7vsmem_tEENKUlT_SK_SL_SM_E_clIPiSE_SF_SF_EESJ_SZ_SK_SL_SM_EUlSZ_E0_NS1_11comp_targetILNS1_3genE5ELNS1_11target_archE942ELNS1_3gpuE9ELNS1_3repE0EEENS1_38merge_mergepath_config_static_selectorELNS0_4arch9wavefront6targetE0EEEvSL_
	.globl	_ZN7rocprim17ROCPRIM_400000_NS6detail17trampoline_kernelINS0_14default_configENS1_38merge_sort_block_merge_config_selectorIiNS0_10empty_typeEEEZZNS1_27merge_sort_block_merge_implIS3_N6thrust23THRUST_200600_302600_NS6detail15normal_iteratorINS9_10device_ptrIiEEEEPS5_jNS1_19radix_merge_compareILb1ELb1EiNS0_19identity_decomposerEEEEE10hipError_tT0_T1_T2_jT3_P12ihipStream_tbPNSt15iterator_traitsISK_E10value_typeEPNSQ_ISL_E10value_typeEPSM_NS1_7vsmem_tEENKUlT_SK_SL_SM_E_clIPiSE_SF_SF_EESJ_SZ_SK_SL_SM_EUlSZ_E0_NS1_11comp_targetILNS1_3genE5ELNS1_11target_archE942ELNS1_3gpuE9ELNS1_3repE0EEENS1_38merge_mergepath_config_static_selectorELNS0_4arch9wavefront6targetE0EEEvSL_
	.p2align	8
	.type	_ZN7rocprim17ROCPRIM_400000_NS6detail17trampoline_kernelINS0_14default_configENS1_38merge_sort_block_merge_config_selectorIiNS0_10empty_typeEEEZZNS1_27merge_sort_block_merge_implIS3_N6thrust23THRUST_200600_302600_NS6detail15normal_iteratorINS9_10device_ptrIiEEEEPS5_jNS1_19radix_merge_compareILb1ELb1EiNS0_19identity_decomposerEEEEE10hipError_tT0_T1_T2_jT3_P12ihipStream_tbPNSt15iterator_traitsISK_E10value_typeEPNSQ_ISL_E10value_typeEPSM_NS1_7vsmem_tEENKUlT_SK_SL_SM_E_clIPiSE_SF_SF_EESJ_SZ_SK_SL_SM_EUlSZ_E0_NS1_11comp_targetILNS1_3genE5ELNS1_11target_archE942ELNS1_3gpuE9ELNS1_3repE0EEENS1_38merge_mergepath_config_static_selectorELNS0_4arch9wavefront6targetE0EEEvSL_,@function
_ZN7rocprim17ROCPRIM_400000_NS6detail17trampoline_kernelINS0_14default_configENS1_38merge_sort_block_merge_config_selectorIiNS0_10empty_typeEEEZZNS1_27merge_sort_block_merge_implIS3_N6thrust23THRUST_200600_302600_NS6detail15normal_iteratorINS9_10device_ptrIiEEEEPS5_jNS1_19radix_merge_compareILb1ELb1EiNS0_19identity_decomposerEEEEE10hipError_tT0_T1_T2_jT3_P12ihipStream_tbPNSt15iterator_traitsISK_E10value_typeEPNSQ_ISL_E10value_typeEPSM_NS1_7vsmem_tEENKUlT_SK_SL_SM_E_clIPiSE_SF_SF_EESJ_SZ_SK_SL_SM_EUlSZ_E0_NS1_11comp_targetILNS1_3genE5ELNS1_11target_archE942ELNS1_3gpuE9ELNS1_3repE0EEENS1_38merge_mergepath_config_static_selectorELNS0_4arch9wavefront6targetE0EEEvSL_: ; @_ZN7rocprim17ROCPRIM_400000_NS6detail17trampoline_kernelINS0_14default_configENS1_38merge_sort_block_merge_config_selectorIiNS0_10empty_typeEEEZZNS1_27merge_sort_block_merge_implIS3_N6thrust23THRUST_200600_302600_NS6detail15normal_iteratorINS9_10device_ptrIiEEEEPS5_jNS1_19radix_merge_compareILb1ELb1EiNS0_19identity_decomposerEEEEE10hipError_tT0_T1_T2_jT3_P12ihipStream_tbPNSt15iterator_traitsISK_E10value_typeEPNSQ_ISL_E10value_typeEPSM_NS1_7vsmem_tEENKUlT_SK_SL_SM_E_clIPiSE_SF_SF_EESJ_SZ_SK_SL_SM_EUlSZ_E0_NS1_11comp_targetILNS1_3genE5ELNS1_11target_archE942ELNS1_3gpuE9ELNS1_3repE0EEENS1_38merge_mergepath_config_static_selectorELNS0_4arch9wavefront6targetE0EEEvSL_
; %bb.0:
	.section	.rodata,"a",@progbits
	.p2align	6, 0x0
	.amdhsa_kernel _ZN7rocprim17ROCPRIM_400000_NS6detail17trampoline_kernelINS0_14default_configENS1_38merge_sort_block_merge_config_selectorIiNS0_10empty_typeEEEZZNS1_27merge_sort_block_merge_implIS3_N6thrust23THRUST_200600_302600_NS6detail15normal_iteratorINS9_10device_ptrIiEEEEPS5_jNS1_19radix_merge_compareILb1ELb1EiNS0_19identity_decomposerEEEEE10hipError_tT0_T1_T2_jT3_P12ihipStream_tbPNSt15iterator_traitsISK_E10value_typeEPNSQ_ISL_E10value_typeEPSM_NS1_7vsmem_tEENKUlT_SK_SL_SM_E_clIPiSE_SF_SF_EESJ_SZ_SK_SL_SM_EUlSZ_E0_NS1_11comp_targetILNS1_3genE5ELNS1_11target_archE942ELNS1_3gpuE9ELNS1_3repE0EEENS1_38merge_mergepath_config_static_selectorELNS0_4arch9wavefront6targetE0EEEvSL_
		.amdhsa_group_segment_fixed_size 0
		.amdhsa_private_segment_fixed_size 0
		.amdhsa_kernarg_size 64
		.amdhsa_user_sgpr_count 6
		.amdhsa_user_sgpr_private_segment_buffer 1
		.amdhsa_user_sgpr_dispatch_ptr 0
		.amdhsa_user_sgpr_queue_ptr 0
		.amdhsa_user_sgpr_kernarg_segment_ptr 1
		.amdhsa_user_sgpr_dispatch_id 0
		.amdhsa_user_sgpr_flat_scratch_init 0
		.amdhsa_user_sgpr_private_segment_size 0
		.amdhsa_wavefront_size32 1
		.amdhsa_uses_dynamic_stack 0
		.amdhsa_system_sgpr_private_segment_wavefront_offset 0
		.amdhsa_system_sgpr_workgroup_id_x 1
		.amdhsa_system_sgpr_workgroup_id_y 0
		.amdhsa_system_sgpr_workgroup_id_z 0
		.amdhsa_system_sgpr_workgroup_info 0
		.amdhsa_system_vgpr_workitem_id 0
		.amdhsa_next_free_vgpr 1
		.amdhsa_next_free_sgpr 1
		.amdhsa_reserve_vcc 0
		.amdhsa_reserve_flat_scratch 0
		.amdhsa_float_round_mode_32 0
		.amdhsa_float_round_mode_16_64 0
		.amdhsa_float_denorm_mode_32 3
		.amdhsa_float_denorm_mode_16_64 3
		.amdhsa_dx10_clamp 1
		.amdhsa_ieee_mode 1
		.amdhsa_fp16_overflow 0
		.amdhsa_workgroup_processor_mode 1
		.amdhsa_memory_ordered 1
		.amdhsa_forward_progress 1
		.amdhsa_shared_vgpr_count 0
		.amdhsa_exception_fp_ieee_invalid_op 0
		.amdhsa_exception_fp_denorm_src 0
		.amdhsa_exception_fp_ieee_div_zero 0
		.amdhsa_exception_fp_ieee_overflow 0
		.amdhsa_exception_fp_ieee_underflow 0
		.amdhsa_exception_fp_ieee_inexact 0
		.amdhsa_exception_int_div_zero 0
	.end_amdhsa_kernel
	.section	.text._ZN7rocprim17ROCPRIM_400000_NS6detail17trampoline_kernelINS0_14default_configENS1_38merge_sort_block_merge_config_selectorIiNS0_10empty_typeEEEZZNS1_27merge_sort_block_merge_implIS3_N6thrust23THRUST_200600_302600_NS6detail15normal_iteratorINS9_10device_ptrIiEEEEPS5_jNS1_19radix_merge_compareILb1ELb1EiNS0_19identity_decomposerEEEEE10hipError_tT0_T1_T2_jT3_P12ihipStream_tbPNSt15iterator_traitsISK_E10value_typeEPNSQ_ISL_E10value_typeEPSM_NS1_7vsmem_tEENKUlT_SK_SL_SM_E_clIPiSE_SF_SF_EESJ_SZ_SK_SL_SM_EUlSZ_E0_NS1_11comp_targetILNS1_3genE5ELNS1_11target_archE942ELNS1_3gpuE9ELNS1_3repE0EEENS1_38merge_mergepath_config_static_selectorELNS0_4arch9wavefront6targetE0EEEvSL_,"axG",@progbits,_ZN7rocprim17ROCPRIM_400000_NS6detail17trampoline_kernelINS0_14default_configENS1_38merge_sort_block_merge_config_selectorIiNS0_10empty_typeEEEZZNS1_27merge_sort_block_merge_implIS3_N6thrust23THRUST_200600_302600_NS6detail15normal_iteratorINS9_10device_ptrIiEEEEPS5_jNS1_19radix_merge_compareILb1ELb1EiNS0_19identity_decomposerEEEEE10hipError_tT0_T1_T2_jT3_P12ihipStream_tbPNSt15iterator_traitsISK_E10value_typeEPNSQ_ISL_E10value_typeEPSM_NS1_7vsmem_tEENKUlT_SK_SL_SM_E_clIPiSE_SF_SF_EESJ_SZ_SK_SL_SM_EUlSZ_E0_NS1_11comp_targetILNS1_3genE5ELNS1_11target_archE942ELNS1_3gpuE9ELNS1_3repE0EEENS1_38merge_mergepath_config_static_selectorELNS0_4arch9wavefront6targetE0EEEvSL_,comdat
.Lfunc_end280:
	.size	_ZN7rocprim17ROCPRIM_400000_NS6detail17trampoline_kernelINS0_14default_configENS1_38merge_sort_block_merge_config_selectorIiNS0_10empty_typeEEEZZNS1_27merge_sort_block_merge_implIS3_N6thrust23THRUST_200600_302600_NS6detail15normal_iteratorINS9_10device_ptrIiEEEEPS5_jNS1_19radix_merge_compareILb1ELb1EiNS0_19identity_decomposerEEEEE10hipError_tT0_T1_T2_jT3_P12ihipStream_tbPNSt15iterator_traitsISK_E10value_typeEPNSQ_ISL_E10value_typeEPSM_NS1_7vsmem_tEENKUlT_SK_SL_SM_E_clIPiSE_SF_SF_EESJ_SZ_SK_SL_SM_EUlSZ_E0_NS1_11comp_targetILNS1_3genE5ELNS1_11target_archE942ELNS1_3gpuE9ELNS1_3repE0EEENS1_38merge_mergepath_config_static_selectorELNS0_4arch9wavefront6targetE0EEEvSL_, .Lfunc_end280-_ZN7rocprim17ROCPRIM_400000_NS6detail17trampoline_kernelINS0_14default_configENS1_38merge_sort_block_merge_config_selectorIiNS0_10empty_typeEEEZZNS1_27merge_sort_block_merge_implIS3_N6thrust23THRUST_200600_302600_NS6detail15normal_iteratorINS9_10device_ptrIiEEEEPS5_jNS1_19radix_merge_compareILb1ELb1EiNS0_19identity_decomposerEEEEE10hipError_tT0_T1_T2_jT3_P12ihipStream_tbPNSt15iterator_traitsISK_E10value_typeEPNSQ_ISL_E10value_typeEPSM_NS1_7vsmem_tEENKUlT_SK_SL_SM_E_clIPiSE_SF_SF_EESJ_SZ_SK_SL_SM_EUlSZ_E0_NS1_11comp_targetILNS1_3genE5ELNS1_11target_archE942ELNS1_3gpuE9ELNS1_3repE0EEENS1_38merge_mergepath_config_static_selectorELNS0_4arch9wavefront6targetE0EEEvSL_
                                        ; -- End function
	.set _ZN7rocprim17ROCPRIM_400000_NS6detail17trampoline_kernelINS0_14default_configENS1_38merge_sort_block_merge_config_selectorIiNS0_10empty_typeEEEZZNS1_27merge_sort_block_merge_implIS3_N6thrust23THRUST_200600_302600_NS6detail15normal_iteratorINS9_10device_ptrIiEEEEPS5_jNS1_19radix_merge_compareILb1ELb1EiNS0_19identity_decomposerEEEEE10hipError_tT0_T1_T2_jT3_P12ihipStream_tbPNSt15iterator_traitsISK_E10value_typeEPNSQ_ISL_E10value_typeEPSM_NS1_7vsmem_tEENKUlT_SK_SL_SM_E_clIPiSE_SF_SF_EESJ_SZ_SK_SL_SM_EUlSZ_E0_NS1_11comp_targetILNS1_3genE5ELNS1_11target_archE942ELNS1_3gpuE9ELNS1_3repE0EEENS1_38merge_mergepath_config_static_selectorELNS0_4arch9wavefront6targetE0EEEvSL_.num_vgpr, 0
	.set _ZN7rocprim17ROCPRIM_400000_NS6detail17trampoline_kernelINS0_14default_configENS1_38merge_sort_block_merge_config_selectorIiNS0_10empty_typeEEEZZNS1_27merge_sort_block_merge_implIS3_N6thrust23THRUST_200600_302600_NS6detail15normal_iteratorINS9_10device_ptrIiEEEEPS5_jNS1_19radix_merge_compareILb1ELb1EiNS0_19identity_decomposerEEEEE10hipError_tT0_T1_T2_jT3_P12ihipStream_tbPNSt15iterator_traitsISK_E10value_typeEPNSQ_ISL_E10value_typeEPSM_NS1_7vsmem_tEENKUlT_SK_SL_SM_E_clIPiSE_SF_SF_EESJ_SZ_SK_SL_SM_EUlSZ_E0_NS1_11comp_targetILNS1_3genE5ELNS1_11target_archE942ELNS1_3gpuE9ELNS1_3repE0EEENS1_38merge_mergepath_config_static_selectorELNS0_4arch9wavefront6targetE0EEEvSL_.num_agpr, 0
	.set _ZN7rocprim17ROCPRIM_400000_NS6detail17trampoline_kernelINS0_14default_configENS1_38merge_sort_block_merge_config_selectorIiNS0_10empty_typeEEEZZNS1_27merge_sort_block_merge_implIS3_N6thrust23THRUST_200600_302600_NS6detail15normal_iteratorINS9_10device_ptrIiEEEEPS5_jNS1_19radix_merge_compareILb1ELb1EiNS0_19identity_decomposerEEEEE10hipError_tT0_T1_T2_jT3_P12ihipStream_tbPNSt15iterator_traitsISK_E10value_typeEPNSQ_ISL_E10value_typeEPSM_NS1_7vsmem_tEENKUlT_SK_SL_SM_E_clIPiSE_SF_SF_EESJ_SZ_SK_SL_SM_EUlSZ_E0_NS1_11comp_targetILNS1_3genE5ELNS1_11target_archE942ELNS1_3gpuE9ELNS1_3repE0EEENS1_38merge_mergepath_config_static_selectorELNS0_4arch9wavefront6targetE0EEEvSL_.numbered_sgpr, 0
	.set _ZN7rocprim17ROCPRIM_400000_NS6detail17trampoline_kernelINS0_14default_configENS1_38merge_sort_block_merge_config_selectorIiNS0_10empty_typeEEEZZNS1_27merge_sort_block_merge_implIS3_N6thrust23THRUST_200600_302600_NS6detail15normal_iteratorINS9_10device_ptrIiEEEEPS5_jNS1_19radix_merge_compareILb1ELb1EiNS0_19identity_decomposerEEEEE10hipError_tT0_T1_T2_jT3_P12ihipStream_tbPNSt15iterator_traitsISK_E10value_typeEPNSQ_ISL_E10value_typeEPSM_NS1_7vsmem_tEENKUlT_SK_SL_SM_E_clIPiSE_SF_SF_EESJ_SZ_SK_SL_SM_EUlSZ_E0_NS1_11comp_targetILNS1_3genE5ELNS1_11target_archE942ELNS1_3gpuE9ELNS1_3repE0EEENS1_38merge_mergepath_config_static_selectorELNS0_4arch9wavefront6targetE0EEEvSL_.num_named_barrier, 0
	.set _ZN7rocprim17ROCPRIM_400000_NS6detail17trampoline_kernelINS0_14default_configENS1_38merge_sort_block_merge_config_selectorIiNS0_10empty_typeEEEZZNS1_27merge_sort_block_merge_implIS3_N6thrust23THRUST_200600_302600_NS6detail15normal_iteratorINS9_10device_ptrIiEEEEPS5_jNS1_19radix_merge_compareILb1ELb1EiNS0_19identity_decomposerEEEEE10hipError_tT0_T1_T2_jT3_P12ihipStream_tbPNSt15iterator_traitsISK_E10value_typeEPNSQ_ISL_E10value_typeEPSM_NS1_7vsmem_tEENKUlT_SK_SL_SM_E_clIPiSE_SF_SF_EESJ_SZ_SK_SL_SM_EUlSZ_E0_NS1_11comp_targetILNS1_3genE5ELNS1_11target_archE942ELNS1_3gpuE9ELNS1_3repE0EEENS1_38merge_mergepath_config_static_selectorELNS0_4arch9wavefront6targetE0EEEvSL_.private_seg_size, 0
	.set _ZN7rocprim17ROCPRIM_400000_NS6detail17trampoline_kernelINS0_14default_configENS1_38merge_sort_block_merge_config_selectorIiNS0_10empty_typeEEEZZNS1_27merge_sort_block_merge_implIS3_N6thrust23THRUST_200600_302600_NS6detail15normal_iteratorINS9_10device_ptrIiEEEEPS5_jNS1_19radix_merge_compareILb1ELb1EiNS0_19identity_decomposerEEEEE10hipError_tT0_T1_T2_jT3_P12ihipStream_tbPNSt15iterator_traitsISK_E10value_typeEPNSQ_ISL_E10value_typeEPSM_NS1_7vsmem_tEENKUlT_SK_SL_SM_E_clIPiSE_SF_SF_EESJ_SZ_SK_SL_SM_EUlSZ_E0_NS1_11comp_targetILNS1_3genE5ELNS1_11target_archE942ELNS1_3gpuE9ELNS1_3repE0EEENS1_38merge_mergepath_config_static_selectorELNS0_4arch9wavefront6targetE0EEEvSL_.uses_vcc, 0
	.set _ZN7rocprim17ROCPRIM_400000_NS6detail17trampoline_kernelINS0_14default_configENS1_38merge_sort_block_merge_config_selectorIiNS0_10empty_typeEEEZZNS1_27merge_sort_block_merge_implIS3_N6thrust23THRUST_200600_302600_NS6detail15normal_iteratorINS9_10device_ptrIiEEEEPS5_jNS1_19radix_merge_compareILb1ELb1EiNS0_19identity_decomposerEEEEE10hipError_tT0_T1_T2_jT3_P12ihipStream_tbPNSt15iterator_traitsISK_E10value_typeEPNSQ_ISL_E10value_typeEPSM_NS1_7vsmem_tEENKUlT_SK_SL_SM_E_clIPiSE_SF_SF_EESJ_SZ_SK_SL_SM_EUlSZ_E0_NS1_11comp_targetILNS1_3genE5ELNS1_11target_archE942ELNS1_3gpuE9ELNS1_3repE0EEENS1_38merge_mergepath_config_static_selectorELNS0_4arch9wavefront6targetE0EEEvSL_.uses_flat_scratch, 0
	.set _ZN7rocprim17ROCPRIM_400000_NS6detail17trampoline_kernelINS0_14default_configENS1_38merge_sort_block_merge_config_selectorIiNS0_10empty_typeEEEZZNS1_27merge_sort_block_merge_implIS3_N6thrust23THRUST_200600_302600_NS6detail15normal_iteratorINS9_10device_ptrIiEEEEPS5_jNS1_19radix_merge_compareILb1ELb1EiNS0_19identity_decomposerEEEEE10hipError_tT0_T1_T2_jT3_P12ihipStream_tbPNSt15iterator_traitsISK_E10value_typeEPNSQ_ISL_E10value_typeEPSM_NS1_7vsmem_tEENKUlT_SK_SL_SM_E_clIPiSE_SF_SF_EESJ_SZ_SK_SL_SM_EUlSZ_E0_NS1_11comp_targetILNS1_3genE5ELNS1_11target_archE942ELNS1_3gpuE9ELNS1_3repE0EEENS1_38merge_mergepath_config_static_selectorELNS0_4arch9wavefront6targetE0EEEvSL_.has_dyn_sized_stack, 0
	.set _ZN7rocprim17ROCPRIM_400000_NS6detail17trampoline_kernelINS0_14default_configENS1_38merge_sort_block_merge_config_selectorIiNS0_10empty_typeEEEZZNS1_27merge_sort_block_merge_implIS3_N6thrust23THRUST_200600_302600_NS6detail15normal_iteratorINS9_10device_ptrIiEEEEPS5_jNS1_19radix_merge_compareILb1ELb1EiNS0_19identity_decomposerEEEEE10hipError_tT0_T1_T2_jT3_P12ihipStream_tbPNSt15iterator_traitsISK_E10value_typeEPNSQ_ISL_E10value_typeEPSM_NS1_7vsmem_tEENKUlT_SK_SL_SM_E_clIPiSE_SF_SF_EESJ_SZ_SK_SL_SM_EUlSZ_E0_NS1_11comp_targetILNS1_3genE5ELNS1_11target_archE942ELNS1_3gpuE9ELNS1_3repE0EEENS1_38merge_mergepath_config_static_selectorELNS0_4arch9wavefront6targetE0EEEvSL_.has_recursion, 0
	.set _ZN7rocprim17ROCPRIM_400000_NS6detail17trampoline_kernelINS0_14default_configENS1_38merge_sort_block_merge_config_selectorIiNS0_10empty_typeEEEZZNS1_27merge_sort_block_merge_implIS3_N6thrust23THRUST_200600_302600_NS6detail15normal_iteratorINS9_10device_ptrIiEEEEPS5_jNS1_19radix_merge_compareILb1ELb1EiNS0_19identity_decomposerEEEEE10hipError_tT0_T1_T2_jT3_P12ihipStream_tbPNSt15iterator_traitsISK_E10value_typeEPNSQ_ISL_E10value_typeEPSM_NS1_7vsmem_tEENKUlT_SK_SL_SM_E_clIPiSE_SF_SF_EESJ_SZ_SK_SL_SM_EUlSZ_E0_NS1_11comp_targetILNS1_3genE5ELNS1_11target_archE942ELNS1_3gpuE9ELNS1_3repE0EEENS1_38merge_mergepath_config_static_selectorELNS0_4arch9wavefront6targetE0EEEvSL_.has_indirect_call, 0
	.section	.AMDGPU.csdata,"",@progbits
; Kernel info:
; codeLenInByte = 0
; TotalNumSgprs: 0
; NumVgprs: 0
; ScratchSize: 0
; MemoryBound: 0
; FloatMode: 240
; IeeeMode: 1
; LDSByteSize: 0 bytes/workgroup (compile time only)
; SGPRBlocks: 0
; VGPRBlocks: 0
; NumSGPRsForWavesPerEU: 1
; NumVGPRsForWavesPerEU: 1
; Occupancy: 16
; WaveLimiterHint : 0
; COMPUTE_PGM_RSRC2:SCRATCH_EN: 0
; COMPUTE_PGM_RSRC2:USER_SGPR: 6
; COMPUTE_PGM_RSRC2:TRAP_HANDLER: 0
; COMPUTE_PGM_RSRC2:TGID_X_EN: 1
; COMPUTE_PGM_RSRC2:TGID_Y_EN: 0
; COMPUTE_PGM_RSRC2:TGID_Z_EN: 0
; COMPUTE_PGM_RSRC2:TIDIG_COMP_CNT: 0
	.section	.text._ZN7rocprim17ROCPRIM_400000_NS6detail17trampoline_kernelINS0_14default_configENS1_38merge_sort_block_merge_config_selectorIiNS0_10empty_typeEEEZZNS1_27merge_sort_block_merge_implIS3_N6thrust23THRUST_200600_302600_NS6detail15normal_iteratorINS9_10device_ptrIiEEEEPS5_jNS1_19radix_merge_compareILb1ELb1EiNS0_19identity_decomposerEEEEE10hipError_tT0_T1_T2_jT3_P12ihipStream_tbPNSt15iterator_traitsISK_E10value_typeEPNSQ_ISL_E10value_typeEPSM_NS1_7vsmem_tEENKUlT_SK_SL_SM_E_clIPiSE_SF_SF_EESJ_SZ_SK_SL_SM_EUlSZ_E0_NS1_11comp_targetILNS1_3genE4ELNS1_11target_archE910ELNS1_3gpuE8ELNS1_3repE0EEENS1_38merge_mergepath_config_static_selectorELNS0_4arch9wavefront6targetE0EEEvSL_,"axG",@progbits,_ZN7rocprim17ROCPRIM_400000_NS6detail17trampoline_kernelINS0_14default_configENS1_38merge_sort_block_merge_config_selectorIiNS0_10empty_typeEEEZZNS1_27merge_sort_block_merge_implIS3_N6thrust23THRUST_200600_302600_NS6detail15normal_iteratorINS9_10device_ptrIiEEEEPS5_jNS1_19radix_merge_compareILb1ELb1EiNS0_19identity_decomposerEEEEE10hipError_tT0_T1_T2_jT3_P12ihipStream_tbPNSt15iterator_traitsISK_E10value_typeEPNSQ_ISL_E10value_typeEPSM_NS1_7vsmem_tEENKUlT_SK_SL_SM_E_clIPiSE_SF_SF_EESJ_SZ_SK_SL_SM_EUlSZ_E0_NS1_11comp_targetILNS1_3genE4ELNS1_11target_archE910ELNS1_3gpuE8ELNS1_3repE0EEENS1_38merge_mergepath_config_static_selectorELNS0_4arch9wavefront6targetE0EEEvSL_,comdat
	.protected	_ZN7rocprim17ROCPRIM_400000_NS6detail17trampoline_kernelINS0_14default_configENS1_38merge_sort_block_merge_config_selectorIiNS0_10empty_typeEEEZZNS1_27merge_sort_block_merge_implIS3_N6thrust23THRUST_200600_302600_NS6detail15normal_iteratorINS9_10device_ptrIiEEEEPS5_jNS1_19radix_merge_compareILb1ELb1EiNS0_19identity_decomposerEEEEE10hipError_tT0_T1_T2_jT3_P12ihipStream_tbPNSt15iterator_traitsISK_E10value_typeEPNSQ_ISL_E10value_typeEPSM_NS1_7vsmem_tEENKUlT_SK_SL_SM_E_clIPiSE_SF_SF_EESJ_SZ_SK_SL_SM_EUlSZ_E0_NS1_11comp_targetILNS1_3genE4ELNS1_11target_archE910ELNS1_3gpuE8ELNS1_3repE0EEENS1_38merge_mergepath_config_static_selectorELNS0_4arch9wavefront6targetE0EEEvSL_ ; -- Begin function _ZN7rocprim17ROCPRIM_400000_NS6detail17trampoline_kernelINS0_14default_configENS1_38merge_sort_block_merge_config_selectorIiNS0_10empty_typeEEEZZNS1_27merge_sort_block_merge_implIS3_N6thrust23THRUST_200600_302600_NS6detail15normal_iteratorINS9_10device_ptrIiEEEEPS5_jNS1_19radix_merge_compareILb1ELb1EiNS0_19identity_decomposerEEEEE10hipError_tT0_T1_T2_jT3_P12ihipStream_tbPNSt15iterator_traitsISK_E10value_typeEPNSQ_ISL_E10value_typeEPSM_NS1_7vsmem_tEENKUlT_SK_SL_SM_E_clIPiSE_SF_SF_EESJ_SZ_SK_SL_SM_EUlSZ_E0_NS1_11comp_targetILNS1_3genE4ELNS1_11target_archE910ELNS1_3gpuE8ELNS1_3repE0EEENS1_38merge_mergepath_config_static_selectorELNS0_4arch9wavefront6targetE0EEEvSL_
	.globl	_ZN7rocprim17ROCPRIM_400000_NS6detail17trampoline_kernelINS0_14default_configENS1_38merge_sort_block_merge_config_selectorIiNS0_10empty_typeEEEZZNS1_27merge_sort_block_merge_implIS3_N6thrust23THRUST_200600_302600_NS6detail15normal_iteratorINS9_10device_ptrIiEEEEPS5_jNS1_19radix_merge_compareILb1ELb1EiNS0_19identity_decomposerEEEEE10hipError_tT0_T1_T2_jT3_P12ihipStream_tbPNSt15iterator_traitsISK_E10value_typeEPNSQ_ISL_E10value_typeEPSM_NS1_7vsmem_tEENKUlT_SK_SL_SM_E_clIPiSE_SF_SF_EESJ_SZ_SK_SL_SM_EUlSZ_E0_NS1_11comp_targetILNS1_3genE4ELNS1_11target_archE910ELNS1_3gpuE8ELNS1_3repE0EEENS1_38merge_mergepath_config_static_selectorELNS0_4arch9wavefront6targetE0EEEvSL_
	.p2align	8
	.type	_ZN7rocprim17ROCPRIM_400000_NS6detail17trampoline_kernelINS0_14default_configENS1_38merge_sort_block_merge_config_selectorIiNS0_10empty_typeEEEZZNS1_27merge_sort_block_merge_implIS3_N6thrust23THRUST_200600_302600_NS6detail15normal_iteratorINS9_10device_ptrIiEEEEPS5_jNS1_19radix_merge_compareILb1ELb1EiNS0_19identity_decomposerEEEEE10hipError_tT0_T1_T2_jT3_P12ihipStream_tbPNSt15iterator_traitsISK_E10value_typeEPNSQ_ISL_E10value_typeEPSM_NS1_7vsmem_tEENKUlT_SK_SL_SM_E_clIPiSE_SF_SF_EESJ_SZ_SK_SL_SM_EUlSZ_E0_NS1_11comp_targetILNS1_3genE4ELNS1_11target_archE910ELNS1_3gpuE8ELNS1_3repE0EEENS1_38merge_mergepath_config_static_selectorELNS0_4arch9wavefront6targetE0EEEvSL_,@function
_ZN7rocprim17ROCPRIM_400000_NS6detail17trampoline_kernelINS0_14default_configENS1_38merge_sort_block_merge_config_selectorIiNS0_10empty_typeEEEZZNS1_27merge_sort_block_merge_implIS3_N6thrust23THRUST_200600_302600_NS6detail15normal_iteratorINS9_10device_ptrIiEEEEPS5_jNS1_19radix_merge_compareILb1ELb1EiNS0_19identity_decomposerEEEEE10hipError_tT0_T1_T2_jT3_P12ihipStream_tbPNSt15iterator_traitsISK_E10value_typeEPNSQ_ISL_E10value_typeEPSM_NS1_7vsmem_tEENKUlT_SK_SL_SM_E_clIPiSE_SF_SF_EESJ_SZ_SK_SL_SM_EUlSZ_E0_NS1_11comp_targetILNS1_3genE4ELNS1_11target_archE910ELNS1_3gpuE8ELNS1_3repE0EEENS1_38merge_mergepath_config_static_selectorELNS0_4arch9wavefront6targetE0EEEvSL_: ; @_ZN7rocprim17ROCPRIM_400000_NS6detail17trampoline_kernelINS0_14default_configENS1_38merge_sort_block_merge_config_selectorIiNS0_10empty_typeEEEZZNS1_27merge_sort_block_merge_implIS3_N6thrust23THRUST_200600_302600_NS6detail15normal_iteratorINS9_10device_ptrIiEEEEPS5_jNS1_19radix_merge_compareILb1ELb1EiNS0_19identity_decomposerEEEEE10hipError_tT0_T1_T2_jT3_P12ihipStream_tbPNSt15iterator_traitsISK_E10value_typeEPNSQ_ISL_E10value_typeEPSM_NS1_7vsmem_tEENKUlT_SK_SL_SM_E_clIPiSE_SF_SF_EESJ_SZ_SK_SL_SM_EUlSZ_E0_NS1_11comp_targetILNS1_3genE4ELNS1_11target_archE910ELNS1_3gpuE8ELNS1_3repE0EEENS1_38merge_mergepath_config_static_selectorELNS0_4arch9wavefront6targetE0EEEvSL_
; %bb.0:
	.section	.rodata,"a",@progbits
	.p2align	6, 0x0
	.amdhsa_kernel _ZN7rocprim17ROCPRIM_400000_NS6detail17trampoline_kernelINS0_14default_configENS1_38merge_sort_block_merge_config_selectorIiNS0_10empty_typeEEEZZNS1_27merge_sort_block_merge_implIS3_N6thrust23THRUST_200600_302600_NS6detail15normal_iteratorINS9_10device_ptrIiEEEEPS5_jNS1_19radix_merge_compareILb1ELb1EiNS0_19identity_decomposerEEEEE10hipError_tT0_T1_T2_jT3_P12ihipStream_tbPNSt15iterator_traitsISK_E10value_typeEPNSQ_ISL_E10value_typeEPSM_NS1_7vsmem_tEENKUlT_SK_SL_SM_E_clIPiSE_SF_SF_EESJ_SZ_SK_SL_SM_EUlSZ_E0_NS1_11comp_targetILNS1_3genE4ELNS1_11target_archE910ELNS1_3gpuE8ELNS1_3repE0EEENS1_38merge_mergepath_config_static_selectorELNS0_4arch9wavefront6targetE0EEEvSL_
		.amdhsa_group_segment_fixed_size 0
		.amdhsa_private_segment_fixed_size 0
		.amdhsa_kernarg_size 64
		.amdhsa_user_sgpr_count 6
		.amdhsa_user_sgpr_private_segment_buffer 1
		.amdhsa_user_sgpr_dispatch_ptr 0
		.amdhsa_user_sgpr_queue_ptr 0
		.amdhsa_user_sgpr_kernarg_segment_ptr 1
		.amdhsa_user_sgpr_dispatch_id 0
		.amdhsa_user_sgpr_flat_scratch_init 0
		.amdhsa_user_sgpr_private_segment_size 0
		.amdhsa_wavefront_size32 1
		.amdhsa_uses_dynamic_stack 0
		.amdhsa_system_sgpr_private_segment_wavefront_offset 0
		.amdhsa_system_sgpr_workgroup_id_x 1
		.amdhsa_system_sgpr_workgroup_id_y 0
		.amdhsa_system_sgpr_workgroup_id_z 0
		.amdhsa_system_sgpr_workgroup_info 0
		.amdhsa_system_vgpr_workitem_id 0
		.amdhsa_next_free_vgpr 1
		.amdhsa_next_free_sgpr 1
		.amdhsa_reserve_vcc 0
		.amdhsa_reserve_flat_scratch 0
		.amdhsa_float_round_mode_32 0
		.amdhsa_float_round_mode_16_64 0
		.amdhsa_float_denorm_mode_32 3
		.amdhsa_float_denorm_mode_16_64 3
		.amdhsa_dx10_clamp 1
		.amdhsa_ieee_mode 1
		.amdhsa_fp16_overflow 0
		.amdhsa_workgroup_processor_mode 1
		.amdhsa_memory_ordered 1
		.amdhsa_forward_progress 1
		.amdhsa_shared_vgpr_count 0
		.amdhsa_exception_fp_ieee_invalid_op 0
		.amdhsa_exception_fp_denorm_src 0
		.amdhsa_exception_fp_ieee_div_zero 0
		.amdhsa_exception_fp_ieee_overflow 0
		.amdhsa_exception_fp_ieee_underflow 0
		.amdhsa_exception_fp_ieee_inexact 0
		.amdhsa_exception_int_div_zero 0
	.end_amdhsa_kernel
	.section	.text._ZN7rocprim17ROCPRIM_400000_NS6detail17trampoline_kernelINS0_14default_configENS1_38merge_sort_block_merge_config_selectorIiNS0_10empty_typeEEEZZNS1_27merge_sort_block_merge_implIS3_N6thrust23THRUST_200600_302600_NS6detail15normal_iteratorINS9_10device_ptrIiEEEEPS5_jNS1_19radix_merge_compareILb1ELb1EiNS0_19identity_decomposerEEEEE10hipError_tT0_T1_T2_jT3_P12ihipStream_tbPNSt15iterator_traitsISK_E10value_typeEPNSQ_ISL_E10value_typeEPSM_NS1_7vsmem_tEENKUlT_SK_SL_SM_E_clIPiSE_SF_SF_EESJ_SZ_SK_SL_SM_EUlSZ_E0_NS1_11comp_targetILNS1_3genE4ELNS1_11target_archE910ELNS1_3gpuE8ELNS1_3repE0EEENS1_38merge_mergepath_config_static_selectorELNS0_4arch9wavefront6targetE0EEEvSL_,"axG",@progbits,_ZN7rocprim17ROCPRIM_400000_NS6detail17trampoline_kernelINS0_14default_configENS1_38merge_sort_block_merge_config_selectorIiNS0_10empty_typeEEEZZNS1_27merge_sort_block_merge_implIS3_N6thrust23THRUST_200600_302600_NS6detail15normal_iteratorINS9_10device_ptrIiEEEEPS5_jNS1_19radix_merge_compareILb1ELb1EiNS0_19identity_decomposerEEEEE10hipError_tT0_T1_T2_jT3_P12ihipStream_tbPNSt15iterator_traitsISK_E10value_typeEPNSQ_ISL_E10value_typeEPSM_NS1_7vsmem_tEENKUlT_SK_SL_SM_E_clIPiSE_SF_SF_EESJ_SZ_SK_SL_SM_EUlSZ_E0_NS1_11comp_targetILNS1_3genE4ELNS1_11target_archE910ELNS1_3gpuE8ELNS1_3repE0EEENS1_38merge_mergepath_config_static_selectorELNS0_4arch9wavefront6targetE0EEEvSL_,comdat
.Lfunc_end281:
	.size	_ZN7rocprim17ROCPRIM_400000_NS6detail17trampoline_kernelINS0_14default_configENS1_38merge_sort_block_merge_config_selectorIiNS0_10empty_typeEEEZZNS1_27merge_sort_block_merge_implIS3_N6thrust23THRUST_200600_302600_NS6detail15normal_iteratorINS9_10device_ptrIiEEEEPS5_jNS1_19radix_merge_compareILb1ELb1EiNS0_19identity_decomposerEEEEE10hipError_tT0_T1_T2_jT3_P12ihipStream_tbPNSt15iterator_traitsISK_E10value_typeEPNSQ_ISL_E10value_typeEPSM_NS1_7vsmem_tEENKUlT_SK_SL_SM_E_clIPiSE_SF_SF_EESJ_SZ_SK_SL_SM_EUlSZ_E0_NS1_11comp_targetILNS1_3genE4ELNS1_11target_archE910ELNS1_3gpuE8ELNS1_3repE0EEENS1_38merge_mergepath_config_static_selectorELNS0_4arch9wavefront6targetE0EEEvSL_, .Lfunc_end281-_ZN7rocprim17ROCPRIM_400000_NS6detail17trampoline_kernelINS0_14default_configENS1_38merge_sort_block_merge_config_selectorIiNS0_10empty_typeEEEZZNS1_27merge_sort_block_merge_implIS3_N6thrust23THRUST_200600_302600_NS6detail15normal_iteratorINS9_10device_ptrIiEEEEPS5_jNS1_19radix_merge_compareILb1ELb1EiNS0_19identity_decomposerEEEEE10hipError_tT0_T1_T2_jT3_P12ihipStream_tbPNSt15iterator_traitsISK_E10value_typeEPNSQ_ISL_E10value_typeEPSM_NS1_7vsmem_tEENKUlT_SK_SL_SM_E_clIPiSE_SF_SF_EESJ_SZ_SK_SL_SM_EUlSZ_E0_NS1_11comp_targetILNS1_3genE4ELNS1_11target_archE910ELNS1_3gpuE8ELNS1_3repE0EEENS1_38merge_mergepath_config_static_selectorELNS0_4arch9wavefront6targetE0EEEvSL_
                                        ; -- End function
	.set _ZN7rocprim17ROCPRIM_400000_NS6detail17trampoline_kernelINS0_14default_configENS1_38merge_sort_block_merge_config_selectorIiNS0_10empty_typeEEEZZNS1_27merge_sort_block_merge_implIS3_N6thrust23THRUST_200600_302600_NS6detail15normal_iteratorINS9_10device_ptrIiEEEEPS5_jNS1_19radix_merge_compareILb1ELb1EiNS0_19identity_decomposerEEEEE10hipError_tT0_T1_T2_jT3_P12ihipStream_tbPNSt15iterator_traitsISK_E10value_typeEPNSQ_ISL_E10value_typeEPSM_NS1_7vsmem_tEENKUlT_SK_SL_SM_E_clIPiSE_SF_SF_EESJ_SZ_SK_SL_SM_EUlSZ_E0_NS1_11comp_targetILNS1_3genE4ELNS1_11target_archE910ELNS1_3gpuE8ELNS1_3repE0EEENS1_38merge_mergepath_config_static_selectorELNS0_4arch9wavefront6targetE0EEEvSL_.num_vgpr, 0
	.set _ZN7rocprim17ROCPRIM_400000_NS6detail17trampoline_kernelINS0_14default_configENS1_38merge_sort_block_merge_config_selectorIiNS0_10empty_typeEEEZZNS1_27merge_sort_block_merge_implIS3_N6thrust23THRUST_200600_302600_NS6detail15normal_iteratorINS9_10device_ptrIiEEEEPS5_jNS1_19radix_merge_compareILb1ELb1EiNS0_19identity_decomposerEEEEE10hipError_tT0_T1_T2_jT3_P12ihipStream_tbPNSt15iterator_traitsISK_E10value_typeEPNSQ_ISL_E10value_typeEPSM_NS1_7vsmem_tEENKUlT_SK_SL_SM_E_clIPiSE_SF_SF_EESJ_SZ_SK_SL_SM_EUlSZ_E0_NS1_11comp_targetILNS1_3genE4ELNS1_11target_archE910ELNS1_3gpuE8ELNS1_3repE0EEENS1_38merge_mergepath_config_static_selectorELNS0_4arch9wavefront6targetE0EEEvSL_.num_agpr, 0
	.set _ZN7rocprim17ROCPRIM_400000_NS6detail17trampoline_kernelINS0_14default_configENS1_38merge_sort_block_merge_config_selectorIiNS0_10empty_typeEEEZZNS1_27merge_sort_block_merge_implIS3_N6thrust23THRUST_200600_302600_NS6detail15normal_iteratorINS9_10device_ptrIiEEEEPS5_jNS1_19radix_merge_compareILb1ELb1EiNS0_19identity_decomposerEEEEE10hipError_tT0_T1_T2_jT3_P12ihipStream_tbPNSt15iterator_traitsISK_E10value_typeEPNSQ_ISL_E10value_typeEPSM_NS1_7vsmem_tEENKUlT_SK_SL_SM_E_clIPiSE_SF_SF_EESJ_SZ_SK_SL_SM_EUlSZ_E0_NS1_11comp_targetILNS1_3genE4ELNS1_11target_archE910ELNS1_3gpuE8ELNS1_3repE0EEENS1_38merge_mergepath_config_static_selectorELNS0_4arch9wavefront6targetE0EEEvSL_.numbered_sgpr, 0
	.set _ZN7rocprim17ROCPRIM_400000_NS6detail17trampoline_kernelINS0_14default_configENS1_38merge_sort_block_merge_config_selectorIiNS0_10empty_typeEEEZZNS1_27merge_sort_block_merge_implIS3_N6thrust23THRUST_200600_302600_NS6detail15normal_iteratorINS9_10device_ptrIiEEEEPS5_jNS1_19radix_merge_compareILb1ELb1EiNS0_19identity_decomposerEEEEE10hipError_tT0_T1_T2_jT3_P12ihipStream_tbPNSt15iterator_traitsISK_E10value_typeEPNSQ_ISL_E10value_typeEPSM_NS1_7vsmem_tEENKUlT_SK_SL_SM_E_clIPiSE_SF_SF_EESJ_SZ_SK_SL_SM_EUlSZ_E0_NS1_11comp_targetILNS1_3genE4ELNS1_11target_archE910ELNS1_3gpuE8ELNS1_3repE0EEENS1_38merge_mergepath_config_static_selectorELNS0_4arch9wavefront6targetE0EEEvSL_.num_named_barrier, 0
	.set _ZN7rocprim17ROCPRIM_400000_NS6detail17trampoline_kernelINS0_14default_configENS1_38merge_sort_block_merge_config_selectorIiNS0_10empty_typeEEEZZNS1_27merge_sort_block_merge_implIS3_N6thrust23THRUST_200600_302600_NS6detail15normal_iteratorINS9_10device_ptrIiEEEEPS5_jNS1_19radix_merge_compareILb1ELb1EiNS0_19identity_decomposerEEEEE10hipError_tT0_T1_T2_jT3_P12ihipStream_tbPNSt15iterator_traitsISK_E10value_typeEPNSQ_ISL_E10value_typeEPSM_NS1_7vsmem_tEENKUlT_SK_SL_SM_E_clIPiSE_SF_SF_EESJ_SZ_SK_SL_SM_EUlSZ_E0_NS1_11comp_targetILNS1_3genE4ELNS1_11target_archE910ELNS1_3gpuE8ELNS1_3repE0EEENS1_38merge_mergepath_config_static_selectorELNS0_4arch9wavefront6targetE0EEEvSL_.private_seg_size, 0
	.set _ZN7rocprim17ROCPRIM_400000_NS6detail17trampoline_kernelINS0_14default_configENS1_38merge_sort_block_merge_config_selectorIiNS0_10empty_typeEEEZZNS1_27merge_sort_block_merge_implIS3_N6thrust23THRUST_200600_302600_NS6detail15normal_iteratorINS9_10device_ptrIiEEEEPS5_jNS1_19radix_merge_compareILb1ELb1EiNS0_19identity_decomposerEEEEE10hipError_tT0_T1_T2_jT3_P12ihipStream_tbPNSt15iterator_traitsISK_E10value_typeEPNSQ_ISL_E10value_typeEPSM_NS1_7vsmem_tEENKUlT_SK_SL_SM_E_clIPiSE_SF_SF_EESJ_SZ_SK_SL_SM_EUlSZ_E0_NS1_11comp_targetILNS1_3genE4ELNS1_11target_archE910ELNS1_3gpuE8ELNS1_3repE0EEENS1_38merge_mergepath_config_static_selectorELNS0_4arch9wavefront6targetE0EEEvSL_.uses_vcc, 0
	.set _ZN7rocprim17ROCPRIM_400000_NS6detail17trampoline_kernelINS0_14default_configENS1_38merge_sort_block_merge_config_selectorIiNS0_10empty_typeEEEZZNS1_27merge_sort_block_merge_implIS3_N6thrust23THRUST_200600_302600_NS6detail15normal_iteratorINS9_10device_ptrIiEEEEPS5_jNS1_19radix_merge_compareILb1ELb1EiNS0_19identity_decomposerEEEEE10hipError_tT0_T1_T2_jT3_P12ihipStream_tbPNSt15iterator_traitsISK_E10value_typeEPNSQ_ISL_E10value_typeEPSM_NS1_7vsmem_tEENKUlT_SK_SL_SM_E_clIPiSE_SF_SF_EESJ_SZ_SK_SL_SM_EUlSZ_E0_NS1_11comp_targetILNS1_3genE4ELNS1_11target_archE910ELNS1_3gpuE8ELNS1_3repE0EEENS1_38merge_mergepath_config_static_selectorELNS0_4arch9wavefront6targetE0EEEvSL_.uses_flat_scratch, 0
	.set _ZN7rocprim17ROCPRIM_400000_NS6detail17trampoline_kernelINS0_14default_configENS1_38merge_sort_block_merge_config_selectorIiNS0_10empty_typeEEEZZNS1_27merge_sort_block_merge_implIS3_N6thrust23THRUST_200600_302600_NS6detail15normal_iteratorINS9_10device_ptrIiEEEEPS5_jNS1_19radix_merge_compareILb1ELb1EiNS0_19identity_decomposerEEEEE10hipError_tT0_T1_T2_jT3_P12ihipStream_tbPNSt15iterator_traitsISK_E10value_typeEPNSQ_ISL_E10value_typeEPSM_NS1_7vsmem_tEENKUlT_SK_SL_SM_E_clIPiSE_SF_SF_EESJ_SZ_SK_SL_SM_EUlSZ_E0_NS1_11comp_targetILNS1_3genE4ELNS1_11target_archE910ELNS1_3gpuE8ELNS1_3repE0EEENS1_38merge_mergepath_config_static_selectorELNS0_4arch9wavefront6targetE0EEEvSL_.has_dyn_sized_stack, 0
	.set _ZN7rocprim17ROCPRIM_400000_NS6detail17trampoline_kernelINS0_14default_configENS1_38merge_sort_block_merge_config_selectorIiNS0_10empty_typeEEEZZNS1_27merge_sort_block_merge_implIS3_N6thrust23THRUST_200600_302600_NS6detail15normal_iteratorINS9_10device_ptrIiEEEEPS5_jNS1_19radix_merge_compareILb1ELb1EiNS0_19identity_decomposerEEEEE10hipError_tT0_T1_T2_jT3_P12ihipStream_tbPNSt15iterator_traitsISK_E10value_typeEPNSQ_ISL_E10value_typeEPSM_NS1_7vsmem_tEENKUlT_SK_SL_SM_E_clIPiSE_SF_SF_EESJ_SZ_SK_SL_SM_EUlSZ_E0_NS1_11comp_targetILNS1_3genE4ELNS1_11target_archE910ELNS1_3gpuE8ELNS1_3repE0EEENS1_38merge_mergepath_config_static_selectorELNS0_4arch9wavefront6targetE0EEEvSL_.has_recursion, 0
	.set _ZN7rocprim17ROCPRIM_400000_NS6detail17trampoline_kernelINS0_14default_configENS1_38merge_sort_block_merge_config_selectorIiNS0_10empty_typeEEEZZNS1_27merge_sort_block_merge_implIS3_N6thrust23THRUST_200600_302600_NS6detail15normal_iteratorINS9_10device_ptrIiEEEEPS5_jNS1_19radix_merge_compareILb1ELb1EiNS0_19identity_decomposerEEEEE10hipError_tT0_T1_T2_jT3_P12ihipStream_tbPNSt15iterator_traitsISK_E10value_typeEPNSQ_ISL_E10value_typeEPSM_NS1_7vsmem_tEENKUlT_SK_SL_SM_E_clIPiSE_SF_SF_EESJ_SZ_SK_SL_SM_EUlSZ_E0_NS1_11comp_targetILNS1_3genE4ELNS1_11target_archE910ELNS1_3gpuE8ELNS1_3repE0EEENS1_38merge_mergepath_config_static_selectorELNS0_4arch9wavefront6targetE0EEEvSL_.has_indirect_call, 0
	.section	.AMDGPU.csdata,"",@progbits
; Kernel info:
; codeLenInByte = 0
; TotalNumSgprs: 0
; NumVgprs: 0
; ScratchSize: 0
; MemoryBound: 0
; FloatMode: 240
; IeeeMode: 1
; LDSByteSize: 0 bytes/workgroup (compile time only)
; SGPRBlocks: 0
; VGPRBlocks: 0
; NumSGPRsForWavesPerEU: 1
; NumVGPRsForWavesPerEU: 1
; Occupancy: 16
; WaveLimiterHint : 0
; COMPUTE_PGM_RSRC2:SCRATCH_EN: 0
; COMPUTE_PGM_RSRC2:USER_SGPR: 6
; COMPUTE_PGM_RSRC2:TRAP_HANDLER: 0
; COMPUTE_PGM_RSRC2:TGID_X_EN: 1
; COMPUTE_PGM_RSRC2:TGID_Y_EN: 0
; COMPUTE_PGM_RSRC2:TGID_Z_EN: 0
; COMPUTE_PGM_RSRC2:TIDIG_COMP_CNT: 0
	.section	.text._ZN7rocprim17ROCPRIM_400000_NS6detail17trampoline_kernelINS0_14default_configENS1_38merge_sort_block_merge_config_selectorIiNS0_10empty_typeEEEZZNS1_27merge_sort_block_merge_implIS3_N6thrust23THRUST_200600_302600_NS6detail15normal_iteratorINS9_10device_ptrIiEEEEPS5_jNS1_19radix_merge_compareILb1ELb1EiNS0_19identity_decomposerEEEEE10hipError_tT0_T1_T2_jT3_P12ihipStream_tbPNSt15iterator_traitsISK_E10value_typeEPNSQ_ISL_E10value_typeEPSM_NS1_7vsmem_tEENKUlT_SK_SL_SM_E_clIPiSE_SF_SF_EESJ_SZ_SK_SL_SM_EUlSZ_E0_NS1_11comp_targetILNS1_3genE3ELNS1_11target_archE908ELNS1_3gpuE7ELNS1_3repE0EEENS1_38merge_mergepath_config_static_selectorELNS0_4arch9wavefront6targetE0EEEvSL_,"axG",@progbits,_ZN7rocprim17ROCPRIM_400000_NS6detail17trampoline_kernelINS0_14default_configENS1_38merge_sort_block_merge_config_selectorIiNS0_10empty_typeEEEZZNS1_27merge_sort_block_merge_implIS3_N6thrust23THRUST_200600_302600_NS6detail15normal_iteratorINS9_10device_ptrIiEEEEPS5_jNS1_19radix_merge_compareILb1ELb1EiNS0_19identity_decomposerEEEEE10hipError_tT0_T1_T2_jT3_P12ihipStream_tbPNSt15iterator_traitsISK_E10value_typeEPNSQ_ISL_E10value_typeEPSM_NS1_7vsmem_tEENKUlT_SK_SL_SM_E_clIPiSE_SF_SF_EESJ_SZ_SK_SL_SM_EUlSZ_E0_NS1_11comp_targetILNS1_3genE3ELNS1_11target_archE908ELNS1_3gpuE7ELNS1_3repE0EEENS1_38merge_mergepath_config_static_selectorELNS0_4arch9wavefront6targetE0EEEvSL_,comdat
	.protected	_ZN7rocprim17ROCPRIM_400000_NS6detail17trampoline_kernelINS0_14default_configENS1_38merge_sort_block_merge_config_selectorIiNS0_10empty_typeEEEZZNS1_27merge_sort_block_merge_implIS3_N6thrust23THRUST_200600_302600_NS6detail15normal_iteratorINS9_10device_ptrIiEEEEPS5_jNS1_19radix_merge_compareILb1ELb1EiNS0_19identity_decomposerEEEEE10hipError_tT0_T1_T2_jT3_P12ihipStream_tbPNSt15iterator_traitsISK_E10value_typeEPNSQ_ISL_E10value_typeEPSM_NS1_7vsmem_tEENKUlT_SK_SL_SM_E_clIPiSE_SF_SF_EESJ_SZ_SK_SL_SM_EUlSZ_E0_NS1_11comp_targetILNS1_3genE3ELNS1_11target_archE908ELNS1_3gpuE7ELNS1_3repE0EEENS1_38merge_mergepath_config_static_selectorELNS0_4arch9wavefront6targetE0EEEvSL_ ; -- Begin function _ZN7rocprim17ROCPRIM_400000_NS6detail17trampoline_kernelINS0_14default_configENS1_38merge_sort_block_merge_config_selectorIiNS0_10empty_typeEEEZZNS1_27merge_sort_block_merge_implIS3_N6thrust23THRUST_200600_302600_NS6detail15normal_iteratorINS9_10device_ptrIiEEEEPS5_jNS1_19radix_merge_compareILb1ELb1EiNS0_19identity_decomposerEEEEE10hipError_tT0_T1_T2_jT3_P12ihipStream_tbPNSt15iterator_traitsISK_E10value_typeEPNSQ_ISL_E10value_typeEPSM_NS1_7vsmem_tEENKUlT_SK_SL_SM_E_clIPiSE_SF_SF_EESJ_SZ_SK_SL_SM_EUlSZ_E0_NS1_11comp_targetILNS1_3genE3ELNS1_11target_archE908ELNS1_3gpuE7ELNS1_3repE0EEENS1_38merge_mergepath_config_static_selectorELNS0_4arch9wavefront6targetE0EEEvSL_
	.globl	_ZN7rocprim17ROCPRIM_400000_NS6detail17trampoline_kernelINS0_14default_configENS1_38merge_sort_block_merge_config_selectorIiNS0_10empty_typeEEEZZNS1_27merge_sort_block_merge_implIS3_N6thrust23THRUST_200600_302600_NS6detail15normal_iteratorINS9_10device_ptrIiEEEEPS5_jNS1_19radix_merge_compareILb1ELb1EiNS0_19identity_decomposerEEEEE10hipError_tT0_T1_T2_jT3_P12ihipStream_tbPNSt15iterator_traitsISK_E10value_typeEPNSQ_ISL_E10value_typeEPSM_NS1_7vsmem_tEENKUlT_SK_SL_SM_E_clIPiSE_SF_SF_EESJ_SZ_SK_SL_SM_EUlSZ_E0_NS1_11comp_targetILNS1_3genE3ELNS1_11target_archE908ELNS1_3gpuE7ELNS1_3repE0EEENS1_38merge_mergepath_config_static_selectorELNS0_4arch9wavefront6targetE0EEEvSL_
	.p2align	8
	.type	_ZN7rocprim17ROCPRIM_400000_NS6detail17trampoline_kernelINS0_14default_configENS1_38merge_sort_block_merge_config_selectorIiNS0_10empty_typeEEEZZNS1_27merge_sort_block_merge_implIS3_N6thrust23THRUST_200600_302600_NS6detail15normal_iteratorINS9_10device_ptrIiEEEEPS5_jNS1_19radix_merge_compareILb1ELb1EiNS0_19identity_decomposerEEEEE10hipError_tT0_T1_T2_jT3_P12ihipStream_tbPNSt15iterator_traitsISK_E10value_typeEPNSQ_ISL_E10value_typeEPSM_NS1_7vsmem_tEENKUlT_SK_SL_SM_E_clIPiSE_SF_SF_EESJ_SZ_SK_SL_SM_EUlSZ_E0_NS1_11comp_targetILNS1_3genE3ELNS1_11target_archE908ELNS1_3gpuE7ELNS1_3repE0EEENS1_38merge_mergepath_config_static_selectorELNS0_4arch9wavefront6targetE0EEEvSL_,@function
_ZN7rocprim17ROCPRIM_400000_NS6detail17trampoline_kernelINS0_14default_configENS1_38merge_sort_block_merge_config_selectorIiNS0_10empty_typeEEEZZNS1_27merge_sort_block_merge_implIS3_N6thrust23THRUST_200600_302600_NS6detail15normal_iteratorINS9_10device_ptrIiEEEEPS5_jNS1_19radix_merge_compareILb1ELb1EiNS0_19identity_decomposerEEEEE10hipError_tT0_T1_T2_jT3_P12ihipStream_tbPNSt15iterator_traitsISK_E10value_typeEPNSQ_ISL_E10value_typeEPSM_NS1_7vsmem_tEENKUlT_SK_SL_SM_E_clIPiSE_SF_SF_EESJ_SZ_SK_SL_SM_EUlSZ_E0_NS1_11comp_targetILNS1_3genE3ELNS1_11target_archE908ELNS1_3gpuE7ELNS1_3repE0EEENS1_38merge_mergepath_config_static_selectorELNS0_4arch9wavefront6targetE0EEEvSL_: ; @_ZN7rocprim17ROCPRIM_400000_NS6detail17trampoline_kernelINS0_14default_configENS1_38merge_sort_block_merge_config_selectorIiNS0_10empty_typeEEEZZNS1_27merge_sort_block_merge_implIS3_N6thrust23THRUST_200600_302600_NS6detail15normal_iteratorINS9_10device_ptrIiEEEEPS5_jNS1_19radix_merge_compareILb1ELb1EiNS0_19identity_decomposerEEEEE10hipError_tT0_T1_T2_jT3_P12ihipStream_tbPNSt15iterator_traitsISK_E10value_typeEPNSQ_ISL_E10value_typeEPSM_NS1_7vsmem_tEENKUlT_SK_SL_SM_E_clIPiSE_SF_SF_EESJ_SZ_SK_SL_SM_EUlSZ_E0_NS1_11comp_targetILNS1_3genE3ELNS1_11target_archE908ELNS1_3gpuE7ELNS1_3repE0EEENS1_38merge_mergepath_config_static_selectorELNS0_4arch9wavefront6targetE0EEEvSL_
; %bb.0:
	.section	.rodata,"a",@progbits
	.p2align	6, 0x0
	.amdhsa_kernel _ZN7rocprim17ROCPRIM_400000_NS6detail17trampoline_kernelINS0_14default_configENS1_38merge_sort_block_merge_config_selectorIiNS0_10empty_typeEEEZZNS1_27merge_sort_block_merge_implIS3_N6thrust23THRUST_200600_302600_NS6detail15normal_iteratorINS9_10device_ptrIiEEEEPS5_jNS1_19radix_merge_compareILb1ELb1EiNS0_19identity_decomposerEEEEE10hipError_tT0_T1_T2_jT3_P12ihipStream_tbPNSt15iterator_traitsISK_E10value_typeEPNSQ_ISL_E10value_typeEPSM_NS1_7vsmem_tEENKUlT_SK_SL_SM_E_clIPiSE_SF_SF_EESJ_SZ_SK_SL_SM_EUlSZ_E0_NS1_11comp_targetILNS1_3genE3ELNS1_11target_archE908ELNS1_3gpuE7ELNS1_3repE0EEENS1_38merge_mergepath_config_static_selectorELNS0_4arch9wavefront6targetE0EEEvSL_
		.amdhsa_group_segment_fixed_size 0
		.amdhsa_private_segment_fixed_size 0
		.amdhsa_kernarg_size 64
		.amdhsa_user_sgpr_count 6
		.amdhsa_user_sgpr_private_segment_buffer 1
		.amdhsa_user_sgpr_dispatch_ptr 0
		.amdhsa_user_sgpr_queue_ptr 0
		.amdhsa_user_sgpr_kernarg_segment_ptr 1
		.amdhsa_user_sgpr_dispatch_id 0
		.amdhsa_user_sgpr_flat_scratch_init 0
		.amdhsa_user_sgpr_private_segment_size 0
		.amdhsa_wavefront_size32 1
		.amdhsa_uses_dynamic_stack 0
		.amdhsa_system_sgpr_private_segment_wavefront_offset 0
		.amdhsa_system_sgpr_workgroup_id_x 1
		.amdhsa_system_sgpr_workgroup_id_y 0
		.amdhsa_system_sgpr_workgroup_id_z 0
		.amdhsa_system_sgpr_workgroup_info 0
		.amdhsa_system_vgpr_workitem_id 0
		.amdhsa_next_free_vgpr 1
		.amdhsa_next_free_sgpr 1
		.amdhsa_reserve_vcc 0
		.amdhsa_reserve_flat_scratch 0
		.amdhsa_float_round_mode_32 0
		.amdhsa_float_round_mode_16_64 0
		.amdhsa_float_denorm_mode_32 3
		.amdhsa_float_denorm_mode_16_64 3
		.amdhsa_dx10_clamp 1
		.amdhsa_ieee_mode 1
		.amdhsa_fp16_overflow 0
		.amdhsa_workgroup_processor_mode 1
		.amdhsa_memory_ordered 1
		.amdhsa_forward_progress 1
		.amdhsa_shared_vgpr_count 0
		.amdhsa_exception_fp_ieee_invalid_op 0
		.amdhsa_exception_fp_denorm_src 0
		.amdhsa_exception_fp_ieee_div_zero 0
		.amdhsa_exception_fp_ieee_overflow 0
		.amdhsa_exception_fp_ieee_underflow 0
		.amdhsa_exception_fp_ieee_inexact 0
		.amdhsa_exception_int_div_zero 0
	.end_amdhsa_kernel
	.section	.text._ZN7rocprim17ROCPRIM_400000_NS6detail17trampoline_kernelINS0_14default_configENS1_38merge_sort_block_merge_config_selectorIiNS0_10empty_typeEEEZZNS1_27merge_sort_block_merge_implIS3_N6thrust23THRUST_200600_302600_NS6detail15normal_iteratorINS9_10device_ptrIiEEEEPS5_jNS1_19radix_merge_compareILb1ELb1EiNS0_19identity_decomposerEEEEE10hipError_tT0_T1_T2_jT3_P12ihipStream_tbPNSt15iterator_traitsISK_E10value_typeEPNSQ_ISL_E10value_typeEPSM_NS1_7vsmem_tEENKUlT_SK_SL_SM_E_clIPiSE_SF_SF_EESJ_SZ_SK_SL_SM_EUlSZ_E0_NS1_11comp_targetILNS1_3genE3ELNS1_11target_archE908ELNS1_3gpuE7ELNS1_3repE0EEENS1_38merge_mergepath_config_static_selectorELNS0_4arch9wavefront6targetE0EEEvSL_,"axG",@progbits,_ZN7rocprim17ROCPRIM_400000_NS6detail17trampoline_kernelINS0_14default_configENS1_38merge_sort_block_merge_config_selectorIiNS0_10empty_typeEEEZZNS1_27merge_sort_block_merge_implIS3_N6thrust23THRUST_200600_302600_NS6detail15normal_iteratorINS9_10device_ptrIiEEEEPS5_jNS1_19radix_merge_compareILb1ELb1EiNS0_19identity_decomposerEEEEE10hipError_tT0_T1_T2_jT3_P12ihipStream_tbPNSt15iterator_traitsISK_E10value_typeEPNSQ_ISL_E10value_typeEPSM_NS1_7vsmem_tEENKUlT_SK_SL_SM_E_clIPiSE_SF_SF_EESJ_SZ_SK_SL_SM_EUlSZ_E0_NS1_11comp_targetILNS1_3genE3ELNS1_11target_archE908ELNS1_3gpuE7ELNS1_3repE0EEENS1_38merge_mergepath_config_static_selectorELNS0_4arch9wavefront6targetE0EEEvSL_,comdat
.Lfunc_end282:
	.size	_ZN7rocprim17ROCPRIM_400000_NS6detail17trampoline_kernelINS0_14default_configENS1_38merge_sort_block_merge_config_selectorIiNS0_10empty_typeEEEZZNS1_27merge_sort_block_merge_implIS3_N6thrust23THRUST_200600_302600_NS6detail15normal_iteratorINS9_10device_ptrIiEEEEPS5_jNS1_19radix_merge_compareILb1ELb1EiNS0_19identity_decomposerEEEEE10hipError_tT0_T1_T2_jT3_P12ihipStream_tbPNSt15iterator_traitsISK_E10value_typeEPNSQ_ISL_E10value_typeEPSM_NS1_7vsmem_tEENKUlT_SK_SL_SM_E_clIPiSE_SF_SF_EESJ_SZ_SK_SL_SM_EUlSZ_E0_NS1_11comp_targetILNS1_3genE3ELNS1_11target_archE908ELNS1_3gpuE7ELNS1_3repE0EEENS1_38merge_mergepath_config_static_selectorELNS0_4arch9wavefront6targetE0EEEvSL_, .Lfunc_end282-_ZN7rocprim17ROCPRIM_400000_NS6detail17trampoline_kernelINS0_14default_configENS1_38merge_sort_block_merge_config_selectorIiNS0_10empty_typeEEEZZNS1_27merge_sort_block_merge_implIS3_N6thrust23THRUST_200600_302600_NS6detail15normal_iteratorINS9_10device_ptrIiEEEEPS5_jNS1_19radix_merge_compareILb1ELb1EiNS0_19identity_decomposerEEEEE10hipError_tT0_T1_T2_jT3_P12ihipStream_tbPNSt15iterator_traitsISK_E10value_typeEPNSQ_ISL_E10value_typeEPSM_NS1_7vsmem_tEENKUlT_SK_SL_SM_E_clIPiSE_SF_SF_EESJ_SZ_SK_SL_SM_EUlSZ_E0_NS1_11comp_targetILNS1_3genE3ELNS1_11target_archE908ELNS1_3gpuE7ELNS1_3repE0EEENS1_38merge_mergepath_config_static_selectorELNS0_4arch9wavefront6targetE0EEEvSL_
                                        ; -- End function
	.set _ZN7rocprim17ROCPRIM_400000_NS6detail17trampoline_kernelINS0_14default_configENS1_38merge_sort_block_merge_config_selectorIiNS0_10empty_typeEEEZZNS1_27merge_sort_block_merge_implIS3_N6thrust23THRUST_200600_302600_NS6detail15normal_iteratorINS9_10device_ptrIiEEEEPS5_jNS1_19radix_merge_compareILb1ELb1EiNS0_19identity_decomposerEEEEE10hipError_tT0_T1_T2_jT3_P12ihipStream_tbPNSt15iterator_traitsISK_E10value_typeEPNSQ_ISL_E10value_typeEPSM_NS1_7vsmem_tEENKUlT_SK_SL_SM_E_clIPiSE_SF_SF_EESJ_SZ_SK_SL_SM_EUlSZ_E0_NS1_11comp_targetILNS1_3genE3ELNS1_11target_archE908ELNS1_3gpuE7ELNS1_3repE0EEENS1_38merge_mergepath_config_static_selectorELNS0_4arch9wavefront6targetE0EEEvSL_.num_vgpr, 0
	.set _ZN7rocprim17ROCPRIM_400000_NS6detail17trampoline_kernelINS0_14default_configENS1_38merge_sort_block_merge_config_selectorIiNS0_10empty_typeEEEZZNS1_27merge_sort_block_merge_implIS3_N6thrust23THRUST_200600_302600_NS6detail15normal_iteratorINS9_10device_ptrIiEEEEPS5_jNS1_19radix_merge_compareILb1ELb1EiNS0_19identity_decomposerEEEEE10hipError_tT0_T1_T2_jT3_P12ihipStream_tbPNSt15iterator_traitsISK_E10value_typeEPNSQ_ISL_E10value_typeEPSM_NS1_7vsmem_tEENKUlT_SK_SL_SM_E_clIPiSE_SF_SF_EESJ_SZ_SK_SL_SM_EUlSZ_E0_NS1_11comp_targetILNS1_3genE3ELNS1_11target_archE908ELNS1_3gpuE7ELNS1_3repE0EEENS1_38merge_mergepath_config_static_selectorELNS0_4arch9wavefront6targetE0EEEvSL_.num_agpr, 0
	.set _ZN7rocprim17ROCPRIM_400000_NS6detail17trampoline_kernelINS0_14default_configENS1_38merge_sort_block_merge_config_selectorIiNS0_10empty_typeEEEZZNS1_27merge_sort_block_merge_implIS3_N6thrust23THRUST_200600_302600_NS6detail15normal_iteratorINS9_10device_ptrIiEEEEPS5_jNS1_19radix_merge_compareILb1ELb1EiNS0_19identity_decomposerEEEEE10hipError_tT0_T1_T2_jT3_P12ihipStream_tbPNSt15iterator_traitsISK_E10value_typeEPNSQ_ISL_E10value_typeEPSM_NS1_7vsmem_tEENKUlT_SK_SL_SM_E_clIPiSE_SF_SF_EESJ_SZ_SK_SL_SM_EUlSZ_E0_NS1_11comp_targetILNS1_3genE3ELNS1_11target_archE908ELNS1_3gpuE7ELNS1_3repE0EEENS1_38merge_mergepath_config_static_selectorELNS0_4arch9wavefront6targetE0EEEvSL_.numbered_sgpr, 0
	.set _ZN7rocprim17ROCPRIM_400000_NS6detail17trampoline_kernelINS0_14default_configENS1_38merge_sort_block_merge_config_selectorIiNS0_10empty_typeEEEZZNS1_27merge_sort_block_merge_implIS3_N6thrust23THRUST_200600_302600_NS6detail15normal_iteratorINS9_10device_ptrIiEEEEPS5_jNS1_19radix_merge_compareILb1ELb1EiNS0_19identity_decomposerEEEEE10hipError_tT0_T1_T2_jT3_P12ihipStream_tbPNSt15iterator_traitsISK_E10value_typeEPNSQ_ISL_E10value_typeEPSM_NS1_7vsmem_tEENKUlT_SK_SL_SM_E_clIPiSE_SF_SF_EESJ_SZ_SK_SL_SM_EUlSZ_E0_NS1_11comp_targetILNS1_3genE3ELNS1_11target_archE908ELNS1_3gpuE7ELNS1_3repE0EEENS1_38merge_mergepath_config_static_selectorELNS0_4arch9wavefront6targetE0EEEvSL_.num_named_barrier, 0
	.set _ZN7rocprim17ROCPRIM_400000_NS6detail17trampoline_kernelINS0_14default_configENS1_38merge_sort_block_merge_config_selectorIiNS0_10empty_typeEEEZZNS1_27merge_sort_block_merge_implIS3_N6thrust23THRUST_200600_302600_NS6detail15normal_iteratorINS9_10device_ptrIiEEEEPS5_jNS1_19radix_merge_compareILb1ELb1EiNS0_19identity_decomposerEEEEE10hipError_tT0_T1_T2_jT3_P12ihipStream_tbPNSt15iterator_traitsISK_E10value_typeEPNSQ_ISL_E10value_typeEPSM_NS1_7vsmem_tEENKUlT_SK_SL_SM_E_clIPiSE_SF_SF_EESJ_SZ_SK_SL_SM_EUlSZ_E0_NS1_11comp_targetILNS1_3genE3ELNS1_11target_archE908ELNS1_3gpuE7ELNS1_3repE0EEENS1_38merge_mergepath_config_static_selectorELNS0_4arch9wavefront6targetE0EEEvSL_.private_seg_size, 0
	.set _ZN7rocprim17ROCPRIM_400000_NS6detail17trampoline_kernelINS0_14default_configENS1_38merge_sort_block_merge_config_selectorIiNS0_10empty_typeEEEZZNS1_27merge_sort_block_merge_implIS3_N6thrust23THRUST_200600_302600_NS6detail15normal_iteratorINS9_10device_ptrIiEEEEPS5_jNS1_19radix_merge_compareILb1ELb1EiNS0_19identity_decomposerEEEEE10hipError_tT0_T1_T2_jT3_P12ihipStream_tbPNSt15iterator_traitsISK_E10value_typeEPNSQ_ISL_E10value_typeEPSM_NS1_7vsmem_tEENKUlT_SK_SL_SM_E_clIPiSE_SF_SF_EESJ_SZ_SK_SL_SM_EUlSZ_E0_NS1_11comp_targetILNS1_3genE3ELNS1_11target_archE908ELNS1_3gpuE7ELNS1_3repE0EEENS1_38merge_mergepath_config_static_selectorELNS0_4arch9wavefront6targetE0EEEvSL_.uses_vcc, 0
	.set _ZN7rocprim17ROCPRIM_400000_NS6detail17trampoline_kernelINS0_14default_configENS1_38merge_sort_block_merge_config_selectorIiNS0_10empty_typeEEEZZNS1_27merge_sort_block_merge_implIS3_N6thrust23THRUST_200600_302600_NS6detail15normal_iteratorINS9_10device_ptrIiEEEEPS5_jNS1_19radix_merge_compareILb1ELb1EiNS0_19identity_decomposerEEEEE10hipError_tT0_T1_T2_jT3_P12ihipStream_tbPNSt15iterator_traitsISK_E10value_typeEPNSQ_ISL_E10value_typeEPSM_NS1_7vsmem_tEENKUlT_SK_SL_SM_E_clIPiSE_SF_SF_EESJ_SZ_SK_SL_SM_EUlSZ_E0_NS1_11comp_targetILNS1_3genE3ELNS1_11target_archE908ELNS1_3gpuE7ELNS1_3repE0EEENS1_38merge_mergepath_config_static_selectorELNS0_4arch9wavefront6targetE0EEEvSL_.uses_flat_scratch, 0
	.set _ZN7rocprim17ROCPRIM_400000_NS6detail17trampoline_kernelINS0_14default_configENS1_38merge_sort_block_merge_config_selectorIiNS0_10empty_typeEEEZZNS1_27merge_sort_block_merge_implIS3_N6thrust23THRUST_200600_302600_NS6detail15normal_iteratorINS9_10device_ptrIiEEEEPS5_jNS1_19radix_merge_compareILb1ELb1EiNS0_19identity_decomposerEEEEE10hipError_tT0_T1_T2_jT3_P12ihipStream_tbPNSt15iterator_traitsISK_E10value_typeEPNSQ_ISL_E10value_typeEPSM_NS1_7vsmem_tEENKUlT_SK_SL_SM_E_clIPiSE_SF_SF_EESJ_SZ_SK_SL_SM_EUlSZ_E0_NS1_11comp_targetILNS1_3genE3ELNS1_11target_archE908ELNS1_3gpuE7ELNS1_3repE0EEENS1_38merge_mergepath_config_static_selectorELNS0_4arch9wavefront6targetE0EEEvSL_.has_dyn_sized_stack, 0
	.set _ZN7rocprim17ROCPRIM_400000_NS6detail17trampoline_kernelINS0_14default_configENS1_38merge_sort_block_merge_config_selectorIiNS0_10empty_typeEEEZZNS1_27merge_sort_block_merge_implIS3_N6thrust23THRUST_200600_302600_NS6detail15normal_iteratorINS9_10device_ptrIiEEEEPS5_jNS1_19radix_merge_compareILb1ELb1EiNS0_19identity_decomposerEEEEE10hipError_tT0_T1_T2_jT3_P12ihipStream_tbPNSt15iterator_traitsISK_E10value_typeEPNSQ_ISL_E10value_typeEPSM_NS1_7vsmem_tEENKUlT_SK_SL_SM_E_clIPiSE_SF_SF_EESJ_SZ_SK_SL_SM_EUlSZ_E0_NS1_11comp_targetILNS1_3genE3ELNS1_11target_archE908ELNS1_3gpuE7ELNS1_3repE0EEENS1_38merge_mergepath_config_static_selectorELNS0_4arch9wavefront6targetE0EEEvSL_.has_recursion, 0
	.set _ZN7rocprim17ROCPRIM_400000_NS6detail17trampoline_kernelINS0_14default_configENS1_38merge_sort_block_merge_config_selectorIiNS0_10empty_typeEEEZZNS1_27merge_sort_block_merge_implIS3_N6thrust23THRUST_200600_302600_NS6detail15normal_iteratorINS9_10device_ptrIiEEEEPS5_jNS1_19radix_merge_compareILb1ELb1EiNS0_19identity_decomposerEEEEE10hipError_tT0_T1_T2_jT3_P12ihipStream_tbPNSt15iterator_traitsISK_E10value_typeEPNSQ_ISL_E10value_typeEPSM_NS1_7vsmem_tEENKUlT_SK_SL_SM_E_clIPiSE_SF_SF_EESJ_SZ_SK_SL_SM_EUlSZ_E0_NS1_11comp_targetILNS1_3genE3ELNS1_11target_archE908ELNS1_3gpuE7ELNS1_3repE0EEENS1_38merge_mergepath_config_static_selectorELNS0_4arch9wavefront6targetE0EEEvSL_.has_indirect_call, 0
	.section	.AMDGPU.csdata,"",@progbits
; Kernel info:
; codeLenInByte = 0
; TotalNumSgprs: 0
; NumVgprs: 0
; ScratchSize: 0
; MemoryBound: 0
; FloatMode: 240
; IeeeMode: 1
; LDSByteSize: 0 bytes/workgroup (compile time only)
; SGPRBlocks: 0
; VGPRBlocks: 0
; NumSGPRsForWavesPerEU: 1
; NumVGPRsForWavesPerEU: 1
; Occupancy: 16
; WaveLimiterHint : 0
; COMPUTE_PGM_RSRC2:SCRATCH_EN: 0
; COMPUTE_PGM_RSRC2:USER_SGPR: 6
; COMPUTE_PGM_RSRC2:TRAP_HANDLER: 0
; COMPUTE_PGM_RSRC2:TGID_X_EN: 1
; COMPUTE_PGM_RSRC2:TGID_Y_EN: 0
; COMPUTE_PGM_RSRC2:TGID_Z_EN: 0
; COMPUTE_PGM_RSRC2:TIDIG_COMP_CNT: 0
	.section	.text._ZN7rocprim17ROCPRIM_400000_NS6detail17trampoline_kernelINS0_14default_configENS1_38merge_sort_block_merge_config_selectorIiNS0_10empty_typeEEEZZNS1_27merge_sort_block_merge_implIS3_N6thrust23THRUST_200600_302600_NS6detail15normal_iteratorINS9_10device_ptrIiEEEEPS5_jNS1_19radix_merge_compareILb1ELb1EiNS0_19identity_decomposerEEEEE10hipError_tT0_T1_T2_jT3_P12ihipStream_tbPNSt15iterator_traitsISK_E10value_typeEPNSQ_ISL_E10value_typeEPSM_NS1_7vsmem_tEENKUlT_SK_SL_SM_E_clIPiSE_SF_SF_EESJ_SZ_SK_SL_SM_EUlSZ_E0_NS1_11comp_targetILNS1_3genE2ELNS1_11target_archE906ELNS1_3gpuE6ELNS1_3repE0EEENS1_38merge_mergepath_config_static_selectorELNS0_4arch9wavefront6targetE0EEEvSL_,"axG",@progbits,_ZN7rocprim17ROCPRIM_400000_NS6detail17trampoline_kernelINS0_14default_configENS1_38merge_sort_block_merge_config_selectorIiNS0_10empty_typeEEEZZNS1_27merge_sort_block_merge_implIS3_N6thrust23THRUST_200600_302600_NS6detail15normal_iteratorINS9_10device_ptrIiEEEEPS5_jNS1_19radix_merge_compareILb1ELb1EiNS0_19identity_decomposerEEEEE10hipError_tT0_T1_T2_jT3_P12ihipStream_tbPNSt15iterator_traitsISK_E10value_typeEPNSQ_ISL_E10value_typeEPSM_NS1_7vsmem_tEENKUlT_SK_SL_SM_E_clIPiSE_SF_SF_EESJ_SZ_SK_SL_SM_EUlSZ_E0_NS1_11comp_targetILNS1_3genE2ELNS1_11target_archE906ELNS1_3gpuE6ELNS1_3repE0EEENS1_38merge_mergepath_config_static_selectorELNS0_4arch9wavefront6targetE0EEEvSL_,comdat
	.protected	_ZN7rocprim17ROCPRIM_400000_NS6detail17trampoline_kernelINS0_14default_configENS1_38merge_sort_block_merge_config_selectorIiNS0_10empty_typeEEEZZNS1_27merge_sort_block_merge_implIS3_N6thrust23THRUST_200600_302600_NS6detail15normal_iteratorINS9_10device_ptrIiEEEEPS5_jNS1_19radix_merge_compareILb1ELb1EiNS0_19identity_decomposerEEEEE10hipError_tT0_T1_T2_jT3_P12ihipStream_tbPNSt15iterator_traitsISK_E10value_typeEPNSQ_ISL_E10value_typeEPSM_NS1_7vsmem_tEENKUlT_SK_SL_SM_E_clIPiSE_SF_SF_EESJ_SZ_SK_SL_SM_EUlSZ_E0_NS1_11comp_targetILNS1_3genE2ELNS1_11target_archE906ELNS1_3gpuE6ELNS1_3repE0EEENS1_38merge_mergepath_config_static_selectorELNS0_4arch9wavefront6targetE0EEEvSL_ ; -- Begin function _ZN7rocprim17ROCPRIM_400000_NS6detail17trampoline_kernelINS0_14default_configENS1_38merge_sort_block_merge_config_selectorIiNS0_10empty_typeEEEZZNS1_27merge_sort_block_merge_implIS3_N6thrust23THRUST_200600_302600_NS6detail15normal_iteratorINS9_10device_ptrIiEEEEPS5_jNS1_19radix_merge_compareILb1ELb1EiNS0_19identity_decomposerEEEEE10hipError_tT0_T1_T2_jT3_P12ihipStream_tbPNSt15iterator_traitsISK_E10value_typeEPNSQ_ISL_E10value_typeEPSM_NS1_7vsmem_tEENKUlT_SK_SL_SM_E_clIPiSE_SF_SF_EESJ_SZ_SK_SL_SM_EUlSZ_E0_NS1_11comp_targetILNS1_3genE2ELNS1_11target_archE906ELNS1_3gpuE6ELNS1_3repE0EEENS1_38merge_mergepath_config_static_selectorELNS0_4arch9wavefront6targetE0EEEvSL_
	.globl	_ZN7rocprim17ROCPRIM_400000_NS6detail17trampoline_kernelINS0_14default_configENS1_38merge_sort_block_merge_config_selectorIiNS0_10empty_typeEEEZZNS1_27merge_sort_block_merge_implIS3_N6thrust23THRUST_200600_302600_NS6detail15normal_iteratorINS9_10device_ptrIiEEEEPS5_jNS1_19radix_merge_compareILb1ELb1EiNS0_19identity_decomposerEEEEE10hipError_tT0_T1_T2_jT3_P12ihipStream_tbPNSt15iterator_traitsISK_E10value_typeEPNSQ_ISL_E10value_typeEPSM_NS1_7vsmem_tEENKUlT_SK_SL_SM_E_clIPiSE_SF_SF_EESJ_SZ_SK_SL_SM_EUlSZ_E0_NS1_11comp_targetILNS1_3genE2ELNS1_11target_archE906ELNS1_3gpuE6ELNS1_3repE0EEENS1_38merge_mergepath_config_static_selectorELNS0_4arch9wavefront6targetE0EEEvSL_
	.p2align	8
	.type	_ZN7rocprim17ROCPRIM_400000_NS6detail17trampoline_kernelINS0_14default_configENS1_38merge_sort_block_merge_config_selectorIiNS0_10empty_typeEEEZZNS1_27merge_sort_block_merge_implIS3_N6thrust23THRUST_200600_302600_NS6detail15normal_iteratorINS9_10device_ptrIiEEEEPS5_jNS1_19radix_merge_compareILb1ELb1EiNS0_19identity_decomposerEEEEE10hipError_tT0_T1_T2_jT3_P12ihipStream_tbPNSt15iterator_traitsISK_E10value_typeEPNSQ_ISL_E10value_typeEPSM_NS1_7vsmem_tEENKUlT_SK_SL_SM_E_clIPiSE_SF_SF_EESJ_SZ_SK_SL_SM_EUlSZ_E0_NS1_11comp_targetILNS1_3genE2ELNS1_11target_archE906ELNS1_3gpuE6ELNS1_3repE0EEENS1_38merge_mergepath_config_static_selectorELNS0_4arch9wavefront6targetE0EEEvSL_,@function
_ZN7rocprim17ROCPRIM_400000_NS6detail17trampoline_kernelINS0_14default_configENS1_38merge_sort_block_merge_config_selectorIiNS0_10empty_typeEEEZZNS1_27merge_sort_block_merge_implIS3_N6thrust23THRUST_200600_302600_NS6detail15normal_iteratorINS9_10device_ptrIiEEEEPS5_jNS1_19radix_merge_compareILb1ELb1EiNS0_19identity_decomposerEEEEE10hipError_tT0_T1_T2_jT3_P12ihipStream_tbPNSt15iterator_traitsISK_E10value_typeEPNSQ_ISL_E10value_typeEPSM_NS1_7vsmem_tEENKUlT_SK_SL_SM_E_clIPiSE_SF_SF_EESJ_SZ_SK_SL_SM_EUlSZ_E0_NS1_11comp_targetILNS1_3genE2ELNS1_11target_archE906ELNS1_3gpuE6ELNS1_3repE0EEENS1_38merge_mergepath_config_static_selectorELNS0_4arch9wavefront6targetE0EEEvSL_: ; @_ZN7rocprim17ROCPRIM_400000_NS6detail17trampoline_kernelINS0_14default_configENS1_38merge_sort_block_merge_config_selectorIiNS0_10empty_typeEEEZZNS1_27merge_sort_block_merge_implIS3_N6thrust23THRUST_200600_302600_NS6detail15normal_iteratorINS9_10device_ptrIiEEEEPS5_jNS1_19radix_merge_compareILb1ELb1EiNS0_19identity_decomposerEEEEE10hipError_tT0_T1_T2_jT3_P12ihipStream_tbPNSt15iterator_traitsISK_E10value_typeEPNSQ_ISL_E10value_typeEPSM_NS1_7vsmem_tEENKUlT_SK_SL_SM_E_clIPiSE_SF_SF_EESJ_SZ_SK_SL_SM_EUlSZ_E0_NS1_11comp_targetILNS1_3genE2ELNS1_11target_archE906ELNS1_3gpuE6ELNS1_3repE0EEENS1_38merge_mergepath_config_static_selectorELNS0_4arch9wavefront6targetE0EEEvSL_
; %bb.0:
	.section	.rodata,"a",@progbits
	.p2align	6, 0x0
	.amdhsa_kernel _ZN7rocprim17ROCPRIM_400000_NS6detail17trampoline_kernelINS0_14default_configENS1_38merge_sort_block_merge_config_selectorIiNS0_10empty_typeEEEZZNS1_27merge_sort_block_merge_implIS3_N6thrust23THRUST_200600_302600_NS6detail15normal_iteratorINS9_10device_ptrIiEEEEPS5_jNS1_19radix_merge_compareILb1ELb1EiNS0_19identity_decomposerEEEEE10hipError_tT0_T1_T2_jT3_P12ihipStream_tbPNSt15iterator_traitsISK_E10value_typeEPNSQ_ISL_E10value_typeEPSM_NS1_7vsmem_tEENKUlT_SK_SL_SM_E_clIPiSE_SF_SF_EESJ_SZ_SK_SL_SM_EUlSZ_E0_NS1_11comp_targetILNS1_3genE2ELNS1_11target_archE906ELNS1_3gpuE6ELNS1_3repE0EEENS1_38merge_mergepath_config_static_selectorELNS0_4arch9wavefront6targetE0EEEvSL_
		.amdhsa_group_segment_fixed_size 0
		.amdhsa_private_segment_fixed_size 0
		.amdhsa_kernarg_size 64
		.amdhsa_user_sgpr_count 6
		.amdhsa_user_sgpr_private_segment_buffer 1
		.amdhsa_user_sgpr_dispatch_ptr 0
		.amdhsa_user_sgpr_queue_ptr 0
		.amdhsa_user_sgpr_kernarg_segment_ptr 1
		.amdhsa_user_sgpr_dispatch_id 0
		.amdhsa_user_sgpr_flat_scratch_init 0
		.amdhsa_user_sgpr_private_segment_size 0
		.amdhsa_wavefront_size32 1
		.amdhsa_uses_dynamic_stack 0
		.amdhsa_system_sgpr_private_segment_wavefront_offset 0
		.amdhsa_system_sgpr_workgroup_id_x 1
		.amdhsa_system_sgpr_workgroup_id_y 0
		.amdhsa_system_sgpr_workgroup_id_z 0
		.amdhsa_system_sgpr_workgroup_info 0
		.amdhsa_system_vgpr_workitem_id 0
		.amdhsa_next_free_vgpr 1
		.amdhsa_next_free_sgpr 1
		.amdhsa_reserve_vcc 0
		.amdhsa_reserve_flat_scratch 0
		.amdhsa_float_round_mode_32 0
		.amdhsa_float_round_mode_16_64 0
		.amdhsa_float_denorm_mode_32 3
		.amdhsa_float_denorm_mode_16_64 3
		.amdhsa_dx10_clamp 1
		.amdhsa_ieee_mode 1
		.amdhsa_fp16_overflow 0
		.amdhsa_workgroup_processor_mode 1
		.amdhsa_memory_ordered 1
		.amdhsa_forward_progress 1
		.amdhsa_shared_vgpr_count 0
		.amdhsa_exception_fp_ieee_invalid_op 0
		.amdhsa_exception_fp_denorm_src 0
		.amdhsa_exception_fp_ieee_div_zero 0
		.amdhsa_exception_fp_ieee_overflow 0
		.amdhsa_exception_fp_ieee_underflow 0
		.amdhsa_exception_fp_ieee_inexact 0
		.amdhsa_exception_int_div_zero 0
	.end_amdhsa_kernel
	.section	.text._ZN7rocprim17ROCPRIM_400000_NS6detail17trampoline_kernelINS0_14default_configENS1_38merge_sort_block_merge_config_selectorIiNS0_10empty_typeEEEZZNS1_27merge_sort_block_merge_implIS3_N6thrust23THRUST_200600_302600_NS6detail15normal_iteratorINS9_10device_ptrIiEEEEPS5_jNS1_19radix_merge_compareILb1ELb1EiNS0_19identity_decomposerEEEEE10hipError_tT0_T1_T2_jT3_P12ihipStream_tbPNSt15iterator_traitsISK_E10value_typeEPNSQ_ISL_E10value_typeEPSM_NS1_7vsmem_tEENKUlT_SK_SL_SM_E_clIPiSE_SF_SF_EESJ_SZ_SK_SL_SM_EUlSZ_E0_NS1_11comp_targetILNS1_3genE2ELNS1_11target_archE906ELNS1_3gpuE6ELNS1_3repE0EEENS1_38merge_mergepath_config_static_selectorELNS0_4arch9wavefront6targetE0EEEvSL_,"axG",@progbits,_ZN7rocprim17ROCPRIM_400000_NS6detail17trampoline_kernelINS0_14default_configENS1_38merge_sort_block_merge_config_selectorIiNS0_10empty_typeEEEZZNS1_27merge_sort_block_merge_implIS3_N6thrust23THRUST_200600_302600_NS6detail15normal_iteratorINS9_10device_ptrIiEEEEPS5_jNS1_19radix_merge_compareILb1ELb1EiNS0_19identity_decomposerEEEEE10hipError_tT0_T1_T2_jT3_P12ihipStream_tbPNSt15iterator_traitsISK_E10value_typeEPNSQ_ISL_E10value_typeEPSM_NS1_7vsmem_tEENKUlT_SK_SL_SM_E_clIPiSE_SF_SF_EESJ_SZ_SK_SL_SM_EUlSZ_E0_NS1_11comp_targetILNS1_3genE2ELNS1_11target_archE906ELNS1_3gpuE6ELNS1_3repE0EEENS1_38merge_mergepath_config_static_selectorELNS0_4arch9wavefront6targetE0EEEvSL_,comdat
.Lfunc_end283:
	.size	_ZN7rocprim17ROCPRIM_400000_NS6detail17trampoline_kernelINS0_14default_configENS1_38merge_sort_block_merge_config_selectorIiNS0_10empty_typeEEEZZNS1_27merge_sort_block_merge_implIS3_N6thrust23THRUST_200600_302600_NS6detail15normal_iteratorINS9_10device_ptrIiEEEEPS5_jNS1_19radix_merge_compareILb1ELb1EiNS0_19identity_decomposerEEEEE10hipError_tT0_T1_T2_jT3_P12ihipStream_tbPNSt15iterator_traitsISK_E10value_typeEPNSQ_ISL_E10value_typeEPSM_NS1_7vsmem_tEENKUlT_SK_SL_SM_E_clIPiSE_SF_SF_EESJ_SZ_SK_SL_SM_EUlSZ_E0_NS1_11comp_targetILNS1_3genE2ELNS1_11target_archE906ELNS1_3gpuE6ELNS1_3repE0EEENS1_38merge_mergepath_config_static_selectorELNS0_4arch9wavefront6targetE0EEEvSL_, .Lfunc_end283-_ZN7rocprim17ROCPRIM_400000_NS6detail17trampoline_kernelINS0_14default_configENS1_38merge_sort_block_merge_config_selectorIiNS0_10empty_typeEEEZZNS1_27merge_sort_block_merge_implIS3_N6thrust23THRUST_200600_302600_NS6detail15normal_iteratorINS9_10device_ptrIiEEEEPS5_jNS1_19radix_merge_compareILb1ELb1EiNS0_19identity_decomposerEEEEE10hipError_tT0_T1_T2_jT3_P12ihipStream_tbPNSt15iterator_traitsISK_E10value_typeEPNSQ_ISL_E10value_typeEPSM_NS1_7vsmem_tEENKUlT_SK_SL_SM_E_clIPiSE_SF_SF_EESJ_SZ_SK_SL_SM_EUlSZ_E0_NS1_11comp_targetILNS1_3genE2ELNS1_11target_archE906ELNS1_3gpuE6ELNS1_3repE0EEENS1_38merge_mergepath_config_static_selectorELNS0_4arch9wavefront6targetE0EEEvSL_
                                        ; -- End function
	.set _ZN7rocprim17ROCPRIM_400000_NS6detail17trampoline_kernelINS0_14default_configENS1_38merge_sort_block_merge_config_selectorIiNS0_10empty_typeEEEZZNS1_27merge_sort_block_merge_implIS3_N6thrust23THRUST_200600_302600_NS6detail15normal_iteratorINS9_10device_ptrIiEEEEPS5_jNS1_19radix_merge_compareILb1ELb1EiNS0_19identity_decomposerEEEEE10hipError_tT0_T1_T2_jT3_P12ihipStream_tbPNSt15iterator_traitsISK_E10value_typeEPNSQ_ISL_E10value_typeEPSM_NS1_7vsmem_tEENKUlT_SK_SL_SM_E_clIPiSE_SF_SF_EESJ_SZ_SK_SL_SM_EUlSZ_E0_NS1_11comp_targetILNS1_3genE2ELNS1_11target_archE906ELNS1_3gpuE6ELNS1_3repE0EEENS1_38merge_mergepath_config_static_selectorELNS0_4arch9wavefront6targetE0EEEvSL_.num_vgpr, 0
	.set _ZN7rocprim17ROCPRIM_400000_NS6detail17trampoline_kernelINS0_14default_configENS1_38merge_sort_block_merge_config_selectorIiNS0_10empty_typeEEEZZNS1_27merge_sort_block_merge_implIS3_N6thrust23THRUST_200600_302600_NS6detail15normal_iteratorINS9_10device_ptrIiEEEEPS5_jNS1_19radix_merge_compareILb1ELb1EiNS0_19identity_decomposerEEEEE10hipError_tT0_T1_T2_jT3_P12ihipStream_tbPNSt15iterator_traitsISK_E10value_typeEPNSQ_ISL_E10value_typeEPSM_NS1_7vsmem_tEENKUlT_SK_SL_SM_E_clIPiSE_SF_SF_EESJ_SZ_SK_SL_SM_EUlSZ_E0_NS1_11comp_targetILNS1_3genE2ELNS1_11target_archE906ELNS1_3gpuE6ELNS1_3repE0EEENS1_38merge_mergepath_config_static_selectorELNS0_4arch9wavefront6targetE0EEEvSL_.num_agpr, 0
	.set _ZN7rocprim17ROCPRIM_400000_NS6detail17trampoline_kernelINS0_14default_configENS1_38merge_sort_block_merge_config_selectorIiNS0_10empty_typeEEEZZNS1_27merge_sort_block_merge_implIS3_N6thrust23THRUST_200600_302600_NS6detail15normal_iteratorINS9_10device_ptrIiEEEEPS5_jNS1_19radix_merge_compareILb1ELb1EiNS0_19identity_decomposerEEEEE10hipError_tT0_T1_T2_jT3_P12ihipStream_tbPNSt15iterator_traitsISK_E10value_typeEPNSQ_ISL_E10value_typeEPSM_NS1_7vsmem_tEENKUlT_SK_SL_SM_E_clIPiSE_SF_SF_EESJ_SZ_SK_SL_SM_EUlSZ_E0_NS1_11comp_targetILNS1_3genE2ELNS1_11target_archE906ELNS1_3gpuE6ELNS1_3repE0EEENS1_38merge_mergepath_config_static_selectorELNS0_4arch9wavefront6targetE0EEEvSL_.numbered_sgpr, 0
	.set _ZN7rocprim17ROCPRIM_400000_NS6detail17trampoline_kernelINS0_14default_configENS1_38merge_sort_block_merge_config_selectorIiNS0_10empty_typeEEEZZNS1_27merge_sort_block_merge_implIS3_N6thrust23THRUST_200600_302600_NS6detail15normal_iteratorINS9_10device_ptrIiEEEEPS5_jNS1_19radix_merge_compareILb1ELb1EiNS0_19identity_decomposerEEEEE10hipError_tT0_T1_T2_jT3_P12ihipStream_tbPNSt15iterator_traitsISK_E10value_typeEPNSQ_ISL_E10value_typeEPSM_NS1_7vsmem_tEENKUlT_SK_SL_SM_E_clIPiSE_SF_SF_EESJ_SZ_SK_SL_SM_EUlSZ_E0_NS1_11comp_targetILNS1_3genE2ELNS1_11target_archE906ELNS1_3gpuE6ELNS1_3repE0EEENS1_38merge_mergepath_config_static_selectorELNS0_4arch9wavefront6targetE0EEEvSL_.num_named_barrier, 0
	.set _ZN7rocprim17ROCPRIM_400000_NS6detail17trampoline_kernelINS0_14default_configENS1_38merge_sort_block_merge_config_selectorIiNS0_10empty_typeEEEZZNS1_27merge_sort_block_merge_implIS3_N6thrust23THRUST_200600_302600_NS6detail15normal_iteratorINS9_10device_ptrIiEEEEPS5_jNS1_19radix_merge_compareILb1ELb1EiNS0_19identity_decomposerEEEEE10hipError_tT0_T1_T2_jT3_P12ihipStream_tbPNSt15iterator_traitsISK_E10value_typeEPNSQ_ISL_E10value_typeEPSM_NS1_7vsmem_tEENKUlT_SK_SL_SM_E_clIPiSE_SF_SF_EESJ_SZ_SK_SL_SM_EUlSZ_E0_NS1_11comp_targetILNS1_3genE2ELNS1_11target_archE906ELNS1_3gpuE6ELNS1_3repE0EEENS1_38merge_mergepath_config_static_selectorELNS0_4arch9wavefront6targetE0EEEvSL_.private_seg_size, 0
	.set _ZN7rocprim17ROCPRIM_400000_NS6detail17trampoline_kernelINS0_14default_configENS1_38merge_sort_block_merge_config_selectorIiNS0_10empty_typeEEEZZNS1_27merge_sort_block_merge_implIS3_N6thrust23THRUST_200600_302600_NS6detail15normal_iteratorINS9_10device_ptrIiEEEEPS5_jNS1_19radix_merge_compareILb1ELb1EiNS0_19identity_decomposerEEEEE10hipError_tT0_T1_T2_jT3_P12ihipStream_tbPNSt15iterator_traitsISK_E10value_typeEPNSQ_ISL_E10value_typeEPSM_NS1_7vsmem_tEENKUlT_SK_SL_SM_E_clIPiSE_SF_SF_EESJ_SZ_SK_SL_SM_EUlSZ_E0_NS1_11comp_targetILNS1_3genE2ELNS1_11target_archE906ELNS1_3gpuE6ELNS1_3repE0EEENS1_38merge_mergepath_config_static_selectorELNS0_4arch9wavefront6targetE0EEEvSL_.uses_vcc, 0
	.set _ZN7rocprim17ROCPRIM_400000_NS6detail17trampoline_kernelINS0_14default_configENS1_38merge_sort_block_merge_config_selectorIiNS0_10empty_typeEEEZZNS1_27merge_sort_block_merge_implIS3_N6thrust23THRUST_200600_302600_NS6detail15normal_iteratorINS9_10device_ptrIiEEEEPS5_jNS1_19radix_merge_compareILb1ELb1EiNS0_19identity_decomposerEEEEE10hipError_tT0_T1_T2_jT3_P12ihipStream_tbPNSt15iterator_traitsISK_E10value_typeEPNSQ_ISL_E10value_typeEPSM_NS1_7vsmem_tEENKUlT_SK_SL_SM_E_clIPiSE_SF_SF_EESJ_SZ_SK_SL_SM_EUlSZ_E0_NS1_11comp_targetILNS1_3genE2ELNS1_11target_archE906ELNS1_3gpuE6ELNS1_3repE0EEENS1_38merge_mergepath_config_static_selectorELNS0_4arch9wavefront6targetE0EEEvSL_.uses_flat_scratch, 0
	.set _ZN7rocprim17ROCPRIM_400000_NS6detail17trampoline_kernelINS0_14default_configENS1_38merge_sort_block_merge_config_selectorIiNS0_10empty_typeEEEZZNS1_27merge_sort_block_merge_implIS3_N6thrust23THRUST_200600_302600_NS6detail15normal_iteratorINS9_10device_ptrIiEEEEPS5_jNS1_19radix_merge_compareILb1ELb1EiNS0_19identity_decomposerEEEEE10hipError_tT0_T1_T2_jT3_P12ihipStream_tbPNSt15iterator_traitsISK_E10value_typeEPNSQ_ISL_E10value_typeEPSM_NS1_7vsmem_tEENKUlT_SK_SL_SM_E_clIPiSE_SF_SF_EESJ_SZ_SK_SL_SM_EUlSZ_E0_NS1_11comp_targetILNS1_3genE2ELNS1_11target_archE906ELNS1_3gpuE6ELNS1_3repE0EEENS1_38merge_mergepath_config_static_selectorELNS0_4arch9wavefront6targetE0EEEvSL_.has_dyn_sized_stack, 0
	.set _ZN7rocprim17ROCPRIM_400000_NS6detail17trampoline_kernelINS0_14default_configENS1_38merge_sort_block_merge_config_selectorIiNS0_10empty_typeEEEZZNS1_27merge_sort_block_merge_implIS3_N6thrust23THRUST_200600_302600_NS6detail15normal_iteratorINS9_10device_ptrIiEEEEPS5_jNS1_19radix_merge_compareILb1ELb1EiNS0_19identity_decomposerEEEEE10hipError_tT0_T1_T2_jT3_P12ihipStream_tbPNSt15iterator_traitsISK_E10value_typeEPNSQ_ISL_E10value_typeEPSM_NS1_7vsmem_tEENKUlT_SK_SL_SM_E_clIPiSE_SF_SF_EESJ_SZ_SK_SL_SM_EUlSZ_E0_NS1_11comp_targetILNS1_3genE2ELNS1_11target_archE906ELNS1_3gpuE6ELNS1_3repE0EEENS1_38merge_mergepath_config_static_selectorELNS0_4arch9wavefront6targetE0EEEvSL_.has_recursion, 0
	.set _ZN7rocprim17ROCPRIM_400000_NS6detail17trampoline_kernelINS0_14default_configENS1_38merge_sort_block_merge_config_selectorIiNS0_10empty_typeEEEZZNS1_27merge_sort_block_merge_implIS3_N6thrust23THRUST_200600_302600_NS6detail15normal_iteratorINS9_10device_ptrIiEEEEPS5_jNS1_19radix_merge_compareILb1ELb1EiNS0_19identity_decomposerEEEEE10hipError_tT0_T1_T2_jT3_P12ihipStream_tbPNSt15iterator_traitsISK_E10value_typeEPNSQ_ISL_E10value_typeEPSM_NS1_7vsmem_tEENKUlT_SK_SL_SM_E_clIPiSE_SF_SF_EESJ_SZ_SK_SL_SM_EUlSZ_E0_NS1_11comp_targetILNS1_3genE2ELNS1_11target_archE906ELNS1_3gpuE6ELNS1_3repE0EEENS1_38merge_mergepath_config_static_selectorELNS0_4arch9wavefront6targetE0EEEvSL_.has_indirect_call, 0
	.section	.AMDGPU.csdata,"",@progbits
; Kernel info:
; codeLenInByte = 0
; TotalNumSgprs: 0
; NumVgprs: 0
; ScratchSize: 0
; MemoryBound: 0
; FloatMode: 240
; IeeeMode: 1
; LDSByteSize: 0 bytes/workgroup (compile time only)
; SGPRBlocks: 0
; VGPRBlocks: 0
; NumSGPRsForWavesPerEU: 1
; NumVGPRsForWavesPerEU: 1
; Occupancy: 16
; WaveLimiterHint : 0
; COMPUTE_PGM_RSRC2:SCRATCH_EN: 0
; COMPUTE_PGM_RSRC2:USER_SGPR: 6
; COMPUTE_PGM_RSRC2:TRAP_HANDLER: 0
; COMPUTE_PGM_RSRC2:TGID_X_EN: 1
; COMPUTE_PGM_RSRC2:TGID_Y_EN: 0
; COMPUTE_PGM_RSRC2:TGID_Z_EN: 0
; COMPUTE_PGM_RSRC2:TIDIG_COMP_CNT: 0
	.section	.text._ZN7rocprim17ROCPRIM_400000_NS6detail17trampoline_kernelINS0_14default_configENS1_38merge_sort_block_merge_config_selectorIiNS0_10empty_typeEEEZZNS1_27merge_sort_block_merge_implIS3_N6thrust23THRUST_200600_302600_NS6detail15normal_iteratorINS9_10device_ptrIiEEEEPS5_jNS1_19radix_merge_compareILb1ELb1EiNS0_19identity_decomposerEEEEE10hipError_tT0_T1_T2_jT3_P12ihipStream_tbPNSt15iterator_traitsISK_E10value_typeEPNSQ_ISL_E10value_typeEPSM_NS1_7vsmem_tEENKUlT_SK_SL_SM_E_clIPiSE_SF_SF_EESJ_SZ_SK_SL_SM_EUlSZ_E0_NS1_11comp_targetILNS1_3genE9ELNS1_11target_archE1100ELNS1_3gpuE3ELNS1_3repE0EEENS1_38merge_mergepath_config_static_selectorELNS0_4arch9wavefront6targetE0EEEvSL_,"axG",@progbits,_ZN7rocprim17ROCPRIM_400000_NS6detail17trampoline_kernelINS0_14default_configENS1_38merge_sort_block_merge_config_selectorIiNS0_10empty_typeEEEZZNS1_27merge_sort_block_merge_implIS3_N6thrust23THRUST_200600_302600_NS6detail15normal_iteratorINS9_10device_ptrIiEEEEPS5_jNS1_19radix_merge_compareILb1ELb1EiNS0_19identity_decomposerEEEEE10hipError_tT0_T1_T2_jT3_P12ihipStream_tbPNSt15iterator_traitsISK_E10value_typeEPNSQ_ISL_E10value_typeEPSM_NS1_7vsmem_tEENKUlT_SK_SL_SM_E_clIPiSE_SF_SF_EESJ_SZ_SK_SL_SM_EUlSZ_E0_NS1_11comp_targetILNS1_3genE9ELNS1_11target_archE1100ELNS1_3gpuE3ELNS1_3repE0EEENS1_38merge_mergepath_config_static_selectorELNS0_4arch9wavefront6targetE0EEEvSL_,comdat
	.protected	_ZN7rocprim17ROCPRIM_400000_NS6detail17trampoline_kernelINS0_14default_configENS1_38merge_sort_block_merge_config_selectorIiNS0_10empty_typeEEEZZNS1_27merge_sort_block_merge_implIS3_N6thrust23THRUST_200600_302600_NS6detail15normal_iteratorINS9_10device_ptrIiEEEEPS5_jNS1_19radix_merge_compareILb1ELb1EiNS0_19identity_decomposerEEEEE10hipError_tT0_T1_T2_jT3_P12ihipStream_tbPNSt15iterator_traitsISK_E10value_typeEPNSQ_ISL_E10value_typeEPSM_NS1_7vsmem_tEENKUlT_SK_SL_SM_E_clIPiSE_SF_SF_EESJ_SZ_SK_SL_SM_EUlSZ_E0_NS1_11comp_targetILNS1_3genE9ELNS1_11target_archE1100ELNS1_3gpuE3ELNS1_3repE0EEENS1_38merge_mergepath_config_static_selectorELNS0_4arch9wavefront6targetE0EEEvSL_ ; -- Begin function _ZN7rocprim17ROCPRIM_400000_NS6detail17trampoline_kernelINS0_14default_configENS1_38merge_sort_block_merge_config_selectorIiNS0_10empty_typeEEEZZNS1_27merge_sort_block_merge_implIS3_N6thrust23THRUST_200600_302600_NS6detail15normal_iteratorINS9_10device_ptrIiEEEEPS5_jNS1_19radix_merge_compareILb1ELb1EiNS0_19identity_decomposerEEEEE10hipError_tT0_T1_T2_jT3_P12ihipStream_tbPNSt15iterator_traitsISK_E10value_typeEPNSQ_ISL_E10value_typeEPSM_NS1_7vsmem_tEENKUlT_SK_SL_SM_E_clIPiSE_SF_SF_EESJ_SZ_SK_SL_SM_EUlSZ_E0_NS1_11comp_targetILNS1_3genE9ELNS1_11target_archE1100ELNS1_3gpuE3ELNS1_3repE0EEENS1_38merge_mergepath_config_static_selectorELNS0_4arch9wavefront6targetE0EEEvSL_
	.globl	_ZN7rocprim17ROCPRIM_400000_NS6detail17trampoline_kernelINS0_14default_configENS1_38merge_sort_block_merge_config_selectorIiNS0_10empty_typeEEEZZNS1_27merge_sort_block_merge_implIS3_N6thrust23THRUST_200600_302600_NS6detail15normal_iteratorINS9_10device_ptrIiEEEEPS5_jNS1_19radix_merge_compareILb1ELb1EiNS0_19identity_decomposerEEEEE10hipError_tT0_T1_T2_jT3_P12ihipStream_tbPNSt15iterator_traitsISK_E10value_typeEPNSQ_ISL_E10value_typeEPSM_NS1_7vsmem_tEENKUlT_SK_SL_SM_E_clIPiSE_SF_SF_EESJ_SZ_SK_SL_SM_EUlSZ_E0_NS1_11comp_targetILNS1_3genE9ELNS1_11target_archE1100ELNS1_3gpuE3ELNS1_3repE0EEENS1_38merge_mergepath_config_static_selectorELNS0_4arch9wavefront6targetE0EEEvSL_
	.p2align	8
	.type	_ZN7rocprim17ROCPRIM_400000_NS6detail17trampoline_kernelINS0_14default_configENS1_38merge_sort_block_merge_config_selectorIiNS0_10empty_typeEEEZZNS1_27merge_sort_block_merge_implIS3_N6thrust23THRUST_200600_302600_NS6detail15normal_iteratorINS9_10device_ptrIiEEEEPS5_jNS1_19radix_merge_compareILb1ELb1EiNS0_19identity_decomposerEEEEE10hipError_tT0_T1_T2_jT3_P12ihipStream_tbPNSt15iterator_traitsISK_E10value_typeEPNSQ_ISL_E10value_typeEPSM_NS1_7vsmem_tEENKUlT_SK_SL_SM_E_clIPiSE_SF_SF_EESJ_SZ_SK_SL_SM_EUlSZ_E0_NS1_11comp_targetILNS1_3genE9ELNS1_11target_archE1100ELNS1_3gpuE3ELNS1_3repE0EEENS1_38merge_mergepath_config_static_selectorELNS0_4arch9wavefront6targetE0EEEvSL_,@function
_ZN7rocprim17ROCPRIM_400000_NS6detail17trampoline_kernelINS0_14default_configENS1_38merge_sort_block_merge_config_selectorIiNS0_10empty_typeEEEZZNS1_27merge_sort_block_merge_implIS3_N6thrust23THRUST_200600_302600_NS6detail15normal_iteratorINS9_10device_ptrIiEEEEPS5_jNS1_19radix_merge_compareILb1ELb1EiNS0_19identity_decomposerEEEEE10hipError_tT0_T1_T2_jT3_P12ihipStream_tbPNSt15iterator_traitsISK_E10value_typeEPNSQ_ISL_E10value_typeEPSM_NS1_7vsmem_tEENKUlT_SK_SL_SM_E_clIPiSE_SF_SF_EESJ_SZ_SK_SL_SM_EUlSZ_E0_NS1_11comp_targetILNS1_3genE9ELNS1_11target_archE1100ELNS1_3gpuE3ELNS1_3repE0EEENS1_38merge_mergepath_config_static_selectorELNS0_4arch9wavefront6targetE0EEEvSL_: ; @_ZN7rocprim17ROCPRIM_400000_NS6detail17trampoline_kernelINS0_14default_configENS1_38merge_sort_block_merge_config_selectorIiNS0_10empty_typeEEEZZNS1_27merge_sort_block_merge_implIS3_N6thrust23THRUST_200600_302600_NS6detail15normal_iteratorINS9_10device_ptrIiEEEEPS5_jNS1_19radix_merge_compareILb1ELb1EiNS0_19identity_decomposerEEEEE10hipError_tT0_T1_T2_jT3_P12ihipStream_tbPNSt15iterator_traitsISK_E10value_typeEPNSQ_ISL_E10value_typeEPSM_NS1_7vsmem_tEENKUlT_SK_SL_SM_E_clIPiSE_SF_SF_EESJ_SZ_SK_SL_SM_EUlSZ_E0_NS1_11comp_targetILNS1_3genE9ELNS1_11target_archE1100ELNS1_3gpuE3ELNS1_3repE0EEENS1_38merge_mergepath_config_static_selectorELNS0_4arch9wavefront6targetE0EEEvSL_
; %bb.0:
	.section	.rodata,"a",@progbits
	.p2align	6, 0x0
	.amdhsa_kernel _ZN7rocprim17ROCPRIM_400000_NS6detail17trampoline_kernelINS0_14default_configENS1_38merge_sort_block_merge_config_selectorIiNS0_10empty_typeEEEZZNS1_27merge_sort_block_merge_implIS3_N6thrust23THRUST_200600_302600_NS6detail15normal_iteratorINS9_10device_ptrIiEEEEPS5_jNS1_19radix_merge_compareILb1ELb1EiNS0_19identity_decomposerEEEEE10hipError_tT0_T1_T2_jT3_P12ihipStream_tbPNSt15iterator_traitsISK_E10value_typeEPNSQ_ISL_E10value_typeEPSM_NS1_7vsmem_tEENKUlT_SK_SL_SM_E_clIPiSE_SF_SF_EESJ_SZ_SK_SL_SM_EUlSZ_E0_NS1_11comp_targetILNS1_3genE9ELNS1_11target_archE1100ELNS1_3gpuE3ELNS1_3repE0EEENS1_38merge_mergepath_config_static_selectorELNS0_4arch9wavefront6targetE0EEEvSL_
		.amdhsa_group_segment_fixed_size 0
		.amdhsa_private_segment_fixed_size 0
		.amdhsa_kernarg_size 64
		.amdhsa_user_sgpr_count 6
		.amdhsa_user_sgpr_private_segment_buffer 1
		.amdhsa_user_sgpr_dispatch_ptr 0
		.amdhsa_user_sgpr_queue_ptr 0
		.amdhsa_user_sgpr_kernarg_segment_ptr 1
		.amdhsa_user_sgpr_dispatch_id 0
		.amdhsa_user_sgpr_flat_scratch_init 0
		.amdhsa_user_sgpr_private_segment_size 0
		.amdhsa_wavefront_size32 1
		.amdhsa_uses_dynamic_stack 0
		.amdhsa_system_sgpr_private_segment_wavefront_offset 0
		.amdhsa_system_sgpr_workgroup_id_x 1
		.amdhsa_system_sgpr_workgroup_id_y 0
		.amdhsa_system_sgpr_workgroup_id_z 0
		.amdhsa_system_sgpr_workgroup_info 0
		.amdhsa_system_vgpr_workitem_id 0
		.amdhsa_next_free_vgpr 1
		.amdhsa_next_free_sgpr 1
		.amdhsa_reserve_vcc 0
		.amdhsa_reserve_flat_scratch 0
		.amdhsa_float_round_mode_32 0
		.amdhsa_float_round_mode_16_64 0
		.amdhsa_float_denorm_mode_32 3
		.amdhsa_float_denorm_mode_16_64 3
		.amdhsa_dx10_clamp 1
		.amdhsa_ieee_mode 1
		.amdhsa_fp16_overflow 0
		.amdhsa_workgroup_processor_mode 1
		.amdhsa_memory_ordered 1
		.amdhsa_forward_progress 1
		.amdhsa_shared_vgpr_count 0
		.amdhsa_exception_fp_ieee_invalid_op 0
		.amdhsa_exception_fp_denorm_src 0
		.amdhsa_exception_fp_ieee_div_zero 0
		.amdhsa_exception_fp_ieee_overflow 0
		.amdhsa_exception_fp_ieee_underflow 0
		.amdhsa_exception_fp_ieee_inexact 0
		.amdhsa_exception_int_div_zero 0
	.end_amdhsa_kernel
	.section	.text._ZN7rocprim17ROCPRIM_400000_NS6detail17trampoline_kernelINS0_14default_configENS1_38merge_sort_block_merge_config_selectorIiNS0_10empty_typeEEEZZNS1_27merge_sort_block_merge_implIS3_N6thrust23THRUST_200600_302600_NS6detail15normal_iteratorINS9_10device_ptrIiEEEEPS5_jNS1_19radix_merge_compareILb1ELb1EiNS0_19identity_decomposerEEEEE10hipError_tT0_T1_T2_jT3_P12ihipStream_tbPNSt15iterator_traitsISK_E10value_typeEPNSQ_ISL_E10value_typeEPSM_NS1_7vsmem_tEENKUlT_SK_SL_SM_E_clIPiSE_SF_SF_EESJ_SZ_SK_SL_SM_EUlSZ_E0_NS1_11comp_targetILNS1_3genE9ELNS1_11target_archE1100ELNS1_3gpuE3ELNS1_3repE0EEENS1_38merge_mergepath_config_static_selectorELNS0_4arch9wavefront6targetE0EEEvSL_,"axG",@progbits,_ZN7rocprim17ROCPRIM_400000_NS6detail17trampoline_kernelINS0_14default_configENS1_38merge_sort_block_merge_config_selectorIiNS0_10empty_typeEEEZZNS1_27merge_sort_block_merge_implIS3_N6thrust23THRUST_200600_302600_NS6detail15normal_iteratorINS9_10device_ptrIiEEEEPS5_jNS1_19radix_merge_compareILb1ELb1EiNS0_19identity_decomposerEEEEE10hipError_tT0_T1_T2_jT3_P12ihipStream_tbPNSt15iterator_traitsISK_E10value_typeEPNSQ_ISL_E10value_typeEPSM_NS1_7vsmem_tEENKUlT_SK_SL_SM_E_clIPiSE_SF_SF_EESJ_SZ_SK_SL_SM_EUlSZ_E0_NS1_11comp_targetILNS1_3genE9ELNS1_11target_archE1100ELNS1_3gpuE3ELNS1_3repE0EEENS1_38merge_mergepath_config_static_selectorELNS0_4arch9wavefront6targetE0EEEvSL_,comdat
.Lfunc_end284:
	.size	_ZN7rocprim17ROCPRIM_400000_NS6detail17trampoline_kernelINS0_14default_configENS1_38merge_sort_block_merge_config_selectorIiNS0_10empty_typeEEEZZNS1_27merge_sort_block_merge_implIS3_N6thrust23THRUST_200600_302600_NS6detail15normal_iteratorINS9_10device_ptrIiEEEEPS5_jNS1_19radix_merge_compareILb1ELb1EiNS0_19identity_decomposerEEEEE10hipError_tT0_T1_T2_jT3_P12ihipStream_tbPNSt15iterator_traitsISK_E10value_typeEPNSQ_ISL_E10value_typeEPSM_NS1_7vsmem_tEENKUlT_SK_SL_SM_E_clIPiSE_SF_SF_EESJ_SZ_SK_SL_SM_EUlSZ_E0_NS1_11comp_targetILNS1_3genE9ELNS1_11target_archE1100ELNS1_3gpuE3ELNS1_3repE0EEENS1_38merge_mergepath_config_static_selectorELNS0_4arch9wavefront6targetE0EEEvSL_, .Lfunc_end284-_ZN7rocprim17ROCPRIM_400000_NS6detail17trampoline_kernelINS0_14default_configENS1_38merge_sort_block_merge_config_selectorIiNS0_10empty_typeEEEZZNS1_27merge_sort_block_merge_implIS3_N6thrust23THRUST_200600_302600_NS6detail15normal_iteratorINS9_10device_ptrIiEEEEPS5_jNS1_19radix_merge_compareILb1ELb1EiNS0_19identity_decomposerEEEEE10hipError_tT0_T1_T2_jT3_P12ihipStream_tbPNSt15iterator_traitsISK_E10value_typeEPNSQ_ISL_E10value_typeEPSM_NS1_7vsmem_tEENKUlT_SK_SL_SM_E_clIPiSE_SF_SF_EESJ_SZ_SK_SL_SM_EUlSZ_E0_NS1_11comp_targetILNS1_3genE9ELNS1_11target_archE1100ELNS1_3gpuE3ELNS1_3repE0EEENS1_38merge_mergepath_config_static_selectorELNS0_4arch9wavefront6targetE0EEEvSL_
                                        ; -- End function
	.set _ZN7rocprim17ROCPRIM_400000_NS6detail17trampoline_kernelINS0_14default_configENS1_38merge_sort_block_merge_config_selectorIiNS0_10empty_typeEEEZZNS1_27merge_sort_block_merge_implIS3_N6thrust23THRUST_200600_302600_NS6detail15normal_iteratorINS9_10device_ptrIiEEEEPS5_jNS1_19radix_merge_compareILb1ELb1EiNS0_19identity_decomposerEEEEE10hipError_tT0_T1_T2_jT3_P12ihipStream_tbPNSt15iterator_traitsISK_E10value_typeEPNSQ_ISL_E10value_typeEPSM_NS1_7vsmem_tEENKUlT_SK_SL_SM_E_clIPiSE_SF_SF_EESJ_SZ_SK_SL_SM_EUlSZ_E0_NS1_11comp_targetILNS1_3genE9ELNS1_11target_archE1100ELNS1_3gpuE3ELNS1_3repE0EEENS1_38merge_mergepath_config_static_selectorELNS0_4arch9wavefront6targetE0EEEvSL_.num_vgpr, 0
	.set _ZN7rocprim17ROCPRIM_400000_NS6detail17trampoline_kernelINS0_14default_configENS1_38merge_sort_block_merge_config_selectorIiNS0_10empty_typeEEEZZNS1_27merge_sort_block_merge_implIS3_N6thrust23THRUST_200600_302600_NS6detail15normal_iteratorINS9_10device_ptrIiEEEEPS5_jNS1_19radix_merge_compareILb1ELb1EiNS0_19identity_decomposerEEEEE10hipError_tT0_T1_T2_jT3_P12ihipStream_tbPNSt15iterator_traitsISK_E10value_typeEPNSQ_ISL_E10value_typeEPSM_NS1_7vsmem_tEENKUlT_SK_SL_SM_E_clIPiSE_SF_SF_EESJ_SZ_SK_SL_SM_EUlSZ_E0_NS1_11comp_targetILNS1_3genE9ELNS1_11target_archE1100ELNS1_3gpuE3ELNS1_3repE0EEENS1_38merge_mergepath_config_static_selectorELNS0_4arch9wavefront6targetE0EEEvSL_.num_agpr, 0
	.set _ZN7rocprim17ROCPRIM_400000_NS6detail17trampoline_kernelINS0_14default_configENS1_38merge_sort_block_merge_config_selectorIiNS0_10empty_typeEEEZZNS1_27merge_sort_block_merge_implIS3_N6thrust23THRUST_200600_302600_NS6detail15normal_iteratorINS9_10device_ptrIiEEEEPS5_jNS1_19radix_merge_compareILb1ELb1EiNS0_19identity_decomposerEEEEE10hipError_tT0_T1_T2_jT3_P12ihipStream_tbPNSt15iterator_traitsISK_E10value_typeEPNSQ_ISL_E10value_typeEPSM_NS1_7vsmem_tEENKUlT_SK_SL_SM_E_clIPiSE_SF_SF_EESJ_SZ_SK_SL_SM_EUlSZ_E0_NS1_11comp_targetILNS1_3genE9ELNS1_11target_archE1100ELNS1_3gpuE3ELNS1_3repE0EEENS1_38merge_mergepath_config_static_selectorELNS0_4arch9wavefront6targetE0EEEvSL_.numbered_sgpr, 0
	.set _ZN7rocprim17ROCPRIM_400000_NS6detail17trampoline_kernelINS0_14default_configENS1_38merge_sort_block_merge_config_selectorIiNS0_10empty_typeEEEZZNS1_27merge_sort_block_merge_implIS3_N6thrust23THRUST_200600_302600_NS6detail15normal_iteratorINS9_10device_ptrIiEEEEPS5_jNS1_19radix_merge_compareILb1ELb1EiNS0_19identity_decomposerEEEEE10hipError_tT0_T1_T2_jT3_P12ihipStream_tbPNSt15iterator_traitsISK_E10value_typeEPNSQ_ISL_E10value_typeEPSM_NS1_7vsmem_tEENKUlT_SK_SL_SM_E_clIPiSE_SF_SF_EESJ_SZ_SK_SL_SM_EUlSZ_E0_NS1_11comp_targetILNS1_3genE9ELNS1_11target_archE1100ELNS1_3gpuE3ELNS1_3repE0EEENS1_38merge_mergepath_config_static_selectorELNS0_4arch9wavefront6targetE0EEEvSL_.num_named_barrier, 0
	.set _ZN7rocprim17ROCPRIM_400000_NS6detail17trampoline_kernelINS0_14default_configENS1_38merge_sort_block_merge_config_selectorIiNS0_10empty_typeEEEZZNS1_27merge_sort_block_merge_implIS3_N6thrust23THRUST_200600_302600_NS6detail15normal_iteratorINS9_10device_ptrIiEEEEPS5_jNS1_19radix_merge_compareILb1ELb1EiNS0_19identity_decomposerEEEEE10hipError_tT0_T1_T2_jT3_P12ihipStream_tbPNSt15iterator_traitsISK_E10value_typeEPNSQ_ISL_E10value_typeEPSM_NS1_7vsmem_tEENKUlT_SK_SL_SM_E_clIPiSE_SF_SF_EESJ_SZ_SK_SL_SM_EUlSZ_E0_NS1_11comp_targetILNS1_3genE9ELNS1_11target_archE1100ELNS1_3gpuE3ELNS1_3repE0EEENS1_38merge_mergepath_config_static_selectorELNS0_4arch9wavefront6targetE0EEEvSL_.private_seg_size, 0
	.set _ZN7rocprim17ROCPRIM_400000_NS6detail17trampoline_kernelINS0_14default_configENS1_38merge_sort_block_merge_config_selectorIiNS0_10empty_typeEEEZZNS1_27merge_sort_block_merge_implIS3_N6thrust23THRUST_200600_302600_NS6detail15normal_iteratorINS9_10device_ptrIiEEEEPS5_jNS1_19radix_merge_compareILb1ELb1EiNS0_19identity_decomposerEEEEE10hipError_tT0_T1_T2_jT3_P12ihipStream_tbPNSt15iterator_traitsISK_E10value_typeEPNSQ_ISL_E10value_typeEPSM_NS1_7vsmem_tEENKUlT_SK_SL_SM_E_clIPiSE_SF_SF_EESJ_SZ_SK_SL_SM_EUlSZ_E0_NS1_11comp_targetILNS1_3genE9ELNS1_11target_archE1100ELNS1_3gpuE3ELNS1_3repE0EEENS1_38merge_mergepath_config_static_selectorELNS0_4arch9wavefront6targetE0EEEvSL_.uses_vcc, 0
	.set _ZN7rocprim17ROCPRIM_400000_NS6detail17trampoline_kernelINS0_14default_configENS1_38merge_sort_block_merge_config_selectorIiNS0_10empty_typeEEEZZNS1_27merge_sort_block_merge_implIS3_N6thrust23THRUST_200600_302600_NS6detail15normal_iteratorINS9_10device_ptrIiEEEEPS5_jNS1_19radix_merge_compareILb1ELb1EiNS0_19identity_decomposerEEEEE10hipError_tT0_T1_T2_jT3_P12ihipStream_tbPNSt15iterator_traitsISK_E10value_typeEPNSQ_ISL_E10value_typeEPSM_NS1_7vsmem_tEENKUlT_SK_SL_SM_E_clIPiSE_SF_SF_EESJ_SZ_SK_SL_SM_EUlSZ_E0_NS1_11comp_targetILNS1_3genE9ELNS1_11target_archE1100ELNS1_3gpuE3ELNS1_3repE0EEENS1_38merge_mergepath_config_static_selectorELNS0_4arch9wavefront6targetE0EEEvSL_.uses_flat_scratch, 0
	.set _ZN7rocprim17ROCPRIM_400000_NS6detail17trampoline_kernelINS0_14default_configENS1_38merge_sort_block_merge_config_selectorIiNS0_10empty_typeEEEZZNS1_27merge_sort_block_merge_implIS3_N6thrust23THRUST_200600_302600_NS6detail15normal_iteratorINS9_10device_ptrIiEEEEPS5_jNS1_19radix_merge_compareILb1ELb1EiNS0_19identity_decomposerEEEEE10hipError_tT0_T1_T2_jT3_P12ihipStream_tbPNSt15iterator_traitsISK_E10value_typeEPNSQ_ISL_E10value_typeEPSM_NS1_7vsmem_tEENKUlT_SK_SL_SM_E_clIPiSE_SF_SF_EESJ_SZ_SK_SL_SM_EUlSZ_E0_NS1_11comp_targetILNS1_3genE9ELNS1_11target_archE1100ELNS1_3gpuE3ELNS1_3repE0EEENS1_38merge_mergepath_config_static_selectorELNS0_4arch9wavefront6targetE0EEEvSL_.has_dyn_sized_stack, 0
	.set _ZN7rocprim17ROCPRIM_400000_NS6detail17trampoline_kernelINS0_14default_configENS1_38merge_sort_block_merge_config_selectorIiNS0_10empty_typeEEEZZNS1_27merge_sort_block_merge_implIS3_N6thrust23THRUST_200600_302600_NS6detail15normal_iteratorINS9_10device_ptrIiEEEEPS5_jNS1_19radix_merge_compareILb1ELb1EiNS0_19identity_decomposerEEEEE10hipError_tT0_T1_T2_jT3_P12ihipStream_tbPNSt15iterator_traitsISK_E10value_typeEPNSQ_ISL_E10value_typeEPSM_NS1_7vsmem_tEENKUlT_SK_SL_SM_E_clIPiSE_SF_SF_EESJ_SZ_SK_SL_SM_EUlSZ_E0_NS1_11comp_targetILNS1_3genE9ELNS1_11target_archE1100ELNS1_3gpuE3ELNS1_3repE0EEENS1_38merge_mergepath_config_static_selectorELNS0_4arch9wavefront6targetE0EEEvSL_.has_recursion, 0
	.set _ZN7rocprim17ROCPRIM_400000_NS6detail17trampoline_kernelINS0_14default_configENS1_38merge_sort_block_merge_config_selectorIiNS0_10empty_typeEEEZZNS1_27merge_sort_block_merge_implIS3_N6thrust23THRUST_200600_302600_NS6detail15normal_iteratorINS9_10device_ptrIiEEEEPS5_jNS1_19radix_merge_compareILb1ELb1EiNS0_19identity_decomposerEEEEE10hipError_tT0_T1_T2_jT3_P12ihipStream_tbPNSt15iterator_traitsISK_E10value_typeEPNSQ_ISL_E10value_typeEPSM_NS1_7vsmem_tEENKUlT_SK_SL_SM_E_clIPiSE_SF_SF_EESJ_SZ_SK_SL_SM_EUlSZ_E0_NS1_11comp_targetILNS1_3genE9ELNS1_11target_archE1100ELNS1_3gpuE3ELNS1_3repE0EEENS1_38merge_mergepath_config_static_selectorELNS0_4arch9wavefront6targetE0EEEvSL_.has_indirect_call, 0
	.section	.AMDGPU.csdata,"",@progbits
; Kernel info:
; codeLenInByte = 0
; TotalNumSgprs: 0
; NumVgprs: 0
; ScratchSize: 0
; MemoryBound: 0
; FloatMode: 240
; IeeeMode: 1
; LDSByteSize: 0 bytes/workgroup (compile time only)
; SGPRBlocks: 0
; VGPRBlocks: 0
; NumSGPRsForWavesPerEU: 1
; NumVGPRsForWavesPerEU: 1
; Occupancy: 16
; WaveLimiterHint : 0
; COMPUTE_PGM_RSRC2:SCRATCH_EN: 0
; COMPUTE_PGM_RSRC2:USER_SGPR: 6
; COMPUTE_PGM_RSRC2:TRAP_HANDLER: 0
; COMPUTE_PGM_RSRC2:TGID_X_EN: 1
; COMPUTE_PGM_RSRC2:TGID_Y_EN: 0
; COMPUTE_PGM_RSRC2:TGID_Z_EN: 0
; COMPUTE_PGM_RSRC2:TIDIG_COMP_CNT: 0
	.section	.text._ZN7rocprim17ROCPRIM_400000_NS6detail17trampoline_kernelINS0_14default_configENS1_38merge_sort_block_merge_config_selectorIiNS0_10empty_typeEEEZZNS1_27merge_sort_block_merge_implIS3_N6thrust23THRUST_200600_302600_NS6detail15normal_iteratorINS9_10device_ptrIiEEEEPS5_jNS1_19radix_merge_compareILb1ELb1EiNS0_19identity_decomposerEEEEE10hipError_tT0_T1_T2_jT3_P12ihipStream_tbPNSt15iterator_traitsISK_E10value_typeEPNSQ_ISL_E10value_typeEPSM_NS1_7vsmem_tEENKUlT_SK_SL_SM_E_clIPiSE_SF_SF_EESJ_SZ_SK_SL_SM_EUlSZ_E0_NS1_11comp_targetILNS1_3genE8ELNS1_11target_archE1030ELNS1_3gpuE2ELNS1_3repE0EEENS1_38merge_mergepath_config_static_selectorELNS0_4arch9wavefront6targetE0EEEvSL_,"axG",@progbits,_ZN7rocprim17ROCPRIM_400000_NS6detail17trampoline_kernelINS0_14default_configENS1_38merge_sort_block_merge_config_selectorIiNS0_10empty_typeEEEZZNS1_27merge_sort_block_merge_implIS3_N6thrust23THRUST_200600_302600_NS6detail15normal_iteratorINS9_10device_ptrIiEEEEPS5_jNS1_19radix_merge_compareILb1ELb1EiNS0_19identity_decomposerEEEEE10hipError_tT0_T1_T2_jT3_P12ihipStream_tbPNSt15iterator_traitsISK_E10value_typeEPNSQ_ISL_E10value_typeEPSM_NS1_7vsmem_tEENKUlT_SK_SL_SM_E_clIPiSE_SF_SF_EESJ_SZ_SK_SL_SM_EUlSZ_E0_NS1_11comp_targetILNS1_3genE8ELNS1_11target_archE1030ELNS1_3gpuE2ELNS1_3repE0EEENS1_38merge_mergepath_config_static_selectorELNS0_4arch9wavefront6targetE0EEEvSL_,comdat
	.protected	_ZN7rocprim17ROCPRIM_400000_NS6detail17trampoline_kernelINS0_14default_configENS1_38merge_sort_block_merge_config_selectorIiNS0_10empty_typeEEEZZNS1_27merge_sort_block_merge_implIS3_N6thrust23THRUST_200600_302600_NS6detail15normal_iteratorINS9_10device_ptrIiEEEEPS5_jNS1_19radix_merge_compareILb1ELb1EiNS0_19identity_decomposerEEEEE10hipError_tT0_T1_T2_jT3_P12ihipStream_tbPNSt15iterator_traitsISK_E10value_typeEPNSQ_ISL_E10value_typeEPSM_NS1_7vsmem_tEENKUlT_SK_SL_SM_E_clIPiSE_SF_SF_EESJ_SZ_SK_SL_SM_EUlSZ_E0_NS1_11comp_targetILNS1_3genE8ELNS1_11target_archE1030ELNS1_3gpuE2ELNS1_3repE0EEENS1_38merge_mergepath_config_static_selectorELNS0_4arch9wavefront6targetE0EEEvSL_ ; -- Begin function _ZN7rocprim17ROCPRIM_400000_NS6detail17trampoline_kernelINS0_14default_configENS1_38merge_sort_block_merge_config_selectorIiNS0_10empty_typeEEEZZNS1_27merge_sort_block_merge_implIS3_N6thrust23THRUST_200600_302600_NS6detail15normal_iteratorINS9_10device_ptrIiEEEEPS5_jNS1_19radix_merge_compareILb1ELb1EiNS0_19identity_decomposerEEEEE10hipError_tT0_T1_T2_jT3_P12ihipStream_tbPNSt15iterator_traitsISK_E10value_typeEPNSQ_ISL_E10value_typeEPSM_NS1_7vsmem_tEENKUlT_SK_SL_SM_E_clIPiSE_SF_SF_EESJ_SZ_SK_SL_SM_EUlSZ_E0_NS1_11comp_targetILNS1_3genE8ELNS1_11target_archE1030ELNS1_3gpuE2ELNS1_3repE0EEENS1_38merge_mergepath_config_static_selectorELNS0_4arch9wavefront6targetE0EEEvSL_
	.globl	_ZN7rocprim17ROCPRIM_400000_NS6detail17trampoline_kernelINS0_14default_configENS1_38merge_sort_block_merge_config_selectorIiNS0_10empty_typeEEEZZNS1_27merge_sort_block_merge_implIS3_N6thrust23THRUST_200600_302600_NS6detail15normal_iteratorINS9_10device_ptrIiEEEEPS5_jNS1_19radix_merge_compareILb1ELb1EiNS0_19identity_decomposerEEEEE10hipError_tT0_T1_T2_jT3_P12ihipStream_tbPNSt15iterator_traitsISK_E10value_typeEPNSQ_ISL_E10value_typeEPSM_NS1_7vsmem_tEENKUlT_SK_SL_SM_E_clIPiSE_SF_SF_EESJ_SZ_SK_SL_SM_EUlSZ_E0_NS1_11comp_targetILNS1_3genE8ELNS1_11target_archE1030ELNS1_3gpuE2ELNS1_3repE0EEENS1_38merge_mergepath_config_static_selectorELNS0_4arch9wavefront6targetE0EEEvSL_
	.p2align	8
	.type	_ZN7rocprim17ROCPRIM_400000_NS6detail17trampoline_kernelINS0_14default_configENS1_38merge_sort_block_merge_config_selectorIiNS0_10empty_typeEEEZZNS1_27merge_sort_block_merge_implIS3_N6thrust23THRUST_200600_302600_NS6detail15normal_iteratorINS9_10device_ptrIiEEEEPS5_jNS1_19radix_merge_compareILb1ELb1EiNS0_19identity_decomposerEEEEE10hipError_tT0_T1_T2_jT3_P12ihipStream_tbPNSt15iterator_traitsISK_E10value_typeEPNSQ_ISL_E10value_typeEPSM_NS1_7vsmem_tEENKUlT_SK_SL_SM_E_clIPiSE_SF_SF_EESJ_SZ_SK_SL_SM_EUlSZ_E0_NS1_11comp_targetILNS1_3genE8ELNS1_11target_archE1030ELNS1_3gpuE2ELNS1_3repE0EEENS1_38merge_mergepath_config_static_selectorELNS0_4arch9wavefront6targetE0EEEvSL_,@function
_ZN7rocprim17ROCPRIM_400000_NS6detail17trampoline_kernelINS0_14default_configENS1_38merge_sort_block_merge_config_selectorIiNS0_10empty_typeEEEZZNS1_27merge_sort_block_merge_implIS3_N6thrust23THRUST_200600_302600_NS6detail15normal_iteratorINS9_10device_ptrIiEEEEPS5_jNS1_19radix_merge_compareILb1ELb1EiNS0_19identity_decomposerEEEEE10hipError_tT0_T1_T2_jT3_P12ihipStream_tbPNSt15iterator_traitsISK_E10value_typeEPNSQ_ISL_E10value_typeEPSM_NS1_7vsmem_tEENKUlT_SK_SL_SM_E_clIPiSE_SF_SF_EESJ_SZ_SK_SL_SM_EUlSZ_E0_NS1_11comp_targetILNS1_3genE8ELNS1_11target_archE1030ELNS1_3gpuE2ELNS1_3repE0EEENS1_38merge_mergepath_config_static_selectorELNS0_4arch9wavefront6targetE0EEEvSL_: ; @_ZN7rocprim17ROCPRIM_400000_NS6detail17trampoline_kernelINS0_14default_configENS1_38merge_sort_block_merge_config_selectorIiNS0_10empty_typeEEEZZNS1_27merge_sort_block_merge_implIS3_N6thrust23THRUST_200600_302600_NS6detail15normal_iteratorINS9_10device_ptrIiEEEEPS5_jNS1_19radix_merge_compareILb1ELb1EiNS0_19identity_decomposerEEEEE10hipError_tT0_T1_T2_jT3_P12ihipStream_tbPNSt15iterator_traitsISK_E10value_typeEPNSQ_ISL_E10value_typeEPSM_NS1_7vsmem_tEENKUlT_SK_SL_SM_E_clIPiSE_SF_SF_EESJ_SZ_SK_SL_SM_EUlSZ_E0_NS1_11comp_targetILNS1_3genE8ELNS1_11target_archE1030ELNS1_3gpuE2ELNS1_3repE0EEENS1_38merge_mergepath_config_static_selectorELNS0_4arch9wavefront6targetE0EEEvSL_
; %bb.0:
	s_clause 0x1
	s_load_dwordx2 s[14:15], s[4:5], 0x40
	s_load_dwordx2 s[2:3], s[4:5], 0x30
	s_add_u32 s12, s4, 64
	s_addc_u32 s13, s5, 0
	s_waitcnt lgkmcnt(0)
	s_mul_i32 s0, s15, s8
	s_add_i32 s0, s0, s7
	s_mul_i32 s0, s0, s14
	s_add_i32 s0, s0, s6
	s_cmp_ge_u32 s0, s2
	s_cbranch_scc1 .LBB285_27
; %bb.1:
	s_clause 0x2
	s_load_dwordx2 s[8:9], s[4:5], 0x28
	s_load_dwordx2 s[10:11], s[4:5], 0x38
	;; [unrolled: 1-line block ×3, first 2 shown]
	s_mov_b32 s1, 0
	v_mov_b32_e32 v4, 0
	s_mov_b32 s21, s1
	v_lshlrev_b32_e32 v5, 2, v0
                                        ; implicit-def: $vgpr6
	global_load_dword v1, v4, s[12:13] offset:14
	s_waitcnt lgkmcnt(0)
	s_lshr_b32 s22, s8, 10
	s_cmp_lg_u32 s0, s22
	s_cselect_b32 s7, -1, 0
	s_lshl_b64 s[16:17], s[0:1], 2
	s_add_u32 s10, s10, s16
	s_addc_u32 s11, s11, s17
	s_lshr_b32 s2, s9, 9
	s_load_dwordx2 s[16:17], s[10:11], 0x0
	s_and_b32 s2, s2, 0x7ffffe
	s_lshl_b32 s10, s0, 10
	s_sub_i32 s2, 0, s2
	s_and_b32 s11, s0, s2
	s_or_b32 s2, s0, s2
	s_lshl_b32 s15, s11, 11
	s_lshl_b32 s11, s11, 10
	s_add_i32 s15, s15, s9
	s_sub_i32 s20, s10, s11
	s_sub_i32 s11, s15, s11
	s_add_i32 s15, s15, s20
	s_min_u32 s23, s8, s11
	s_add_i32 s11, s11, s9
	s_waitcnt lgkmcnt(0)
	s_sub_i32 s9, s15, s16
	s_sub_i32 s15, s15, s17
	s_min_u32 s20, s8, s9
	s_addk_i32 s15, 0x400
	s_cmp_eq_u32 s2, -1
	s_cselect_b32 s2, s11, s15
	s_cselect_b32 s9, s23, s17
	s_mov_b32 s17, s1
	s_min_u32 s1, s2, s8
	s_sub_i32 s2, s9, s16
	s_lshl_b64 s[16:17], s[16:17], 2
	s_sub_i32 s9, s1, s20
	s_add_u32 s16, s18, s16
	s_addc_u32 s17, s19, s17
	s_lshl_b64 s[20:21], s[20:21], 2
	s_add_u32 s11, s18, s20
	s_addc_u32 s15, s19, s21
	s_cmp_lt_u32 s6, s14
	s_cselect_b32 s1, 12, 18
	s_add_u32 s12, s12, s1
	s_addc_u32 s13, s13, 0
	s_cmp_eq_u32 s0, s22
	global_load_ushort v2, v4, s[12:13]
	s_mov_b32 s0, -1
	s_waitcnt vmcnt(1)
	v_lshrrev_b32_e32 v3, 16, v1
	v_and_b32_e32 v1, 0xffff, v1
	v_mul_lo_u32 v1, v1, v3
                                        ; implicit-def: $vgpr3
	s_waitcnt vmcnt(0)
	v_mul_lo_u32 v1, v1, v2
                                        ; implicit-def: $vgpr2
	v_add_nc_u32_e32 v1, v1, v0
	s_cbranch_scc1 .LBB285_3
; %bb.2:
	v_mov_b32_e32 v2, v4
	v_sub_co_u32 v3, vcc_lo, v0, s2
	v_add_co_u32 v10, s0, s16, v5
	v_lshlrev_b64 v[6:7], 2, v[1:2]
	v_add_co_ci_u32_e64 v11, null, s17, 0, s0
	v_lshlrev_b64 v[8:9], 2, v[3:4]
	v_add_co_u32 v6, s0, s16, v6
	v_add_co_ci_u32_e64 v7, null, s17, v7, s0
	v_sub_co_u32 v3, s0, v1, s2
	v_lshlrev_b64 v[2:3], 2, v[3:4]
	v_add_co_u32 v4, s1, s11, v8
	v_add_co_ci_u32_e64 v8, null, s15, v9, s1
	v_add_co_u32 v9, s1, s11, v2
	v_add_co_ci_u32_e64 v12, null, s15, v3, s1
	v_cndmask_b32_e32 v3, v8, v11, vcc_lo
	v_cndmask_b32_e32 v2, v4, v10, vcc_lo
	v_cndmask_b32_e64 v6, v9, v6, s0
	v_cndmask_b32_e64 v7, v12, v7, s0
	s_add_i32 s0, s9, s2
	global_load_dword v3, v[2:3], off
	global_load_dword v2, v[6:7], off
	v_mov_b32_e32 v6, s0
	s_mov_b32 s0, 0
.LBB285_3:
	s_load_dwordx2 s[4:5], s[4:5], 0x10
	s_andn2_b32 vcc_lo, exec_lo, s0
	s_cbranch_vccnz .LBB285_9
; %bb.4:
	s_waitcnt vmcnt(0)
	v_mov_b32_e32 v2, 0
	v_mov_b32_e32 v3, 0
	s_add_i32 s1, s9, s2
	s_mov_b32 s6, exec_lo
	v_cmpx_gt_u32_e64 s1, v0
	s_cbranch_execz .LBB285_6
; %bb.5:
	v_sub_co_u32 v3, vcc_lo, v0, s2
	v_mov_b32_e32 v4, 0
	v_add_co_u32 v6, s0, s16, v5
	v_add_co_ci_u32_e64 v7, null, s17, 0, s0
	v_lshlrev_b64 v[3:4], 2, v[3:4]
	v_add_co_u32 v3, s0, s11, v3
	v_add_co_ci_u32_e64 v4, null, s15, v4, s0
	v_cndmask_b32_e32 v3, v3, v6, vcc_lo
	v_cndmask_b32_e32 v4, v4, v7, vcc_lo
	global_load_dword v3, v[3:4], off
.LBB285_6:
	s_or_b32 exec_lo, exec_lo, s6
	s_mov_b32 s6, exec_lo
	v_cmpx_gt_u32_e64 s1, v1
	s_cbranch_execz .LBB285_8
; %bb.7:
	v_mov_b32_e32 v2, 0
	v_lshlrev_b64 v[6:7], 2, v[1:2]
	v_add_co_u32 v4, vcc_lo, s16, v6
	v_add_co_ci_u32_e64 v6, null, s17, v7, vcc_lo
	v_sub_co_u32 v1, vcc_lo, v1, s2
	v_lshlrev_b64 v[1:2], 2, v[1:2]
	v_add_co_u32 v1, s0, s11, v1
	v_add_co_ci_u32_e64 v2, null, s15, v2, s0
	v_cndmask_b32_e32 v1, v1, v4, vcc_lo
	v_cndmask_b32_e32 v2, v2, v6, vcc_lo
	global_load_dword v2, v[1:2], off
.LBB285_8:
	s_or_b32 exec_lo, exec_lo, s6
	v_mov_b32_e32 v6, s1
.LBB285_9:
	v_lshlrev_b32_e32 v1, 1, v0
	s_mov_b32 s0, exec_lo
	s_waitcnt vmcnt(0)
	ds_write2st64_b32 v5, v3, v2 offset1:8
	s_waitcnt lgkmcnt(0)
	s_barrier
	v_min_u32_e32 v7, v6, v1
	buffer_gl0_inv
	v_sub_nc_u32_e64 v4, v7, s9 clamp
	v_min_u32_e32 v8, s2, v7
	v_cmpx_lt_u32_e64 v4, v8
	s_cbranch_execz .LBB285_13
; %bb.10:
	v_lshlrev_b32_e32 v9, 2, v7
	s_mov_b32 s1, 0
	v_lshl_add_u32 v9, s2, 2, v9
	.p2align	6
.LBB285_11:                             ; =>This Inner Loop Header: Depth=1
	v_add_nc_u32_e32 v10, v8, v4
	v_lshrrev_b32_e32 v10, 1, v10
	v_not_b32_e32 v11, v10
	v_lshlrev_b32_e32 v12, 2, v10
	v_add_nc_u32_e32 v13, 1, v10
	v_lshl_add_u32 v11, v11, 2, v9
	ds_read_b32 v12, v12
	ds_read_b32 v11, v11
	s_waitcnt lgkmcnt(1)
	v_and_b32_e32 v12, s3, v12
	s_waitcnt lgkmcnt(0)
	v_and_b32_e32 v11, s3, v11
	v_cmp_gt_i32_e32 vcc_lo, v11, v12
	v_cndmask_b32_e32 v8, v8, v10, vcc_lo
	v_cndmask_b32_e32 v4, v13, v4, vcc_lo
	v_cmp_ge_u32_e32 vcc_lo, v4, v8
	s_or_b32 s1, vcc_lo, s1
	s_andn2_b32 exec_lo, exec_lo, s1
	s_cbranch_execnz .LBB285_11
; %bb.12:
	s_or_b32 exec_lo, exec_lo, s1
.LBB285_13:
	s_or_b32 exec_lo, exec_lo, s0
	v_sub_nc_u32_e32 v7, v7, v4
	v_cmp_ge_u32_e32 vcc_lo, s2, v4
	v_add_nc_u32_e32 v7, s2, v7
	v_cmp_le_u32_e64 s0, v7, v6
	s_or_b32 s0, vcc_lo, s0
	s_and_saveexec_b32 s6, s0
	s_cbranch_execz .LBB285_19
; %bb.14:
	v_cmp_gt_u32_e32 vcc_lo, s2, v4
                                        ; implicit-def: $vgpr2
	s_and_saveexec_b32 s0, vcc_lo
; %bb.15:
	v_lshlrev_b32_e32 v2, 2, v4
	ds_read_b32 v2, v2
; %bb.16:
	s_or_b32 exec_lo, exec_lo, s0
	v_cmp_ge_u32_e64 s0, v7, v6
	s_mov_b32 s9, exec_lo
                                        ; implicit-def: $vgpr3
	v_cmpx_lt_u32_e64 v7, v6
; %bb.17:
	v_lshlrev_b32_e32 v3, 2, v7
	ds_read_b32 v3, v3
; %bb.18:
	s_or_b32 exec_lo, exec_lo, s9
	s_waitcnt lgkmcnt(0)
	v_and_b32_e32 v8, s3, v3
	v_and_b32_e32 v9, s3, v2
	v_cmp_le_i32_e64 s1, v8, v9
	s_and_b32 s1, vcc_lo, s1
	s_or_b32 vcc_lo, s0, s1
	v_cndmask_b32_e32 v8, v7, v4, vcc_lo
	v_cndmask_b32_e64 v9, v6, s2, vcc_lo
	v_add_nc_u32_e32 v8, 1, v8
	v_add_nc_u32_e32 v9, -1, v9
	v_cndmask_b32_e32 v4, v4, v8, vcc_lo
	v_min_u32_e32 v9, v8, v9
	v_cndmask_b32_e32 v7, v8, v7, vcc_lo
	v_cmp_gt_u32_e64 s0, s2, v4
	v_lshlrev_b32_e32 v9, 2, v9
	v_cmp_ge_u32_e64 s2, v7, v6
	ds_read_b32 v9, v9
	s_waitcnt lgkmcnt(0)
	v_cndmask_b32_e32 v10, v9, v3, vcc_lo
	v_cndmask_b32_e32 v9, v2, v9, vcc_lo
	;; [unrolled: 1-line block ×3, first 2 shown]
	v_and_b32_e32 v11, s3, v10
	v_and_b32_e32 v12, s3, v9
	v_cmp_le_i32_e64 s1, v11, v12
	s_and_b32 s0, s0, s1
	s_or_b32 vcc_lo, s2, s0
	v_cndmask_b32_e32 v2, v10, v9, vcc_lo
.LBB285_19:
	s_or_b32 exec_lo, exec_lo, s6
	v_lshrrev_b32_e32 v6, 2, v0
	v_or_b32_e32 v4, 0x200, v0
	v_lshrrev_b32_e32 v7, 3, v0
	s_mov_b32 s11, 0
	v_and_b32_e32 v6, 0x7c, v6
	v_lshrrev_b32_e32 v8, 3, v4
	s_lshl_b64 s[0:1], s[10:11], 2
	s_barrier
	s_add_u32 s0, s4, s0
	v_lshl_add_u32 v1, v1, 2, v6
	v_and_b32_e32 v6, 60, v7
	v_and_b32_e32 v7, 0x7c, v8
	buffer_gl0_inv
	s_barrier
	buffer_gl0_inv
	s_addc_u32 s1, s5, s1
	ds_write2_b32 v1, v3, v2 offset1:1
	v_add_co_u32 v1, s0, s0, v5
	v_add_nc_u32_e32 v6, v6, v5
	v_add_nc_u32_e32 v7, v7, v5
	v_add_co_ci_u32_e64 v2, null, s1, 0, s0
	s_and_b32 vcc_lo, exec_lo, s7
	s_waitcnt lgkmcnt(0)
	s_cbranch_vccz .LBB285_21
; %bb.20:
	s_barrier
	buffer_gl0_inv
	ds_read_b32 v5, v6
	ds_read_b32 v3, v7 offset:2048
	s_mov_b32 s11, -1
	s_waitcnt lgkmcnt(1)
	global_store_dword v[1:2], v5, off
	s_cbranch_execz .LBB285_22
	s_branch .LBB285_25
.LBB285_21:
                                        ; implicit-def: $vgpr3
.LBB285_22:
	s_barrier
	s_waitcnt lgkmcnt(0)
	s_waitcnt_vscnt null, 0x0
	buffer_gl0_inv
	ds_read_b32 v3, v7 offset:2048
	s_sub_i32 s0, s8, s10
	s_mov_b32 s1, exec_lo
	v_cmpx_gt_u32_e64 s0, v0
	s_cbranch_execz .LBB285_24
; %bb.23:
	ds_read_b32 v0, v6
	s_waitcnt lgkmcnt(0)
	global_store_dword v[1:2], v0, off
.LBB285_24:
	s_or_b32 exec_lo, exec_lo, s1
	v_cmp_gt_u32_e64 s11, s0, v4
.LBB285_25:
	s_and_saveexec_b32 s0, s11
	s_cbranch_execz .LBB285_27
; %bb.26:
	v_add_co_u32 v0, vcc_lo, 0x800, v1
	v_add_co_ci_u32_e64 v1, null, 0, v2, vcc_lo
	s_waitcnt lgkmcnt(0)
	global_store_dword v[0:1], v3, off
.LBB285_27:
	s_endpgm
	.section	.rodata,"a",@progbits
	.p2align	6, 0x0
	.amdhsa_kernel _ZN7rocprim17ROCPRIM_400000_NS6detail17trampoline_kernelINS0_14default_configENS1_38merge_sort_block_merge_config_selectorIiNS0_10empty_typeEEEZZNS1_27merge_sort_block_merge_implIS3_N6thrust23THRUST_200600_302600_NS6detail15normal_iteratorINS9_10device_ptrIiEEEEPS5_jNS1_19radix_merge_compareILb1ELb1EiNS0_19identity_decomposerEEEEE10hipError_tT0_T1_T2_jT3_P12ihipStream_tbPNSt15iterator_traitsISK_E10value_typeEPNSQ_ISL_E10value_typeEPSM_NS1_7vsmem_tEENKUlT_SK_SL_SM_E_clIPiSE_SF_SF_EESJ_SZ_SK_SL_SM_EUlSZ_E0_NS1_11comp_targetILNS1_3genE8ELNS1_11target_archE1030ELNS1_3gpuE2ELNS1_3repE0EEENS1_38merge_mergepath_config_static_selectorELNS0_4arch9wavefront6targetE0EEEvSL_
		.amdhsa_group_segment_fixed_size 4224
		.amdhsa_private_segment_fixed_size 0
		.amdhsa_kernarg_size 320
		.amdhsa_user_sgpr_count 6
		.amdhsa_user_sgpr_private_segment_buffer 1
		.amdhsa_user_sgpr_dispatch_ptr 0
		.amdhsa_user_sgpr_queue_ptr 0
		.amdhsa_user_sgpr_kernarg_segment_ptr 1
		.amdhsa_user_sgpr_dispatch_id 0
		.amdhsa_user_sgpr_flat_scratch_init 0
		.amdhsa_user_sgpr_private_segment_size 0
		.amdhsa_wavefront_size32 1
		.amdhsa_uses_dynamic_stack 0
		.amdhsa_system_sgpr_private_segment_wavefront_offset 0
		.amdhsa_system_sgpr_workgroup_id_x 1
		.amdhsa_system_sgpr_workgroup_id_y 1
		.amdhsa_system_sgpr_workgroup_id_z 1
		.amdhsa_system_sgpr_workgroup_info 0
		.amdhsa_system_vgpr_workitem_id 0
		.amdhsa_next_free_vgpr 14
		.amdhsa_next_free_sgpr 24
		.amdhsa_reserve_vcc 1
		.amdhsa_reserve_flat_scratch 0
		.amdhsa_float_round_mode_32 0
		.amdhsa_float_round_mode_16_64 0
		.amdhsa_float_denorm_mode_32 3
		.amdhsa_float_denorm_mode_16_64 3
		.amdhsa_dx10_clamp 1
		.amdhsa_ieee_mode 1
		.amdhsa_fp16_overflow 0
		.amdhsa_workgroup_processor_mode 1
		.amdhsa_memory_ordered 1
		.amdhsa_forward_progress 1
		.amdhsa_shared_vgpr_count 0
		.amdhsa_exception_fp_ieee_invalid_op 0
		.amdhsa_exception_fp_denorm_src 0
		.amdhsa_exception_fp_ieee_div_zero 0
		.amdhsa_exception_fp_ieee_overflow 0
		.amdhsa_exception_fp_ieee_underflow 0
		.amdhsa_exception_fp_ieee_inexact 0
		.amdhsa_exception_int_div_zero 0
	.end_amdhsa_kernel
	.section	.text._ZN7rocprim17ROCPRIM_400000_NS6detail17trampoline_kernelINS0_14default_configENS1_38merge_sort_block_merge_config_selectorIiNS0_10empty_typeEEEZZNS1_27merge_sort_block_merge_implIS3_N6thrust23THRUST_200600_302600_NS6detail15normal_iteratorINS9_10device_ptrIiEEEEPS5_jNS1_19radix_merge_compareILb1ELb1EiNS0_19identity_decomposerEEEEE10hipError_tT0_T1_T2_jT3_P12ihipStream_tbPNSt15iterator_traitsISK_E10value_typeEPNSQ_ISL_E10value_typeEPSM_NS1_7vsmem_tEENKUlT_SK_SL_SM_E_clIPiSE_SF_SF_EESJ_SZ_SK_SL_SM_EUlSZ_E0_NS1_11comp_targetILNS1_3genE8ELNS1_11target_archE1030ELNS1_3gpuE2ELNS1_3repE0EEENS1_38merge_mergepath_config_static_selectorELNS0_4arch9wavefront6targetE0EEEvSL_,"axG",@progbits,_ZN7rocprim17ROCPRIM_400000_NS6detail17trampoline_kernelINS0_14default_configENS1_38merge_sort_block_merge_config_selectorIiNS0_10empty_typeEEEZZNS1_27merge_sort_block_merge_implIS3_N6thrust23THRUST_200600_302600_NS6detail15normal_iteratorINS9_10device_ptrIiEEEEPS5_jNS1_19radix_merge_compareILb1ELb1EiNS0_19identity_decomposerEEEEE10hipError_tT0_T1_T2_jT3_P12ihipStream_tbPNSt15iterator_traitsISK_E10value_typeEPNSQ_ISL_E10value_typeEPSM_NS1_7vsmem_tEENKUlT_SK_SL_SM_E_clIPiSE_SF_SF_EESJ_SZ_SK_SL_SM_EUlSZ_E0_NS1_11comp_targetILNS1_3genE8ELNS1_11target_archE1030ELNS1_3gpuE2ELNS1_3repE0EEENS1_38merge_mergepath_config_static_selectorELNS0_4arch9wavefront6targetE0EEEvSL_,comdat
.Lfunc_end285:
	.size	_ZN7rocprim17ROCPRIM_400000_NS6detail17trampoline_kernelINS0_14default_configENS1_38merge_sort_block_merge_config_selectorIiNS0_10empty_typeEEEZZNS1_27merge_sort_block_merge_implIS3_N6thrust23THRUST_200600_302600_NS6detail15normal_iteratorINS9_10device_ptrIiEEEEPS5_jNS1_19radix_merge_compareILb1ELb1EiNS0_19identity_decomposerEEEEE10hipError_tT0_T1_T2_jT3_P12ihipStream_tbPNSt15iterator_traitsISK_E10value_typeEPNSQ_ISL_E10value_typeEPSM_NS1_7vsmem_tEENKUlT_SK_SL_SM_E_clIPiSE_SF_SF_EESJ_SZ_SK_SL_SM_EUlSZ_E0_NS1_11comp_targetILNS1_3genE8ELNS1_11target_archE1030ELNS1_3gpuE2ELNS1_3repE0EEENS1_38merge_mergepath_config_static_selectorELNS0_4arch9wavefront6targetE0EEEvSL_, .Lfunc_end285-_ZN7rocprim17ROCPRIM_400000_NS6detail17trampoline_kernelINS0_14default_configENS1_38merge_sort_block_merge_config_selectorIiNS0_10empty_typeEEEZZNS1_27merge_sort_block_merge_implIS3_N6thrust23THRUST_200600_302600_NS6detail15normal_iteratorINS9_10device_ptrIiEEEEPS5_jNS1_19radix_merge_compareILb1ELb1EiNS0_19identity_decomposerEEEEE10hipError_tT0_T1_T2_jT3_P12ihipStream_tbPNSt15iterator_traitsISK_E10value_typeEPNSQ_ISL_E10value_typeEPSM_NS1_7vsmem_tEENKUlT_SK_SL_SM_E_clIPiSE_SF_SF_EESJ_SZ_SK_SL_SM_EUlSZ_E0_NS1_11comp_targetILNS1_3genE8ELNS1_11target_archE1030ELNS1_3gpuE2ELNS1_3repE0EEENS1_38merge_mergepath_config_static_selectorELNS0_4arch9wavefront6targetE0EEEvSL_
                                        ; -- End function
	.set _ZN7rocprim17ROCPRIM_400000_NS6detail17trampoline_kernelINS0_14default_configENS1_38merge_sort_block_merge_config_selectorIiNS0_10empty_typeEEEZZNS1_27merge_sort_block_merge_implIS3_N6thrust23THRUST_200600_302600_NS6detail15normal_iteratorINS9_10device_ptrIiEEEEPS5_jNS1_19radix_merge_compareILb1ELb1EiNS0_19identity_decomposerEEEEE10hipError_tT0_T1_T2_jT3_P12ihipStream_tbPNSt15iterator_traitsISK_E10value_typeEPNSQ_ISL_E10value_typeEPSM_NS1_7vsmem_tEENKUlT_SK_SL_SM_E_clIPiSE_SF_SF_EESJ_SZ_SK_SL_SM_EUlSZ_E0_NS1_11comp_targetILNS1_3genE8ELNS1_11target_archE1030ELNS1_3gpuE2ELNS1_3repE0EEENS1_38merge_mergepath_config_static_selectorELNS0_4arch9wavefront6targetE0EEEvSL_.num_vgpr, 14
	.set _ZN7rocprim17ROCPRIM_400000_NS6detail17trampoline_kernelINS0_14default_configENS1_38merge_sort_block_merge_config_selectorIiNS0_10empty_typeEEEZZNS1_27merge_sort_block_merge_implIS3_N6thrust23THRUST_200600_302600_NS6detail15normal_iteratorINS9_10device_ptrIiEEEEPS5_jNS1_19radix_merge_compareILb1ELb1EiNS0_19identity_decomposerEEEEE10hipError_tT0_T1_T2_jT3_P12ihipStream_tbPNSt15iterator_traitsISK_E10value_typeEPNSQ_ISL_E10value_typeEPSM_NS1_7vsmem_tEENKUlT_SK_SL_SM_E_clIPiSE_SF_SF_EESJ_SZ_SK_SL_SM_EUlSZ_E0_NS1_11comp_targetILNS1_3genE8ELNS1_11target_archE1030ELNS1_3gpuE2ELNS1_3repE0EEENS1_38merge_mergepath_config_static_selectorELNS0_4arch9wavefront6targetE0EEEvSL_.num_agpr, 0
	.set _ZN7rocprim17ROCPRIM_400000_NS6detail17trampoline_kernelINS0_14default_configENS1_38merge_sort_block_merge_config_selectorIiNS0_10empty_typeEEEZZNS1_27merge_sort_block_merge_implIS3_N6thrust23THRUST_200600_302600_NS6detail15normal_iteratorINS9_10device_ptrIiEEEEPS5_jNS1_19radix_merge_compareILb1ELb1EiNS0_19identity_decomposerEEEEE10hipError_tT0_T1_T2_jT3_P12ihipStream_tbPNSt15iterator_traitsISK_E10value_typeEPNSQ_ISL_E10value_typeEPSM_NS1_7vsmem_tEENKUlT_SK_SL_SM_E_clIPiSE_SF_SF_EESJ_SZ_SK_SL_SM_EUlSZ_E0_NS1_11comp_targetILNS1_3genE8ELNS1_11target_archE1030ELNS1_3gpuE2ELNS1_3repE0EEENS1_38merge_mergepath_config_static_selectorELNS0_4arch9wavefront6targetE0EEEvSL_.numbered_sgpr, 24
	.set _ZN7rocprim17ROCPRIM_400000_NS6detail17trampoline_kernelINS0_14default_configENS1_38merge_sort_block_merge_config_selectorIiNS0_10empty_typeEEEZZNS1_27merge_sort_block_merge_implIS3_N6thrust23THRUST_200600_302600_NS6detail15normal_iteratorINS9_10device_ptrIiEEEEPS5_jNS1_19radix_merge_compareILb1ELb1EiNS0_19identity_decomposerEEEEE10hipError_tT0_T1_T2_jT3_P12ihipStream_tbPNSt15iterator_traitsISK_E10value_typeEPNSQ_ISL_E10value_typeEPSM_NS1_7vsmem_tEENKUlT_SK_SL_SM_E_clIPiSE_SF_SF_EESJ_SZ_SK_SL_SM_EUlSZ_E0_NS1_11comp_targetILNS1_3genE8ELNS1_11target_archE1030ELNS1_3gpuE2ELNS1_3repE0EEENS1_38merge_mergepath_config_static_selectorELNS0_4arch9wavefront6targetE0EEEvSL_.num_named_barrier, 0
	.set _ZN7rocprim17ROCPRIM_400000_NS6detail17trampoline_kernelINS0_14default_configENS1_38merge_sort_block_merge_config_selectorIiNS0_10empty_typeEEEZZNS1_27merge_sort_block_merge_implIS3_N6thrust23THRUST_200600_302600_NS6detail15normal_iteratorINS9_10device_ptrIiEEEEPS5_jNS1_19radix_merge_compareILb1ELb1EiNS0_19identity_decomposerEEEEE10hipError_tT0_T1_T2_jT3_P12ihipStream_tbPNSt15iterator_traitsISK_E10value_typeEPNSQ_ISL_E10value_typeEPSM_NS1_7vsmem_tEENKUlT_SK_SL_SM_E_clIPiSE_SF_SF_EESJ_SZ_SK_SL_SM_EUlSZ_E0_NS1_11comp_targetILNS1_3genE8ELNS1_11target_archE1030ELNS1_3gpuE2ELNS1_3repE0EEENS1_38merge_mergepath_config_static_selectorELNS0_4arch9wavefront6targetE0EEEvSL_.private_seg_size, 0
	.set _ZN7rocprim17ROCPRIM_400000_NS6detail17trampoline_kernelINS0_14default_configENS1_38merge_sort_block_merge_config_selectorIiNS0_10empty_typeEEEZZNS1_27merge_sort_block_merge_implIS3_N6thrust23THRUST_200600_302600_NS6detail15normal_iteratorINS9_10device_ptrIiEEEEPS5_jNS1_19radix_merge_compareILb1ELb1EiNS0_19identity_decomposerEEEEE10hipError_tT0_T1_T2_jT3_P12ihipStream_tbPNSt15iterator_traitsISK_E10value_typeEPNSQ_ISL_E10value_typeEPSM_NS1_7vsmem_tEENKUlT_SK_SL_SM_E_clIPiSE_SF_SF_EESJ_SZ_SK_SL_SM_EUlSZ_E0_NS1_11comp_targetILNS1_3genE8ELNS1_11target_archE1030ELNS1_3gpuE2ELNS1_3repE0EEENS1_38merge_mergepath_config_static_selectorELNS0_4arch9wavefront6targetE0EEEvSL_.uses_vcc, 1
	.set _ZN7rocprim17ROCPRIM_400000_NS6detail17trampoline_kernelINS0_14default_configENS1_38merge_sort_block_merge_config_selectorIiNS0_10empty_typeEEEZZNS1_27merge_sort_block_merge_implIS3_N6thrust23THRUST_200600_302600_NS6detail15normal_iteratorINS9_10device_ptrIiEEEEPS5_jNS1_19radix_merge_compareILb1ELb1EiNS0_19identity_decomposerEEEEE10hipError_tT0_T1_T2_jT3_P12ihipStream_tbPNSt15iterator_traitsISK_E10value_typeEPNSQ_ISL_E10value_typeEPSM_NS1_7vsmem_tEENKUlT_SK_SL_SM_E_clIPiSE_SF_SF_EESJ_SZ_SK_SL_SM_EUlSZ_E0_NS1_11comp_targetILNS1_3genE8ELNS1_11target_archE1030ELNS1_3gpuE2ELNS1_3repE0EEENS1_38merge_mergepath_config_static_selectorELNS0_4arch9wavefront6targetE0EEEvSL_.uses_flat_scratch, 0
	.set _ZN7rocprim17ROCPRIM_400000_NS6detail17trampoline_kernelINS0_14default_configENS1_38merge_sort_block_merge_config_selectorIiNS0_10empty_typeEEEZZNS1_27merge_sort_block_merge_implIS3_N6thrust23THRUST_200600_302600_NS6detail15normal_iteratorINS9_10device_ptrIiEEEEPS5_jNS1_19radix_merge_compareILb1ELb1EiNS0_19identity_decomposerEEEEE10hipError_tT0_T1_T2_jT3_P12ihipStream_tbPNSt15iterator_traitsISK_E10value_typeEPNSQ_ISL_E10value_typeEPSM_NS1_7vsmem_tEENKUlT_SK_SL_SM_E_clIPiSE_SF_SF_EESJ_SZ_SK_SL_SM_EUlSZ_E0_NS1_11comp_targetILNS1_3genE8ELNS1_11target_archE1030ELNS1_3gpuE2ELNS1_3repE0EEENS1_38merge_mergepath_config_static_selectorELNS0_4arch9wavefront6targetE0EEEvSL_.has_dyn_sized_stack, 0
	.set _ZN7rocprim17ROCPRIM_400000_NS6detail17trampoline_kernelINS0_14default_configENS1_38merge_sort_block_merge_config_selectorIiNS0_10empty_typeEEEZZNS1_27merge_sort_block_merge_implIS3_N6thrust23THRUST_200600_302600_NS6detail15normal_iteratorINS9_10device_ptrIiEEEEPS5_jNS1_19radix_merge_compareILb1ELb1EiNS0_19identity_decomposerEEEEE10hipError_tT0_T1_T2_jT3_P12ihipStream_tbPNSt15iterator_traitsISK_E10value_typeEPNSQ_ISL_E10value_typeEPSM_NS1_7vsmem_tEENKUlT_SK_SL_SM_E_clIPiSE_SF_SF_EESJ_SZ_SK_SL_SM_EUlSZ_E0_NS1_11comp_targetILNS1_3genE8ELNS1_11target_archE1030ELNS1_3gpuE2ELNS1_3repE0EEENS1_38merge_mergepath_config_static_selectorELNS0_4arch9wavefront6targetE0EEEvSL_.has_recursion, 0
	.set _ZN7rocprim17ROCPRIM_400000_NS6detail17trampoline_kernelINS0_14default_configENS1_38merge_sort_block_merge_config_selectorIiNS0_10empty_typeEEEZZNS1_27merge_sort_block_merge_implIS3_N6thrust23THRUST_200600_302600_NS6detail15normal_iteratorINS9_10device_ptrIiEEEEPS5_jNS1_19radix_merge_compareILb1ELb1EiNS0_19identity_decomposerEEEEE10hipError_tT0_T1_T2_jT3_P12ihipStream_tbPNSt15iterator_traitsISK_E10value_typeEPNSQ_ISL_E10value_typeEPSM_NS1_7vsmem_tEENKUlT_SK_SL_SM_E_clIPiSE_SF_SF_EESJ_SZ_SK_SL_SM_EUlSZ_E0_NS1_11comp_targetILNS1_3genE8ELNS1_11target_archE1030ELNS1_3gpuE2ELNS1_3repE0EEENS1_38merge_mergepath_config_static_selectorELNS0_4arch9wavefront6targetE0EEEvSL_.has_indirect_call, 0
	.section	.AMDGPU.csdata,"",@progbits
; Kernel info:
; codeLenInByte = 1464
; TotalNumSgprs: 26
; NumVgprs: 14
; ScratchSize: 0
; MemoryBound: 0
; FloatMode: 240
; IeeeMode: 1
; LDSByteSize: 4224 bytes/workgroup (compile time only)
; SGPRBlocks: 0
; VGPRBlocks: 1
; NumSGPRsForWavesPerEU: 26
; NumVGPRsForWavesPerEU: 14
; Occupancy: 16
; WaveLimiterHint : 1
; COMPUTE_PGM_RSRC2:SCRATCH_EN: 0
; COMPUTE_PGM_RSRC2:USER_SGPR: 6
; COMPUTE_PGM_RSRC2:TRAP_HANDLER: 0
; COMPUTE_PGM_RSRC2:TGID_X_EN: 1
; COMPUTE_PGM_RSRC2:TGID_Y_EN: 1
; COMPUTE_PGM_RSRC2:TGID_Z_EN: 1
; COMPUTE_PGM_RSRC2:TIDIG_COMP_CNT: 0
	.section	.text._ZN7rocprim17ROCPRIM_400000_NS6detail17trampoline_kernelINS0_14default_configENS1_38merge_sort_block_merge_config_selectorIiNS0_10empty_typeEEEZZNS1_27merge_sort_block_merge_implIS3_N6thrust23THRUST_200600_302600_NS6detail15normal_iteratorINS9_10device_ptrIiEEEEPS5_jNS1_19radix_merge_compareILb1ELb1EiNS0_19identity_decomposerEEEEE10hipError_tT0_T1_T2_jT3_P12ihipStream_tbPNSt15iterator_traitsISK_E10value_typeEPNSQ_ISL_E10value_typeEPSM_NS1_7vsmem_tEENKUlT_SK_SL_SM_E_clIPiSE_SF_SF_EESJ_SZ_SK_SL_SM_EUlSZ_E1_NS1_11comp_targetILNS1_3genE0ELNS1_11target_archE4294967295ELNS1_3gpuE0ELNS1_3repE0EEENS1_36merge_oddeven_config_static_selectorELNS0_4arch9wavefront6targetE0EEEvSL_,"axG",@progbits,_ZN7rocprim17ROCPRIM_400000_NS6detail17trampoline_kernelINS0_14default_configENS1_38merge_sort_block_merge_config_selectorIiNS0_10empty_typeEEEZZNS1_27merge_sort_block_merge_implIS3_N6thrust23THRUST_200600_302600_NS6detail15normal_iteratorINS9_10device_ptrIiEEEEPS5_jNS1_19radix_merge_compareILb1ELb1EiNS0_19identity_decomposerEEEEE10hipError_tT0_T1_T2_jT3_P12ihipStream_tbPNSt15iterator_traitsISK_E10value_typeEPNSQ_ISL_E10value_typeEPSM_NS1_7vsmem_tEENKUlT_SK_SL_SM_E_clIPiSE_SF_SF_EESJ_SZ_SK_SL_SM_EUlSZ_E1_NS1_11comp_targetILNS1_3genE0ELNS1_11target_archE4294967295ELNS1_3gpuE0ELNS1_3repE0EEENS1_36merge_oddeven_config_static_selectorELNS0_4arch9wavefront6targetE0EEEvSL_,comdat
	.protected	_ZN7rocprim17ROCPRIM_400000_NS6detail17trampoline_kernelINS0_14default_configENS1_38merge_sort_block_merge_config_selectorIiNS0_10empty_typeEEEZZNS1_27merge_sort_block_merge_implIS3_N6thrust23THRUST_200600_302600_NS6detail15normal_iteratorINS9_10device_ptrIiEEEEPS5_jNS1_19radix_merge_compareILb1ELb1EiNS0_19identity_decomposerEEEEE10hipError_tT0_T1_T2_jT3_P12ihipStream_tbPNSt15iterator_traitsISK_E10value_typeEPNSQ_ISL_E10value_typeEPSM_NS1_7vsmem_tEENKUlT_SK_SL_SM_E_clIPiSE_SF_SF_EESJ_SZ_SK_SL_SM_EUlSZ_E1_NS1_11comp_targetILNS1_3genE0ELNS1_11target_archE4294967295ELNS1_3gpuE0ELNS1_3repE0EEENS1_36merge_oddeven_config_static_selectorELNS0_4arch9wavefront6targetE0EEEvSL_ ; -- Begin function _ZN7rocprim17ROCPRIM_400000_NS6detail17trampoline_kernelINS0_14default_configENS1_38merge_sort_block_merge_config_selectorIiNS0_10empty_typeEEEZZNS1_27merge_sort_block_merge_implIS3_N6thrust23THRUST_200600_302600_NS6detail15normal_iteratorINS9_10device_ptrIiEEEEPS5_jNS1_19radix_merge_compareILb1ELb1EiNS0_19identity_decomposerEEEEE10hipError_tT0_T1_T2_jT3_P12ihipStream_tbPNSt15iterator_traitsISK_E10value_typeEPNSQ_ISL_E10value_typeEPSM_NS1_7vsmem_tEENKUlT_SK_SL_SM_E_clIPiSE_SF_SF_EESJ_SZ_SK_SL_SM_EUlSZ_E1_NS1_11comp_targetILNS1_3genE0ELNS1_11target_archE4294967295ELNS1_3gpuE0ELNS1_3repE0EEENS1_36merge_oddeven_config_static_selectorELNS0_4arch9wavefront6targetE0EEEvSL_
	.globl	_ZN7rocprim17ROCPRIM_400000_NS6detail17trampoline_kernelINS0_14default_configENS1_38merge_sort_block_merge_config_selectorIiNS0_10empty_typeEEEZZNS1_27merge_sort_block_merge_implIS3_N6thrust23THRUST_200600_302600_NS6detail15normal_iteratorINS9_10device_ptrIiEEEEPS5_jNS1_19radix_merge_compareILb1ELb1EiNS0_19identity_decomposerEEEEE10hipError_tT0_T1_T2_jT3_P12ihipStream_tbPNSt15iterator_traitsISK_E10value_typeEPNSQ_ISL_E10value_typeEPSM_NS1_7vsmem_tEENKUlT_SK_SL_SM_E_clIPiSE_SF_SF_EESJ_SZ_SK_SL_SM_EUlSZ_E1_NS1_11comp_targetILNS1_3genE0ELNS1_11target_archE4294967295ELNS1_3gpuE0ELNS1_3repE0EEENS1_36merge_oddeven_config_static_selectorELNS0_4arch9wavefront6targetE0EEEvSL_
	.p2align	8
	.type	_ZN7rocprim17ROCPRIM_400000_NS6detail17trampoline_kernelINS0_14default_configENS1_38merge_sort_block_merge_config_selectorIiNS0_10empty_typeEEEZZNS1_27merge_sort_block_merge_implIS3_N6thrust23THRUST_200600_302600_NS6detail15normal_iteratorINS9_10device_ptrIiEEEEPS5_jNS1_19radix_merge_compareILb1ELb1EiNS0_19identity_decomposerEEEEE10hipError_tT0_T1_T2_jT3_P12ihipStream_tbPNSt15iterator_traitsISK_E10value_typeEPNSQ_ISL_E10value_typeEPSM_NS1_7vsmem_tEENKUlT_SK_SL_SM_E_clIPiSE_SF_SF_EESJ_SZ_SK_SL_SM_EUlSZ_E1_NS1_11comp_targetILNS1_3genE0ELNS1_11target_archE4294967295ELNS1_3gpuE0ELNS1_3repE0EEENS1_36merge_oddeven_config_static_selectorELNS0_4arch9wavefront6targetE0EEEvSL_,@function
_ZN7rocprim17ROCPRIM_400000_NS6detail17trampoline_kernelINS0_14default_configENS1_38merge_sort_block_merge_config_selectorIiNS0_10empty_typeEEEZZNS1_27merge_sort_block_merge_implIS3_N6thrust23THRUST_200600_302600_NS6detail15normal_iteratorINS9_10device_ptrIiEEEEPS5_jNS1_19radix_merge_compareILb1ELb1EiNS0_19identity_decomposerEEEEE10hipError_tT0_T1_T2_jT3_P12ihipStream_tbPNSt15iterator_traitsISK_E10value_typeEPNSQ_ISL_E10value_typeEPSM_NS1_7vsmem_tEENKUlT_SK_SL_SM_E_clIPiSE_SF_SF_EESJ_SZ_SK_SL_SM_EUlSZ_E1_NS1_11comp_targetILNS1_3genE0ELNS1_11target_archE4294967295ELNS1_3gpuE0ELNS1_3repE0EEENS1_36merge_oddeven_config_static_selectorELNS0_4arch9wavefront6targetE0EEEvSL_: ; @_ZN7rocprim17ROCPRIM_400000_NS6detail17trampoline_kernelINS0_14default_configENS1_38merge_sort_block_merge_config_selectorIiNS0_10empty_typeEEEZZNS1_27merge_sort_block_merge_implIS3_N6thrust23THRUST_200600_302600_NS6detail15normal_iteratorINS9_10device_ptrIiEEEEPS5_jNS1_19radix_merge_compareILb1ELb1EiNS0_19identity_decomposerEEEEE10hipError_tT0_T1_T2_jT3_P12ihipStream_tbPNSt15iterator_traitsISK_E10value_typeEPNSQ_ISL_E10value_typeEPSM_NS1_7vsmem_tEENKUlT_SK_SL_SM_E_clIPiSE_SF_SF_EESJ_SZ_SK_SL_SM_EUlSZ_E1_NS1_11comp_targetILNS1_3genE0ELNS1_11target_archE4294967295ELNS1_3gpuE0ELNS1_3repE0EEENS1_36merge_oddeven_config_static_selectorELNS0_4arch9wavefront6targetE0EEEvSL_
; %bb.0:
	.section	.rodata,"a",@progbits
	.p2align	6, 0x0
	.amdhsa_kernel _ZN7rocprim17ROCPRIM_400000_NS6detail17trampoline_kernelINS0_14default_configENS1_38merge_sort_block_merge_config_selectorIiNS0_10empty_typeEEEZZNS1_27merge_sort_block_merge_implIS3_N6thrust23THRUST_200600_302600_NS6detail15normal_iteratorINS9_10device_ptrIiEEEEPS5_jNS1_19radix_merge_compareILb1ELb1EiNS0_19identity_decomposerEEEEE10hipError_tT0_T1_T2_jT3_P12ihipStream_tbPNSt15iterator_traitsISK_E10value_typeEPNSQ_ISL_E10value_typeEPSM_NS1_7vsmem_tEENKUlT_SK_SL_SM_E_clIPiSE_SF_SF_EESJ_SZ_SK_SL_SM_EUlSZ_E1_NS1_11comp_targetILNS1_3genE0ELNS1_11target_archE4294967295ELNS1_3gpuE0ELNS1_3repE0EEENS1_36merge_oddeven_config_static_selectorELNS0_4arch9wavefront6targetE0EEEvSL_
		.amdhsa_group_segment_fixed_size 0
		.amdhsa_private_segment_fixed_size 0
		.amdhsa_kernarg_size 48
		.amdhsa_user_sgpr_count 6
		.amdhsa_user_sgpr_private_segment_buffer 1
		.amdhsa_user_sgpr_dispatch_ptr 0
		.amdhsa_user_sgpr_queue_ptr 0
		.amdhsa_user_sgpr_kernarg_segment_ptr 1
		.amdhsa_user_sgpr_dispatch_id 0
		.amdhsa_user_sgpr_flat_scratch_init 0
		.amdhsa_user_sgpr_private_segment_size 0
		.amdhsa_wavefront_size32 1
		.amdhsa_uses_dynamic_stack 0
		.amdhsa_system_sgpr_private_segment_wavefront_offset 0
		.amdhsa_system_sgpr_workgroup_id_x 1
		.amdhsa_system_sgpr_workgroup_id_y 0
		.amdhsa_system_sgpr_workgroup_id_z 0
		.amdhsa_system_sgpr_workgroup_info 0
		.amdhsa_system_vgpr_workitem_id 0
		.amdhsa_next_free_vgpr 1
		.amdhsa_next_free_sgpr 1
		.amdhsa_reserve_vcc 0
		.amdhsa_reserve_flat_scratch 0
		.amdhsa_float_round_mode_32 0
		.amdhsa_float_round_mode_16_64 0
		.amdhsa_float_denorm_mode_32 3
		.amdhsa_float_denorm_mode_16_64 3
		.amdhsa_dx10_clamp 1
		.amdhsa_ieee_mode 1
		.amdhsa_fp16_overflow 0
		.amdhsa_workgroup_processor_mode 1
		.amdhsa_memory_ordered 1
		.amdhsa_forward_progress 1
		.amdhsa_shared_vgpr_count 0
		.amdhsa_exception_fp_ieee_invalid_op 0
		.amdhsa_exception_fp_denorm_src 0
		.amdhsa_exception_fp_ieee_div_zero 0
		.amdhsa_exception_fp_ieee_overflow 0
		.amdhsa_exception_fp_ieee_underflow 0
		.amdhsa_exception_fp_ieee_inexact 0
		.amdhsa_exception_int_div_zero 0
	.end_amdhsa_kernel
	.section	.text._ZN7rocprim17ROCPRIM_400000_NS6detail17trampoline_kernelINS0_14default_configENS1_38merge_sort_block_merge_config_selectorIiNS0_10empty_typeEEEZZNS1_27merge_sort_block_merge_implIS3_N6thrust23THRUST_200600_302600_NS6detail15normal_iteratorINS9_10device_ptrIiEEEEPS5_jNS1_19radix_merge_compareILb1ELb1EiNS0_19identity_decomposerEEEEE10hipError_tT0_T1_T2_jT3_P12ihipStream_tbPNSt15iterator_traitsISK_E10value_typeEPNSQ_ISL_E10value_typeEPSM_NS1_7vsmem_tEENKUlT_SK_SL_SM_E_clIPiSE_SF_SF_EESJ_SZ_SK_SL_SM_EUlSZ_E1_NS1_11comp_targetILNS1_3genE0ELNS1_11target_archE4294967295ELNS1_3gpuE0ELNS1_3repE0EEENS1_36merge_oddeven_config_static_selectorELNS0_4arch9wavefront6targetE0EEEvSL_,"axG",@progbits,_ZN7rocprim17ROCPRIM_400000_NS6detail17trampoline_kernelINS0_14default_configENS1_38merge_sort_block_merge_config_selectorIiNS0_10empty_typeEEEZZNS1_27merge_sort_block_merge_implIS3_N6thrust23THRUST_200600_302600_NS6detail15normal_iteratorINS9_10device_ptrIiEEEEPS5_jNS1_19radix_merge_compareILb1ELb1EiNS0_19identity_decomposerEEEEE10hipError_tT0_T1_T2_jT3_P12ihipStream_tbPNSt15iterator_traitsISK_E10value_typeEPNSQ_ISL_E10value_typeEPSM_NS1_7vsmem_tEENKUlT_SK_SL_SM_E_clIPiSE_SF_SF_EESJ_SZ_SK_SL_SM_EUlSZ_E1_NS1_11comp_targetILNS1_3genE0ELNS1_11target_archE4294967295ELNS1_3gpuE0ELNS1_3repE0EEENS1_36merge_oddeven_config_static_selectorELNS0_4arch9wavefront6targetE0EEEvSL_,comdat
.Lfunc_end286:
	.size	_ZN7rocprim17ROCPRIM_400000_NS6detail17trampoline_kernelINS0_14default_configENS1_38merge_sort_block_merge_config_selectorIiNS0_10empty_typeEEEZZNS1_27merge_sort_block_merge_implIS3_N6thrust23THRUST_200600_302600_NS6detail15normal_iteratorINS9_10device_ptrIiEEEEPS5_jNS1_19radix_merge_compareILb1ELb1EiNS0_19identity_decomposerEEEEE10hipError_tT0_T1_T2_jT3_P12ihipStream_tbPNSt15iterator_traitsISK_E10value_typeEPNSQ_ISL_E10value_typeEPSM_NS1_7vsmem_tEENKUlT_SK_SL_SM_E_clIPiSE_SF_SF_EESJ_SZ_SK_SL_SM_EUlSZ_E1_NS1_11comp_targetILNS1_3genE0ELNS1_11target_archE4294967295ELNS1_3gpuE0ELNS1_3repE0EEENS1_36merge_oddeven_config_static_selectorELNS0_4arch9wavefront6targetE0EEEvSL_, .Lfunc_end286-_ZN7rocprim17ROCPRIM_400000_NS6detail17trampoline_kernelINS0_14default_configENS1_38merge_sort_block_merge_config_selectorIiNS0_10empty_typeEEEZZNS1_27merge_sort_block_merge_implIS3_N6thrust23THRUST_200600_302600_NS6detail15normal_iteratorINS9_10device_ptrIiEEEEPS5_jNS1_19radix_merge_compareILb1ELb1EiNS0_19identity_decomposerEEEEE10hipError_tT0_T1_T2_jT3_P12ihipStream_tbPNSt15iterator_traitsISK_E10value_typeEPNSQ_ISL_E10value_typeEPSM_NS1_7vsmem_tEENKUlT_SK_SL_SM_E_clIPiSE_SF_SF_EESJ_SZ_SK_SL_SM_EUlSZ_E1_NS1_11comp_targetILNS1_3genE0ELNS1_11target_archE4294967295ELNS1_3gpuE0ELNS1_3repE0EEENS1_36merge_oddeven_config_static_selectorELNS0_4arch9wavefront6targetE0EEEvSL_
                                        ; -- End function
	.set _ZN7rocprim17ROCPRIM_400000_NS6detail17trampoline_kernelINS0_14default_configENS1_38merge_sort_block_merge_config_selectorIiNS0_10empty_typeEEEZZNS1_27merge_sort_block_merge_implIS3_N6thrust23THRUST_200600_302600_NS6detail15normal_iteratorINS9_10device_ptrIiEEEEPS5_jNS1_19radix_merge_compareILb1ELb1EiNS0_19identity_decomposerEEEEE10hipError_tT0_T1_T2_jT3_P12ihipStream_tbPNSt15iterator_traitsISK_E10value_typeEPNSQ_ISL_E10value_typeEPSM_NS1_7vsmem_tEENKUlT_SK_SL_SM_E_clIPiSE_SF_SF_EESJ_SZ_SK_SL_SM_EUlSZ_E1_NS1_11comp_targetILNS1_3genE0ELNS1_11target_archE4294967295ELNS1_3gpuE0ELNS1_3repE0EEENS1_36merge_oddeven_config_static_selectorELNS0_4arch9wavefront6targetE0EEEvSL_.num_vgpr, 0
	.set _ZN7rocprim17ROCPRIM_400000_NS6detail17trampoline_kernelINS0_14default_configENS1_38merge_sort_block_merge_config_selectorIiNS0_10empty_typeEEEZZNS1_27merge_sort_block_merge_implIS3_N6thrust23THRUST_200600_302600_NS6detail15normal_iteratorINS9_10device_ptrIiEEEEPS5_jNS1_19radix_merge_compareILb1ELb1EiNS0_19identity_decomposerEEEEE10hipError_tT0_T1_T2_jT3_P12ihipStream_tbPNSt15iterator_traitsISK_E10value_typeEPNSQ_ISL_E10value_typeEPSM_NS1_7vsmem_tEENKUlT_SK_SL_SM_E_clIPiSE_SF_SF_EESJ_SZ_SK_SL_SM_EUlSZ_E1_NS1_11comp_targetILNS1_3genE0ELNS1_11target_archE4294967295ELNS1_3gpuE0ELNS1_3repE0EEENS1_36merge_oddeven_config_static_selectorELNS0_4arch9wavefront6targetE0EEEvSL_.num_agpr, 0
	.set _ZN7rocprim17ROCPRIM_400000_NS6detail17trampoline_kernelINS0_14default_configENS1_38merge_sort_block_merge_config_selectorIiNS0_10empty_typeEEEZZNS1_27merge_sort_block_merge_implIS3_N6thrust23THRUST_200600_302600_NS6detail15normal_iteratorINS9_10device_ptrIiEEEEPS5_jNS1_19radix_merge_compareILb1ELb1EiNS0_19identity_decomposerEEEEE10hipError_tT0_T1_T2_jT3_P12ihipStream_tbPNSt15iterator_traitsISK_E10value_typeEPNSQ_ISL_E10value_typeEPSM_NS1_7vsmem_tEENKUlT_SK_SL_SM_E_clIPiSE_SF_SF_EESJ_SZ_SK_SL_SM_EUlSZ_E1_NS1_11comp_targetILNS1_3genE0ELNS1_11target_archE4294967295ELNS1_3gpuE0ELNS1_3repE0EEENS1_36merge_oddeven_config_static_selectorELNS0_4arch9wavefront6targetE0EEEvSL_.numbered_sgpr, 0
	.set _ZN7rocprim17ROCPRIM_400000_NS6detail17trampoline_kernelINS0_14default_configENS1_38merge_sort_block_merge_config_selectorIiNS0_10empty_typeEEEZZNS1_27merge_sort_block_merge_implIS3_N6thrust23THRUST_200600_302600_NS6detail15normal_iteratorINS9_10device_ptrIiEEEEPS5_jNS1_19radix_merge_compareILb1ELb1EiNS0_19identity_decomposerEEEEE10hipError_tT0_T1_T2_jT3_P12ihipStream_tbPNSt15iterator_traitsISK_E10value_typeEPNSQ_ISL_E10value_typeEPSM_NS1_7vsmem_tEENKUlT_SK_SL_SM_E_clIPiSE_SF_SF_EESJ_SZ_SK_SL_SM_EUlSZ_E1_NS1_11comp_targetILNS1_3genE0ELNS1_11target_archE4294967295ELNS1_3gpuE0ELNS1_3repE0EEENS1_36merge_oddeven_config_static_selectorELNS0_4arch9wavefront6targetE0EEEvSL_.num_named_barrier, 0
	.set _ZN7rocprim17ROCPRIM_400000_NS6detail17trampoline_kernelINS0_14default_configENS1_38merge_sort_block_merge_config_selectorIiNS0_10empty_typeEEEZZNS1_27merge_sort_block_merge_implIS3_N6thrust23THRUST_200600_302600_NS6detail15normal_iteratorINS9_10device_ptrIiEEEEPS5_jNS1_19radix_merge_compareILb1ELb1EiNS0_19identity_decomposerEEEEE10hipError_tT0_T1_T2_jT3_P12ihipStream_tbPNSt15iterator_traitsISK_E10value_typeEPNSQ_ISL_E10value_typeEPSM_NS1_7vsmem_tEENKUlT_SK_SL_SM_E_clIPiSE_SF_SF_EESJ_SZ_SK_SL_SM_EUlSZ_E1_NS1_11comp_targetILNS1_3genE0ELNS1_11target_archE4294967295ELNS1_3gpuE0ELNS1_3repE0EEENS1_36merge_oddeven_config_static_selectorELNS0_4arch9wavefront6targetE0EEEvSL_.private_seg_size, 0
	.set _ZN7rocprim17ROCPRIM_400000_NS6detail17trampoline_kernelINS0_14default_configENS1_38merge_sort_block_merge_config_selectorIiNS0_10empty_typeEEEZZNS1_27merge_sort_block_merge_implIS3_N6thrust23THRUST_200600_302600_NS6detail15normal_iteratorINS9_10device_ptrIiEEEEPS5_jNS1_19radix_merge_compareILb1ELb1EiNS0_19identity_decomposerEEEEE10hipError_tT0_T1_T2_jT3_P12ihipStream_tbPNSt15iterator_traitsISK_E10value_typeEPNSQ_ISL_E10value_typeEPSM_NS1_7vsmem_tEENKUlT_SK_SL_SM_E_clIPiSE_SF_SF_EESJ_SZ_SK_SL_SM_EUlSZ_E1_NS1_11comp_targetILNS1_3genE0ELNS1_11target_archE4294967295ELNS1_3gpuE0ELNS1_3repE0EEENS1_36merge_oddeven_config_static_selectorELNS0_4arch9wavefront6targetE0EEEvSL_.uses_vcc, 0
	.set _ZN7rocprim17ROCPRIM_400000_NS6detail17trampoline_kernelINS0_14default_configENS1_38merge_sort_block_merge_config_selectorIiNS0_10empty_typeEEEZZNS1_27merge_sort_block_merge_implIS3_N6thrust23THRUST_200600_302600_NS6detail15normal_iteratorINS9_10device_ptrIiEEEEPS5_jNS1_19radix_merge_compareILb1ELb1EiNS0_19identity_decomposerEEEEE10hipError_tT0_T1_T2_jT3_P12ihipStream_tbPNSt15iterator_traitsISK_E10value_typeEPNSQ_ISL_E10value_typeEPSM_NS1_7vsmem_tEENKUlT_SK_SL_SM_E_clIPiSE_SF_SF_EESJ_SZ_SK_SL_SM_EUlSZ_E1_NS1_11comp_targetILNS1_3genE0ELNS1_11target_archE4294967295ELNS1_3gpuE0ELNS1_3repE0EEENS1_36merge_oddeven_config_static_selectorELNS0_4arch9wavefront6targetE0EEEvSL_.uses_flat_scratch, 0
	.set _ZN7rocprim17ROCPRIM_400000_NS6detail17trampoline_kernelINS0_14default_configENS1_38merge_sort_block_merge_config_selectorIiNS0_10empty_typeEEEZZNS1_27merge_sort_block_merge_implIS3_N6thrust23THRUST_200600_302600_NS6detail15normal_iteratorINS9_10device_ptrIiEEEEPS5_jNS1_19radix_merge_compareILb1ELb1EiNS0_19identity_decomposerEEEEE10hipError_tT0_T1_T2_jT3_P12ihipStream_tbPNSt15iterator_traitsISK_E10value_typeEPNSQ_ISL_E10value_typeEPSM_NS1_7vsmem_tEENKUlT_SK_SL_SM_E_clIPiSE_SF_SF_EESJ_SZ_SK_SL_SM_EUlSZ_E1_NS1_11comp_targetILNS1_3genE0ELNS1_11target_archE4294967295ELNS1_3gpuE0ELNS1_3repE0EEENS1_36merge_oddeven_config_static_selectorELNS0_4arch9wavefront6targetE0EEEvSL_.has_dyn_sized_stack, 0
	.set _ZN7rocprim17ROCPRIM_400000_NS6detail17trampoline_kernelINS0_14default_configENS1_38merge_sort_block_merge_config_selectorIiNS0_10empty_typeEEEZZNS1_27merge_sort_block_merge_implIS3_N6thrust23THRUST_200600_302600_NS6detail15normal_iteratorINS9_10device_ptrIiEEEEPS5_jNS1_19radix_merge_compareILb1ELb1EiNS0_19identity_decomposerEEEEE10hipError_tT0_T1_T2_jT3_P12ihipStream_tbPNSt15iterator_traitsISK_E10value_typeEPNSQ_ISL_E10value_typeEPSM_NS1_7vsmem_tEENKUlT_SK_SL_SM_E_clIPiSE_SF_SF_EESJ_SZ_SK_SL_SM_EUlSZ_E1_NS1_11comp_targetILNS1_3genE0ELNS1_11target_archE4294967295ELNS1_3gpuE0ELNS1_3repE0EEENS1_36merge_oddeven_config_static_selectorELNS0_4arch9wavefront6targetE0EEEvSL_.has_recursion, 0
	.set _ZN7rocprim17ROCPRIM_400000_NS6detail17trampoline_kernelINS0_14default_configENS1_38merge_sort_block_merge_config_selectorIiNS0_10empty_typeEEEZZNS1_27merge_sort_block_merge_implIS3_N6thrust23THRUST_200600_302600_NS6detail15normal_iteratorINS9_10device_ptrIiEEEEPS5_jNS1_19radix_merge_compareILb1ELb1EiNS0_19identity_decomposerEEEEE10hipError_tT0_T1_T2_jT3_P12ihipStream_tbPNSt15iterator_traitsISK_E10value_typeEPNSQ_ISL_E10value_typeEPSM_NS1_7vsmem_tEENKUlT_SK_SL_SM_E_clIPiSE_SF_SF_EESJ_SZ_SK_SL_SM_EUlSZ_E1_NS1_11comp_targetILNS1_3genE0ELNS1_11target_archE4294967295ELNS1_3gpuE0ELNS1_3repE0EEENS1_36merge_oddeven_config_static_selectorELNS0_4arch9wavefront6targetE0EEEvSL_.has_indirect_call, 0
	.section	.AMDGPU.csdata,"",@progbits
; Kernel info:
; codeLenInByte = 0
; TotalNumSgprs: 0
; NumVgprs: 0
; ScratchSize: 0
; MemoryBound: 0
; FloatMode: 240
; IeeeMode: 1
; LDSByteSize: 0 bytes/workgroup (compile time only)
; SGPRBlocks: 0
; VGPRBlocks: 0
; NumSGPRsForWavesPerEU: 1
; NumVGPRsForWavesPerEU: 1
; Occupancy: 16
; WaveLimiterHint : 0
; COMPUTE_PGM_RSRC2:SCRATCH_EN: 0
; COMPUTE_PGM_RSRC2:USER_SGPR: 6
; COMPUTE_PGM_RSRC2:TRAP_HANDLER: 0
; COMPUTE_PGM_RSRC2:TGID_X_EN: 1
; COMPUTE_PGM_RSRC2:TGID_Y_EN: 0
; COMPUTE_PGM_RSRC2:TGID_Z_EN: 0
; COMPUTE_PGM_RSRC2:TIDIG_COMP_CNT: 0
	.section	.text._ZN7rocprim17ROCPRIM_400000_NS6detail17trampoline_kernelINS0_14default_configENS1_38merge_sort_block_merge_config_selectorIiNS0_10empty_typeEEEZZNS1_27merge_sort_block_merge_implIS3_N6thrust23THRUST_200600_302600_NS6detail15normal_iteratorINS9_10device_ptrIiEEEEPS5_jNS1_19radix_merge_compareILb1ELb1EiNS0_19identity_decomposerEEEEE10hipError_tT0_T1_T2_jT3_P12ihipStream_tbPNSt15iterator_traitsISK_E10value_typeEPNSQ_ISL_E10value_typeEPSM_NS1_7vsmem_tEENKUlT_SK_SL_SM_E_clIPiSE_SF_SF_EESJ_SZ_SK_SL_SM_EUlSZ_E1_NS1_11comp_targetILNS1_3genE10ELNS1_11target_archE1201ELNS1_3gpuE5ELNS1_3repE0EEENS1_36merge_oddeven_config_static_selectorELNS0_4arch9wavefront6targetE0EEEvSL_,"axG",@progbits,_ZN7rocprim17ROCPRIM_400000_NS6detail17trampoline_kernelINS0_14default_configENS1_38merge_sort_block_merge_config_selectorIiNS0_10empty_typeEEEZZNS1_27merge_sort_block_merge_implIS3_N6thrust23THRUST_200600_302600_NS6detail15normal_iteratorINS9_10device_ptrIiEEEEPS5_jNS1_19radix_merge_compareILb1ELb1EiNS0_19identity_decomposerEEEEE10hipError_tT0_T1_T2_jT3_P12ihipStream_tbPNSt15iterator_traitsISK_E10value_typeEPNSQ_ISL_E10value_typeEPSM_NS1_7vsmem_tEENKUlT_SK_SL_SM_E_clIPiSE_SF_SF_EESJ_SZ_SK_SL_SM_EUlSZ_E1_NS1_11comp_targetILNS1_3genE10ELNS1_11target_archE1201ELNS1_3gpuE5ELNS1_3repE0EEENS1_36merge_oddeven_config_static_selectorELNS0_4arch9wavefront6targetE0EEEvSL_,comdat
	.protected	_ZN7rocprim17ROCPRIM_400000_NS6detail17trampoline_kernelINS0_14default_configENS1_38merge_sort_block_merge_config_selectorIiNS0_10empty_typeEEEZZNS1_27merge_sort_block_merge_implIS3_N6thrust23THRUST_200600_302600_NS6detail15normal_iteratorINS9_10device_ptrIiEEEEPS5_jNS1_19radix_merge_compareILb1ELb1EiNS0_19identity_decomposerEEEEE10hipError_tT0_T1_T2_jT3_P12ihipStream_tbPNSt15iterator_traitsISK_E10value_typeEPNSQ_ISL_E10value_typeEPSM_NS1_7vsmem_tEENKUlT_SK_SL_SM_E_clIPiSE_SF_SF_EESJ_SZ_SK_SL_SM_EUlSZ_E1_NS1_11comp_targetILNS1_3genE10ELNS1_11target_archE1201ELNS1_3gpuE5ELNS1_3repE0EEENS1_36merge_oddeven_config_static_selectorELNS0_4arch9wavefront6targetE0EEEvSL_ ; -- Begin function _ZN7rocprim17ROCPRIM_400000_NS6detail17trampoline_kernelINS0_14default_configENS1_38merge_sort_block_merge_config_selectorIiNS0_10empty_typeEEEZZNS1_27merge_sort_block_merge_implIS3_N6thrust23THRUST_200600_302600_NS6detail15normal_iteratorINS9_10device_ptrIiEEEEPS5_jNS1_19radix_merge_compareILb1ELb1EiNS0_19identity_decomposerEEEEE10hipError_tT0_T1_T2_jT3_P12ihipStream_tbPNSt15iterator_traitsISK_E10value_typeEPNSQ_ISL_E10value_typeEPSM_NS1_7vsmem_tEENKUlT_SK_SL_SM_E_clIPiSE_SF_SF_EESJ_SZ_SK_SL_SM_EUlSZ_E1_NS1_11comp_targetILNS1_3genE10ELNS1_11target_archE1201ELNS1_3gpuE5ELNS1_3repE0EEENS1_36merge_oddeven_config_static_selectorELNS0_4arch9wavefront6targetE0EEEvSL_
	.globl	_ZN7rocprim17ROCPRIM_400000_NS6detail17trampoline_kernelINS0_14default_configENS1_38merge_sort_block_merge_config_selectorIiNS0_10empty_typeEEEZZNS1_27merge_sort_block_merge_implIS3_N6thrust23THRUST_200600_302600_NS6detail15normal_iteratorINS9_10device_ptrIiEEEEPS5_jNS1_19radix_merge_compareILb1ELb1EiNS0_19identity_decomposerEEEEE10hipError_tT0_T1_T2_jT3_P12ihipStream_tbPNSt15iterator_traitsISK_E10value_typeEPNSQ_ISL_E10value_typeEPSM_NS1_7vsmem_tEENKUlT_SK_SL_SM_E_clIPiSE_SF_SF_EESJ_SZ_SK_SL_SM_EUlSZ_E1_NS1_11comp_targetILNS1_3genE10ELNS1_11target_archE1201ELNS1_3gpuE5ELNS1_3repE0EEENS1_36merge_oddeven_config_static_selectorELNS0_4arch9wavefront6targetE0EEEvSL_
	.p2align	8
	.type	_ZN7rocprim17ROCPRIM_400000_NS6detail17trampoline_kernelINS0_14default_configENS1_38merge_sort_block_merge_config_selectorIiNS0_10empty_typeEEEZZNS1_27merge_sort_block_merge_implIS3_N6thrust23THRUST_200600_302600_NS6detail15normal_iteratorINS9_10device_ptrIiEEEEPS5_jNS1_19radix_merge_compareILb1ELb1EiNS0_19identity_decomposerEEEEE10hipError_tT0_T1_T2_jT3_P12ihipStream_tbPNSt15iterator_traitsISK_E10value_typeEPNSQ_ISL_E10value_typeEPSM_NS1_7vsmem_tEENKUlT_SK_SL_SM_E_clIPiSE_SF_SF_EESJ_SZ_SK_SL_SM_EUlSZ_E1_NS1_11comp_targetILNS1_3genE10ELNS1_11target_archE1201ELNS1_3gpuE5ELNS1_3repE0EEENS1_36merge_oddeven_config_static_selectorELNS0_4arch9wavefront6targetE0EEEvSL_,@function
_ZN7rocprim17ROCPRIM_400000_NS6detail17trampoline_kernelINS0_14default_configENS1_38merge_sort_block_merge_config_selectorIiNS0_10empty_typeEEEZZNS1_27merge_sort_block_merge_implIS3_N6thrust23THRUST_200600_302600_NS6detail15normal_iteratorINS9_10device_ptrIiEEEEPS5_jNS1_19radix_merge_compareILb1ELb1EiNS0_19identity_decomposerEEEEE10hipError_tT0_T1_T2_jT3_P12ihipStream_tbPNSt15iterator_traitsISK_E10value_typeEPNSQ_ISL_E10value_typeEPSM_NS1_7vsmem_tEENKUlT_SK_SL_SM_E_clIPiSE_SF_SF_EESJ_SZ_SK_SL_SM_EUlSZ_E1_NS1_11comp_targetILNS1_3genE10ELNS1_11target_archE1201ELNS1_3gpuE5ELNS1_3repE0EEENS1_36merge_oddeven_config_static_selectorELNS0_4arch9wavefront6targetE0EEEvSL_: ; @_ZN7rocprim17ROCPRIM_400000_NS6detail17trampoline_kernelINS0_14default_configENS1_38merge_sort_block_merge_config_selectorIiNS0_10empty_typeEEEZZNS1_27merge_sort_block_merge_implIS3_N6thrust23THRUST_200600_302600_NS6detail15normal_iteratorINS9_10device_ptrIiEEEEPS5_jNS1_19radix_merge_compareILb1ELb1EiNS0_19identity_decomposerEEEEE10hipError_tT0_T1_T2_jT3_P12ihipStream_tbPNSt15iterator_traitsISK_E10value_typeEPNSQ_ISL_E10value_typeEPSM_NS1_7vsmem_tEENKUlT_SK_SL_SM_E_clIPiSE_SF_SF_EESJ_SZ_SK_SL_SM_EUlSZ_E1_NS1_11comp_targetILNS1_3genE10ELNS1_11target_archE1201ELNS1_3gpuE5ELNS1_3repE0EEENS1_36merge_oddeven_config_static_selectorELNS0_4arch9wavefront6targetE0EEEvSL_
; %bb.0:
	.section	.rodata,"a",@progbits
	.p2align	6, 0x0
	.amdhsa_kernel _ZN7rocprim17ROCPRIM_400000_NS6detail17trampoline_kernelINS0_14default_configENS1_38merge_sort_block_merge_config_selectorIiNS0_10empty_typeEEEZZNS1_27merge_sort_block_merge_implIS3_N6thrust23THRUST_200600_302600_NS6detail15normal_iteratorINS9_10device_ptrIiEEEEPS5_jNS1_19radix_merge_compareILb1ELb1EiNS0_19identity_decomposerEEEEE10hipError_tT0_T1_T2_jT3_P12ihipStream_tbPNSt15iterator_traitsISK_E10value_typeEPNSQ_ISL_E10value_typeEPSM_NS1_7vsmem_tEENKUlT_SK_SL_SM_E_clIPiSE_SF_SF_EESJ_SZ_SK_SL_SM_EUlSZ_E1_NS1_11comp_targetILNS1_3genE10ELNS1_11target_archE1201ELNS1_3gpuE5ELNS1_3repE0EEENS1_36merge_oddeven_config_static_selectorELNS0_4arch9wavefront6targetE0EEEvSL_
		.amdhsa_group_segment_fixed_size 0
		.amdhsa_private_segment_fixed_size 0
		.amdhsa_kernarg_size 48
		.amdhsa_user_sgpr_count 6
		.amdhsa_user_sgpr_private_segment_buffer 1
		.amdhsa_user_sgpr_dispatch_ptr 0
		.amdhsa_user_sgpr_queue_ptr 0
		.amdhsa_user_sgpr_kernarg_segment_ptr 1
		.amdhsa_user_sgpr_dispatch_id 0
		.amdhsa_user_sgpr_flat_scratch_init 0
		.amdhsa_user_sgpr_private_segment_size 0
		.amdhsa_wavefront_size32 1
		.amdhsa_uses_dynamic_stack 0
		.amdhsa_system_sgpr_private_segment_wavefront_offset 0
		.amdhsa_system_sgpr_workgroup_id_x 1
		.amdhsa_system_sgpr_workgroup_id_y 0
		.amdhsa_system_sgpr_workgroup_id_z 0
		.amdhsa_system_sgpr_workgroup_info 0
		.amdhsa_system_vgpr_workitem_id 0
		.amdhsa_next_free_vgpr 1
		.amdhsa_next_free_sgpr 1
		.amdhsa_reserve_vcc 0
		.amdhsa_reserve_flat_scratch 0
		.amdhsa_float_round_mode_32 0
		.amdhsa_float_round_mode_16_64 0
		.amdhsa_float_denorm_mode_32 3
		.amdhsa_float_denorm_mode_16_64 3
		.amdhsa_dx10_clamp 1
		.amdhsa_ieee_mode 1
		.amdhsa_fp16_overflow 0
		.amdhsa_workgroup_processor_mode 1
		.amdhsa_memory_ordered 1
		.amdhsa_forward_progress 1
		.amdhsa_shared_vgpr_count 0
		.amdhsa_exception_fp_ieee_invalid_op 0
		.amdhsa_exception_fp_denorm_src 0
		.amdhsa_exception_fp_ieee_div_zero 0
		.amdhsa_exception_fp_ieee_overflow 0
		.amdhsa_exception_fp_ieee_underflow 0
		.amdhsa_exception_fp_ieee_inexact 0
		.amdhsa_exception_int_div_zero 0
	.end_amdhsa_kernel
	.section	.text._ZN7rocprim17ROCPRIM_400000_NS6detail17trampoline_kernelINS0_14default_configENS1_38merge_sort_block_merge_config_selectorIiNS0_10empty_typeEEEZZNS1_27merge_sort_block_merge_implIS3_N6thrust23THRUST_200600_302600_NS6detail15normal_iteratorINS9_10device_ptrIiEEEEPS5_jNS1_19radix_merge_compareILb1ELb1EiNS0_19identity_decomposerEEEEE10hipError_tT0_T1_T2_jT3_P12ihipStream_tbPNSt15iterator_traitsISK_E10value_typeEPNSQ_ISL_E10value_typeEPSM_NS1_7vsmem_tEENKUlT_SK_SL_SM_E_clIPiSE_SF_SF_EESJ_SZ_SK_SL_SM_EUlSZ_E1_NS1_11comp_targetILNS1_3genE10ELNS1_11target_archE1201ELNS1_3gpuE5ELNS1_3repE0EEENS1_36merge_oddeven_config_static_selectorELNS0_4arch9wavefront6targetE0EEEvSL_,"axG",@progbits,_ZN7rocprim17ROCPRIM_400000_NS6detail17trampoline_kernelINS0_14default_configENS1_38merge_sort_block_merge_config_selectorIiNS0_10empty_typeEEEZZNS1_27merge_sort_block_merge_implIS3_N6thrust23THRUST_200600_302600_NS6detail15normal_iteratorINS9_10device_ptrIiEEEEPS5_jNS1_19radix_merge_compareILb1ELb1EiNS0_19identity_decomposerEEEEE10hipError_tT0_T1_T2_jT3_P12ihipStream_tbPNSt15iterator_traitsISK_E10value_typeEPNSQ_ISL_E10value_typeEPSM_NS1_7vsmem_tEENKUlT_SK_SL_SM_E_clIPiSE_SF_SF_EESJ_SZ_SK_SL_SM_EUlSZ_E1_NS1_11comp_targetILNS1_3genE10ELNS1_11target_archE1201ELNS1_3gpuE5ELNS1_3repE0EEENS1_36merge_oddeven_config_static_selectorELNS0_4arch9wavefront6targetE0EEEvSL_,comdat
.Lfunc_end287:
	.size	_ZN7rocprim17ROCPRIM_400000_NS6detail17trampoline_kernelINS0_14default_configENS1_38merge_sort_block_merge_config_selectorIiNS0_10empty_typeEEEZZNS1_27merge_sort_block_merge_implIS3_N6thrust23THRUST_200600_302600_NS6detail15normal_iteratorINS9_10device_ptrIiEEEEPS5_jNS1_19radix_merge_compareILb1ELb1EiNS0_19identity_decomposerEEEEE10hipError_tT0_T1_T2_jT3_P12ihipStream_tbPNSt15iterator_traitsISK_E10value_typeEPNSQ_ISL_E10value_typeEPSM_NS1_7vsmem_tEENKUlT_SK_SL_SM_E_clIPiSE_SF_SF_EESJ_SZ_SK_SL_SM_EUlSZ_E1_NS1_11comp_targetILNS1_3genE10ELNS1_11target_archE1201ELNS1_3gpuE5ELNS1_3repE0EEENS1_36merge_oddeven_config_static_selectorELNS0_4arch9wavefront6targetE0EEEvSL_, .Lfunc_end287-_ZN7rocprim17ROCPRIM_400000_NS6detail17trampoline_kernelINS0_14default_configENS1_38merge_sort_block_merge_config_selectorIiNS0_10empty_typeEEEZZNS1_27merge_sort_block_merge_implIS3_N6thrust23THRUST_200600_302600_NS6detail15normal_iteratorINS9_10device_ptrIiEEEEPS5_jNS1_19radix_merge_compareILb1ELb1EiNS0_19identity_decomposerEEEEE10hipError_tT0_T1_T2_jT3_P12ihipStream_tbPNSt15iterator_traitsISK_E10value_typeEPNSQ_ISL_E10value_typeEPSM_NS1_7vsmem_tEENKUlT_SK_SL_SM_E_clIPiSE_SF_SF_EESJ_SZ_SK_SL_SM_EUlSZ_E1_NS1_11comp_targetILNS1_3genE10ELNS1_11target_archE1201ELNS1_3gpuE5ELNS1_3repE0EEENS1_36merge_oddeven_config_static_selectorELNS0_4arch9wavefront6targetE0EEEvSL_
                                        ; -- End function
	.set _ZN7rocprim17ROCPRIM_400000_NS6detail17trampoline_kernelINS0_14default_configENS1_38merge_sort_block_merge_config_selectorIiNS0_10empty_typeEEEZZNS1_27merge_sort_block_merge_implIS3_N6thrust23THRUST_200600_302600_NS6detail15normal_iteratorINS9_10device_ptrIiEEEEPS5_jNS1_19radix_merge_compareILb1ELb1EiNS0_19identity_decomposerEEEEE10hipError_tT0_T1_T2_jT3_P12ihipStream_tbPNSt15iterator_traitsISK_E10value_typeEPNSQ_ISL_E10value_typeEPSM_NS1_7vsmem_tEENKUlT_SK_SL_SM_E_clIPiSE_SF_SF_EESJ_SZ_SK_SL_SM_EUlSZ_E1_NS1_11comp_targetILNS1_3genE10ELNS1_11target_archE1201ELNS1_3gpuE5ELNS1_3repE0EEENS1_36merge_oddeven_config_static_selectorELNS0_4arch9wavefront6targetE0EEEvSL_.num_vgpr, 0
	.set _ZN7rocprim17ROCPRIM_400000_NS6detail17trampoline_kernelINS0_14default_configENS1_38merge_sort_block_merge_config_selectorIiNS0_10empty_typeEEEZZNS1_27merge_sort_block_merge_implIS3_N6thrust23THRUST_200600_302600_NS6detail15normal_iteratorINS9_10device_ptrIiEEEEPS5_jNS1_19radix_merge_compareILb1ELb1EiNS0_19identity_decomposerEEEEE10hipError_tT0_T1_T2_jT3_P12ihipStream_tbPNSt15iterator_traitsISK_E10value_typeEPNSQ_ISL_E10value_typeEPSM_NS1_7vsmem_tEENKUlT_SK_SL_SM_E_clIPiSE_SF_SF_EESJ_SZ_SK_SL_SM_EUlSZ_E1_NS1_11comp_targetILNS1_3genE10ELNS1_11target_archE1201ELNS1_3gpuE5ELNS1_3repE0EEENS1_36merge_oddeven_config_static_selectorELNS0_4arch9wavefront6targetE0EEEvSL_.num_agpr, 0
	.set _ZN7rocprim17ROCPRIM_400000_NS6detail17trampoline_kernelINS0_14default_configENS1_38merge_sort_block_merge_config_selectorIiNS0_10empty_typeEEEZZNS1_27merge_sort_block_merge_implIS3_N6thrust23THRUST_200600_302600_NS6detail15normal_iteratorINS9_10device_ptrIiEEEEPS5_jNS1_19radix_merge_compareILb1ELb1EiNS0_19identity_decomposerEEEEE10hipError_tT0_T1_T2_jT3_P12ihipStream_tbPNSt15iterator_traitsISK_E10value_typeEPNSQ_ISL_E10value_typeEPSM_NS1_7vsmem_tEENKUlT_SK_SL_SM_E_clIPiSE_SF_SF_EESJ_SZ_SK_SL_SM_EUlSZ_E1_NS1_11comp_targetILNS1_3genE10ELNS1_11target_archE1201ELNS1_3gpuE5ELNS1_3repE0EEENS1_36merge_oddeven_config_static_selectorELNS0_4arch9wavefront6targetE0EEEvSL_.numbered_sgpr, 0
	.set _ZN7rocprim17ROCPRIM_400000_NS6detail17trampoline_kernelINS0_14default_configENS1_38merge_sort_block_merge_config_selectorIiNS0_10empty_typeEEEZZNS1_27merge_sort_block_merge_implIS3_N6thrust23THRUST_200600_302600_NS6detail15normal_iteratorINS9_10device_ptrIiEEEEPS5_jNS1_19radix_merge_compareILb1ELb1EiNS0_19identity_decomposerEEEEE10hipError_tT0_T1_T2_jT3_P12ihipStream_tbPNSt15iterator_traitsISK_E10value_typeEPNSQ_ISL_E10value_typeEPSM_NS1_7vsmem_tEENKUlT_SK_SL_SM_E_clIPiSE_SF_SF_EESJ_SZ_SK_SL_SM_EUlSZ_E1_NS1_11comp_targetILNS1_3genE10ELNS1_11target_archE1201ELNS1_3gpuE5ELNS1_3repE0EEENS1_36merge_oddeven_config_static_selectorELNS0_4arch9wavefront6targetE0EEEvSL_.num_named_barrier, 0
	.set _ZN7rocprim17ROCPRIM_400000_NS6detail17trampoline_kernelINS0_14default_configENS1_38merge_sort_block_merge_config_selectorIiNS0_10empty_typeEEEZZNS1_27merge_sort_block_merge_implIS3_N6thrust23THRUST_200600_302600_NS6detail15normal_iteratorINS9_10device_ptrIiEEEEPS5_jNS1_19radix_merge_compareILb1ELb1EiNS0_19identity_decomposerEEEEE10hipError_tT0_T1_T2_jT3_P12ihipStream_tbPNSt15iterator_traitsISK_E10value_typeEPNSQ_ISL_E10value_typeEPSM_NS1_7vsmem_tEENKUlT_SK_SL_SM_E_clIPiSE_SF_SF_EESJ_SZ_SK_SL_SM_EUlSZ_E1_NS1_11comp_targetILNS1_3genE10ELNS1_11target_archE1201ELNS1_3gpuE5ELNS1_3repE0EEENS1_36merge_oddeven_config_static_selectorELNS0_4arch9wavefront6targetE0EEEvSL_.private_seg_size, 0
	.set _ZN7rocprim17ROCPRIM_400000_NS6detail17trampoline_kernelINS0_14default_configENS1_38merge_sort_block_merge_config_selectorIiNS0_10empty_typeEEEZZNS1_27merge_sort_block_merge_implIS3_N6thrust23THRUST_200600_302600_NS6detail15normal_iteratorINS9_10device_ptrIiEEEEPS5_jNS1_19radix_merge_compareILb1ELb1EiNS0_19identity_decomposerEEEEE10hipError_tT0_T1_T2_jT3_P12ihipStream_tbPNSt15iterator_traitsISK_E10value_typeEPNSQ_ISL_E10value_typeEPSM_NS1_7vsmem_tEENKUlT_SK_SL_SM_E_clIPiSE_SF_SF_EESJ_SZ_SK_SL_SM_EUlSZ_E1_NS1_11comp_targetILNS1_3genE10ELNS1_11target_archE1201ELNS1_3gpuE5ELNS1_3repE0EEENS1_36merge_oddeven_config_static_selectorELNS0_4arch9wavefront6targetE0EEEvSL_.uses_vcc, 0
	.set _ZN7rocprim17ROCPRIM_400000_NS6detail17trampoline_kernelINS0_14default_configENS1_38merge_sort_block_merge_config_selectorIiNS0_10empty_typeEEEZZNS1_27merge_sort_block_merge_implIS3_N6thrust23THRUST_200600_302600_NS6detail15normal_iteratorINS9_10device_ptrIiEEEEPS5_jNS1_19radix_merge_compareILb1ELb1EiNS0_19identity_decomposerEEEEE10hipError_tT0_T1_T2_jT3_P12ihipStream_tbPNSt15iterator_traitsISK_E10value_typeEPNSQ_ISL_E10value_typeEPSM_NS1_7vsmem_tEENKUlT_SK_SL_SM_E_clIPiSE_SF_SF_EESJ_SZ_SK_SL_SM_EUlSZ_E1_NS1_11comp_targetILNS1_3genE10ELNS1_11target_archE1201ELNS1_3gpuE5ELNS1_3repE0EEENS1_36merge_oddeven_config_static_selectorELNS0_4arch9wavefront6targetE0EEEvSL_.uses_flat_scratch, 0
	.set _ZN7rocprim17ROCPRIM_400000_NS6detail17trampoline_kernelINS0_14default_configENS1_38merge_sort_block_merge_config_selectorIiNS0_10empty_typeEEEZZNS1_27merge_sort_block_merge_implIS3_N6thrust23THRUST_200600_302600_NS6detail15normal_iteratorINS9_10device_ptrIiEEEEPS5_jNS1_19radix_merge_compareILb1ELb1EiNS0_19identity_decomposerEEEEE10hipError_tT0_T1_T2_jT3_P12ihipStream_tbPNSt15iterator_traitsISK_E10value_typeEPNSQ_ISL_E10value_typeEPSM_NS1_7vsmem_tEENKUlT_SK_SL_SM_E_clIPiSE_SF_SF_EESJ_SZ_SK_SL_SM_EUlSZ_E1_NS1_11comp_targetILNS1_3genE10ELNS1_11target_archE1201ELNS1_3gpuE5ELNS1_3repE0EEENS1_36merge_oddeven_config_static_selectorELNS0_4arch9wavefront6targetE0EEEvSL_.has_dyn_sized_stack, 0
	.set _ZN7rocprim17ROCPRIM_400000_NS6detail17trampoline_kernelINS0_14default_configENS1_38merge_sort_block_merge_config_selectorIiNS0_10empty_typeEEEZZNS1_27merge_sort_block_merge_implIS3_N6thrust23THRUST_200600_302600_NS6detail15normal_iteratorINS9_10device_ptrIiEEEEPS5_jNS1_19radix_merge_compareILb1ELb1EiNS0_19identity_decomposerEEEEE10hipError_tT0_T1_T2_jT3_P12ihipStream_tbPNSt15iterator_traitsISK_E10value_typeEPNSQ_ISL_E10value_typeEPSM_NS1_7vsmem_tEENKUlT_SK_SL_SM_E_clIPiSE_SF_SF_EESJ_SZ_SK_SL_SM_EUlSZ_E1_NS1_11comp_targetILNS1_3genE10ELNS1_11target_archE1201ELNS1_3gpuE5ELNS1_3repE0EEENS1_36merge_oddeven_config_static_selectorELNS0_4arch9wavefront6targetE0EEEvSL_.has_recursion, 0
	.set _ZN7rocprim17ROCPRIM_400000_NS6detail17trampoline_kernelINS0_14default_configENS1_38merge_sort_block_merge_config_selectorIiNS0_10empty_typeEEEZZNS1_27merge_sort_block_merge_implIS3_N6thrust23THRUST_200600_302600_NS6detail15normal_iteratorINS9_10device_ptrIiEEEEPS5_jNS1_19radix_merge_compareILb1ELb1EiNS0_19identity_decomposerEEEEE10hipError_tT0_T1_T2_jT3_P12ihipStream_tbPNSt15iterator_traitsISK_E10value_typeEPNSQ_ISL_E10value_typeEPSM_NS1_7vsmem_tEENKUlT_SK_SL_SM_E_clIPiSE_SF_SF_EESJ_SZ_SK_SL_SM_EUlSZ_E1_NS1_11comp_targetILNS1_3genE10ELNS1_11target_archE1201ELNS1_3gpuE5ELNS1_3repE0EEENS1_36merge_oddeven_config_static_selectorELNS0_4arch9wavefront6targetE0EEEvSL_.has_indirect_call, 0
	.section	.AMDGPU.csdata,"",@progbits
; Kernel info:
; codeLenInByte = 0
; TotalNumSgprs: 0
; NumVgprs: 0
; ScratchSize: 0
; MemoryBound: 0
; FloatMode: 240
; IeeeMode: 1
; LDSByteSize: 0 bytes/workgroup (compile time only)
; SGPRBlocks: 0
; VGPRBlocks: 0
; NumSGPRsForWavesPerEU: 1
; NumVGPRsForWavesPerEU: 1
; Occupancy: 16
; WaveLimiterHint : 0
; COMPUTE_PGM_RSRC2:SCRATCH_EN: 0
; COMPUTE_PGM_RSRC2:USER_SGPR: 6
; COMPUTE_PGM_RSRC2:TRAP_HANDLER: 0
; COMPUTE_PGM_RSRC2:TGID_X_EN: 1
; COMPUTE_PGM_RSRC2:TGID_Y_EN: 0
; COMPUTE_PGM_RSRC2:TGID_Z_EN: 0
; COMPUTE_PGM_RSRC2:TIDIG_COMP_CNT: 0
	.section	.text._ZN7rocprim17ROCPRIM_400000_NS6detail17trampoline_kernelINS0_14default_configENS1_38merge_sort_block_merge_config_selectorIiNS0_10empty_typeEEEZZNS1_27merge_sort_block_merge_implIS3_N6thrust23THRUST_200600_302600_NS6detail15normal_iteratorINS9_10device_ptrIiEEEEPS5_jNS1_19radix_merge_compareILb1ELb1EiNS0_19identity_decomposerEEEEE10hipError_tT0_T1_T2_jT3_P12ihipStream_tbPNSt15iterator_traitsISK_E10value_typeEPNSQ_ISL_E10value_typeEPSM_NS1_7vsmem_tEENKUlT_SK_SL_SM_E_clIPiSE_SF_SF_EESJ_SZ_SK_SL_SM_EUlSZ_E1_NS1_11comp_targetILNS1_3genE5ELNS1_11target_archE942ELNS1_3gpuE9ELNS1_3repE0EEENS1_36merge_oddeven_config_static_selectorELNS0_4arch9wavefront6targetE0EEEvSL_,"axG",@progbits,_ZN7rocprim17ROCPRIM_400000_NS6detail17trampoline_kernelINS0_14default_configENS1_38merge_sort_block_merge_config_selectorIiNS0_10empty_typeEEEZZNS1_27merge_sort_block_merge_implIS3_N6thrust23THRUST_200600_302600_NS6detail15normal_iteratorINS9_10device_ptrIiEEEEPS5_jNS1_19radix_merge_compareILb1ELb1EiNS0_19identity_decomposerEEEEE10hipError_tT0_T1_T2_jT3_P12ihipStream_tbPNSt15iterator_traitsISK_E10value_typeEPNSQ_ISL_E10value_typeEPSM_NS1_7vsmem_tEENKUlT_SK_SL_SM_E_clIPiSE_SF_SF_EESJ_SZ_SK_SL_SM_EUlSZ_E1_NS1_11comp_targetILNS1_3genE5ELNS1_11target_archE942ELNS1_3gpuE9ELNS1_3repE0EEENS1_36merge_oddeven_config_static_selectorELNS0_4arch9wavefront6targetE0EEEvSL_,comdat
	.protected	_ZN7rocprim17ROCPRIM_400000_NS6detail17trampoline_kernelINS0_14default_configENS1_38merge_sort_block_merge_config_selectorIiNS0_10empty_typeEEEZZNS1_27merge_sort_block_merge_implIS3_N6thrust23THRUST_200600_302600_NS6detail15normal_iteratorINS9_10device_ptrIiEEEEPS5_jNS1_19radix_merge_compareILb1ELb1EiNS0_19identity_decomposerEEEEE10hipError_tT0_T1_T2_jT3_P12ihipStream_tbPNSt15iterator_traitsISK_E10value_typeEPNSQ_ISL_E10value_typeEPSM_NS1_7vsmem_tEENKUlT_SK_SL_SM_E_clIPiSE_SF_SF_EESJ_SZ_SK_SL_SM_EUlSZ_E1_NS1_11comp_targetILNS1_3genE5ELNS1_11target_archE942ELNS1_3gpuE9ELNS1_3repE0EEENS1_36merge_oddeven_config_static_selectorELNS0_4arch9wavefront6targetE0EEEvSL_ ; -- Begin function _ZN7rocprim17ROCPRIM_400000_NS6detail17trampoline_kernelINS0_14default_configENS1_38merge_sort_block_merge_config_selectorIiNS0_10empty_typeEEEZZNS1_27merge_sort_block_merge_implIS3_N6thrust23THRUST_200600_302600_NS6detail15normal_iteratorINS9_10device_ptrIiEEEEPS5_jNS1_19radix_merge_compareILb1ELb1EiNS0_19identity_decomposerEEEEE10hipError_tT0_T1_T2_jT3_P12ihipStream_tbPNSt15iterator_traitsISK_E10value_typeEPNSQ_ISL_E10value_typeEPSM_NS1_7vsmem_tEENKUlT_SK_SL_SM_E_clIPiSE_SF_SF_EESJ_SZ_SK_SL_SM_EUlSZ_E1_NS1_11comp_targetILNS1_3genE5ELNS1_11target_archE942ELNS1_3gpuE9ELNS1_3repE0EEENS1_36merge_oddeven_config_static_selectorELNS0_4arch9wavefront6targetE0EEEvSL_
	.globl	_ZN7rocprim17ROCPRIM_400000_NS6detail17trampoline_kernelINS0_14default_configENS1_38merge_sort_block_merge_config_selectorIiNS0_10empty_typeEEEZZNS1_27merge_sort_block_merge_implIS3_N6thrust23THRUST_200600_302600_NS6detail15normal_iteratorINS9_10device_ptrIiEEEEPS5_jNS1_19radix_merge_compareILb1ELb1EiNS0_19identity_decomposerEEEEE10hipError_tT0_T1_T2_jT3_P12ihipStream_tbPNSt15iterator_traitsISK_E10value_typeEPNSQ_ISL_E10value_typeEPSM_NS1_7vsmem_tEENKUlT_SK_SL_SM_E_clIPiSE_SF_SF_EESJ_SZ_SK_SL_SM_EUlSZ_E1_NS1_11comp_targetILNS1_3genE5ELNS1_11target_archE942ELNS1_3gpuE9ELNS1_3repE0EEENS1_36merge_oddeven_config_static_selectorELNS0_4arch9wavefront6targetE0EEEvSL_
	.p2align	8
	.type	_ZN7rocprim17ROCPRIM_400000_NS6detail17trampoline_kernelINS0_14default_configENS1_38merge_sort_block_merge_config_selectorIiNS0_10empty_typeEEEZZNS1_27merge_sort_block_merge_implIS3_N6thrust23THRUST_200600_302600_NS6detail15normal_iteratorINS9_10device_ptrIiEEEEPS5_jNS1_19radix_merge_compareILb1ELb1EiNS0_19identity_decomposerEEEEE10hipError_tT0_T1_T2_jT3_P12ihipStream_tbPNSt15iterator_traitsISK_E10value_typeEPNSQ_ISL_E10value_typeEPSM_NS1_7vsmem_tEENKUlT_SK_SL_SM_E_clIPiSE_SF_SF_EESJ_SZ_SK_SL_SM_EUlSZ_E1_NS1_11comp_targetILNS1_3genE5ELNS1_11target_archE942ELNS1_3gpuE9ELNS1_3repE0EEENS1_36merge_oddeven_config_static_selectorELNS0_4arch9wavefront6targetE0EEEvSL_,@function
_ZN7rocprim17ROCPRIM_400000_NS6detail17trampoline_kernelINS0_14default_configENS1_38merge_sort_block_merge_config_selectorIiNS0_10empty_typeEEEZZNS1_27merge_sort_block_merge_implIS3_N6thrust23THRUST_200600_302600_NS6detail15normal_iteratorINS9_10device_ptrIiEEEEPS5_jNS1_19radix_merge_compareILb1ELb1EiNS0_19identity_decomposerEEEEE10hipError_tT0_T1_T2_jT3_P12ihipStream_tbPNSt15iterator_traitsISK_E10value_typeEPNSQ_ISL_E10value_typeEPSM_NS1_7vsmem_tEENKUlT_SK_SL_SM_E_clIPiSE_SF_SF_EESJ_SZ_SK_SL_SM_EUlSZ_E1_NS1_11comp_targetILNS1_3genE5ELNS1_11target_archE942ELNS1_3gpuE9ELNS1_3repE0EEENS1_36merge_oddeven_config_static_selectorELNS0_4arch9wavefront6targetE0EEEvSL_: ; @_ZN7rocprim17ROCPRIM_400000_NS6detail17trampoline_kernelINS0_14default_configENS1_38merge_sort_block_merge_config_selectorIiNS0_10empty_typeEEEZZNS1_27merge_sort_block_merge_implIS3_N6thrust23THRUST_200600_302600_NS6detail15normal_iteratorINS9_10device_ptrIiEEEEPS5_jNS1_19radix_merge_compareILb1ELb1EiNS0_19identity_decomposerEEEEE10hipError_tT0_T1_T2_jT3_P12ihipStream_tbPNSt15iterator_traitsISK_E10value_typeEPNSQ_ISL_E10value_typeEPSM_NS1_7vsmem_tEENKUlT_SK_SL_SM_E_clIPiSE_SF_SF_EESJ_SZ_SK_SL_SM_EUlSZ_E1_NS1_11comp_targetILNS1_3genE5ELNS1_11target_archE942ELNS1_3gpuE9ELNS1_3repE0EEENS1_36merge_oddeven_config_static_selectorELNS0_4arch9wavefront6targetE0EEEvSL_
; %bb.0:
	.section	.rodata,"a",@progbits
	.p2align	6, 0x0
	.amdhsa_kernel _ZN7rocprim17ROCPRIM_400000_NS6detail17trampoline_kernelINS0_14default_configENS1_38merge_sort_block_merge_config_selectorIiNS0_10empty_typeEEEZZNS1_27merge_sort_block_merge_implIS3_N6thrust23THRUST_200600_302600_NS6detail15normal_iteratorINS9_10device_ptrIiEEEEPS5_jNS1_19radix_merge_compareILb1ELb1EiNS0_19identity_decomposerEEEEE10hipError_tT0_T1_T2_jT3_P12ihipStream_tbPNSt15iterator_traitsISK_E10value_typeEPNSQ_ISL_E10value_typeEPSM_NS1_7vsmem_tEENKUlT_SK_SL_SM_E_clIPiSE_SF_SF_EESJ_SZ_SK_SL_SM_EUlSZ_E1_NS1_11comp_targetILNS1_3genE5ELNS1_11target_archE942ELNS1_3gpuE9ELNS1_3repE0EEENS1_36merge_oddeven_config_static_selectorELNS0_4arch9wavefront6targetE0EEEvSL_
		.amdhsa_group_segment_fixed_size 0
		.amdhsa_private_segment_fixed_size 0
		.amdhsa_kernarg_size 48
		.amdhsa_user_sgpr_count 6
		.amdhsa_user_sgpr_private_segment_buffer 1
		.amdhsa_user_sgpr_dispatch_ptr 0
		.amdhsa_user_sgpr_queue_ptr 0
		.amdhsa_user_sgpr_kernarg_segment_ptr 1
		.amdhsa_user_sgpr_dispatch_id 0
		.amdhsa_user_sgpr_flat_scratch_init 0
		.amdhsa_user_sgpr_private_segment_size 0
		.amdhsa_wavefront_size32 1
		.amdhsa_uses_dynamic_stack 0
		.amdhsa_system_sgpr_private_segment_wavefront_offset 0
		.amdhsa_system_sgpr_workgroup_id_x 1
		.amdhsa_system_sgpr_workgroup_id_y 0
		.amdhsa_system_sgpr_workgroup_id_z 0
		.amdhsa_system_sgpr_workgroup_info 0
		.amdhsa_system_vgpr_workitem_id 0
		.amdhsa_next_free_vgpr 1
		.amdhsa_next_free_sgpr 1
		.amdhsa_reserve_vcc 0
		.amdhsa_reserve_flat_scratch 0
		.amdhsa_float_round_mode_32 0
		.amdhsa_float_round_mode_16_64 0
		.amdhsa_float_denorm_mode_32 3
		.amdhsa_float_denorm_mode_16_64 3
		.amdhsa_dx10_clamp 1
		.amdhsa_ieee_mode 1
		.amdhsa_fp16_overflow 0
		.amdhsa_workgroup_processor_mode 1
		.amdhsa_memory_ordered 1
		.amdhsa_forward_progress 1
		.amdhsa_shared_vgpr_count 0
		.amdhsa_exception_fp_ieee_invalid_op 0
		.amdhsa_exception_fp_denorm_src 0
		.amdhsa_exception_fp_ieee_div_zero 0
		.amdhsa_exception_fp_ieee_overflow 0
		.amdhsa_exception_fp_ieee_underflow 0
		.amdhsa_exception_fp_ieee_inexact 0
		.amdhsa_exception_int_div_zero 0
	.end_amdhsa_kernel
	.section	.text._ZN7rocprim17ROCPRIM_400000_NS6detail17trampoline_kernelINS0_14default_configENS1_38merge_sort_block_merge_config_selectorIiNS0_10empty_typeEEEZZNS1_27merge_sort_block_merge_implIS3_N6thrust23THRUST_200600_302600_NS6detail15normal_iteratorINS9_10device_ptrIiEEEEPS5_jNS1_19radix_merge_compareILb1ELb1EiNS0_19identity_decomposerEEEEE10hipError_tT0_T1_T2_jT3_P12ihipStream_tbPNSt15iterator_traitsISK_E10value_typeEPNSQ_ISL_E10value_typeEPSM_NS1_7vsmem_tEENKUlT_SK_SL_SM_E_clIPiSE_SF_SF_EESJ_SZ_SK_SL_SM_EUlSZ_E1_NS1_11comp_targetILNS1_3genE5ELNS1_11target_archE942ELNS1_3gpuE9ELNS1_3repE0EEENS1_36merge_oddeven_config_static_selectorELNS0_4arch9wavefront6targetE0EEEvSL_,"axG",@progbits,_ZN7rocprim17ROCPRIM_400000_NS6detail17trampoline_kernelINS0_14default_configENS1_38merge_sort_block_merge_config_selectorIiNS0_10empty_typeEEEZZNS1_27merge_sort_block_merge_implIS3_N6thrust23THRUST_200600_302600_NS6detail15normal_iteratorINS9_10device_ptrIiEEEEPS5_jNS1_19radix_merge_compareILb1ELb1EiNS0_19identity_decomposerEEEEE10hipError_tT0_T1_T2_jT3_P12ihipStream_tbPNSt15iterator_traitsISK_E10value_typeEPNSQ_ISL_E10value_typeEPSM_NS1_7vsmem_tEENKUlT_SK_SL_SM_E_clIPiSE_SF_SF_EESJ_SZ_SK_SL_SM_EUlSZ_E1_NS1_11comp_targetILNS1_3genE5ELNS1_11target_archE942ELNS1_3gpuE9ELNS1_3repE0EEENS1_36merge_oddeven_config_static_selectorELNS0_4arch9wavefront6targetE0EEEvSL_,comdat
.Lfunc_end288:
	.size	_ZN7rocprim17ROCPRIM_400000_NS6detail17trampoline_kernelINS0_14default_configENS1_38merge_sort_block_merge_config_selectorIiNS0_10empty_typeEEEZZNS1_27merge_sort_block_merge_implIS3_N6thrust23THRUST_200600_302600_NS6detail15normal_iteratorINS9_10device_ptrIiEEEEPS5_jNS1_19radix_merge_compareILb1ELb1EiNS0_19identity_decomposerEEEEE10hipError_tT0_T1_T2_jT3_P12ihipStream_tbPNSt15iterator_traitsISK_E10value_typeEPNSQ_ISL_E10value_typeEPSM_NS1_7vsmem_tEENKUlT_SK_SL_SM_E_clIPiSE_SF_SF_EESJ_SZ_SK_SL_SM_EUlSZ_E1_NS1_11comp_targetILNS1_3genE5ELNS1_11target_archE942ELNS1_3gpuE9ELNS1_3repE0EEENS1_36merge_oddeven_config_static_selectorELNS0_4arch9wavefront6targetE0EEEvSL_, .Lfunc_end288-_ZN7rocprim17ROCPRIM_400000_NS6detail17trampoline_kernelINS0_14default_configENS1_38merge_sort_block_merge_config_selectorIiNS0_10empty_typeEEEZZNS1_27merge_sort_block_merge_implIS3_N6thrust23THRUST_200600_302600_NS6detail15normal_iteratorINS9_10device_ptrIiEEEEPS5_jNS1_19radix_merge_compareILb1ELb1EiNS0_19identity_decomposerEEEEE10hipError_tT0_T1_T2_jT3_P12ihipStream_tbPNSt15iterator_traitsISK_E10value_typeEPNSQ_ISL_E10value_typeEPSM_NS1_7vsmem_tEENKUlT_SK_SL_SM_E_clIPiSE_SF_SF_EESJ_SZ_SK_SL_SM_EUlSZ_E1_NS1_11comp_targetILNS1_3genE5ELNS1_11target_archE942ELNS1_3gpuE9ELNS1_3repE0EEENS1_36merge_oddeven_config_static_selectorELNS0_4arch9wavefront6targetE0EEEvSL_
                                        ; -- End function
	.set _ZN7rocprim17ROCPRIM_400000_NS6detail17trampoline_kernelINS0_14default_configENS1_38merge_sort_block_merge_config_selectorIiNS0_10empty_typeEEEZZNS1_27merge_sort_block_merge_implIS3_N6thrust23THRUST_200600_302600_NS6detail15normal_iteratorINS9_10device_ptrIiEEEEPS5_jNS1_19radix_merge_compareILb1ELb1EiNS0_19identity_decomposerEEEEE10hipError_tT0_T1_T2_jT3_P12ihipStream_tbPNSt15iterator_traitsISK_E10value_typeEPNSQ_ISL_E10value_typeEPSM_NS1_7vsmem_tEENKUlT_SK_SL_SM_E_clIPiSE_SF_SF_EESJ_SZ_SK_SL_SM_EUlSZ_E1_NS1_11comp_targetILNS1_3genE5ELNS1_11target_archE942ELNS1_3gpuE9ELNS1_3repE0EEENS1_36merge_oddeven_config_static_selectorELNS0_4arch9wavefront6targetE0EEEvSL_.num_vgpr, 0
	.set _ZN7rocprim17ROCPRIM_400000_NS6detail17trampoline_kernelINS0_14default_configENS1_38merge_sort_block_merge_config_selectorIiNS0_10empty_typeEEEZZNS1_27merge_sort_block_merge_implIS3_N6thrust23THRUST_200600_302600_NS6detail15normal_iteratorINS9_10device_ptrIiEEEEPS5_jNS1_19radix_merge_compareILb1ELb1EiNS0_19identity_decomposerEEEEE10hipError_tT0_T1_T2_jT3_P12ihipStream_tbPNSt15iterator_traitsISK_E10value_typeEPNSQ_ISL_E10value_typeEPSM_NS1_7vsmem_tEENKUlT_SK_SL_SM_E_clIPiSE_SF_SF_EESJ_SZ_SK_SL_SM_EUlSZ_E1_NS1_11comp_targetILNS1_3genE5ELNS1_11target_archE942ELNS1_3gpuE9ELNS1_3repE0EEENS1_36merge_oddeven_config_static_selectorELNS0_4arch9wavefront6targetE0EEEvSL_.num_agpr, 0
	.set _ZN7rocprim17ROCPRIM_400000_NS6detail17trampoline_kernelINS0_14default_configENS1_38merge_sort_block_merge_config_selectorIiNS0_10empty_typeEEEZZNS1_27merge_sort_block_merge_implIS3_N6thrust23THRUST_200600_302600_NS6detail15normal_iteratorINS9_10device_ptrIiEEEEPS5_jNS1_19radix_merge_compareILb1ELb1EiNS0_19identity_decomposerEEEEE10hipError_tT0_T1_T2_jT3_P12ihipStream_tbPNSt15iterator_traitsISK_E10value_typeEPNSQ_ISL_E10value_typeEPSM_NS1_7vsmem_tEENKUlT_SK_SL_SM_E_clIPiSE_SF_SF_EESJ_SZ_SK_SL_SM_EUlSZ_E1_NS1_11comp_targetILNS1_3genE5ELNS1_11target_archE942ELNS1_3gpuE9ELNS1_3repE0EEENS1_36merge_oddeven_config_static_selectorELNS0_4arch9wavefront6targetE0EEEvSL_.numbered_sgpr, 0
	.set _ZN7rocprim17ROCPRIM_400000_NS6detail17trampoline_kernelINS0_14default_configENS1_38merge_sort_block_merge_config_selectorIiNS0_10empty_typeEEEZZNS1_27merge_sort_block_merge_implIS3_N6thrust23THRUST_200600_302600_NS6detail15normal_iteratorINS9_10device_ptrIiEEEEPS5_jNS1_19radix_merge_compareILb1ELb1EiNS0_19identity_decomposerEEEEE10hipError_tT0_T1_T2_jT3_P12ihipStream_tbPNSt15iterator_traitsISK_E10value_typeEPNSQ_ISL_E10value_typeEPSM_NS1_7vsmem_tEENKUlT_SK_SL_SM_E_clIPiSE_SF_SF_EESJ_SZ_SK_SL_SM_EUlSZ_E1_NS1_11comp_targetILNS1_3genE5ELNS1_11target_archE942ELNS1_3gpuE9ELNS1_3repE0EEENS1_36merge_oddeven_config_static_selectorELNS0_4arch9wavefront6targetE0EEEvSL_.num_named_barrier, 0
	.set _ZN7rocprim17ROCPRIM_400000_NS6detail17trampoline_kernelINS0_14default_configENS1_38merge_sort_block_merge_config_selectorIiNS0_10empty_typeEEEZZNS1_27merge_sort_block_merge_implIS3_N6thrust23THRUST_200600_302600_NS6detail15normal_iteratorINS9_10device_ptrIiEEEEPS5_jNS1_19radix_merge_compareILb1ELb1EiNS0_19identity_decomposerEEEEE10hipError_tT0_T1_T2_jT3_P12ihipStream_tbPNSt15iterator_traitsISK_E10value_typeEPNSQ_ISL_E10value_typeEPSM_NS1_7vsmem_tEENKUlT_SK_SL_SM_E_clIPiSE_SF_SF_EESJ_SZ_SK_SL_SM_EUlSZ_E1_NS1_11comp_targetILNS1_3genE5ELNS1_11target_archE942ELNS1_3gpuE9ELNS1_3repE0EEENS1_36merge_oddeven_config_static_selectorELNS0_4arch9wavefront6targetE0EEEvSL_.private_seg_size, 0
	.set _ZN7rocprim17ROCPRIM_400000_NS6detail17trampoline_kernelINS0_14default_configENS1_38merge_sort_block_merge_config_selectorIiNS0_10empty_typeEEEZZNS1_27merge_sort_block_merge_implIS3_N6thrust23THRUST_200600_302600_NS6detail15normal_iteratorINS9_10device_ptrIiEEEEPS5_jNS1_19radix_merge_compareILb1ELb1EiNS0_19identity_decomposerEEEEE10hipError_tT0_T1_T2_jT3_P12ihipStream_tbPNSt15iterator_traitsISK_E10value_typeEPNSQ_ISL_E10value_typeEPSM_NS1_7vsmem_tEENKUlT_SK_SL_SM_E_clIPiSE_SF_SF_EESJ_SZ_SK_SL_SM_EUlSZ_E1_NS1_11comp_targetILNS1_3genE5ELNS1_11target_archE942ELNS1_3gpuE9ELNS1_3repE0EEENS1_36merge_oddeven_config_static_selectorELNS0_4arch9wavefront6targetE0EEEvSL_.uses_vcc, 0
	.set _ZN7rocprim17ROCPRIM_400000_NS6detail17trampoline_kernelINS0_14default_configENS1_38merge_sort_block_merge_config_selectorIiNS0_10empty_typeEEEZZNS1_27merge_sort_block_merge_implIS3_N6thrust23THRUST_200600_302600_NS6detail15normal_iteratorINS9_10device_ptrIiEEEEPS5_jNS1_19radix_merge_compareILb1ELb1EiNS0_19identity_decomposerEEEEE10hipError_tT0_T1_T2_jT3_P12ihipStream_tbPNSt15iterator_traitsISK_E10value_typeEPNSQ_ISL_E10value_typeEPSM_NS1_7vsmem_tEENKUlT_SK_SL_SM_E_clIPiSE_SF_SF_EESJ_SZ_SK_SL_SM_EUlSZ_E1_NS1_11comp_targetILNS1_3genE5ELNS1_11target_archE942ELNS1_3gpuE9ELNS1_3repE0EEENS1_36merge_oddeven_config_static_selectorELNS0_4arch9wavefront6targetE0EEEvSL_.uses_flat_scratch, 0
	.set _ZN7rocprim17ROCPRIM_400000_NS6detail17trampoline_kernelINS0_14default_configENS1_38merge_sort_block_merge_config_selectorIiNS0_10empty_typeEEEZZNS1_27merge_sort_block_merge_implIS3_N6thrust23THRUST_200600_302600_NS6detail15normal_iteratorINS9_10device_ptrIiEEEEPS5_jNS1_19radix_merge_compareILb1ELb1EiNS0_19identity_decomposerEEEEE10hipError_tT0_T1_T2_jT3_P12ihipStream_tbPNSt15iterator_traitsISK_E10value_typeEPNSQ_ISL_E10value_typeEPSM_NS1_7vsmem_tEENKUlT_SK_SL_SM_E_clIPiSE_SF_SF_EESJ_SZ_SK_SL_SM_EUlSZ_E1_NS1_11comp_targetILNS1_3genE5ELNS1_11target_archE942ELNS1_3gpuE9ELNS1_3repE0EEENS1_36merge_oddeven_config_static_selectorELNS0_4arch9wavefront6targetE0EEEvSL_.has_dyn_sized_stack, 0
	.set _ZN7rocprim17ROCPRIM_400000_NS6detail17trampoline_kernelINS0_14default_configENS1_38merge_sort_block_merge_config_selectorIiNS0_10empty_typeEEEZZNS1_27merge_sort_block_merge_implIS3_N6thrust23THRUST_200600_302600_NS6detail15normal_iteratorINS9_10device_ptrIiEEEEPS5_jNS1_19radix_merge_compareILb1ELb1EiNS0_19identity_decomposerEEEEE10hipError_tT0_T1_T2_jT3_P12ihipStream_tbPNSt15iterator_traitsISK_E10value_typeEPNSQ_ISL_E10value_typeEPSM_NS1_7vsmem_tEENKUlT_SK_SL_SM_E_clIPiSE_SF_SF_EESJ_SZ_SK_SL_SM_EUlSZ_E1_NS1_11comp_targetILNS1_3genE5ELNS1_11target_archE942ELNS1_3gpuE9ELNS1_3repE0EEENS1_36merge_oddeven_config_static_selectorELNS0_4arch9wavefront6targetE0EEEvSL_.has_recursion, 0
	.set _ZN7rocprim17ROCPRIM_400000_NS6detail17trampoline_kernelINS0_14default_configENS1_38merge_sort_block_merge_config_selectorIiNS0_10empty_typeEEEZZNS1_27merge_sort_block_merge_implIS3_N6thrust23THRUST_200600_302600_NS6detail15normal_iteratorINS9_10device_ptrIiEEEEPS5_jNS1_19radix_merge_compareILb1ELb1EiNS0_19identity_decomposerEEEEE10hipError_tT0_T1_T2_jT3_P12ihipStream_tbPNSt15iterator_traitsISK_E10value_typeEPNSQ_ISL_E10value_typeEPSM_NS1_7vsmem_tEENKUlT_SK_SL_SM_E_clIPiSE_SF_SF_EESJ_SZ_SK_SL_SM_EUlSZ_E1_NS1_11comp_targetILNS1_3genE5ELNS1_11target_archE942ELNS1_3gpuE9ELNS1_3repE0EEENS1_36merge_oddeven_config_static_selectorELNS0_4arch9wavefront6targetE0EEEvSL_.has_indirect_call, 0
	.section	.AMDGPU.csdata,"",@progbits
; Kernel info:
; codeLenInByte = 0
; TotalNumSgprs: 0
; NumVgprs: 0
; ScratchSize: 0
; MemoryBound: 0
; FloatMode: 240
; IeeeMode: 1
; LDSByteSize: 0 bytes/workgroup (compile time only)
; SGPRBlocks: 0
; VGPRBlocks: 0
; NumSGPRsForWavesPerEU: 1
; NumVGPRsForWavesPerEU: 1
; Occupancy: 16
; WaveLimiterHint : 0
; COMPUTE_PGM_RSRC2:SCRATCH_EN: 0
; COMPUTE_PGM_RSRC2:USER_SGPR: 6
; COMPUTE_PGM_RSRC2:TRAP_HANDLER: 0
; COMPUTE_PGM_RSRC2:TGID_X_EN: 1
; COMPUTE_PGM_RSRC2:TGID_Y_EN: 0
; COMPUTE_PGM_RSRC2:TGID_Z_EN: 0
; COMPUTE_PGM_RSRC2:TIDIG_COMP_CNT: 0
	.section	.text._ZN7rocprim17ROCPRIM_400000_NS6detail17trampoline_kernelINS0_14default_configENS1_38merge_sort_block_merge_config_selectorIiNS0_10empty_typeEEEZZNS1_27merge_sort_block_merge_implIS3_N6thrust23THRUST_200600_302600_NS6detail15normal_iteratorINS9_10device_ptrIiEEEEPS5_jNS1_19radix_merge_compareILb1ELb1EiNS0_19identity_decomposerEEEEE10hipError_tT0_T1_T2_jT3_P12ihipStream_tbPNSt15iterator_traitsISK_E10value_typeEPNSQ_ISL_E10value_typeEPSM_NS1_7vsmem_tEENKUlT_SK_SL_SM_E_clIPiSE_SF_SF_EESJ_SZ_SK_SL_SM_EUlSZ_E1_NS1_11comp_targetILNS1_3genE4ELNS1_11target_archE910ELNS1_3gpuE8ELNS1_3repE0EEENS1_36merge_oddeven_config_static_selectorELNS0_4arch9wavefront6targetE0EEEvSL_,"axG",@progbits,_ZN7rocprim17ROCPRIM_400000_NS6detail17trampoline_kernelINS0_14default_configENS1_38merge_sort_block_merge_config_selectorIiNS0_10empty_typeEEEZZNS1_27merge_sort_block_merge_implIS3_N6thrust23THRUST_200600_302600_NS6detail15normal_iteratorINS9_10device_ptrIiEEEEPS5_jNS1_19radix_merge_compareILb1ELb1EiNS0_19identity_decomposerEEEEE10hipError_tT0_T1_T2_jT3_P12ihipStream_tbPNSt15iterator_traitsISK_E10value_typeEPNSQ_ISL_E10value_typeEPSM_NS1_7vsmem_tEENKUlT_SK_SL_SM_E_clIPiSE_SF_SF_EESJ_SZ_SK_SL_SM_EUlSZ_E1_NS1_11comp_targetILNS1_3genE4ELNS1_11target_archE910ELNS1_3gpuE8ELNS1_3repE0EEENS1_36merge_oddeven_config_static_selectorELNS0_4arch9wavefront6targetE0EEEvSL_,comdat
	.protected	_ZN7rocprim17ROCPRIM_400000_NS6detail17trampoline_kernelINS0_14default_configENS1_38merge_sort_block_merge_config_selectorIiNS0_10empty_typeEEEZZNS1_27merge_sort_block_merge_implIS3_N6thrust23THRUST_200600_302600_NS6detail15normal_iteratorINS9_10device_ptrIiEEEEPS5_jNS1_19radix_merge_compareILb1ELb1EiNS0_19identity_decomposerEEEEE10hipError_tT0_T1_T2_jT3_P12ihipStream_tbPNSt15iterator_traitsISK_E10value_typeEPNSQ_ISL_E10value_typeEPSM_NS1_7vsmem_tEENKUlT_SK_SL_SM_E_clIPiSE_SF_SF_EESJ_SZ_SK_SL_SM_EUlSZ_E1_NS1_11comp_targetILNS1_3genE4ELNS1_11target_archE910ELNS1_3gpuE8ELNS1_3repE0EEENS1_36merge_oddeven_config_static_selectorELNS0_4arch9wavefront6targetE0EEEvSL_ ; -- Begin function _ZN7rocprim17ROCPRIM_400000_NS6detail17trampoline_kernelINS0_14default_configENS1_38merge_sort_block_merge_config_selectorIiNS0_10empty_typeEEEZZNS1_27merge_sort_block_merge_implIS3_N6thrust23THRUST_200600_302600_NS6detail15normal_iteratorINS9_10device_ptrIiEEEEPS5_jNS1_19radix_merge_compareILb1ELb1EiNS0_19identity_decomposerEEEEE10hipError_tT0_T1_T2_jT3_P12ihipStream_tbPNSt15iterator_traitsISK_E10value_typeEPNSQ_ISL_E10value_typeEPSM_NS1_7vsmem_tEENKUlT_SK_SL_SM_E_clIPiSE_SF_SF_EESJ_SZ_SK_SL_SM_EUlSZ_E1_NS1_11comp_targetILNS1_3genE4ELNS1_11target_archE910ELNS1_3gpuE8ELNS1_3repE0EEENS1_36merge_oddeven_config_static_selectorELNS0_4arch9wavefront6targetE0EEEvSL_
	.globl	_ZN7rocprim17ROCPRIM_400000_NS6detail17trampoline_kernelINS0_14default_configENS1_38merge_sort_block_merge_config_selectorIiNS0_10empty_typeEEEZZNS1_27merge_sort_block_merge_implIS3_N6thrust23THRUST_200600_302600_NS6detail15normal_iteratorINS9_10device_ptrIiEEEEPS5_jNS1_19radix_merge_compareILb1ELb1EiNS0_19identity_decomposerEEEEE10hipError_tT0_T1_T2_jT3_P12ihipStream_tbPNSt15iterator_traitsISK_E10value_typeEPNSQ_ISL_E10value_typeEPSM_NS1_7vsmem_tEENKUlT_SK_SL_SM_E_clIPiSE_SF_SF_EESJ_SZ_SK_SL_SM_EUlSZ_E1_NS1_11comp_targetILNS1_3genE4ELNS1_11target_archE910ELNS1_3gpuE8ELNS1_3repE0EEENS1_36merge_oddeven_config_static_selectorELNS0_4arch9wavefront6targetE0EEEvSL_
	.p2align	8
	.type	_ZN7rocprim17ROCPRIM_400000_NS6detail17trampoline_kernelINS0_14default_configENS1_38merge_sort_block_merge_config_selectorIiNS0_10empty_typeEEEZZNS1_27merge_sort_block_merge_implIS3_N6thrust23THRUST_200600_302600_NS6detail15normal_iteratorINS9_10device_ptrIiEEEEPS5_jNS1_19radix_merge_compareILb1ELb1EiNS0_19identity_decomposerEEEEE10hipError_tT0_T1_T2_jT3_P12ihipStream_tbPNSt15iterator_traitsISK_E10value_typeEPNSQ_ISL_E10value_typeEPSM_NS1_7vsmem_tEENKUlT_SK_SL_SM_E_clIPiSE_SF_SF_EESJ_SZ_SK_SL_SM_EUlSZ_E1_NS1_11comp_targetILNS1_3genE4ELNS1_11target_archE910ELNS1_3gpuE8ELNS1_3repE0EEENS1_36merge_oddeven_config_static_selectorELNS0_4arch9wavefront6targetE0EEEvSL_,@function
_ZN7rocprim17ROCPRIM_400000_NS6detail17trampoline_kernelINS0_14default_configENS1_38merge_sort_block_merge_config_selectorIiNS0_10empty_typeEEEZZNS1_27merge_sort_block_merge_implIS3_N6thrust23THRUST_200600_302600_NS6detail15normal_iteratorINS9_10device_ptrIiEEEEPS5_jNS1_19radix_merge_compareILb1ELb1EiNS0_19identity_decomposerEEEEE10hipError_tT0_T1_T2_jT3_P12ihipStream_tbPNSt15iterator_traitsISK_E10value_typeEPNSQ_ISL_E10value_typeEPSM_NS1_7vsmem_tEENKUlT_SK_SL_SM_E_clIPiSE_SF_SF_EESJ_SZ_SK_SL_SM_EUlSZ_E1_NS1_11comp_targetILNS1_3genE4ELNS1_11target_archE910ELNS1_3gpuE8ELNS1_3repE0EEENS1_36merge_oddeven_config_static_selectorELNS0_4arch9wavefront6targetE0EEEvSL_: ; @_ZN7rocprim17ROCPRIM_400000_NS6detail17trampoline_kernelINS0_14default_configENS1_38merge_sort_block_merge_config_selectorIiNS0_10empty_typeEEEZZNS1_27merge_sort_block_merge_implIS3_N6thrust23THRUST_200600_302600_NS6detail15normal_iteratorINS9_10device_ptrIiEEEEPS5_jNS1_19radix_merge_compareILb1ELb1EiNS0_19identity_decomposerEEEEE10hipError_tT0_T1_T2_jT3_P12ihipStream_tbPNSt15iterator_traitsISK_E10value_typeEPNSQ_ISL_E10value_typeEPSM_NS1_7vsmem_tEENKUlT_SK_SL_SM_E_clIPiSE_SF_SF_EESJ_SZ_SK_SL_SM_EUlSZ_E1_NS1_11comp_targetILNS1_3genE4ELNS1_11target_archE910ELNS1_3gpuE8ELNS1_3repE0EEENS1_36merge_oddeven_config_static_selectorELNS0_4arch9wavefront6targetE0EEEvSL_
; %bb.0:
	.section	.rodata,"a",@progbits
	.p2align	6, 0x0
	.amdhsa_kernel _ZN7rocprim17ROCPRIM_400000_NS6detail17trampoline_kernelINS0_14default_configENS1_38merge_sort_block_merge_config_selectorIiNS0_10empty_typeEEEZZNS1_27merge_sort_block_merge_implIS3_N6thrust23THRUST_200600_302600_NS6detail15normal_iteratorINS9_10device_ptrIiEEEEPS5_jNS1_19radix_merge_compareILb1ELb1EiNS0_19identity_decomposerEEEEE10hipError_tT0_T1_T2_jT3_P12ihipStream_tbPNSt15iterator_traitsISK_E10value_typeEPNSQ_ISL_E10value_typeEPSM_NS1_7vsmem_tEENKUlT_SK_SL_SM_E_clIPiSE_SF_SF_EESJ_SZ_SK_SL_SM_EUlSZ_E1_NS1_11comp_targetILNS1_3genE4ELNS1_11target_archE910ELNS1_3gpuE8ELNS1_3repE0EEENS1_36merge_oddeven_config_static_selectorELNS0_4arch9wavefront6targetE0EEEvSL_
		.amdhsa_group_segment_fixed_size 0
		.amdhsa_private_segment_fixed_size 0
		.amdhsa_kernarg_size 48
		.amdhsa_user_sgpr_count 6
		.amdhsa_user_sgpr_private_segment_buffer 1
		.amdhsa_user_sgpr_dispatch_ptr 0
		.amdhsa_user_sgpr_queue_ptr 0
		.amdhsa_user_sgpr_kernarg_segment_ptr 1
		.amdhsa_user_sgpr_dispatch_id 0
		.amdhsa_user_sgpr_flat_scratch_init 0
		.amdhsa_user_sgpr_private_segment_size 0
		.amdhsa_wavefront_size32 1
		.amdhsa_uses_dynamic_stack 0
		.amdhsa_system_sgpr_private_segment_wavefront_offset 0
		.amdhsa_system_sgpr_workgroup_id_x 1
		.amdhsa_system_sgpr_workgroup_id_y 0
		.amdhsa_system_sgpr_workgroup_id_z 0
		.amdhsa_system_sgpr_workgroup_info 0
		.amdhsa_system_vgpr_workitem_id 0
		.amdhsa_next_free_vgpr 1
		.amdhsa_next_free_sgpr 1
		.amdhsa_reserve_vcc 0
		.amdhsa_reserve_flat_scratch 0
		.amdhsa_float_round_mode_32 0
		.amdhsa_float_round_mode_16_64 0
		.amdhsa_float_denorm_mode_32 3
		.amdhsa_float_denorm_mode_16_64 3
		.amdhsa_dx10_clamp 1
		.amdhsa_ieee_mode 1
		.amdhsa_fp16_overflow 0
		.amdhsa_workgroup_processor_mode 1
		.amdhsa_memory_ordered 1
		.amdhsa_forward_progress 1
		.amdhsa_shared_vgpr_count 0
		.amdhsa_exception_fp_ieee_invalid_op 0
		.amdhsa_exception_fp_denorm_src 0
		.amdhsa_exception_fp_ieee_div_zero 0
		.amdhsa_exception_fp_ieee_overflow 0
		.amdhsa_exception_fp_ieee_underflow 0
		.amdhsa_exception_fp_ieee_inexact 0
		.amdhsa_exception_int_div_zero 0
	.end_amdhsa_kernel
	.section	.text._ZN7rocprim17ROCPRIM_400000_NS6detail17trampoline_kernelINS0_14default_configENS1_38merge_sort_block_merge_config_selectorIiNS0_10empty_typeEEEZZNS1_27merge_sort_block_merge_implIS3_N6thrust23THRUST_200600_302600_NS6detail15normal_iteratorINS9_10device_ptrIiEEEEPS5_jNS1_19radix_merge_compareILb1ELb1EiNS0_19identity_decomposerEEEEE10hipError_tT0_T1_T2_jT3_P12ihipStream_tbPNSt15iterator_traitsISK_E10value_typeEPNSQ_ISL_E10value_typeEPSM_NS1_7vsmem_tEENKUlT_SK_SL_SM_E_clIPiSE_SF_SF_EESJ_SZ_SK_SL_SM_EUlSZ_E1_NS1_11comp_targetILNS1_3genE4ELNS1_11target_archE910ELNS1_3gpuE8ELNS1_3repE0EEENS1_36merge_oddeven_config_static_selectorELNS0_4arch9wavefront6targetE0EEEvSL_,"axG",@progbits,_ZN7rocprim17ROCPRIM_400000_NS6detail17trampoline_kernelINS0_14default_configENS1_38merge_sort_block_merge_config_selectorIiNS0_10empty_typeEEEZZNS1_27merge_sort_block_merge_implIS3_N6thrust23THRUST_200600_302600_NS6detail15normal_iteratorINS9_10device_ptrIiEEEEPS5_jNS1_19radix_merge_compareILb1ELb1EiNS0_19identity_decomposerEEEEE10hipError_tT0_T1_T2_jT3_P12ihipStream_tbPNSt15iterator_traitsISK_E10value_typeEPNSQ_ISL_E10value_typeEPSM_NS1_7vsmem_tEENKUlT_SK_SL_SM_E_clIPiSE_SF_SF_EESJ_SZ_SK_SL_SM_EUlSZ_E1_NS1_11comp_targetILNS1_3genE4ELNS1_11target_archE910ELNS1_3gpuE8ELNS1_3repE0EEENS1_36merge_oddeven_config_static_selectorELNS0_4arch9wavefront6targetE0EEEvSL_,comdat
.Lfunc_end289:
	.size	_ZN7rocprim17ROCPRIM_400000_NS6detail17trampoline_kernelINS0_14default_configENS1_38merge_sort_block_merge_config_selectorIiNS0_10empty_typeEEEZZNS1_27merge_sort_block_merge_implIS3_N6thrust23THRUST_200600_302600_NS6detail15normal_iteratorINS9_10device_ptrIiEEEEPS5_jNS1_19radix_merge_compareILb1ELb1EiNS0_19identity_decomposerEEEEE10hipError_tT0_T1_T2_jT3_P12ihipStream_tbPNSt15iterator_traitsISK_E10value_typeEPNSQ_ISL_E10value_typeEPSM_NS1_7vsmem_tEENKUlT_SK_SL_SM_E_clIPiSE_SF_SF_EESJ_SZ_SK_SL_SM_EUlSZ_E1_NS1_11comp_targetILNS1_3genE4ELNS1_11target_archE910ELNS1_3gpuE8ELNS1_3repE0EEENS1_36merge_oddeven_config_static_selectorELNS0_4arch9wavefront6targetE0EEEvSL_, .Lfunc_end289-_ZN7rocprim17ROCPRIM_400000_NS6detail17trampoline_kernelINS0_14default_configENS1_38merge_sort_block_merge_config_selectorIiNS0_10empty_typeEEEZZNS1_27merge_sort_block_merge_implIS3_N6thrust23THRUST_200600_302600_NS6detail15normal_iteratorINS9_10device_ptrIiEEEEPS5_jNS1_19radix_merge_compareILb1ELb1EiNS0_19identity_decomposerEEEEE10hipError_tT0_T1_T2_jT3_P12ihipStream_tbPNSt15iterator_traitsISK_E10value_typeEPNSQ_ISL_E10value_typeEPSM_NS1_7vsmem_tEENKUlT_SK_SL_SM_E_clIPiSE_SF_SF_EESJ_SZ_SK_SL_SM_EUlSZ_E1_NS1_11comp_targetILNS1_3genE4ELNS1_11target_archE910ELNS1_3gpuE8ELNS1_3repE0EEENS1_36merge_oddeven_config_static_selectorELNS0_4arch9wavefront6targetE0EEEvSL_
                                        ; -- End function
	.set _ZN7rocprim17ROCPRIM_400000_NS6detail17trampoline_kernelINS0_14default_configENS1_38merge_sort_block_merge_config_selectorIiNS0_10empty_typeEEEZZNS1_27merge_sort_block_merge_implIS3_N6thrust23THRUST_200600_302600_NS6detail15normal_iteratorINS9_10device_ptrIiEEEEPS5_jNS1_19radix_merge_compareILb1ELb1EiNS0_19identity_decomposerEEEEE10hipError_tT0_T1_T2_jT3_P12ihipStream_tbPNSt15iterator_traitsISK_E10value_typeEPNSQ_ISL_E10value_typeEPSM_NS1_7vsmem_tEENKUlT_SK_SL_SM_E_clIPiSE_SF_SF_EESJ_SZ_SK_SL_SM_EUlSZ_E1_NS1_11comp_targetILNS1_3genE4ELNS1_11target_archE910ELNS1_3gpuE8ELNS1_3repE0EEENS1_36merge_oddeven_config_static_selectorELNS0_4arch9wavefront6targetE0EEEvSL_.num_vgpr, 0
	.set _ZN7rocprim17ROCPRIM_400000_NS6detail17trampoline_kernelINS0_14default_configENS1_38merge_sort_block_merge_config_selectorIiNS0_10empty_typeEEEZZNS1_27merge_sort_block_merge_implIS3_N6thrust23THRUST_200600_302600_NS6detail15normal_iteratorINS9_10device_ptrIiEEEEPS5_jNS1_19radix_merge_compareILb1ELb1EiNS0_19identity_decomposerEEEEE10hipError_tT0_T1_T2_jT3_P12ihipStream_tbPNSt15iterator_traitsISK_E10value_typeEPNSQ_ISL_E10value_typeEPSM_NS1_7vsmem_tEENKUlT_SK_SL_SM_E_clIPiSE_SF_SF_EESJ_SZ_SK_SL_SM_EUlSZ_E1_NS1_11comp_targetILNS1_3genE4ELNS1_11target_archE910ELNS1_3gpuE8ELNS1_3repE0EEENS1_36merge_oddeven_config_static_selectorELNS0_4arch9wavefront6targetE0EEEvSL_.num_agpr, 0
	.set _ZN7rocprim17ROCPRIM_400000_NS6detail17trampoline_kernelINS0_14default_configENS1_38merge_sort_block_merge_config_selectorIiNS0_10empty_typeEEEZZNS1_27merge_sort_block_merge_implIS3_N6thrust23THRUST_200600_302600_NS6detail15normal_iteratorINS9_10device_ptrIiEEEEPS5_jNS1_19radix_merge_compareILb1ELb1EiNS0_19identity_decomposerEEEEE10hipError_tT0_T1_T2_jT3_P12ihipStream_tbPNSt15iterator_traitsISK_E10value_typeEPNSQ_ISL_E10value_typeEPSM_NS1_7vsmem_tEENKUlT_SK_SL_SM_E_clIPiSE_SF_SF_EESJ_SZ_SK_SL_SM_EUlSZ_E1_NS1_11comp_targetILNS1_3genE4ELNS1_11target_archE910ELNS1_3gpuE8ELNS1_3repE0EEENS1_36merge_oddeven_config_static_selectorELNS0_4arch9wavefront6targetE0EEEvSL_.numbered_sgpr, 0
	.set _ZN7rocprim17ROCPRIM_400000_NS6detail17trampoline_kernelINS0_14default_configENS1_38merge_sort_block_merge_config_selectorIiNS0_10empty_typeEEEZZNS1_27merge_sort_block_merge_implIS3_N6thrust23THRUST_200600_302600_NS6detail15normal_iteratorINS9_10device_ptrIiEEEEPS5_jNS1_19radix_merge_compareILb1ELb1EiNS0_19identity_decomposerEEEEE10hipError_tT0_T1_T2_jT3_P12ihipStream_tbPNSt15iterator_traitsISK_E10value_typeEPNSQ_ISL_E10value_typeEPSM_NS1_7vsmem_tEENKUlT_SK_SL_SM_E_clIPiSE_SF_SF_EESJ_SZ_SK_SL_SM_EUlSZ_E1_NS1_11comp_targetILNS1_3genE4ELNS1_11target_archE910ELNS1_3gpuE8ELNS1_3repE0EEENS1_36merge_oddeven_config_static_selectorELNS0_4arch9wavefront6targetE0EEEvSL_.num_named_barrier, 0
	.set _ZN7rocprim17ROCPRIM_400000_NS6detail17trampoline_kernelINS0_14default_configENS1_38merge_sort_block_merge_config_selectorIiNS0_10empty_typeEEEZZNS1_27merge_sort_block_merge_implIS3_N6thrust23THRUST_200600_302600_NS6detail15normal_iteratorINS9_10device_ptrIiEEEEPS5_jNS1_19radix_merge_compareILb1ELb1EiNS0_19identity_decomposerEEEEE10hipError_tT0_T1_T2_jT3_P12ihipStream_tbPNSt15iterator_traitsISK_E10value_typeEPNSQ_ISL_E10value_typeEPSM_NS1_7vsmem_tEENKUlT_SK_SL_SM_E_clIPiSE_SF_SF_EESJ_SZ_SK_SL_SM_EUlSZ_E1_NS1_11comp_targetILNS1_3genE4ELNS1_11target_archE910ELNS1_3gpuE8ELNS1_3repE0EEENS1_36merge_oddeven_config_static_selectorELNS0_4arch9wavefront6targetE0EEEvSL_.private_seg_size, 0
	.set _ZN7rocprim17ROCPRIM_400000_NS6detail17trampoline_kernelINS0_14default_configENS1_38merge_sort_block_merge_config_selectorIiNS0_10empty_typeEEEZZNS1_27merge_sort_block_merge_implIS3_N6thrust23THRUST_200600_302600_NS6detail15normal_iteratorINS9_10device_ptrIiEEEEPS5_jNS1_19radix_merge_compareILb1ELb1EiNS0_19identity_decomposerEEEEE10hipError_tT0_T1_T2_jT3_P12ihipStream_tbPNSt15iterator_traitsISK_E10value_typeEPNSQ_ISL_E10value_typeEPSM_NS1_7vsmem_tEENKUlT_SK_SL_SM_E_clIPiSE_SF_SF_EESJ_SZ_SK_SL_SM_EUlSZ_E1_NS1_11comp_targetILNS1_3genE4ELNS1_11target_archE910ELNS1_3gpuE8ELNS1_3repE0EEENS1_36merge_oddeven_config_static_selectorELNS0_4arch9wavefront6targetE0EEEvSL_.uses_vcc, 0
	.set _ZN7rocprim17ROCPRIM_400000_NS6detail17trampoline_kernelINS0_14default_configENS1_38merge_sort_block_merge_config_selectorIiNS0_10empty_typeEEEZZNS1_27merge_sort_block_merge_implIS3_N6thrust23THRUST_200600_302600_NS6detail15normal_iteratorINS9_10device_ptrIiEEEEPS5_jNS1_19radix_merge_compareILb1ELb1EiNS0_19identity_decomposerEEEEE10hipError_tT0_T1_T2_jT3_P12ihipStream_tbPNSt15iterator_traitsISK_E10value_typeEPNSQ_ISL_E10value_typeEPSM_NS1_7vsmem_tEENKUlT_SK_SL_SM_E_clIPiSE_SF_SF_EESJ_SZ_SK_SL_SM_EUlSZ_E1_NS1_11comp_targetILNS1_3genE4ELNS1_11target_archE910ELNS1_3gpuE8ELNS1_3repE0EEENS1_36merge_oddeven_config_static_selectorELNS0_4arch9wavefront6targetE0EEEvSL_.uses_flat_scratch, 0
	.set _ZN7rocprim17ROCPRIM_400000_NS6detail17trampoline_kernelINS0_14default_configENS1_38merge_sort_block_merge_config_selectorIiNS0_10empty_typeEEEZZNS1_27merge_sort_block_merge_implIS3_N6thrust23THRUST_200600_302600_NS6detail15normal_iteratorINS9_10device_ptrIiEEEEPS5_jNS1_19radix_merge_compareILb1ELb1EiNS0_19identity_decomposerEEEEE10hipError_tT0_T1_T2_jT3_P12ihipStream_tbPNSt15iterator_traitsISK_E10value_typeEPNSQ_ISL_E10value_typeEPSM_NS1_7vsmem_tEENKUlT_SK_SL_SM_E_clIPiSE_SF_SF_EESJ_SZ_SK_SL_SM_EUlSZ_E1_NS1_11comp_targetILNS1_3genE4ELNS1_11target_archE910ELNS1_3gpuE8ELNS1_3repE0EEENS1_36merge_oddeven_config_static_selectorELNS0_4arch9wavefront6targetE0EEEvSL_.has_dyn_sized_stack, 0
	.set _ZN7rocprim17ROCPRIM_400000_NS6detail17trampoline_kernelINS0_14default_configENS1_38merge_sort_block_merge_config_selectorIiNS0_10empty_typeEEEZZNS1_27merge_sort_block_merge_implIS3_N6thrust23THRUST_200600_302600_NS6detail15normal_iteratorINS9_10device_ptrIiEEEEPS5_jNS1_19radix_merge_compareILb1ELb1EiNS0_19identity_decomposerEEEEE10hipError_tT0_T1_T2_jT3_P12ihipStream_tbPNSt15iterator_traitsISK_E10value_typeEPNSQ_ISL_E10value_typeEPSM_NS1_7vsmem_tEENKUlT_SK_SL_SM_E_clIPiSE_SF_SF_EESJ_SZ_SK_SL_SM_EUlSZ_E1_NS1_11comp_targetILNS1_3genE4ELNS1_11target_archE910ELNS1_3gpuE8ELNS1_3repE0EEENS1_36merge_oddeven_config_static_selectorELNS0_4arch9wavefront6targetE0EEEvSL_.has_recursion, 0
	.set _ZN7rocprim17ROCPRIM_400000_NS6detail17trampoline_kernelINS0_14default_configENS1_38merge_sort_block_merge_config_selectorIiNS0_10empty_typeEEEZZNS1_27merge_sort_block_merge_implIS3_N6thrust23THRUST_200600_302600_NS6detail15normal_iteratorINS9_10device_ptrIiEEEEPS5_jNS1_19radix_merge_compareILb1ELb1EiNS0_19identity_decomposerEEEEE10hipError_tT0_T1_T2_jT3_P12ihipStream_tbPNSt15iterator_traitsISK_E10value_typeEPNSQ_ISL_E10value_typeEPSM_NS1_7vsmem_tEENKUlT_SK_SL_SM_E_clIPiSE_SF_SF_EESJ_SZ_SK_SL_SM_EUlSZ_E1_NS1_11comp_targetILNS1_3genE4ELNS1_11target_archE910ELNS1_3gpuE8ELNS1_3repE0EEENS1_36merge_oddeven_config_static_selectorELNS0_4arch9wavefront6targetE0EEEvSL_.has_indirect_call, 0
	.section	.AMDGPU.csdata,"",@progbits
; Kernel info:
; codeLenInByte = 0
; TotalNumSgprs: 0
; NumVgprs: 0
; ScratchSize: 0
; MemoryBound: 0
; FloatMode: 240
; IeeeMode: 1
; LDSByteSize: 0 bytes/workgroup (compile time only)
; SGPRBlocks: 0
; VGPRBlocks: 0
; NumSGPRsForWavesPerEU: 1
; NumVGPRsForWavesPerEU: 1
; Occupancy: 16
; WaveLimiterHint : 0
; COMPUTE_PGM_RSRC2:SCRATCH_EN: 0
; COMPUTE_PGM_RSRC2:USER_SGPR: 6
; COMPUTE_PGM_RSRC2:TRAP_HANDLER: 0
; COMPUTE_PGM_RSRC2:TGID_X_EN: 1
; COMPUTE_PGM_RSRC2:TGID_Y_EN: 0
; COMPUTE_PGM_RSRC2:TGID_Z_EN: 0
; COMPUTE_PGM_RSRC2:TIDIG_COMP_CNT: 0
	.section	.text._ZN7rocprim17ROCPRIM_400000_NS6detail17trampoline_kernelINS0_14default_configENS1_38merge_sort_block_merge_config_selectorIiNS0_10empty_typeEEEZZNS1_27merge_sort_block_merge_implIS3_N6thrust23THRUST_200600_302600_NS6detail15normal_iteratorINS9_10device_ptrIiEEEEPS5_jNS1_19radix_merge_compareILb1ELb1EiNS0_19identity_decomposerEEEEE10hipError_tT0_T1_T2_jT3_P12ihipStream_tbPNSt15iterator_traitsISK_E10value_typeEPNSQ_ISL_E10value_typeEPSM_NS1_7vsmem_tEENKUlT_SK_SL_SM_E_clIPiSE_SF_SF_EESJ_SZ_SK_SL_SM_EUlSZ_E1_NS1_11comp_targetILNS1_3genE3ELNS1_11target_archE908ELNS1_3gpuE7ELNS1_3repE0EEENS1_36merge_oddeven_config_static_selectorELNS0_4arch9wavefront6targetE0EEEvSL_,"axG",@progbits,_ZN7rocprim17ROCPRIM_400000_NS6detail17trampoline_kernelINS0_14default_configENS1_38merge_sort_block_merge_config_selectorIiNS0_10empty_typeEEEZZNS1_27merge_sort_block_merge_implIS3_N6thrust23THRUST_200600_302600_NS6detail15normal_iteratorINS9_10device_ptrIiEEEEPS5_jNS1_19radix_merge_compareILb1ELb1EiNS0_19identity_decomposerEEEEE10hipError_tT0_T1_T2_jT3_P12ihipStream_tbPNSt15iterator_traitsISK_E10value_typeEPNSQ_ISL_E10value_typeEPSM_NS1_7vsmem_tEENKUlT_SK_SL_SM_E_clIPiSE_SF_SF_EESJ_SZ_SK_SL_SM_EUlSZ_E1_NS1_11comp_targetILNS1_3genE3ELNS1_11target_archE908ELNS1_3gpuE7ELNS1_3repE0EEENS1_36merge_oddeven_config_static_selectorELNS0_4arch9wavefront6targetE0EEEvSL_,comdat
	.protected	_ZN7rocprim17ROCPRIM_400000_NS6detail17trampoline_kernelINS0_14default_configENS1_38merge_sort_block_merge_config_selectorIiNS0_10empty_typeEEEZZNS1_27merge_sort_block_merge_implIS3_N6thrust23THRUST_200600_302600_NS6detail15normal_iteratorINS9_10device_ptrIiEEEEPS5_jNS1_19radix_merge_compareILb1ELb1EiNS0_19identity_decomposerEEEEE10hipError_tT0_T1_T2_jT3_P12ihipStream_tbPNSt15iterator_traitsISK_E10value_typeEPNSQ_ISL_E10value_typeEPSM_NS1_7vsmem_tEENKUlT_SK_SL_SM_E_clIPiSE_SF_SF_EESJ_SZ_SK_SL_SM_EUlSZ_E1_NS1_11comp_targetILNS1_3genE3ELNS1_11target_archE908ELNS1_3gpuE7ELNS1_3repE0EEENS1_36merge_oddeven_config_static_selectorELNS0_4arch9wavefront6targetE0EEEvSL_ ; -- Begin function _ZN7rocprim17ROCPRIM_400000_NS6detail17trampoline_kernelINS0_14default_configENS1_38merge_sort_block_merge_config_selectorIiNS0_10empty_typeEEEZZNS1_27merge_sort_block_merge_implIS3_N6thrust23THRUST_200600_302600_NS6detail15normal_iteratorINS9_10device_ptrIiEEEEPS5_jNS1_19radix_merge_compareILb1ELb1EiNS0_19identity_decomposerEEEEE10hipError_tT0_T1_T2_jT3_P12ihipStream_tbPNSt15iterator_traitsISK_E10value_typeEPNSQ_ISL_E10value_typeEPSM_NS1_7vsmem_tEENKUlT_SK_SL_SM_E_clIPiSE_SF_SF_EESJ_SZ_SK_SL_SM_EUlSZ_E1_NS1_11comp_targetILNS1_3genE3ELNS1_11target_archE908ELNS1_3gpuE7ELNS1_3repE0EEENS1_36merge_oddeven_config_static_selectorELNS0_4arch9wavefront6targetE0EEEvSL_
	.globl	_ZN7rocprim17ROCPRIM_400000_NS6detail17trampoline_kernelINS0_14default_configENS1_38merge_sort_block_merge_config_selectorIiNS0_10empty_typeEEEZZNS1_27merge_sort_block_merge_implIS3_N6thrust23THRUST_200600_302600_NS6detail15normal_iteratorINS9_10device_ptrIiEEEEPS5_jNS1_19radix_merge_compareILb1ELb1EiNS0_19identity_decomposerEEEEE10hipError_tT0_T1_T2_jT3_P12ihipStream_tbPNSt15iterator_traitsISK_E10value_typeEPNSQ_ISL_E10value_typeEPSM_NS1_7vsmem_tEENKUlT_SK_SL_SM_E_clIPiSE_SF_SF_EESJ_SZ_SK_SL_SM_EUlSZ_E1_NS1_11comp_targetILNS1_3genE3ELNS1_11target_archE908ELNS1_3gpuE7ELNS1_3repE0EEENS1_36merge_oddeven_config_static_selectorELNS0_4arch9wavefront6targetE0EEEvSL_
	.p2align	8
	.type	_ZN7rocprim17ROCPRIM_400000_NS6detail17trampoline_kernelINS0_14default_configENS1_38merge_sort_block_merge_config_selectorIiNS0_10empty_typeEEEZZNS1_27merge_sort_block_merge_implIS3_N6thrust23THRUST_200600_302600_NS6detail15normal_iteratorINS9_10device_ptrIiEEEEPS5_jNS1_19radix_merge_compareILb1ELb1EiNS0_19identity_decomposerEEEEE10hipError_tT0_T1_T2_jT3_P12ihipStream_tbPNSt15iterator_traitsISK_E10value_typeEPNSQ_ISL_E10value_typeEPSM_NS1_7vsmem_tEENKUlT_SK_SL_SM_E_clIPiSE_SF_SF_EESJ_SZ_SK_SL_SM_EUlSZ_E1_NS1_11comp_targetILNS1_3genE3ELNS1_11target_archE908ELNS1_3gpuE7ELNS1_3repE0EEENS1_36merge_oddeven_config_static_selectorELNS0_4arch9wavefront6targetE0EEEvSL_,@function
_ZN7rocprim17ROCPRIM_400000_NS6detail17trampoline_kernelINS0_14default_configENS1_38merge_sort_block_merge_config_selectorIiNS0_10empty_typeEEEZZNS1_27merge_sort_block_merge_implIS3_N6thrust23THRUST_200600_302600_NS6detail15normal_iteratorINS9_10device_ptrIiEEEEPS5_jNS1_19radix_merge_compareILb1ELb1EiNS0_19identity_decomposerEEEEE10hipError_tT0_T1_T2_jT3_P12ihipStream_tbPNSt15iterator_traitsISK_E10value_typeEPNSQ_ISL_E10value_typeEPSM_NS1_7vsmem_tEENKUlT_SK_SL_SM_E_clIPiSE_SF_SF_EESJ_SZ_SK_SL_SM_EUlSZ_E1_NS1_11comp_targetILNS1_3genE3ELNS1_11target_archE908ELNS1_3gpuE7ELNS1_3repE0EEENS1_36merge_oddeven_config_static_selectorELNS0_4arch9wavefront6targetE0EEEvSL_: ; @_ZN7rocprim17ROCPRIM_400000_NS6detail17trampoline_kernelINS0_14default_configENS1_38merge_sort_block_merge_config_selectorIiNS0_10empty_typeEEEZZNS1_27merge_sort_block_merge_implIS3_N6thrust23THRUST_200600_302600_NS6detail15normal_iteratorINS9_10device_ptrIiEEEEPS5_jNS1_19radix_merge_compareILb1ELb1EiNS0_19identity_decomposerEEEEE10hipError_tT0_T1_T2_jT3_P12ihipStream_tbPNSt15iterator_traitsISK_E10value_typeEPNSQ_ISL_E10value_typeEPSM_NS1_7vsmem_tEENKUlT_SK_SL_SM_E_clIPiSE_SF_SF_EESJ_SZ_SK_SL_SM_EUlSZ_E1_NS1_11comp_targetILNS1_3genE3ELNS1_11target_archE908ELNS1_3gpuE7ELNS1_3repE0EEENS1_36merge_oddeven_config_static_selectorELNS0_4arch9wavefront6targetE0EEEvSL_
; %bb.0:
	.section	.rodata,"a",@progbits
	.p2align	6, 0x0
	.amdhsa_kernel _ZN7rocprim17ROCPRIM_400000_NS6detail17trampoline_kernelINS0_14default_configENS1_38merge_sort_block_merge_config_selectorIiNS0_10empty_typeEEEZZNS1_27merge_sort_block_merge_implIS3_N6thrust23THRUST_200600_302600_NS6detail15normal_iteratorINS9_10device_ptrIiEEEEPS5_jNS1_19radix_merge_compareILb1ELb1EiNS0_19identity_decomposerEEEEE10hipError_tT0_T1_T2_jT3_P12ihipStream_tbPNSt15iterator_traitsISK_E10value_typeEPNSQ_ISL_E10value_typeEPSM_NS1_7vsmem_tEENKUlT_SK_SL_SM_E_clIPiSE_SF_SF_EESJ_SZ_SK_SL_SM_EUlSZ_E1_NS1_11comp_targetILNS1_3genE3ELNS1_11target_archE908ELNS1_3gpuE7ELNS1_3repE0EEENS1_36merge_oddeven_config_static_selectorELNS0_4arch9wavefront6targetE0EEEvSL_
		.amdhsa_group_segment_fixed_size 0
		.amdhsa_private_segment_fixed_size 0
		.amdhsa_kernarg_size 48
		.amdhsa_user_sgpr_count 6
		.amdhsa_user_sgpr_private_segment_buffer 1
		.amdhsa_user_sgpr_dispatch_ptr 0
		.amdhsa_user_sgpr_queue_ptr 0
		.amdhsa_user_sgpr_kernarg_segment_ptr 1
		.amdhsa_user_sgpr_dispatch_id 0
		.amdhsa_user_sgpr_flat_scratch_init 0
		.amdhsa_user_sgpr_private_segment_size 0
		.amdhsa_wavefront_size32 1
		.amdhsa_uses_dynamic_stack 0
		.amdhsa_system_sgpr_private_segment_wavefront_offset 0
		.amdhsa_system_sgpr_workgroup_id_x 1
		.amdhsa_system_sgpr_workgroup_id_y 0
		.amdhsa_system_sgpr_workgroup_id_z 0
		.amdhsa_system_sgpr_workgroup_info 0
		.amdhsa_system_vgpr_workitem_id 0
		.amdhsa_next_free_vgpr 1
		.amdhsa_next_free_sgpr 1
		.amdhsa_reserve_vcc 0
		.amdhsa_reserve_flat_scratch 0
		.amdhsa_float_round_mode_32 0
		.amdhsa_float_round_mode_16_64 0
		.amdhsa_float_denorm_mode_32 3
		.amdhsa_float_denorm_mode_16_64 3
		.amdhsa_dx10_clamp 1
		.amdhsa_ieee_mode 1
		.amdhsa_fp16_overflow 0
		.amdhsa_workgroup_processor_mode 1
		.amdhsa_memory_ordered 1
		.amdhsa_forward_progress 1
		.amdhsa_shared_vgpr_count 0
		.amdhsa_exception_fp_ieee_invalid_op 0
		.amdhsa_exception_fp_denorm_src 0
		.amdhsa_exception_fp_ieee_div_zero 0
		.amdhsa_exception_fp_ieee_overflow 0
		.amdhsa_exception_fp_ieee_underflow 0
		.amdhsa_exception_fp_ieee_inexact 0
		.amdhsa_exception_int_div_zero 0
	.end_amdhsa_kernel
	.section	.text._ZN7rocprim17ROCPRIM_400000_NS6detail17trampoline_kernelINS0_14default_configENS1_38merge_sort_block_merge_config_selectorIiNS0_10empty_typeEEEZZNS1_27merge_sort_block_merge_implIS3_N6thrust23THRUST_200600_302600_NS6detail15normal_iteratorINS9_10device_ptrIiEEEEPS5_jNS1_19radix_merge_compareILb1ELb1EiNS0_19identity_decomposerEEEEE10hipError_tT0_T1_T2_jT3_P12ihipStream_tbPNSt15iterator_traitsISK_E10value_typeEPNSQ_ISL_E10value_typeEPSM_NS1_7vsmem_tEENKUlT_SK_SL_SM_E_clIPiSE_SF_SF_EESJ_SZ_SK_SL_SM_EUlSZ_E1_NS1_11comp_targetILNS1_3genE3ELNS1_11target_archE908ELNS1_3gpuE7ELNS1_3repE0EEENS1_36merge_oddeven_config_static_selectorELNS0_4arch9wavefront6targetE0EEEvSL_,"axG",@progbits,_ZN7rocprim17ROCPRIM_400000_NS6detail17trampoline_kernelINS0_14default_configENS1_38merge_sort_block_merge_config_selectorIiNS0_10empty_typeEEEZZNS1_27merge_sort_block_merge_implIS3_N6thrust23THRUST_200600_302600_NS6detail15normal_iteratorINS9_10device_ptrIiEEEEPS5_jNS1_19radix_merge_compareILb1ELb1EiNS0_19identity_decomposerEEEEE10hipError_tT0_T1_T2_jT3_P12ihipStream_tbPNSt15iterator_traitsISK_E10value_typeEPNSQ_ISL_E10value_typeEPSM_NS1_7vsmem_tEENKUlT_SK_SL_SM_E_clIPiSE_SF_SF_EESJ_SZ_SK_SL_SM_EUlSZ_E1_NS1_11comp_targetILNS1_3genE3ELNS1_11target_archE908ELNS1_3gpuE7ELNS1_3repE0EEENS1_36merge_oddeven_config_static_selectorELNS0_4arch9wavefront6targetE0EEEvSL_,comdat
.Lfunc_end290:
	.size	_ZN7rocprim17ROCPRIM_400000_NS6detail17trampoline_kernelINS0_14default_configENS1_38merge_sort_block_merge_config_selectorIiNS0_10empty_typeEEEZZNS1_27merge_sort_block_merge_implIS3_N6thrust23THRUST_200600_302600_NS6detail15normal_iteratorINS9_10device_ptrIiEEEEPS5_jNS1_19radix_merge_compareILb1ELb1EiNS0_19identity_decomposerEEEEE10hipError_tT0_T1_T2_jT3_P12ihipStream_tbPNSt15iterator_traitsISK_E10value_typeEPNSQ_ISL_E10value_typeEPSM_NS1_7vsmem_tEENKUlT_SK_SL_SM_E_clIPiSE_SF_SF_EESJ_SZ_SK_SL_SM_EUlSZ_E1_NS1_11comp_targetILNS1_3genE3ELNS1_11target_archE908ELNS1_3gpuE7ELNS1_3repE0EEENS1_36merge_oddeven_config_static_selectorELNS0_4arch9wavefront6targetE0EEEvSL_, .Lfunc_end290-_ZN7rocprim17ROCPRIM_400000_NS6detail17trampoline_kernelINS0_14default_configENS1_38merge_sort_block_merge_config_selectorIiNS0_10empty_typeEEEZZNS1_27merge_sort_block_merge_implIS3_N6thrust23THRUST_200600_302600_NS6detail15normal_iteratorINS9_10device_ptrIiEEEEPS5_jNS1_19radix_merge_compareILb1ELb1EiNS0_19identity_decomposerEEEEE10hipError_tT0_T1_T2_jT3_P12ihipStream_tbPNSt15iterator_traitsISK_E10value_typeEPNSQ_ISL_E10value_typeEPSM_NS1_7vsmem_tEENKUlT_SK_SL_SM_E_clIPiSE_SF_SF_EESJ_SZ_SK_SL_SM_EUlSZ_E1_NS1_11comp_targetILNS1_3genE3ELNS1_11target_archE908ELNS1_3gpuE7ELNS1_3repE0EEENS1_36merge_oddeven_config_static_selectorELNS0_4arch9wavefront6targetE0EEEvSL_
                                        ; -- End function
	.set _ZN7rocprim17ROCPRIM_400000_NS6detail17trampoline_kernelINS0_14default_configENS1_38merge_sort_block_merge_config_selectorIiNS0_10empty_typeEEEZZNS1_27merge_sort_block_merge_implIS3_N6thrust23THRUST_200600_302600_NS6detail15normal_iteratorINS9_10device_ptrIiEEEEPS5_jNS1_19radix_merge_compareILb1ELb1EiNS0_19identity_decomposerEEEEE10hipError_tT0_T1_T2_jT3_P12ihipStream_tbPNSt15iterator_traitsISK_E10value_typeEPNSQ_ISL_E10value_typeEPSM_NS1_7vsmem_tEENKUlT_SK_SL_SM_E_clIPiSE_SF_SF_EESJ_SZ_SK_SL_SM_EUlSZ_E1_NS1_11comp_targetILNS1_3genE3ELNS1_11target_archE908ELNS1_3gpuE7ELNS1_3repE0EEENS1_36merge_oddeven_config_static_selectorELNS0_4arch9wavefront6targetE0EEEvSL_.num_vgpr, 0
	.set _ZN7rocprim17ROCPRIM_400000_NS6detail17trampoline_kernelINS0_14default_configENS1_38merge_sort_block_merge_config_selectorIiNS0_10empty_typeEEEZZNS1_27merge_sort_block_merge_implIS3_N6thrust23THRUST_200600_302600_NS6detail15normal_iteratorINS9_10device_ptrIiEEEEPS5_jNS1_19radix_merge_compareILb1ELb1EiNS0_19identity_decomposerEEEEE10hipError_tT0_T1_T2_jT3_P12ihipStream_tbPNSt15iterator_traitsISK_E10value_typeEPNSQ_ISL_E10value_typeEPSM_NS1_7vsmem_tEENKUlT_SK_SL_SM_E_clIPiSE_SF_SF_EESJ_SZ_SK_SL_SM_EUlSZ_E1_NS1_11comp_targetILNS1_3genE3ELNS1_11target_archE908ELNS1_3gpuE7ELNS1_3repE0EEENS1_36merge_oddeven_config_static_selectorELNS0_4arch9wavefront6targetE0EEEvSL_.num_agpr, 0
	.set _ZN7rocprim17ROCPRIM_400000_NS6detail17trampoline_kernelINS0_14default_configENS1_38merge_sort_block_merge_config_selectorIiNS0_10empty_typeEEEZZNS1_27merge_sort_block_merge_implIS3_N6thrust23THRUST_200600_302600_NS6detail15normal_iteratorINS9_10device_ptrIiEEEEPS5_jNS1_19radix_merge_compareILb1ELb1EiNS0_19identity_decomposerEEEEE10hipError_tT0_T1_T2_jT3_P12ihipStream_tbPNSt15iterator_traitsISK_E10value_typeEPNSQ_ISL_E10value_typeEPSM_NS1_7vsmem_tEENKUlT_SK_SL_SM_E_clIPiSE_SF_SF_EESJ_SZ_SK_SL_SM_EUlSZ_E1_NS1_11comp_targetILNS1_3genE3ELNS1_11target_archE908ELNS1_3gpuE7ELNS1_3repE0EEENS1_36merge_oddeven_config_static_selectorELNS0_4arch9wavefront6targetE0EEEvSL_.numbered_sgpr, 0
	.set _ZN7rocprim17ROCPRIM_400000_NS6detail17trampoline_kernelINS0_14default_configENS1_38merge_sort_block_merge_config_selectorIiNS0_10empty_typeEEEZZNS1_27merge_sort_block_merge_implIS3_N6thrust23THRUST_200600_302600_NS6detail15normal_iteratorINS9_10device_ptrIiEEEEPS5_jNS1_19radix_merge_compareILb1ELb1EiNS0_19identity_decomposerEEEEE10hipError_tT0_T1_T2_jT3_P12ihipStream_tbPNSt15iterator_traitsISK_E10value_typeEPNSQ_ISL_E10value_typeEPSM_NS1_7vsmem_tEENKUlT_SK_SL_SM_E_clIPiSE_SF_SF_EESJ_SZ_SK_SL_SM_EUlSZ_E1_NS1_11comp_targetILNS1_3genE3ELNS1_11target_archE908ELNS1_3gpuE7ELNS1_3repE0EEENS1_36merge_oddeven_config_static_selectorELNS0_4arch9wavefront6targetE0EEEvSL_.num_named_barrier, 0
	.set _ZN7rocprim17ROCPRIM_400000_NS6detail17trampoline_kernelINS0_14default_configENS1_38merge_sort_block_merge_config_selectorIiNS0_10empty_typeEEEZZNS1_27merge_sort_block_merge_implIS3_N6thrust23THRUST_200600_302600_NS6detail15normal_iteratorINS9_10device_ptrIiEEEEPS5_jNS1_19radix_merge_compareILb1ELb1EiNS0_19identity_decomposerEEEEE10hipError_tT0_T1_T2_jT3_P12ihipStream_tbPNSt15iterator_traitsISK_E10value_typeEPNSQ_ISL_E10value_typeEPSM_NS1_7vsmem_tEENKUlT_SK_SL_SM_E_clIPiSE_SF_SF_EESJ_SZ_SK_SL_SM_EUlSZ_E1_NS1_11comp_targetILNS1_3genE3ELNS1_11target_archE908ELNS1_3gpuE7ELNS1_3repE0EEENS1_36merge_oddeven_config_static_selectorELNS0_4arch9wavefront6targetE0EEEvSL_.private_seg_size, 0
	.set _ZN7rocprim17ROCPRIM_400000_NS6detail17trampoline_kernelINS0_14default_configENS1_38merge_sort_block_merge_config_selectorIiNS0_10empty_typeEEEZZNS1_27merge_sort_block_merge_implIS3_N6thrust23THRUST_200600_302600_NS6detail15normal_iteratorINS9_10device_ptrIiEEEEPS5_jNS1_19radix_merge_compareILb1ELb1EiNS0_19identity_decomposerEEEEE10hipError_tT0_T1_T2_jT3_P12ihipStream_tbPNSt15iterator_traitsISK_E10value_typeEPNSQ_ISL_E10value_typeEPSM_NS1_7vsmem_tEENKUlT_SK_SL_SM_E_clIPiSE_SF_SF_EESJ_SZ_SK_SL_SM_EUlSZ_E1_NS1_11comp_targetILNS1_3genE3ELNS1_11target_archE908ELNS1_3gpuE7ELNS1_3repE0EEENS1_36merge_oddeven_config_static_selectorELNS0_4arch9wavefront6targetE0EEEvSL_.uses_vcc, 0
	.set _ZN7rocprim17ROCPRIM_400000_NS6detail17trampoline_kernelINS0_14default_configENS1_38merge_sort_block_merge_config_selectorIiNS0_10empty_typeEEEZZNS1_27merge_sort_block_merge_implIS3_N6thrust23THRUST_200600_302600_NS6detail15normal_iteratorINS9_10device_ptrIiEEEEPS5_jNS1_19radix_merge_compareILb1ELb1EiNS0_19identity_decomposerEEEEE10hipError_tT0_T1_T2_jT3_P12ihipStream_tbPNSt15iterator_traitsISK_E10value_typeEPNSQ_ISL_E10value_typeEPSM_NS1_7vsmem_tEENKUlT_SK_SL_SM_E_clIPiSE_SF_SF_EESJ_SZ_SK_SL_SM_EUlSZ_E1_NS1_11comp_targetILNS1_3genE3ELNS1_11target_archE908ELNS1_3gpuE7ELNS1_3repE0EEENS1_36merge_oddeven_config_static_selectorELNS0_4arch9wavefront6targetE0EEEvSL_.uses_flat_scratch, 0
	.set _ZN7rocprim17ROCPRIM_400000_NS6detail17trampoline_kernelINS0_14default_configENS1_38merge_sort_block_merge_config_selectorIiNS0_10empty_typeEEEZZNS1_27merge_sort_block_merge_implIS3_N6thrust23THRUST_200600_302600_NS6detail15normal_iteratorINS9_10device_ptrIiEEEEPS5_jNS1_19radix_merge_compareILb1ELb1EiNS0_19identity_decomposerEEEEE10hipError_tT0_T1_T2_jT3_P12ihipStream_tbPNSt15iterator_traitsISK_E10value_typeEPNSQ_ISL_E10value_typeEPSM_NS1_7vsmem_tEENKUlT_SK_SL_SM_E_clIPiSE_SF_SF_EESJ_SZ_SK_SL_SM_EUlSZ_E1_NS1_11comp_targetILNS1_3genE3ELNS1_11target_archE908ELNS1_3gpuE7ELNS1_3repE0EEENS1_36merge_oddeven_config_static_selectorELNS0_4arch9wavefront6targetE0EEEvSL_.has_dyn_sized_stack, 0
	.set _ZN7rocprim17ROCPRIM_400000_NS6detail17trampoline_kernelINS0_14default_configENS1_38merge_sort_block_merge_config_selectorIiNS0_10empty_typeEEEZZNS1_27merge_sort_block_merge_implIS3_N6thrust23THRUST_200600_302600_NS6detail15normal_iteratorINS9_10device_ptrIiEEEEPS5_jNS1_19radix_merge_compareILb1ELb1EiNS0_19identity_decomposerEEEEE10hipError_tT0_T1_T2_jT3_P12ihipStream_tbPNSt15iterator_traitsISK_E10value_typeEPNSQ_ISL_E10value_typeEPSM_NS1_7vsmem_tEENKUlT_SK_SL_SM_E_clIPiSE_SF_SF_EESJ_SZ_SK_SL_SM_EUlSZ_E1_NS1_11comp_targetILNS1_3genE3ELNS1_11target_archE908ELNS1_3gpuE7ELNS1_3repE0EEENS1_36merge_oddeven_config_static_selectorELNS0_4arch9wavefront6targetE0EEEvSL_.has_recursion, 0
	.set _ZN7rocprim17ROCPRIM_400000_NS6detail17trampoline_kernelINS0_14default_configENS1_38merge_sort_block_merge_config_selectorIiNS0_10empty_typeEEEZZNS1_27merge_sort_block_merge_implIS3_N6thrust23THRUST_200600_302600_NS6detail15normal_iteratorINS9_10device_ptrIiEEEEPS5_jNS1_19radix_merge_compareILb1ELb1EiNS0_19identity_decomposerEEEEE10hipError_tT0_T1_T2_jT3_P12ihipStream_tbPNSt15iterator_traitsISK_E10value_typeEPNSQ_ISL_E10value_typeEPSM_NS1_7vsmem_tEENKUlT_SK_SL_SM_E_clIPiSE_SF_SF_EESJ_SZ_SK_SL_SM_EUlSZ_E1_NS1_11comp_targetILNS1_3genE3ELNS1_11target_archE908ELNS1_3gpuE7ELNS1_3repE0EEENS1_36merge_oddeven_config_static_selectorELNS0_4arch9wavefront6targetE0EEEvSL_.has_indirect_call, 0
	.section	.AMDGPU.csdata,"",@progbits
; Kernel info:
; codeLenInByte = 0
; TotalNumSgprs: 0
; NumVgprs: 0
; ScratchSize: 0
; MemoryBound: 0
; FloatMode: 240
; IeeeMode: 1
; LDSByteSize: 0 bytes/workgroup (compile time only)
; SGPRBlocks: 0
; VGPRBlocks: 0
; NumSGPRsForWavesPerEU: 1
; NumVGPRsForWavesPerEU: 1
; Occupancy: 16
; WaveLimiterHint : 0
; COMPUTE_PGM_RSRC2:SCRATCH_EN: 0
; COMPUTE_PGM_RSRC2:USER_SGPR: 6
; COMPUTE_PGM_RSRC2:TRAP_HANDLER: 0
; COMPUTE_PGM_RSRC2:TGID_X_EN: 1
; COMPUTE_PGM_RSRC2:TGID_Y_EN: 0
; COMPUTE_PGM_RSRC2:TGID_Z_EN: 0
; COMPUTE_PGM_RSRC2:TIDIG_COMP_CNT: 0
	.section	.text._ZN7rocprim17ROCPRIM_400000_NS6detail17trampoline_kernelINS0_14default_configENS1_38merge_sort_block_merge_config_selectorIiNS0_10empty_typeEEEZZNS1_27merge_sort_block_merge_implIS3_N6thrust23THRUST_200600_302600_NS6detail15normal_iteratorINS9_10device_ptrIiEEEEPS5_jNS1_19radix_merge_compareILb1ELb1EiNS0_19identity_decomposerEEEEE10hipError_tT0_T1_T2_jT3_P12ihipStream_tbPNSt15iterator_traitsISK_E10value_typeEPNSQ_ISL_E10value_typeEPSM_NS1_7vsmem_tEENKUlT_SK_SL_SM_E_clIPiSE_SF_SF_EESJ_SZ_SK_SL_SM_EUlSZ_E1_NS1_11comp_targetILNS1_3genE2ELNS1_11target_archE906ELNS1_3gpuE6ELNS1_3repE0EEENS1_36merge_oddeven_config_static_selectorELNS0_4arch9wavefront6targetE0EEEvSL_,"axG",@progbits,_ZN7rocprim17ROCPRIM_400000_NS6detail17trampoline_kernelINS0_14default_configENS1_38merge_sort_block_merge_config_selectorIiNS0_10empty_typeEEEZZNS1_27merge_sort_block_merge_implIS3_N6thrust23THRUST_200600_302600_NS6detail15normal_iteratorINS9_10device_ptrIiEEEEPS5_jNS1_19radix_merge_compareILb1ELb1EiNS0_19identity_decomposerEEEEE10hipError_tT0_T1_T2_jT3_P12ihipStream_tbPNSt15iterator_traitsISK_E10value_typeEPNSQ_ISL_E10value_typeEPSM_NS1_7vsmem_tEENKUlT_SK_SL_SM_E_clIPiSE_SF_SF_EESJ_SZ_SK_SL_SM_EUlSZ_E1_NS1_11comp_targetILNS1_3genE2ELNS1_11target_archE906ELNS1_3gpuE6ELNS1_3repE0EEENS1_36merge_oddeven_config_static_selectorELNS0_4arch9wavefront6targetE0EEEvSL_,comdat
	.protected	_ZN7rocprim17ROCPRIM_400000_NS6detail17trampoline_kernelINS0_14default_configENS1_38merge_sort_block_merge_config_selectorIiNS0_10empty_typeEEEZZNS1_27merge_sort_block_merge_implIS3_N6thrust23THRUST_200600_302600_NS6detail15normal_iteratorINS9_10device_ptrIiEEEEPS5_jNS1_19radix_merge_compareILb1ELb1EiNS0_19identity_decomposerEEEEE10hipError_tT0_T1_T2_jT3_P12ihipStream_tbPNSt15iterator_traitsISK_E10value_typeEPNSQ_ISL_E10value_typeEPSM_NS1_7vsmem_tEENKUlT_SK_SL_SM_E_clIPiSE_SF_SF_EESJ_SZ_SK_SL_SM_EUlSZ_E1_NS1_11comp_targetILNS1_3genE2ELNS1_11target_archE906ELNS1_3gpuE6ELNS1_3repE0EEENS1_36merge_oddeven_config_static_selectorELNS0_4arch9wavefront6targetE0EEEvSL_ ; -- Begin function _ZN7rocprim17ROCPRIM_400000_NS6detail17trampoline_kernelINS0_14default_configENS1_38merge_sort_block_merge_config_selectorIiNS0_10empty_typeEEEZZNS1_27merge_sort_block_merge_implIS3_N6thrust23THRUST_200600_302600_NS6detail15normal_iteratorINS9_10device_ptrIiEEEEPS5_jNS1_19radix_merge_compareILb1ELb1EiNS0_19identity_decomposerEEEEE10hipError_tT0_T1_T2_jT3_P12ihipStream_tbPNSt15iterator_traitsISK_E10value_typeEPNSQ_ISL_E10value_typeEPSM_NS1_7vsmem_tEENKUlT_SK_SL_SM_E_clIPiSE_SF_SF_EESJ_SZ_SK_SL_SM_EUlSZ_E1_NS1_11comp_targetILNS1_3genE2ELNS1_11target_archE906ELNS1_3gpuE6ELNS1_3repE0EEENS1_36merge_oddeven_config_static_selectorELNS0_4arch9wavefront6targetE0EEEvSL_
	.globl	_ZN7rocprim17ROCPRIM_400000_NS6detail17trampoline_kernelINS0_14default_configENS1_38merge_sort_block_merge_config_selectorIiNS0_10empty_typeEEEZZNS1_27merge_sort_block_merge_implIS3_N6thrust23THRUST_200600_302600_NS6detail15normal_iteratorINS9_10device_ptrIiEEEEPS5_jNS1_19radix_merge_compareILb1ELb1EiNS0_19identity_decomposerEEEEE10hipError_tT0_T1_T2_jT3_P12ihipStream_tbPNSt15iterator_traitsISK_E10value_typeEPNSQ_ISL_E10value_typeEPSM_NS1_7vsmem_tEENKUlT_SK_SL_SM_E_clIPiSE_SF_SF_EESJ_SZ_SK_SL_SM_EUlSZ_E1_NS1_11comp_targetILNS1_3genE2ELNS1_11target_archE906ELNS1_3gpuE6ELNS1_3repE0EEENS1_36merge_oddeven_config_static_selectorELNS0_4arch9wavefront6targetE0EEEvSL_
	.p2align	8
	.type	_ZN7rocprim17ROCPRIM_400000_NS6detail17trampoline_kernelINS0_14default_configENS1_38merge_sort_block_merge_config_selectorIiNS0_10empty_typeEEEZZNS1_27merge_sort_block_merge_implIS3_N6thrust23THRUST_200600_302600_NS6detail15normal_iteratorINS9_10device_ptrIiEEEEPS5_jNS1_19radix_merge_compareILb1ELb1EiNS0_19identity_decomposerEEEEE10hipError_tT0_T1_T2_jT3_P12ihipStream_tbPNSt15iterator_traitsISK_E10value_typeEPNSQ_ISL_E10value_typeEPSM_NS1_7vsmem_tEENKUlT_SK_SL_SM_E_clIPiSE_SF_SF_EESJ_SZ_SK_SL_SM_EUlSZ_E1_NS1_11comp_targetILNS1_3genE2ELNS1_11target_archE906ELNS1_3gpuE6ELNS1_3repE0EEENS1_36merge_oddeven_config_static_selectorELNS0_4arch9wavefront6targetE0EEEvSL_,@function
_ZN7rocprim17ROCPRIM_400000_NS6detail17trampoline_kernelINS0_14default_configENS1_38merge_sort_block_merge_config_selectorIiNS0_10empty_typeEEEZZNS1_27merge_sort_block_merge_implIS3_N6thrust23THRUST_200600_302600_NS6detail15normal_iteratorINS9_10device_ptrIiEEEEPS5_jNS1_19radix_merge_compareILb1ELb1EiNS0_19identity_decomposerEEEEE10hipError_tT0_T1_T2_jT3_P12ihipStream_tbPNSt15iterator_traitsISK_E10value_typeEPNSQ_ISL_E10value_typeEPSM_NS1_7vsmem_tEENKUlT_SK_SL_SM_E_clIPiSE_SF_SF_EESJ_SZ_SK_SL_SM_EUlSZ_E1_NS1_11comp_targetILNS1_3genE2ELNS1_11target_archE906ELNS1_3gpuE6ELNS1_3repE0EEENS1_36merge_oddeven_config_static_selectorELNS0_4arch9wavefront6targetE0EEEvSL_: ; @_ZN7rocprim17ROCPRIM_400000_NS6detail17trampoline_kernelINS0_14default_configENS1_38merge_sort_block_merge_config_selectorIiNS0_10empty_typeEEEZZNS1_27merge_sort_block_merge_implIS3_N6thrust23THRUST_200600_302600_NS6detail15normal_iteratorINS9_10device_ptrIiEEEEPS5_jNS1_19radix_merge_compareILb1ELb1EiNS0_19identity_decomposerEEEEE10hipError_tT0_T1_T2_jT3_P12ihipStream_tbPNSt15iterator_traitsISK_E10value_typeEPNSQ_ISL_E10value_typeEPSM_NS1_7vsmem_tEENKUlT_SK_SL_SM_E_clIPiSE_SF_SF_EESJ_SZ_SK_SL_SM_EUlSZ_E1_NS1_11comp_targetILNS1_3genE2ELNS1_11target_archE906ELNS1_3gpuE6ELNS1_3repE0EEENS1_36merge_oddeven_config_static_selectorELNS0_4arch9wavefront6targetE0EEEvSL_
; %bb.0:
	.section	.rodata,"a",@progbits
	.p2align	6, 0x0
	.amdhsa_kernel _ZN7rocprim17ROCPRIM_400000_NS6detail17trampoline_kernelINS0_14default_configENS1_38merge_sort_block_merge_config_selectorIiNS0_10empty_typeEEEZZNS1_27merge_sort_block_merge_implIS3_N6thrust23THRUST_200600_302600_NS6detail15normal_iteratorINS9_10device_ptrIiEEEEPS5_jNS1_19radix_merge_compareILb1ELb1EiNS0_19identity_decomposerEEEEE10hipError_tT0_T1_T2_jT3_P12ihipStream_tbPNSt15iterator_traitsISK_E10value_typeEPNSQ_ISL_E10value_typeEPSM_NS1_7vsmem_tEENKUlT_SK_SL_SM_E_clIPiSE_SF_SF_EESJ_SZ_SK_SL_SM_EUlSZ_E1_NS1_11comp_targetILNS1_3genE2ELNS1_11target_archE906ELNS1_3gpuE6ELNS1_3repE0EEENS1_36merge_oddeven_config_static_selectorELNS0_4arch9wavefront6targetE0EEEvSL_
		.amdhsa_group_segment_fixed_size 0
		.amdhsa_private_segment_fixed_size 0
		.amdhsa_kernarg_size 48
		.amdhsa_user_sgpr_count 6
		.amdhsa_user_sgpr_private_segment_buffer 1
		.amdhsa_user_sgpr_dispatch_ptr 0
		.amdhsa_user_sgpr_queue_ptr 0
		.amdhsa_user_sgpr_kernarg_segment_ptr 1
		.amdhsa_user_sgpr_dispatch_id 0
		.amdhsa_user_sgpr_flat_scratch_init 0
		.amdhsa_user_sgpr_private_segment_size 0
		.amdhsa_wavefront_size32 1
		.amdhsa_uses_dynamic_stack 0
		.amdhsa_system_sgpr_private_segment_wavefront_offset 0
		.amdhsa_system_sgpr_workgroup_id_x 1
		.amdhsa_system_sgpr_workgroup_id_y 0
		.amdhsa_system_sgpr_workgroup_id_z 0
		.amdhsa_system_sgpr_workgroup_info 0
		.amdhsa_system_vgpr_workitem_id 0
		.amdhsa_next_free_vgpr 1
		.amdhsa_next_free_sgpr 1
		.amdhsa_reserve_vcc 0
		.amdhsa_reserve_flat_scratch 0
		.amdhsa_float_round_mode_32 0
		.amdhsa_float_round_mode_16_64 0
		.amdhsa_float_denorm_mode_32 3
		.amdhsa_float_denorm_mode_16_64 3
		.amdhsa_dx10_clamp 1
		.amdhsa_ieee_mode 1
		.amdhsa_fp16_overflow 0
		.amdhsa_workgroup_processor_mode 1
		.amdhsa_memory_ordered 1
		.amdhsa_forward_progress 1
		.amdhsa_shared_vgpr_count 0
		.amdhsa_exception_fp_ieee_invalid_op 0
		.amdhsa_exception_fp_denorm_src 0
		.amdhsa_exception_fp_ieee_div_zero 0
		.amdhsa_exception_fp_ieee_overflow 0
		.amdhsa_exception_fp_ieee_underflow 0
		.amdhsa_exception_fp_ieee_inexact 0
		.amdhsa_exception_int_div_zero 0
	.end_amdhsa_kernel
	.section	.text._ZN7rocprim17ROCPRIM_400000_NS6detail17trampoline_kernelINS0_14default_configENS1_38merge_sort_block_merge_config_selectorIiNS0_10empty_typeEEEZZNS1_27merge_sort_block_merge_implIS3_N6thrust23THRUST_200600_302600_NS6detail15normal_iteratorINS9_10device_ptrIiEEEEPS5_jNS1_19radix_merge_compareILb1ELb1EiNS0_19identity_decomposerEEEEE10hipError_tT0_T1_T2_jT3_P12ihipStream_tbPNSt15iterator_traitsISK_E10value_typeEPNSQ_ISL_E10value_typeEPSM_NS1_7vsmem_tEENKUlT_SK_SL_SM_E_clIPiSE_SF_SF_EESJ_SZ_SK_SL_SM_EUlSZ_E1_NS1_11comp_targetILNS1_3genE2ELNS1_11target_archE906ELNS1_3gpuE6ELNS1_3repE0EEENS1_36merge_oddeven_config_static_selectorELNS0_4arch9wavefront6targetE0EEEvSL_,"axG",@progbits,_ZN7rocprim17ROCPRIM_400000_NS6detail17trampoline_kernelINS0_14default_configENS1_38merge_sort_block_merge_config_selectorIiNS0_10empty_typeEEEZZNS1_27merge_sort_block_merge_implIS3_N6thrust23THRUST_200600_302600_NS6detail15normal_iteratorINS9_10device_ptrIiEEEEPS5_jNS1_19radix_merge_compareILb1ELb1EiNS0_19identity_decomposerEEEEE10hipError_tT0_T1_T2_jT3_P12ihipStream_tbPNSt15iterator_traitsISK_E10value_typeEPNSQ_ISL_E10value_typeEPSM_NS1_7vsmem_tEENKUlT_SK_SL_SM_E_clIPiSE_SF_SF_EESJ_SZ_SK_SL_SM_EUlSZ_E1_NS1_11comp_targetILNS1_3genE2ELNS1_11target_archE906ELNS1_3gpuE6ELNS1_3repE0EEENS1_36merge_oddeven_config_static_selectorELNS0_4arch9wavefront6targetE0EEEvSL_,comdat
.Lfunc_end291:
	.size	_ZN7rocprim17ROCPRIM_400000_NS6detail17trampoline_kernelINS0_14default_configENS1_38merge_sort_block_merge_config_selectorIiNS0_10empty_typeEEEZZNS1_27merge_sort_block_merge_implIS3_N6thrust23THRUST_200600_302600_NS6detail15normal_iteratorINS9_10device_ptrIiEEEEPS5_jNS1_19radix_merge_compareILb1ELb1EiNS0_19identity_decomposerEEEEE10hipError_tT0_T1_T2_jT3_P12ihipStream_tbPNSt15iterator_traitsISK_E10value_typeEPNSQ_ISL_E10value_typeEPSM_NS1_7vsmem_tEENKUlT_SK_SL_SM_E_clIPiSE_SF_SF_EESJ_SZ_SK_SL_SM_EUlSZ_E1_NS1_11comp_targetILNS1_3genE2ELNS1_11target_archE906ELNS1_3gpuE6ELNS1_3repE0EEENS1_36merge_oddeven_config_static_selectorELNS0_4arch9wavefront6targetE0EEEvSL_, .Lfunc_end291-_ZN7rocprim17ROCPRIM_400000_NS6detail17trampoline_kernelINS0_14default_configENS1_38merge_sort_block_merge_config_selectorIiNS0_10empty_typeEEEZZNS1_27merge_sort_block_merge_implIS3_N6thrust23THRUST_200600_302600_NS6detail15normal_iteratorINS9_10device_ptrIiEEEEPS5_jNS1_19radix_merge_compareILb1ELb1EiNS0_19identity_decomposerEEEEE10hipError_tT0_T1_T2_jT3_P12ihipStream_tbPNSt15iterator_traitsISK_E10value_typeEPNSQ_ISL_E10value_typeEPSM_NS1_7vsmem_tEENKUlT_SK_SL_SM_E_clIPiSE_SF_SF_EESJ_SZ_SK_SL_SM_EUlSZ_E1_NS1_11comp_targetILNS1_3genE2ELNS1_11target_archE906ELNS1_3gpuE6ELNS1_3repE0EEENS1_36merge_oddeven_config_static_selectorELNS0_4arch9wavefront6targetE0EEEvSL_
                                        ; -- End function
	.set _ZN7rocprim17ROCPRIM_400000_NS6detail17trampoline_kernelINS0_14default_configENS1_38merge_sort_block_merge_config_selectorIiNS0_10empty_typeEEEZZNS1_27merge_sort_block_merge_implIS3_N6thrust23THRUST_200600_302600_NS6detail15normal_iteratorINS9_10device_ptrIiEEEEPS5_jNS1_19radix_merge_compareILb1ELb1EiNS0_19identity_decomposerEEEEE10hipError_tT0_T1_T2_jT3_P12ihipStream_tbPNSt15iterator_traitsISK_E10value_typeEPNSQ_ISL_E10value_typeEPSM_NS1_7vsmem_tEENKUlT_SK_SL_SM_E_clIPiSE_SF_SF_EESJ_SZ_SK_SL_SM_EUlSZ_E1_NS1_11comp_targetILNS1_3genE2ELNS1_11target_archE906ELNS1_3gpuE6ELNS1_3repE0EEENS1_36merge_oddeven_config_static_selectorELNS0_4arch9wavefront6targetE0EEEvSL_.num_vgpr, 0
	.set _ZN7rocprim17ROCPRIM_400000_NS6detail17trampoline_kernelINS0_14default_configENS1_38merge_sort_block_merge_config_selectorIiNS0_10empty_typeEEEZZNS1_27merge_sort_block_merge_implIS3_N6thrust23THRUST_200600_302600_NS6detail15normal_iteratorINS9_10device_ptrIiEEEEPS5_jNS1_19radix_merge_compareILb1ELb1EiNS0_19identity_decomposerEEEEE10hipError_tT0_T1_T2_jT3_P12ihipStream_tbPNSt15iterator_traitsISK_E10value_typeEPNSQ_ISL_E10value_typeEPSM_NS1_7vsmem_tEENKUlT_SK_SL_SM_E_clIPiSE_SF_SF_EESJ_SZ_SK_SL_SM_EUlSZ_E1_NS1_11comp_targetILNS1_3genE2ELNS1_11target_archE906ELNS1_3gpuE6ELNS1_3repE0EEENS1_36merge_oddeven_config_static_selectorELNS0_4arch9wavefront6targetE0EEEvSL_.num_agpr, 0
	.set _ZN7rocprim17ROCPRIM_400000_NS6detail17trampoline_kernelINS0_14default_configENS1_38merge_sort_block_merge_config_selectorIiNS0_10empty_typeEEEZZNS1_27merge_sort_block_merge_implIS3_N6thrust23THRUST_200600_302600_NS6detail15normal_iteratorINS9_10device_ptrIiEEEEPS5_jNS1_19radix_merge_compareILb1ELb1EiNS0_19identity_decomposerEEEEE10hipError_tT0_T1_T2_jT3_P12ihipStream_tbPNSt15iterator_traitsISK_E10value_typeEPNSQ_ISL_E10value_typeEPSM_NS1_7vsmem_tEENKUlT_SK_SL_SM_E_clIPiSE_SF_SF_EESJ_SZ_SK_SL_SM_EUlSZ_E1_NS1_11comp_targetILNS1_3genE2ELNS1_11target_archE906ELNS1_3gpuE6ELNS1_3repE0EEENS1_36merge_oddeven_config_static_selectorELNS0_4arch9wavefront6targetE0EEEvSL_.numbered_sgpr, 0
	.set _ZN7rocprim17ROCPRIM_400000_NS6detail17trampoline_kernelINS0_14default_configENS1_38merge_sort_block_merge_config_selectorIiNS0_10empty_typeEEEZZNS1_27merge_sort_block_merge_implIS3_N6thrust23THRUST_200600_302600_NS6detail15normal_iteratorINS9_10device_ptrIiEEEEPS5_jNS1_19radix_merge_compareILb1ELb1EiNS0_19identity_decomposerEEEEE10hipError_tT0_T1_T2_jT3_P12ihipStream_tbPNSt15iterator_traitsISK_E10value_typeEPNSQ_ISL_E10value_typeEPSM_NS1_7vsmem_tEENKUlT_SK_SL_SM_E_clIPiSE_SF_SF_EESJ_SZ_SK_SL_SM_EUlSZ_E1_NS1_11comp_targetILNS1_3genE2ELNS1_11target_archE906ELNS1_3gpuE6ELNS1_3repE0EEENS1_36merge_oddeven_config_static_selectorELNS0_4arch9wavefront6targetE0EEEvSL_.num_named_barrier, 0
	.set _ZN7rocprim17ROCPRIM_400000_NS6detail17trampoline_kernelINS0_14default_configENS1_38merge_sort_block_merge_config_selectorIiNS0_10empty_typeEEEZZNS1_27merge_sort_block_merge_implIS3_N6thrust23THRUST_200600_302600_NS6detail15normal_iteratorINS9_10device_ptrIiEEEEPS5_jNS1_19radix_merge_compareILb1ELb1EiNS0_19identity_decomposerEEEEE10hipError_tT0_T1_T2_jT3_P12ihipStream_tbPNSt15iterator_traitsISK_E10value_typeEPNSQ_ISL_E10value_typeEPSM_NS1_7vsmem_tEENKUlT_SK_SL_SM_E_clIPiSE_SF_SF_EESJ_SZ_SK_SL_SM_EUlSZ_E1_NS1_11comp_targetILNS1_3genE2ELNS1_11target_archE906ELNS1_3gpuE6ELNS1_3repE0EEENS1_36merge_oddeven_config_static_selectorELNS0_4arch9wavefront6targetE0EEEvSL_.private_seg_size, 0
	.set _ZN7rocprim17ROCPRIM_400000_NS6detail17trampoline_kernelINS0_14default_configENS1_38merge_sort_block_merge_config_selectorIiNS0_10empty_typeEEEZZNS1_27merge_sort_block_merge_implIS3_N6thrust23THRUST_200600_302600_NS6detail15normal_iteratorINS9_10device_ptrIiEEEEPS5_jNS1_19radix_merge_compareILb1ELb1EiNS0_19identity_decomposerEEEEE10hipError_tT0_T1_T2_jT3_P12ihipStream_tbPNSt15iterator_traitsISK_E10value_typeEPNSQ_ISL_E10value_typeEPSM_NS1_7vsmem_tEENKUlT_SK_SL_SM_E_clIPiSE_SF_SF_EESJ_SZ_SK_SL_SM_EUlSZ_E1_NS1_11comp_targetILNS1_3genE2ELNS1_11target_archE906ELNS1_3gpuE6ELNS1_3repE0EEENS1_36merge_oddeven_config_static_selectorELNS0_4arch9wavefront6targetE0EEEvSL_.uses_vcc, 0
	.set _ZN7rocprim17ROCPRIM_400000_NS6detail17trampoline_kernelINS0_14default_configENS1_38merge_sort_block_merge_config_selectorIiNS0_10empty_typeEEEZZNS1_27merge_sort_block_merge_implIS3_N6thrust23THRUST_200600_302600_NS6detail15normal_iteratorINS9_10device_ptrIiEEEEPS5_jNS1_19radix_merge_compareILb1ELb1EiNS0_19identity_decomposerEEEEE10hipError_tT0_T1_T2_jT3_P12ihipStream_tbPNSt15iterator_traitsISK_E10value_typeEPNSQ_ISL_E10value_typeEPSM_NS1_7vsmem_tEENKUlT_SK_SL_SM_E_clIPiSE_SF_SF_EESJ_SZ_SK_SL_SM_EUlSZ_E1_NS1_11comp_targetILNS1_3genE2ELNS1_11target_archE906ELNS1_3gpuE6ELNS1_3repE0EEENS1_36merge_oddeven_config_static_selectorELNS0_4arch9wavefront6targetE0EEEvSL_.uses_flat_scratch, 0
	.set _ZN7rocprim17ROCPRIM_400000_NS6detail17trampoline_kernelINS0_14default_configENS1_38merge_sort_block_merge_config_selectorIiNS0_10empty_typeEEEZZNS1_27merge_sort_block_merge_implIS3_N6thrust23THRUST_200600_302600_NS6detail15normal_iteratorINS9_10device_ptrIiEEEEPS5_jNS1_19radix_merge_compareILb1ELb1EiNS0_19identity_decomposerEEEEE10hipError_tT0_T1_T2_jT3_P12ihipStream_tbPNSt15iterator_traitsISK_E10value_typeEPNSQ_ISL_E10value_typeEPSM_NS1_7vsmem_tEENKUlT_SK_SL_SM_E_clIPiSE_SF_SF_EESJ_SZ_SK_SL_SM_EUlSZ_E1_NS1_11comp_targetILNS1_3genE2ELNS1_11target_archE906ELNS1_3gpuE6ELNS1_3repE0EEENS1_36merge_oddeven_config_static_selectorELNS0_4arch9wavefront6targetE0EEEvSL_.has_dyn_sized_stack, 0
	.set _ZN7rocprim17ROCPRIM_400000_NS6detail17trampoline_kernelINS0_14default_configENS1_38merge_sort_block_merge_config_selectorIiNS0_10empty_typeEEEZZNS1_27merge_sort_block_merge_implIS3_N6thrust23THRUST_200600_302600_NS6detail15normal_iteratorINS9_10device_ptrIiEEEEPS5_jNS1_19radix_merge_compareILb1ELb1EiNS0_19identity_decomposerEEEEE10hipError_tT0_T1_T2_jT3_P12ihipStream_tbPNSt15iterator_traitsISK_E10value_typeEPNSQ_ISL_E10value_typeEPSM_NS1_7vsmem_tEENKUlT_SK_SL_SM_E_clIPiSE_SF_SF_EESJ_SZ_SK_SL_SM_EUlSZ_E1_NS1_11comp_targetILNS1_3genE2ELNS1_11target_archE906ELNS1_3gpuE6ELNS1_3repE0EEENS1_36merge_oddeven_config_static_selectorELNS0_4arch9wavefront6targetE0EEEvSL_.has_recursion, 0
	.set _ZN7rocprim17ROCPRIM_400000_NS6detail17trampoline_kernelINS0_14default_configENS1_38merge_sort_block_merge_config_selectorIiNS0_10empty_typeEEEZZNS1_27merge_sort_block_merge_implIS3_N6thrust23THRUST_200600_302600_NS6detail15normal_iteratorINS9_10device_ptrIiEEEEPS5_jNS1_19radix_merge_compareILb1ELb1EiNS0_19identity_decomposerEEEEE10hipError_tT0_T1_T2_jT3_P12ihipStream_tbPNSt15iterator_traitsISK_E10value_typeEPNSQ_ISL_E10value_typeEPSM_NS1_7vsmem_tEENKUlT_SK_SL_SM_E_clIPiSE_SF_SF_EESJ_SZ_SK_SL_SM_EUlSZ_E1_NS1_11comp_targetILNS1_3genE2ELNS1_11target_archE906ELNS1_3gpuE6ELNS1_3repE0EEENS1_36merge_oddeven_config_static_selectorELNS0_4arch9wavefront6targetE0EEEvSL_.has_indirect_call, 0
	.section	.AMDGPU.csdata,"",@progbits
; Kernel info:
; codeLenInByte = 0
; TotalNumSgprs: 0
; NumVgprs: 0
; ScratchSize: 0
; MemoryBound: 0
; FloatMode: 240
; IeeeMode: 1
; LDSByteSize: 0 bytes/workgroup (compile time only)
; SGPRBlocks: 0
; VGPRBlocks: 0
; NumSGPRsForWavesPerEU: 1
; NumVGPRsForWavesPerEU: 1
; Occupancy: 16
; WaveLimiterHint : 0
; COMPUTE_PGM_RSRC2:SCRATCH_EN: 0
; COMPUTE_PGM_RSRC2:USER_SGPR: 6
; COMPUTE_PGM_RSRC2:TRAP_HANDLER: 0
; COMPUTE_PGM_RSRC2:TGID_X_EN: 1
; COMPUTE_PGM_RSRC2:TGID_Y_EN: 0
; COMPUTE_PGM_RSRC2:TGID_Z_EN: 0
; COMPUTE_PGM_RSRC2:TIDIG_COMP_CNT: 0
	.section	.text._ZN7rocprim17ROCPRIM_400000_NS6detail17trampoline_kernelINS0_14default_configENS1_38merge_sort_block_merge_config_selectorIiNS0_10empty_typeEEEZZNS1_27merge_sort_block_merge_implIS3_N6thrust23THRUST_200600_302600_NS6detail15normal_iteratorINS9_10device_ptrIiEEEEPS5_jNS1_19radix_merge_compareILb1ELb1EiNS0_19identity_decomposerEEEEE10hipError_tT0_T1_T2_jT3_P12ihipStream_tbPNSt15iterator_traitsISK_E10value_typeEPNSQ_ISL_E10value_typeEPSM_NS1_7vsmem_tEENKUlT_SK_SL_SM_E_clIPiSE_SF_SF_EESJ_SZ_SK_SL_SM_EUlSZ_E1_NS1_11comp_targetILNS1_3genE9ELNS1_11target_archE1100ELNS1_3gpuE3ELNS1_3repE0EEENS1_36merge_oddeven_config_static_selectorELNS0_4arch9wavefront6targetE0EEEvSL_,"axG",@progbits,_ZN7rocprim17ROCPRIM_400000_NS6detail17trampoline_kernelINS0_14default_configENS1_38merge_sort_block_merge_config_selectorIiNS0_10empty_typeEEEZZNS1_27merge_sort_block_merge_implIS3_N6thrust23THRUST_200600_302600_NS6detail15normal_iteratorINS9_10device_ptrIiEEEEPS5_jNS1_19radix_merge_compareILb1ELb1EiNS0_19identity_decomposerEEEEE10hipError_tT0_T1_T2_jT3_P12ihipStream_tbPNSt15iterator_traitsISK_E10value_typeEPNSQ_ISL_E10value_typeEPSM_NS1_7vsmem_tEENKUlT_SK_SL_SM_E_clIPiSE_SF_SF_EESJ_SZ_SK_SL_SM_EUlSZ_E1_NS1_11comp_targetILNS1_3genE9ELNS1_11target_archE1100ELNS1_3gpuE3ELNS1_3repE0EEENS1_36merge_oddeven_config_static_selectorELNS0_4arch9wavefront6targetE0EEEvSL_,comdat
	.protected	_ZN7rocprim17ROCPRIM_400000_NS6detail17trampoline_kernelINS0_14default_configENS1_38merge_sort_block_merge_config_selectorIiNS0_10empty_typeEEEZZNS1_27merge_sort_block_merge_implIS3_N6thrust23THRUST_200600_302600_NS6detail15normal_iteratorINS9_10device_ptrIiEEEEPS5_jNS1_19radix_merge_compareILb1ELb1EiNS0_19identity_decomposerEEEEE10hipError_tT0_T1_T2_jT3_P12ihipStream_tbPNSt15iterator_traitsISK_E10value_typeEPNSQ_ISL_E10value_typeEPSM_NS1_7vsmem_tEENKUlT_SK_SL_SM_E_clIPiSE_SF_SF_EESJ_SZ_SK_SL_SM_EUlSZ_E1_NS1_11comp_targetILNS1_3genE9ELNS1_11target_archE1100ELNS1_3gpuE3ELNS1_3repE0EEENS1_36merge_oddeven_config_static_selectorELNS0_4arch9wavefront6targetE0EEEvSL_ ; -- Begin function _ZN7rocprim17ROCPRIM_400000_NS6detail17trampoline_kernelINS0_14default_configENS1_38merge_sort_block_merge_config_selectorIiNS0_10empty_typeEEEZZNS1_27merge_sort_block_merge_implIS3_N6thrust23THRUST_200600_302600_NS6detail15normal_iteratorINS9_10device_ptrIiEEEEPS5_jNS1_19radix_merge_compareILb1ELb1EiNS0_19identity_decomposerEEEEE10hipError_tT0_T1_T2_jT3_P12ihipStream_tbPNSt15iterator_traitsISK_E10value_typeEPNSQ_ISL_E10value_typeEPSM_NS1_7vsmem_tEENKUlT_SK_SL_SM_E_clIPiSE_SF_SF_EESJ_SZ_SK_SL_SM_EUlSZ_E1_NS1_11comp_targetILNS1_3genE9ELNS1_11target_archE1100ELNS1_3gpuE3ELNS1_3repE0EEENS1_36merge_oddeven_config_static_selectorELNS0_4arch9wavefront6targetE0EEEvSL_
	.globl	_ZN7rocprim17ROCPRIM_400000_NS6detail17trampoline_kernelINS0_14default_configENS1_38merge_sort_block_merge_config_selectorIiNS0_10empty_typeEEEZZNS1_27merge_sort_block_merge_implIS3_N6thrust23THRUST_200600_302600_NS6detail15normal_iteratorINS9_10device_ptrIiEEEEPS5_jNS1_19radix_merge_compareILb1ELb1EiNS0_19identity_decomposerEEEEE10hipError_tT0_T1_T2_jT3_P12ihipStream_tbPNSt15iterator_traitsISK_E10value_typeEPNSQ_ISL_E10value_typeEPSM_NS1_7vsmem_tEENKUlT_SK_SL_SM_E_clIPiSE_SF_SF_EESJ_SZ_SK_SL_SM_EUlSZ_E1_NS1_11comp_targetILNS1_3genE9ELNS1_11target_archE1100ELNS1_3gpuE3ELNS1_3repE0EEENS1_36merge_oddeven_config_static_selectorELNS0_4arch9wavefront6targetE0EEEvSL_
	.p2align	8
	.type	_ZN7rocprim17ROCPRIM_400000_NS6detail17trampoline_kernelINS0_14default_configENS1_38merge_sort_block_merge_config_selectorIiNS0_10empty_typeEEEZZNS1_27merge_sort_block_merge_implIS3_N6thrust23THRUST_200600_302600_NS6detail15normal_iteratorINS9_10device_ptrIiEEEEPS5_jNS1_19radix_merge_compareILb1ELb1EiNS0_19identity_decomposerEEEEE10hipError_tT0_T1_T2_jT3_P12ihipStream_tbPNSt15iterator_traitsISK_E10value_typeEPNSQ_ISL_E10value_typeEPSM_NS1_7vsmem_tEENKUlT_SK_SL_SM_E_clIPiSE_SF_SF_EESJ_SZ_SK_SL_SM_EUlSZ_E1_NS1_11comp_targetILNS1_3genE9ELNS1_11target_archE1100ELNS1_3gpuE3ELNS1_3repE0EEENS1_36merge_oddeven_config_static_selectorELNS0_4arch9wavefront6targetE0EEEvSL_,@function
_ZN7rocprim17ROCPRIM_400000_NS6detail17trampoline_kernelINS0_14default_configENS1_38merge_sort_block_merge_config_selectorIiNS0_10empty_typeEEEZZNS1_27merge_sort_block_merge_implIS3_N6thrust23THRUST_200600_302600_NS6detail15normal_iteratorINS9_10device_ptrIiEEEEPS5_jNS1_19radix_merge_compareILb1ELb1EiNS0_19identity_decomposerEEEEE10hipError_tT0_T1_T2_jT3_P12ihipStream_tbPNSt15iterator_traitsISK_E10value_typeEPNSQ_ISL_E10value_typeEPSM_NS1_7vsmem_tEENKUlT_SK_SL_SM_E_clIPiSE_SF_SF_EESJ_SZ_SK_SL_SM_EUlSZ_E1_NS1_11comp_targetILNS1_3genE9ELNS1_11target_archE1100ELNS1_3gpuE3ELNS1_3repE0EEENS1_36merge_oddeven_config_static_selectorELNS0_4arch9wavefront6targetE0EEEvSL_: ; @_ZN7rocprim17ROCPRIM_400000_NS6detail17trampoline_kernelINS0_14default_configENS1_38merge_sort_block_merge_config_selectorIiNS0_10empty_typeEEEZZNS1_27merge_sort_block_merge_implIS3_N6thrust23THRUST_200600_302600_NS6detail15normal_iteratorINS9_10device_ptrIiEEEEPS5_jNS1_19radix_merge_compareILb1ELb1EiNS0_19identity_decomposerEEEEE10hipError_tT0_T1_T2_jT3_P12ihipStream_tbPNSt15iterator_traitsISK_E10value_typeEPNSQ_ISL_E10value_typeEPSM_NS1_7vsmem_tEENKUlT_SK_SL_SM_E_clIPiSE_SF_SF_EESJ_SZ_SK_SL_SM_EUlSZ_E1_NS1_11comp_targetILNS1_3genE9ELNS1_11target_archE1100ELNS1_3gpuE3ELNS1_3repE0EEENS1_36merge_oddeven_config_static_selectorELNS0_4arch9wavefront6targetE0EEEvSL_
; %bb.0:
	.section	.rodata,"a",@progbits
	.p2align	6, 0x0
	.amdhsa_kernel _ZN7rocprim17ROCPRIM_400000_NS6detail17trampoline_kernelINS0_14default_configENS1_38merge_sort_block_merge_config_selectorIiNS0_10empty_typeEEEZZNS1_27merge_sort_block_merge_implIS3_N6thrust23THRUST_200600_302600_NS6detail15normal_iteratorINS9_10device_ptrIiEEEEPS5_jNS1_19radix_merge_compareILb1ELb1EiNS0_19identity_decomposerEEEEE10hipError_tT0_T1_T2_jT3_P12ihipStream_tbPNSt15iterator_traitsISK_E10value_typeEPNSQ_ISL_E10value_typeEPSM_NS1_7vsmem_tEENKUlT_SK_SL_SM_E_clIPiSE_SF_SF_EESJ_SZ_SK_SL_SM_EUlSZ_E1_NS1_11comp_targetILNS1_3genE9ELNS1_11target_archE1100ELNS1_3gpuE3ELNS1_3repE0EEENS1_36merge_oddeven_config_static_selectorELNS0_4arch9wavefront6targetE0EEEvSL_
		.amdhsa_group_segment_fixed_size 0
		.amdhsa_private_segment_fixed_size 0
		.amdhsa_kernarg_size 48
		.amdhsa_user_sgpr_count 6
		.amdhsa_user_sgpr_private_segment_buffer 1
		.amdhsa_user_sgpr_dispatch_ptr 0
		.amdhsa_user_sgpr_queue_ptr 0
		.amdhsa_user_sgpr_kernarg_segment_ptr 1
		.amdhsa_user_sgpr_dispatch_id 0
		.amdhsa_user_sgpr_flat_scratch_init 0
		.amdhsa_user_sgpr_private_segment_size 0
		.amdhsa_wavefront_size32 1
		.amdhsa_uses_dynamic_stack 0
		.amdhsa_system_sgpr_private_segment_wavefront_offset 0
		.amdhsa_system_sgpr_workgroup_id_x 1
		.amdhsa_system_sgpr_workgroup_id_y 0
		.amdhsa_system_sgpr_workgroup_id_z 0
		.amdhsa_system_sgpr_workgroup_info 0
		.amdhsa_system_vgpr_workitem_id 0
		.amdhsa_next_free_vgpr 1
		.amdhsa_next_free_sgpr 1
		.amdhsa_reserve_vcc 0
		.amdhsa_reserve_flat_scratch 0
		.amdhsa_float_round_mode_32 0
		.amdhsa_float_round_mode_16_64 0
		.amdhsa_float_denorm_mode_32 3
		.amdhsa_float_denorm_mode_16_64 3
		.amdhsa_dx10_clamp 1
		.amdhsa_ieee_mode 1
		.amdhsa_fp16_overflow 0
		.amdhsa_workgroup_processor_mode 1
		.amdhsa_memory_ordered 1
		.amdhsa_forward_progress 1
		.amdhsa_shared_vgpr_count 0
		.amdhsa_exception_fp_ieee_invalid_op 0
		.amdhsa_exception_fp_denorm_src 0
		.amdhsa_exception_fp_ieee_div_zero 0
		.amdhsa_exception_fp_ieee_overflow 0
		.amdhsa_exception_fp_ieee_underflow 0
		.amdhsa_exception_fp_ieee_inexact 0
		.amdhsa_exception_int_div_zero 0
	.end_amdhsa_kernel
	.section	.text._ZN7rocprim17ROCPRIM_400000_NS6detail17trampoline_kernelINS0_14default_configENS1_38merge_sort_block_merge_config_selectorIiNS0_10empty_typeEEEZZNS1_27merge_sort_block_merge_implIS3_N6thrust23THRUST_200600_302600_NS6detail15normal_iteratorINS9_10device_ptrIiEEEEPS5_jNS1_19radix_merge_compareILb1ELb1EiNS0_19identity_decomposerEEEEE10hipError_tT0_T1_T2_jT3_P12ihipStream_tbPNSt15iterator_traitsISK_E10value_typeEPNSQ_ISL_E10value_typeEPSM_NS1_7vsmem_tEENKUlT_SK_SL_SM_E_clIPiSE_SF_SF_EESJ_SZ_SK_SL_SM_EUlSZ_E1_NS1_11comp_targetILNS1_3genE9ELNS1_11target_archE1100ELNS1_3gpuE3ELNS1_3repE0EEENS1_36merge_oddeven_config_static_selectorELNS0_4arch9wavefront6targetE0EEEvSL_,"axG",@progbits,_ZN7rocprim17ROCPRIM_400000_NS6detail17trampoline_kernelINS0_14default_configENS1_38merge_sort_block_merge_config_selectorIiNS0_10empty_typeEEEZZNS1_27merge_sort_block_merge_implIS3_N6thrust23THRUST_200600_302600_NS6detail15normal_iteratorINS9_10device_ptrIiEEEEPS5_jNS1_19radix_merge_compareILb1ELb1EiNS0_19identity_decomposerEEEEE10hipError_tT0_T1_T2_jT3_P12ihipStream_tbPNSt15iterator_traitsISK_E10value_typeEPNSQ_ISL_E10value_typeEPSM_NS1_7vsmem_tEENKUlT_SK_SL_SM_E_clIPiSE_SF_SF_EESJ_SZ_SK_SL_SM_EUlSZ_E1_NS1_11comp_targetILNS1_3genE9ELNS1_11target_archE1100ELNS1_3gpuE3ELNS1_3repE0EEENS1_36merge_oddeven_config_static_selectorELNS0_4arch9wavefront6targetE0EEEvSL_,comdat
.Lfunc_end292:
	.size	_ZN7rocprim17ROCPRIM_400000_NS6detail17trampoline_kernelINS0_14default_configENS1_38merge_sort_block_merge_config_selectorIiNS0_10empty_typeEEEZZNS1_27merge_sort_block_merge_implIS3_N6thrust23THRUST_200600_302600_NS6detail15normal_iteratorINS9_10device_ptrIiEEEEPS5_jNS1_19radix_merge_compareILb1ELb1EiNS0_19identity_decomposerEEEEE10hipError_tT0_T1_T2_jT3_P12ihipStream_tbPNSt15iterator_traitsISK_E10value_typeEPNSQ_ISL_E10value_typeEPSM_NS1_7vsmem_tEENKUlT_SK_SL_SM_E_clIPiSE_SF_SF_EESJ_SZ_SK_SL_SM_EUlSZ_E1_NS1_11comp_targetILNS1_3genE9ELNS1_11target_archE1100ELNS1_3gpuE3ELNS1_3repE0EEENS1_36merge_oddeven_config_static_selectorELNS0_4arch9wavefront6targetE0EEEvSL_, .Lfunc_end292-_ZN7rocprim17ROCPRIM_400000_NS6detail17trampoline_kernelINS0_14default_configENS1_38merge_sort_block_merge_config_selectorIiNS0_10empty_typeEEEZZNS1_27merge_sort_block_merge_implIS3_N6thrust23THRUST_200600_302600_NS6detail15normal_iteratorINS9_10device_ptrIiEEEEPS5_jNS1_19radix_merge_compareILb1ELb1EiNS0_19identity_decomposerEEEEE10hipError_tT0_T1_T2_jT3_P12ihipStream_tbPNSt15iterator_traitsISK_E10value_typeEPNSQ_ISL_E10value_typeEPSM_NS1_7vsmem_tEENKUlT_SK_SL_SM_E_clIPiSE_SF_SF_EESJ_SZ_SK_SL_SM_EUlSZ_E1_NS1_11comp_targetILNS1_3genE9ELNS1_11target_archE1100ELNS1_3gpuE3ELNS1_3repE0EEENS1_36merge_oddeven_config_static_selectorELNS0_4arch9wavefront6targetE0EEEvSL_
                                        ; -- End function
	.set _ZN7rocprim17ROCPRIM_400000_NS6detail17trampoline_kernelINS0_14default_configENS1_38merge_sort_block_merge_config_selectorIiNS0_10empty_typeEEEZZNS1_27merge_sort_block_merge_implIS3_N6thrust23THRUST_200600_302600_NS6detail15normal_iteratorINS9_10device_ptrIiEEEEPS5_jNS1_19radix_merge_compareILb1ELb1EiNS0_19identity_decomposerEEEEE10hipError_tT0_T1_T2_jT3_P12ihipStream_tbPNSt15iterator_traitsISK_E10value_typeEPNSQ_ISL_E10value_typeEPSM_NS1_7vsmem_tEENKUlT_SK_SL_SM_E_clIPiSE_SF_SF_EESJ_SZ_SK_SL_SM_EUlSZ_E1_NS1_11comp_targetILNS1_3genE9ELNS1_11target_archE1100ELNS1_3gpuE3ELNS1_3repE0EEENS1_36merge_oddeven_config_static_selectorELNS0_4arch9wavefront6targetE0EEEvSL_.num_vgpr, 0
	.set _ZN7rocprim17ROCPRIM_400000_NS6detail17trampoline_kernelINS0_14default_configENS1_38merge_sort_block_merge_config_selectorIiNS0_10empty_typeEEEZZNS1_27merge_sort_block_merge_implIS3_N6thrust23THRUST_200600_302600_NS6detail15normal_iteratorINS9_10device_ptrIiEEEEPS5_jNS1_19radix_merge_compareILb1ELb1EiNS0_19identity_decomposerEEEEE10hipError_tT0_T1_T2_jT3_P12ihipStream_tbPNSt15iterator_traitsISK_E10value_typeEPNSQ_ISL_E10value_typeEPSM_NS1_7vsmem_tEENKUlT_SK_SL_SM_E_clIPiSE_SF_SF_EESJ_SZ_SK_SL_SM_EUlSZ_E1_NS1_11comp_targetILNS1_3genE9ELNS1_11target_archE1100ELNS1_3gpuE3ELNS1_3repE0EEENS1_36merge_oddeven_config_static_selectorELNS0_4arch9wavefront6targetE0EEEvSL_.num_agpr, 0
	.set _ZN7rocprim17ROCPRIM_400000_NS6detail17trampoline_kernelINS0_14default_configENS1_38merge_sort_block_merge_config_selectorIiNS0_10empty_typeEEEZZNS1_27merge_sort_block_merge_implIS3_N6thrust23THRUST_200600_302600_NS6detail15normal_iteratorINS9_10device_ptrIiEEEEPS5_jNS1_19radix_merge_compareILb1ELb1EiNS0_19identity_decomposerEEEEE10hipError_tT0_T1_T2_jT3_P12ihipStream_tbPNSt15iterator_traitsISK_E10value_typeEPNSQ_ISL_E10value_typeEPSM_NS1_7vsmem_tEENKUlT_SK_SL_SM_E_clIPiSE_SF_SF_EESJ_SZ_SK_SL_SM_EUlSZ_E1_NS1_11comp_targetILNS1_3genE9ELNS1_11target_archE1100ELNS1_3gpuE3ELNS1_3repE0EEENS1_36merge_oddeven_config_static_selectorELNS0_4arch9wavefront6targetE0EEEvSL_.numbered_sgpr, 0
	.set _ZN7rocprim17ROCPRIM_400000_NS6detail17trampoline_kernelINS0_14default_configENS1_38merge_sort_block_merge_config_selectorIiNS0_10empty_typeEEEZZNS1_27merge_sort_block_merge_implIS3_N6thrust23THRUST_200600_302600_NS6detail15normal_iteratorINS9_10device_ptrIiEEEEPS5_jNS1_19radix_merge_compareILb1ELb1EiNS0_19identity_decomposerEEEEE10hipError_tT0_T1_T2_jT3_P12ihipStream_tbPNSt15iterator_traitsISK_E10value_typeEPNSQ_ISL_E10value_typeEPSM_NS1_7vsmem_tEENKUlT_SK_SL_SM_E_clIPiSE_SF_SF_EESJ_SZ_SK_SL_SM_EUlSZ_E1_NS1_11comp_targetILNS1_3genE9ELNS1_11target_archE1100ELNS1_3gpuE3ELNS1_3repE0EEENS1_36merge_oddeven_config_static_selectorELNS0_4arch9wavefront6targetE0EEEvSL_.num_named_barrier, 0
	.set _ZN7rocprim17ROCPRIM_400000_NS6detail17trampoline_kernelINS0_14default_configENS1_38merge_sort_block_merge_config_selectorIiNS0_10empty_typeEEEZZNS1_27merge_sort_block_merge_implIS3_N6thrust23THRUST_200600_302600_NS6detail15normal_iteratorINS9_10device_ptrIiEEEEPS5_jNS1_19radix_merge_compareILb1ELb1EiNS0_19identity_decomposerEEEEE10hipError_tT0_T1_T2_jT3_P12ihipStream_tbPNSt15iterator_traitsISK_E10value_typeEPNSQ_ISL_E10value_typeEPSM_NS1_7vsmem_tEENKUlT_SK_SL_SM_E_clIPiSE_SF_SF_EESJ_SZ_SK_SL_SM_EUlSZ_E1_NS1_11comp_targetILNS1_3genE9ELNS1_11target_archE1100ELNS1_3gpuE3ELNS1_3repE0EEENS1_36merge_oddeven_config_static_selectorELNS0_4arch9wavefront6targetE0EEEvSL_.private_seg_size, 0
	.set _ZN7rocprim17ROCPRIM_400000_NS6detail17trampoline_kernelINS0_14default_configENS1_38merge_sort_block_merge_config_selectorIiNS0_10empty_typeEEEZZNS1_27merge_sort_block_merge_implIS3_N6thrust23THRUST_200600_302600_NS6detail15normal_iteratorINS9_10device_ptrIiEEEEPS5_jNS1_19radix_merge_compareILb1ELb1EiNS0_19identity_decomposerEEEEE10hipError_tT0_T1_T2_jT3_P12ihipStream_tbPNSt15iterator_traitsISK_E10value_typeEPNSQ_ISL_E10value_typeEPSM_NS1_7vsmem_tEENKUlT_SK_SL_SM_E_clIPiSE_SF_SF_EESJ_SZ_SK_SL_SM_EUlSZ_E1_NS1_11comp_targetILNS1_3genE9ELNS1_11target_archE1100ELNS1_3gpuE3ELNS1_3repE0EEENS1_36merge_oddeven_config_static_selectorELNS0_4arch9wavefront6targetE0EEEvSL_.uses_vcc, 0
	.set _ZN7rocprim17ROCPRIM_400000_NS6detail17trampoline_kernelINS0_14default_configENS1_38merge_sort_block_merge_config_selectorIiNS0_10empty_typeEEEZZNS1_27merge_sort_block_merge_implIS3_N6thrust23THRUST_200600_302600_NS6detail15normal_iteratorINS9_10device_ptrIiEEEEPS5_jNS1_19radix_merge_compareILb1ELb1EiNS0_19identity_decomposerEEEEE10hipError_tT0_T1_T2_jT3_P12ihipStream_tbPNSt15iterator_traitsISK_E10value_typeEPNSQ_ISL_E10value_typeEPSM_NS1_7vsmem_tEENKUlT_SK_SL_SM_E_clIPiSE_SF_SF_EESJ_SZ_SK_SL_SM_EUlSZ_E1_NS1_11comp_targetILNS1_3genE9ELNS1_11target_archE1100ELNS1_3gpuE3ELNS1_3repE0EEENS1_36merge_oddeven_config_static_selectorELNS0_4arch9wavefront6targetE0EEEvSL_.uses_flat_scratch, 0
	.set _ZN7rocprim17ROCPRIM_400000_NS6detail17trampoline_kernelINS0_14default_configENS1_38merge_sort_block_merge_config_selectorIiNS0_10empty_typeEEEZZNS1_27merge_sort_block_merge_implIS3_N6thrust23THRUST_200600_302600_NS6detail15normal_iteratorINS9_10device_ptrIiEEEEPS5_jNS1_19radix_merge_compareILb1ELb1EiNS0_19identity_decomposerEEEEE10hipError_tT0_T1_T2_jT3_P12ihipStream_tbPNSt15iterator_traitsISK_E10value_typeEPNSQ_ISL_E10value_typeEPSM_NS1_7vsmem_tEENKUlT_SK_SL_SM_E_clIPiSE_SF_SF_EESJ_SZ_SK_SL_SM_EUlSZ_E1_NS1_11comp_targetILNS1_3genE9ELNS1_11target_archE1100ELNS1_3gpuE3ELNS1_3repE0EEENS1_36merge_oddeven_config_static_selectorELNS0_4arch9wavefront6targetE0EEEvSL_.has_dyn_sized_stack, 0
	.set _ZN7rocprim17ROCPRIM_400000_NS6detail17trampoline_kernelINS0_14default_configENS1_38merge_sort_block_merge_config_selectorIiNS0_10empty_typeEEEZZNS1_27merge_sort_block_merge_implIS3_N6thrust23THRUST_200600_302600_NS6detail15normal_iteratorINS9_10device_ptrIiEEEEPS5_jNS1_19radix_merge_compareILb1ELb1EiNS0_19identity_decomposerEEEEE10hipError_tT0_T1_T2_jT3_P12ihipStream_tbPNSt15iterator_traitsISK_E10value_typeEPNSQ_ISL_E10value_typeEPSM_NS1_7vsmem_tEENKUlT_SK_SL_SM_E_clIPiSE_SF_SF_EESJ_SZ_SK_SL_SM_EUlSZ_E1_NS1_11comp_targetILNS1_3genE9ELNS1_11target_archE1100ELNS1_3gpuE3ELNS1_3repE0EEENS1_36merge_oddeven_config_static_selectorELNS0_4arch9wavefront6targetE0EEEvSL_.has_recursion, 0
	.set _ZN7rocprim17ROCPRIM_400000_NS6detail17trampoline_kernelINS0_14default_configENS1_38merge_sort_block_merge_config_selectorIiNS0_10empty_typeEEEZZNS1_27merge_sort_block_merge_implIS3_N6thrust23THRUST_200600_302600_NS6detail15normal_iteratorINS9_10device_ptrIiEEEEPS5_jNS1_19radix_merge_compareILb1ELb1EiNS0_19identity_decomposerEEEEE10hipError_tT0_T1_T2_jT3_P12ihipStream_tbPNSt15iterator_traitsISK_E10value_typeEPNSQ_ISL_E10value_typeEPSM_NS1_7vsmem_tEENKUlT_SK_SL_SM_E_clIPiSE_SF_SF_EESJ_SZ_SK_SL_SM_EUlSZ_E1_NS1_11comp_targetILNS1_3genE9ELNS1_11target_archE1100ELNS1_3gpuE3ELNS1_3repE0EEENS1_36merge_oddeven_config_static_selectorELNS0_4arch9wavefront6targetE0EEEvSL_.has_indirect_call, 0
	.section	.AMDGPU.csdata,"",@progbits
; Kernel info:
; codeLenInByte = 0
; TotalNumSgprs: 0
; NumVgprs: 0
; ScratchSize: 0
; MemoryBound: 0
; FloatMode: 240
; IeeeMode: 1
; LDSByteSize: 0 bytes/workgroup (compile time only)
; SGPRBlocks: 0
; VGPRBlocks: 0
; NumSGPRsForWavesPerEU: 1
; NumVGPRsForWavesPerEU: 1
; Occupancy: 16
; WaveLimiterHint : 0
; COMPUTE_PGM_RSRC2:SCRATCH_EN: 0
; COMPUTE_PGM_RSRC2:USER_SGPR: 6
; COMPUTE_PGM_RSRC2:TRAP_HANDLER: 0
; COMPUTE_PGM_RSRC2:TGID_X_EN: 1
; COMPUTE_PGM_RSRC2:TGID_Y_EN: 0
; COMPUTE_PGM_RSRC2:TGID_Z_EN: 0
; COMPUTE_PGM_RSRC2:TIDIG_COMP_CNT: 0
	.section	.text._ZN7rocprim17ROCPRIM_400000_NS6detail17trampoline_kernelINS0_14default_configENS1_38merge_sort_block_merge_config_selectorIiNS0_10empty_typeEEEZZNS1_27merge_sort_block_merge_implIS3_N6thrust23THRUST_200600_302600_NS6detail15normal_iteratorINS9_10device_ptrIiEEEEPS5_jNS1_19radix_merge_compareILb1ELb1EiNS0_19identity_decomposerEEEEE10hipError_tT0_T1_T2_jT3_P12ihipStream_tbPNSt15iterator_traitsISK_E10value_typeEPNSQ_ISL_E10value_typeEPSM_NS1_7vsmem_tEENKUlT_SK_SL_SM_E_clIPiSE_SF_SF_EESJ_SZ_SK_SL_SM_EUlSZ_E1_NS1_11comp_targetILNS1_3genE8ELNS1_11target_archE1030ELNS1_3gpuE2ELNS1_3repE0EEENS1_36merge_oddeven_config_static_selectorELNS0_4arch9wavefront6targetE0EEEvSL_,"axG",@progbits,_ZN7rocprim17ROCPRIM_400000_NS6detail17trampoline_kernelINS0_14default_configENS1_38merge_sort_block_merge_config_selectorIiNS0_10empty_typeEEEZZNS1_27merge_sort_block_merge_implIS3_N6thrust23THRUST_200600_302600_NS6detail15normal_iteratorINS9_10device_ptrIiEEEEPS5_jNS1_19radix_merge_compareILb1ELb1EiNS0_19identity_decomposerEEEEE10hipError_tT0_T1_T2_jT3_P12ihipStream_tbPNSt15iterator_traitsISK_E10value_typeEPNSQ_ISL_E10value_typeEPSM_NS1_7vsmem_tEENKUlT_SK_SL_SM_E_clIPiSE_SF_SF_EESJ_SZ_SK_SL_SM_EUlSZ_E1_NS1_11comp_targetILNS1_3genE8ELNS1_11target_archE1030ELNS1_3gpuE2ELNS1_3repE0EEENS1_36merge_oddeven_config_static_selectorELNS0_4arch9wavefront6targetE0EEEvSL_,comdat
	.protected	_ZN7rocprim17ROCPRIM_400000_NS6detail17trampoline_kernelINS0_14default_configENS1_38merge_sort_block_merge_config_selectorIiNS0_10empty_typeEEEZZNS1_27merge_sort_block_merge_implIS3_N6thrust23THRUST_200600_302600_NS6detail15normal_iteratorINS9_10device_ptrIiEEEEPS5_jNS1_19radix_merge_compareILb1ELb1EiNS0_19identity_decomposerEEEEE10hipError_tT0_T1_T2_jT3_P12ihipStream_tbPNSt15iterator_traitsISK_E10value_typeEPNSQ_ISL_E10value_typeEPSM_NS1_7vsmem_tEENKUlT_SK_SL_SM_E_clIPiSE_SF_SF_EESJ_SZ_SK_SL_SM_EUlSZ_E1_NS1_11comp_targetILNS1_3genE8ELNS1_11target_archE1030ELNS1_3gpuE2ELNS1_3repE0EEENS1_36merge_oddeven_config_static_selectorELNS0_4arch9wavefront6targetE0EEEvSL_ ; -- Begin function _ZN7rocprim17ROCPRIM_400000_NS6detail17trampoline_kernelINS0_14default_configENS1_38merge_sort_block_merge_config_selectorIiNS0_10empty_typeEEEZZNS1_27merge_sort_block_merge_implIS3_N6thrust23THRUST_200600_302600_NS6detail15normal_iteratorINS9_10device_ptrIiEEEEPS5_jNS1_19radix_merge_compareILb1ELb1EiNS0_19identity_decomposerEEEEE10hipError_tT0_T1_T2_jT3_P12ihipStream_tbPNSt15iterator_traitsISK_E10value_typeEPNSQ_ISL_E10value_typeEPSM_NS1_7vsmem_tEENKUlT_SK_SL_SM_E_clIPiSE_SF_SF_EESJ_SZ_SK_SL_SM_EUlSZ_E1_NS1_11comp_targetILNS1_3genE8ELNS1_11target_archE1030ELNS1_3gpuE2ELNS1_3repE0EEENS1_36merge_oddeven_config_static_selectorELNS0_4arch9wavefront6targetE0EEEvSL_
	.globl	_ZN7rocprim17ROCPRIM_400000_NS6detail17trampoline_kernelINS0_14default_configENS1_38merge_sort_block_merge_config_selectorIiNS0_10empty_typeEEEZZNS1_27merge_sort_block_merge_implIS3_N6thrust23THRUST_200600_302600_NS6detail15normal_iteratorINS9_10device_ptrIiEEEEPS5_jNS1_19radix_merge_compareILb1ELb1EiNS0_19identity_decomposerEEEEE10hipError_tT0_T1_T2_jT3_P12ihipStream_tbPNSt15iterator_traitsISK_E10value_typeEPNSQ_ISL_E10value_typeEPSM_NS1_7vsmem_tEENKUlT_SK_SL_SM_E_clIPiSE_SF_SF_EESJ_SZ_SK_SL_SM_EUlSZ_E1_NS1_11comp_targetILNS1_3genE8ELNS1_11target_archE1030ELNS1_3gpuE2ELNS1_3repE0EEENS1_36merge_oddeven_config_static_selectorELNS0_4arch9wavefront6targetE0EEEvSL_
	.p2align	8
	.type	_ZN7rocprim17ROCPRIM_400000_NS6detail17trampoline_kernelINS0_14default_configENS1_38merge_sort_block_merge_config_selectorIiNS0_10empty_typeEEEZZNS1_27merge_sort_block_merge_implIS3_N6thrust23THRUST_200600_302600_NS6detail15normal_iteratorINS9_10device_ptrIiEEEEPS5_jNS1_19radix_merge_compareILb1ELb1EiNS0_19identity_decomposerEEEEE10hipError_tT0_T1_T2_jT3_P12ihipStream_tbPNSt15iterator_traitsISK_E10value_typeEPNSQ_ISL_E10value_typeEPSM_NS1_7vsmem_tEENKUlT_SK_SL_SM_E_clIPiSE_SF_SF_EESJ_SZ_SK_SL_SM_EUlSZ_E1_NS1_11comp_targetILNS1_3genE8ELNS1_11target_archE1030ELNS1_3gpuE2ELNS1_3repE0EEENS1_36merge_oddeven_config_static_selectorELNS0_4arch9wavefront6targetE0EEEvSL_,@function
_ZN7rocprim17ROCPRIM_400000_NS6detail17trampoline_kernelINS0_14default_configENS1_38merge_sort_block_merge_config_selectorIiNS0_10empty_typeEEEZZNS1_27merge_sort_block_merge_implIS3_N6thrust23THRUST_200600_302600_NS6detail15normal_iteratorINS9_10device_ptrIiEEEEPS5_jNS1_19radix_merge_compareILb1ELb1EiNS0_19identity_decomposerEEEEE10hipError_tT0_T1_T2_jT3_P12ihipStream_tbPNSt15iterator_traitsISK_E10value_typeEPNSQ_ISL_E10value_typeEPSM_NS1_7vsmem_tEENKUlT_SK_SL_SM_E_clIPiSE_SF_SF_EESJ_SZ_SK_SL_SM_EUlSZ_E1_NS1_11comp_targetILNS1_3genE8ELNS1_11target_archE1030ELNS1_3gpuE2ELNS1_3repE0EEENS1_36merge_oddeven_config_static_selectorELNS0_4arch9wavefront6targetE0EEEvSL_: ; @_ZN7rocprim17ROCPRIM_400000_NS6detail17trampoline_kernelINS0_14default_configENS1_38merge_sort_block_merge_config_selectorIiNS0_10empty_typeEEEZZNS1_27merge_sort_block_merge_implIS3_N6thrust23THRUST_200600_302600_NS6detail15normal_iteratorINS9_10device_ptrIiEEEEPS5_jNS1_19radix_merge_compareILb1ELb1EiNS0_19identity_decomposerEEEEE10hipError_tT0_T1_T2_jT3_P12ihipStream_tbPNSt15iterator_traitsISK_E10value_typeEPNSQ_ISL_E10value_typeEPSM_NS1_7vsmem_tEENKUlT_SK_SL_SM_E_clIPiSE_SF_SF_EESJ_SZ_SK_SL_SM_EUlSZ_E1_NS1_11comp_targetILNS1_3genE8ELNS1_11target_archE1030ELNS1_3gpuE2ELNS1_3repE0EEENS1_36merge_oddeven_config_static_selectorELNS0_4arch9wavefront6targetE0EEEvSL_
; %bb.0:
	s_load_dword s7, s[4:5], 0x20
	s_waitcnt lgkmcnt(0)
	s_lshr_b32 s0, s7, 8
	s_cmp_lg_u32 s6, s0
	s_cselect_b32 s14, -1, 0
	s_cmp_eq_u32 s6, s0
	s_cselect_b32 s12, -1, 0
	s_lshl_b32 s2, s6, 8
	s_sub_i32 s0, s7, s2
	v_cmp_gt_u32_e64 s1, s0, v0
	s_or_b32 s0, s14, s1
	s_and_saveexec_b32 s3, s0
	s_cbranch_execz .LBB293_20
; %bb.1:
	s_clause 0x1
	s_load_dwordx4 s[8:11], s[4:5], 0x0
	s_load_dword s13, s[4:5], 0x24
	s_mov_b32 s3, 0
	v_lshlrev_b32_e32 v1, 2, v0
	s_lshl_b64 s[16:17], s[2:3], 2
	v_add_nc_u32_e32 v0, s2, v0
	s_waitcnt lgkmcnt(0)
	s_add_u32 s16, s8, s16
	s_addc_u32 s17, s9, s17
	s_lshr_b32 s0, s13, 8
	global_load_dword v2, v1, s[16:17]
	s_sub_i32 s15, 0, s0
	s_and_b32 s6, s6, s15
	s_and_b32 s0, s6, s0
	s_lshl_b32 s15, s6, 8
	s_sub_i32 s6, 0, s13
	s_cmp_eq_u32 s0, 0
	s_cselect_b32 s0, -1, 0
	s_and_b32 s16, s0, exec_lo
	s_cselect_b32 s6, s13, s6
	s_add_i32 s6, s6, s15
	s_cmp_gt_u32 s7, s6
	s_cbranch_scc1 .LBB293_3
; %bb.2:
	v_cmp_gt_u32_e32 vcc_lo, s7, v0
	s_or_b32 s3, vcc_lo, s14
	s_and_b32 s3, s3, exec_lo
	s_cbranch_execz .LBB293_4
	s_branch .LBB293_18
.LBB293_3:
.LBB293_4:
	s_load_dword s2, s[4:5], 0x28
	s_min_u32 s4, s6, s7
	s_and_b32 vcc_lo, exec_lo, s12
	s_add_i32 s5, s15, s4
	s_add_i32 s13, s4, s13
	v_subrev_nc_u32_e32 v0, s5, v0
	s_min_u32 s5, s15, s4
	v_add_nc_u32_e32 v3, s5, v0
	s_min_u32 s5, s13, s7
	s_waitcnt vmcnt(0) lgkmcnt(0)
	v_and_b32_e32 v4, s2, v2
	s_cbranch_vccz .LBB293_12
; %bb.5:
                                        ; implicit-def: $vgpr0
	s_and_saveexec_b32 s7, s1
	s_cbranch_execz .LBB293_11
; %bb.6:
	v_mov_b32_e32 v5, s4
	s_cmp_ge_u32 s6, s5
	s_cbranch_scc1 .LBB293_10
; %bb.7:
	v_mov_b32_e32 v6, s5
	v_mov_b32_e32 v5, s4
	;; [unrolled: 1-line block ×3, first 2 shown]
	s_mov_b32 s1, 0
	.p2align	6
.LBB293_8:                              ; =>This Inner Loop Header: Depth=1
	v_add_nc_u32_e32 v0, v5, v6
	v_lshrrev_b32_e32 v0, 1, v0
	v_lshlrev_b64 v[7:8], 2, v[0:1]
	v_add_co_u32 v7, vcc_lo, s8, v7
	v_add_co_ci_u32_e64 v8, null, s9, v8, vcc_lo
	global_load_dword v7, v[7:8], off
	s_waitcnt vmcnt(0)
	v_and_b32_e32 v7, s2, v7
	v_cmp_gt_i32_e32 vcc_lo, v7, v4
	v_cndmask_b32_e64 v8, 0, 1, vcc_lo
	v_cmp_le_i32_e32 vcc_lo, v4, v7
	v_cndmask_b32_e64 v7, 0, 1, vcc_lo
	v_cndmask_b32_e64 v7, v7, v8, s0
	v_add_nc_u32_e32 v8, 1, v0
	v_and_b32_e32 v7, 1, v7
	v_cmp_eq_u32_e32 vcc_lo, 1, v7
	v_cndmask_b32_e32 v6, v0, v6, vcc_lo
	v_cndmask_b32_e32 v5, v5, v8, vcc_lo
	v_cmp_ge_u32_e32 vcc_lo, v5, v6
	s_or_b32 s1, vcc_lo, s1
	s_andn2_b32 exec_lo, exec_lo, s1
	s_cbranch_execnz .LBB293_8
; %bb.9:
	s_or_b32 exec_lo, exec_lo, s1
.LBB293_10:
	v_add_nc_u32_e32 v0, v5, v3
	s_or_b32 s3, s3, exec_lo
.LBB293_11:
	s_or_b32 exec_lo, exec_lo, s7
	s_branch .LBB293_18
.LBB293_12:
                                        ; implicit-def: $vgpr0
	s_cbranch_execz .LBB293_18
; %bb.13:
	v_mov_b32_e32 v5, s4
	s_cmp_ge_u32 s6, s5
	s_cbranch_scc1 .LBB293_17
; %bb.14:
	v_mov_b32_e32 v6, s5
	v_mov_b32_e32 v5, s4
	;; [unrolled: 1-line block ×3, first 2 shown]
	s_mov_b32 s1, 0
	.p2align	6
.LBB293_15:                             ; =>This Inner Loop Header: Depth=1
	v_add_nc_u32_e32 v0, v5, v6
	v_lshrrev_b32_e32 v0, 1, v0
	v_lshlrev_b64 v[7:8], 2, v[0:1]
	v_add_co_u32 v7, vcc_lo, s8, v7
	v_add_co_ci_u32_e64 v8, null, s9, v8, vcc_lo
	global_load_dword v7, v[7:8], off
	s_waitcnt vmcnt(0)
	v_and_b32_e32 v7, s2, v7
	v_cmp_gt_i32_e32 vcc_lo, v7, v4
	v_cndmask_b32_e64 v8, 0, 1, vcc_lo
	v_cmp_le_i32_e32 vcc_lo, v4, v7
	v_cndmask_b32_e64 v7, 0, 1, vcc_lo
	v_cndmask_b32_e64 v7, v7, v8, s0
	v_add_nc_u32_e32 v8, 1, v0
	v_and_b32_e32 v7, 1, v7
	v_cmp_eq_u32_e32 vcc_lo, 1, v7
	v_cndmask_b32_e32 v6, v0, v6, vcc_lo
	v_cndmask_b32_e32 v5, v5, v8, vcc_lo
	v_cmp_ge_u32_e32 vcc_lo, v5, v6
	s_or_b32 s1, vcc_lo, s1
	s_andn2_b32 exec_lo, exec_lo, s1
	s_cbranch_execnz .LBB293_15
; %bb.16:
	s_or_b32 exec_lo, exec_lo, s1
.LBB293_17:
	v_add_nc_u32_e32 v0, v5, v3
	s_mov_b32 s3, -1
.LBB293_18:
	s_and_b32 exec_lo, exec_lo, s3
	s_cbranch_execz .LBB293_20
; %bb.19:
	v_mov_b32_e32 v1, 0
	v_lshlrev_b64 v[0:1], 2, v[0:1]
	v_add_co_u32 v0, vcc_lo, s10, v0
	v_add_co_ci_u32_e64 v1, null, s11, v1, vcc_lo
	s_waitcnt vmcnt(0)
	global_store_dword v[0:1], v2, off
.LBB293_20:
	s_endpgm
	.section	.rodata,"a",@progbits
	.p2align	6, 0x0
	.amdhsa_kernel _ZN7rocprim17ROCPRIM_400000_NS6detail17trampoline_kernelINS0_14default_configENS1_38merge_sort_block_merge_config_selectorIiNS0_10empty_typeEEEZZNS1_27merge_sort_block_merge_implIS3_N6thrust23THRUST_200600_302600_NS6detail15normal_iteratorINS9_10device_ptrIiEEEEPS5_jNS1_19radix_merge_compareILb1ELb1EiNS0_19identity_decomposerEEEEE10hipError_tT0_T1_T2_jT3_P12ihipStream_tbPNSt15iterator_traitsISK_E10value_typeEPNSQ_ISL_E10value_typeEPSM_NS1_7vsmem_tEENKUlT_SK_SL_SM_E_clIPiSE_SF_SF_EESJ_SZ_SK_SL_SM_EUlSZ_E1_NS1_11comp_targetILNS1_3genE8ELNS1_11target_archE1030ELNS1_3gpuE2ELNS1_3repE0EEENS1_36merge_oddeven_config_static_selectorELNS0_4arch9wavefront6targetE0EEEvSL_
		.amdhsa_group_segment_fixed_size 0
		.amdhsa_private_segment_fixed_size 0
		.amdhsa_kernarg_size 48
		.amdhsa_user_sgpr_count 6
		.amdhsa_user_sgpr_private_segment_buffer 1
		.amdhsa_user_sgpr_dispatch_ptr 0
		.amdhsa_user_sgpr_queue_ptr 0
		.amdhsa_user_sgpr_kernarg_segment_ptr 1
		.amdhsa_user_sgpr_dispatch_id 0
		.amdhsa_user_sgpr_flat_scratch_init 0
		.amdhsa_user_sgpr_private_segment_size 0
		.amdhsa_wavefront_size32 1
		.amdhsa_uses_dynamic_stack 0
		.amdhsa_system_sgpr_private_segment_wavefront_offset 0
		.amdhsa_system_sgpr_workgroup_id_x 1
		.amdhsa_system_sgpr_workgroup_id_y 0
		.amdhsa_system_sgpr_workgroup_id_z 0
		.amdhsa_system_sgpr_workgroup_info 0
		.amdhsa_system_vgpr_workitem_id 0
		.amdhsa_next_free_vgpr 9
		.amdhsa_next_free_sgpr 18
		.amdhsa_reserve_vcc 1
		.amdhsa_reserve_flat_scratch 0
		.amdhsa_float_round_mode_32 0
		.amdhsa_float_round_mode_16_64 0
		.amdhsa_float_denorm_mode_32 3
		.amdhsa_float_denorm_mode_16_64 3
		.amdhsa_dx10_clamp 1
		.amdhsa_ieee_mode 1
		.amdhsa_fp16_overflow 0
		.amdhsa_workgroup_processor_mode 1
		.amdhsa_memory_ordered 1
		.amdhsa_forward_progress 1
		.amdhsa_shared_vgpr_count 0
		.amdhsa_exception_fp_ieee_invalid_op 0
		.amdhsa_exception_fp_denorm_src 0
		.amdhsa_exception_fp_ieee_div_zero 0
		.amdhsa_exception_fp_ieee_overflow 0
		.amdhsa_exception_fp_ieee_underflow 0
		.amdhsa_exception_fp_ieee_inexact 0
		.amdhsa_exception_int_div_zero 0
	.end_amdhsa_kernel
	.section	.text._ZN7rocprim17ROCPRIM_400000_NS6detail17trampoline_kernelINS0_14default_configENS1_38merge_sort_block_merge_config_selectorIiNS0_10empty_typeEEEZZNS1_27merge_sort_block_merge_implIS3_N6thrust23THRUST_200600_302600_NS6detail15normal_iteratorINS9_10device_ptrIiEEEEPS5_jNS1_19radix_merge_compareILb1ELb1EiNS0_19identity_decomposerEEEEE10hipError_tT0_T1_T2_jT3_P12ihipStream_tbPNSt15iterator_traitsISK_E10value_typeEPNSQ_ISL_E10value_typeEPSM_NS1_7vsmem_tEENKUlT_SK_SL_SM_E_clIPiSE_SF_SF_EESJ_SZ_SK_SL_SM_EUlSZ_E1_NS1_11comp_targetILNS1_3genE8ELNS1_11target_archE1030ELNS1_3gpuE2ELNS1_3repE0EEENS1_36merge_oddeven_config_static_selectorELNS0_4arch9wavefront6targetE0EEEvSL_,"axG",@progbits,_ZN7rocprim17ROCPRIM_400000_NS6detail17trampoline_kernelINS0_14default_configENS1_38merge_sort_block_merge_config_selectorIiNS0_10empty_typeEEEZZNS1_27merge_sort_block_merge_implIS3_N6thrust23THRUST_200600_302600_NS6detail15normal_iteratorINS9_10device_ptrIiEEEEPS5_jNS1_19radix_merge_compareILb1ELb1EiNS0_19identity_decomposerEEEEE10hipError_tT0_T1_T2_jT3_P12ihipStream_tbPNSt15iterator_traitsISK_E10value_typeEPNSQ_ISL_E10value_typeEPSM_NS1_7vsmem_tEENKUlT_SK_SL_SM_E_clIPiSE_SF_SF_EESJ_SZ_SK_SL_SM_EUlSZ_E1_NS1_11comp_targetILNS1_3genE8ELNS1_11target_archE1030ELNS1_3gpuE2ELNS1_3repE0EEENS1_36merge_oddeven_config_static_selectorELNS0_4arch9wavefront6targetE0EEEvSL_,comdat
.Lfunc_end293:
	.size	_ZN7rocprim17ROCPRIM_400000_NS6detail17trampoline_kernelINS0_14default_configENS1_38merge_sort_block_merge_config_selectorIiNS0_10empty_typeEEEZZNS1_27merge_sort_block_merge_implIS3_N6thrust23THRUST_200600_302600_NS6detail15normal_iteratorINS9_10device_ptrIiEEEEPS5_jNS1_19radix_merge_compareILb1ELb1EiNS0_19identity_decomposerEEEEE10hipError_tT0_T1_T2_jT3_P12ihipStream_tbPNSt15iterator_traitsISK_E10value_typeEPNSQ_ISL_E10value_typeEPSM_NS1_7vsmem_tEENKUlT_SK_SL_SM_E_clIPiSE_SF_SF_EESJ_SZ_SK_SL_SM_EUlSZ_E1_NS1_11comp_targetILNS1_3genE8ELNS1_11target_archE1030ELNS1_3gpuE2ELNS1_3repE0EEENS1_36merge_oddeven_config_static_selectorELNS0_4arch9wavefront6targetE0EEEvSL_, .Lfunc_end293-_ZN7rocprim17ROCPRIM_400000_NS6detail17trampoline_kernelINS0_14default_configENS1_38merge_sort_block_merge_config_selectorIiNS0_10empty_typeEEEZZNS1_27merge_sort_block_merge_implIS3_N6thrust23THRUST_200600_302600_NS6detail15normal_iteratorINS9_10device_ptrIiEEEEPS5_jNS1_19radix_merge_compareILb1ELb1EiNS0_19identity_decomposerEEEEE10hipError_tT0_T1_T2_jT3_P12ihipStream_tbPNSt15iterator_traitsISK_E10value_typeEPNSQ_ISL_E10value_typeEPSM_NS1_7vsmem_tEENKUlT_SK_SL_SM_E_clIPiSE_SF_SF_EESJ_SZ_SK_SL_SM_EUlSZ_E1_NS1_11comp_targetILNS1_3genE8ELNS1_11target_archE1030ELNS1_3gpuE2ELNS1_3repE0EEENS1_36merge_oddeven_config_static_selectorELNS0_4arch9wavefront6targetE0EEEvSL_
                                        ; -- End function
	.set _ZN7rocprim17ROCPRIM_400000_NS6detail17trampoline_kernelINS0_14default_configENS1_38merge_sort_block_merge_config_selectorIiNS0_10empty_typeEEEZZNS1_27merge_sort_block_merge_implIS3_N6thrust23THRUST_200600_302600_NS6detail15normal_iteratorINS9_10device_ptrIiEEEEPS5_jNS1_19radix_merge_compareILb1ELb1EiNS0_19identity_decomposerEEEEE10hipError_tT0_T1_T2_jT3_P12ihipStream_tbPNSt15iterator_traitsISK_E10value_typeEPNSQ_ISL_E10value_typeEPSM_NS1_7vsmem_tEENKUlT_SK_SL_SM_E_clIPiSE_SF_SF_EESJ_SZ_SK_SL_SM_EUlSZ_E1_NS1_11comp_targetILNS1_3genE8ELNS1_11target_archE1030ELNS1_3gpuE2ELNS1_3repE0EEENS1_36merge_oddeven_config_static_selectorELNS0_4arch9wavefront6targetE0EEEvSL_.num_vgpr, 9
	.set _ZN7rocprim17ROCPRIM_400000_NS6detail17trampoline_kernelINS0_14default_configENS1_38merge_sort_block_merge_config_selectorIiNS0_10empty_typeEEEZZNS1_27merge_sort_block_merge_implIS3_N6thrust23THRUST_200600_302600_NS6detail15normal_iteratorINS9_10device_ptrIiEEEEPS5_jNS1_19radix_merge_compareILb1ELb1EiNS0_19identity_decomposerEEEEE10hipError_tT0_T1_T2_jT3_P12ihipStream_tbPNSt15iterator_traitsISK_E10value_typeEPNSQ_ISL_E10value_typeEPSM_NS1_7vsmem_tEENKUlT_SK_SL_SM_E_clIPiSE_SF_SF_EESJ_SZ_SK_SL_SM_EUlSZ_E1_NS1_11comp_targetILNS1_3genE8ELNS1_11target_archE1030ELNS1_3gpuE2ELNS1_3repE0EEENS1_36merge_oddeven_config_static_selectorELNS0_4arch9wavefront6targetE0EEEvSL_.num_agpr, 0
	.set _ZN7rocprim17ROCPRIM_400000_NS6detail17trampoline_kernelINS0_14default_configENS1_38merge_sort_block_merge_config_selectorIiNS0_10empty_typeEEEZZNS1_27merge_sort_block_merge_implIS3_N6thrust23THRUST_200600_302600_NS6detail15normal_iteratorINS9_10device_ptrIiEEEEPS5_jNS1_19radix_merge_compareILb1ELb1EiNS0_19identity_decomposerEEEEE10hipError_tT0_T1_T2_jT3_P12ihipStream_tbPNSt15iterator_traitsISK_E10value_typeEPNSQ_ISL_E10value_typeEPSM_NS1_7vsmem_tEENKUlT_SK_SL_SM_E_clIPiSE_SF_SF_EESJ_SZ_SK_SL_SM_EUlSZ_E1_NS1_11comp_targetILNS1_3genE8ELNS1_11target_archE1030ELNS1_3gpuE2ELNS1_3repE0EEENS1_36merge_oddeven_config_static_selectorELNS0_4arch9wavefront6targetE0EEEvSL_.numbered_sgpr, 18
	.set _ZN7rocprim17ROCPRIM_400000_NS6detail17trampoline_kernelINS0_14default_configENS1_38merge_sort_block_merge_config_selectorIiNS0_10empty_typeEEEZZNS1_27merge_sort_block_merge_implIS3_N6thrust23THRUST_200600_302600_NS6detail15normal_iteratorINS9_10device_ptrIiEEEEPS5_jNS1_19radix_merge_compareILb1ELb1EiNS0_19identity_decomposerEEEEE10hipError_tT0_T1_T2_jT3_P12ihipStream_tbPNSt15iterator_traitsISK_E10value_typeEPNSQ_ISL_E10value_typeEPSM_NS1_7vsmem_tEENKUlT_SK_SL_SM_E_clIPiSE_SF_SF_EESJ_SZ_SK_SL_SM_EUlSZ_E1_NS1_11comp_targetILNS1_3genE8ELNS1_11target_archE1030ELNS1_3gpuE2ELNS1_3repE0EEENS1_36merge_oddeven_config_static_selectorELNS0_4arch9wavefront6targetE0EEEvSL_.num_named_barrier, 0
	.set _ZN7rocprim17ROCPRIM_400000_NS6detail17trampoline_kernelINS0_14default_configENS1_38merge_sort_block_merge_config_selectorIiNS0_10empty_typeEEEZZNS1_27merge_sort_block_merge_implIS3_N6thrust23THRUST_200600_302600_NS6detail15normal_iteratorINS9_10device_ptrIiEEEEPS5_jNS1_19radix_merge_compareILb1ELb1EiNS0_19identity_decomposerEEEEE10hipError_tT0_T1_T2_jT3_P12ihipStream_tbPNSt15iterator_traitsISK_E10value_typeEPNSQ_ISL_E10value_typeEPSM_NS1_7vsmem_tEENKUlT_SK_SL_SM_E_clIPiSE_SF_SF_EESJ_SZ_SK_SL_SM_EUlSZ_E1_NS1_11comp_targetILNS1_3genE8ELNS1_11target_archE1030ELNS1_3gpuE2ELNS1_3repE0EEENS1_36merge_oddeven_config_static_selectorELNS0_4arch9wavefront6targetE0EEEvSL_.private_seg_size, 0
	.set _ZN7rocprim17ROCPRIM_400000_NS6detail17trampoline_kernelINS0_14default_configENS1_38merge_sort_block_merge_config_selectorIiNS0_10empty_typeEEEZZNS1_27merge_sort_block_merge_implIS3_N6thrust23THRUST_200600_302600_NS6detail15normal_iteratorINS9_10device_ptrIiEEEEPS5_jNS1_19radix_merge_compareILb1ELb1EiNS0_19identity_decomposerEEEEE10hipError_tT0_T1_T2_jT3_P12ihipStream_tbPNSt15iterator_traitsISK_E10value_typeEPNSQ_ISL_E10value_typeEPSM_NS1_7vsmem_tEENKUlT_SK_SL_SM_E_clIPiSE_SF_SF_EESJ_SZ_SK_SL_SM_EUlSZ_E1_NS1_11comp_targetILNS1_3genE8ELNS1_11target_archE1030ELNS1_3gpuE2ELNS1_3repE0EEENS1_36merge_oddeven_config_static_selectorELNS0_4arch9wavefront6targetE0EEEvSL_.uses_vcc, 1
	.set _ZN7rocprim17ROCPRIM_400000_NS6detail17trampoline_kernelINS0_14default_configENS1_38merge_sort_block_merge_config_selectorIiNS0_10empty_typeEEEZZNS1_27merge_sort_block_merge_implIS3_N6thrust23THRUST_200600_302600_NS6detail15normal_iteratorINS9_10device_ptrIiEEEEPS5_jNS1_19radix_merge_compareILb1ELb1EiNS0_19identity_decomposerEEEEE10hipError_tT0_T1_T2_jT3_P12ihipStream_tbPNSt15iterator_traitsISK_E10value_typeEPNSQ_ISL_E10value_typeEPSM_NS1_7vsmem_tEENKUlT_SK_SL_SM_E_clIPiSE_SF_SF_EESJ_SZ_SK_SL_SM_EUlSZ_E1_NS1_11comp_targetILNS1_3genE8ELNS1_11target_archE1030ELNS1_3gpuE2ELNS1_3repE0EEENS1_36merge_oddeven_config_static_selectorELNS0_4arch9wavefront6targetE0EEEvSL_.uses_flat_scratch, 0
	.set _ZN7rocprim17ROCPRIM_400000_NS6detail17trampoline_kernelINS0_14default_configENS1_38merge_sort_block_merge_config_selectorIiNS0_10empty_typeEEEZZNS1_27merge_sort_block_merge_implIS3_N6thrust23THRUST_200600_302600_NS6detail15normal_iteratorINS9_10device_ptrIiEEEEPS5_jNS1_19radix_merge_compareILb1ELb1EiNS0_19identity_decomposerEEEEE10hipError_tT0_T1_T2_jT3_P12ihipStream_tbPNSt15iterator_traitsISK_E10value_typeEPNSQ_ISL_E10value_typeEPSM_NS1_7vsmem_tEENKUlT_SK_SL_SM_E_clIPiSE_SF_SF_EESJ_SZ_SK_SL_SM_EUlSZ_E1_NS1_11comp_targetILNS1_3genE8ELNS1_11target_archE1030ELNS1_3gpuE2ELNS1_3repE0EEENS1_36merge_oddeven_config_static_selectorELNS0_4arch9wavefront6targetE0EEEvSL_.has_dyn_sized_stack, 0
	.set _ZN7rocprim17ROCPRIM_400000_NS6detail17trampoline_kernelINS0_14default_configENS1_38merge_sort_block_merge_config_selectorIiNS0_10empty_typeEEEZZNS1_27merge_sort_block_merge_implIS3_N6thrust23THRUST_200600_302600_NS6detail15normal_iteratorINS9_10device_ptrIiEEEEPS5_jNS1_19radix_merge_compareILb1ELb1EiNS0_19identity_decomposerEEEEE10hipError_tT0_T1_T2_jT3_P12ihipStream_tbPNSt15iterator_traitsISK_E10value_typeEPNSQ_ISL_E10value_typeEPSM_NS1_7vsmem_tEENKUlT_SK_SL_SM_E_clIPiSE_SF_SF_EESJ_SZ_SK_SL_SM_EUlSZ_E1_NS1_11comp_targetILNS1_3genE8ELNS1_11target_archE1030ELNS1_3gpuE2ELNS1_3repE0EEENS1_36merge_oddeven_config_static_selectorELNS0_4arch9wavefront6targetE0EEEvSL_.has_recursion, 0
	.set _ZN7rocprim17ROCPRIM_400000_NS6detail17trampoline_kernelINS0_14default_configENS1_38merge_sort_block_merge_config_selectorIiNS0_10empty_typeEEEZZNS1_27merge_sort_block_merge_implIS3_N6thrust23THRUST_200600_302600_NS6detail15normal_iteratorINS9_10device_ptrIiEEEEPS5_jNS1_19radix_merge_compareILb1ELb1EiNS0_19identity_decomposerEEEEE10hipError_tT0_T1_T2_jT3_P12ihipStream_tbPNSt15iterator_traitsISK_E10value_typeEPNSQ_ISL_E10value_typeEPSM_NS1_7vsmem_tEENKUlT_SK_SL_SM_E_clIPiSE_SF_SF_EESJ_SZ_SK_SL_SM_EUlSZ_E1_NS1_11comp_targetILNS1_3genE8ELNS1_11target_archE1030ELNS1_3gpuE2ELNS1_3repE0EEENS1_36merge_oddeven_config_static_selectorELNS0_4arch9wavefront6targetE0EEEvSL_.has_indirect_call, 0
	.section	.AMDGPU.csdata,"",@progbits
; Kernel info:
; codeLenInByte = 692
; TotalNumSgprs: 20
; NumVgprs: 9
; ScratchSize: 0
; MemoryBound: 0
; FloatMode: 240
; IeeeMode: 1
; LDSByteSize: 0 bytes/workgroup (compile time only)
; SGPRBlocks: 0
; VGPRBlocks: 1
; NumSGPRsForWavesPerEU: 20
; NumVGPRsForWavesPerEU: 9
; Occupancy: 16
; WaveLimiterHint : 0
; COMPUTE_PGM_RSRC2:SCRATCH_EN: 0
; COMPUTE_PGM_RSRC2:USER_SGPR: 6
; COMPUTE_PGM_RSRC2:TRAP_HANDLER: 0
; COMPUTE_PGM_RSRC2:TGID_X_EN: 1
; COMPUTE_PGM_RSRC2:TGID_Y_EN: 0
; COMPUTE_PGM_RSRC2:TGID_Z_EN: 0
; COMPUTE_PGM_RSRC2:TIDIG_COMP_CNT: 0
	.section	.text._ZN7rocprim17ROCPRIM_400000_NS6detail17trampoline_kernelINS0_14default_configENS1_38merge_sort_block_merge_config_selectorIiNS0_10empty_typeEEEZZNS1_27merge_sort_block_merge_implIS3_N6thrust23THRUST_200600_302600_NS6detail15normal_iteratorINS9_10device_ptrIiEEEEPS5_jNS1_19radix_merge_compareILb1ELb1EiNS0_19identity_decomposerEEEEE10hipError_tT0_T1_T2_jT3_P12ihipStream_tbPNSt15iterator_traitsISK_E10value_typeEPNSQ_ISL_E10value_typeEPSM_NS1_7vsmem_tEENKUlT_SK_SL_SM_E_clISE_PiSF_SF_EESJ_SZ_SK_SL_SM_EUlSZ_E_NS1_11comp_targetILNS1_3genE0ELNS1_11target_archE4294967295ELNS1_3gpuE0ELNS1_3repE0EEENS1_48merge_mergepath_partition_config_static_selectorELNS0_4arch9wavefront6targetE0EEEvSL_,"axG",@progbits,_ZN7rocprim17ROCPRIM_400000_NS6detail17trampoline_kernelINS0_14default_configENS1_38merge_sort_block_merge_config_selectorIiNS0_10empty_typeEEEZZNS1_27merge_sort_block_merge_implIS3_N6thrust23THRUST_200600_302600_NS6detail15normal_iteratorINS9_10device_ptrIiEEEEPS5_jNS1_19radix_merge_compareILb1ELb1EiNS0_19identity_decomposerEEEEE10hipError_tT0_T1_T2_jT3_P12ihipStream_tbPNSt15iterator_traitsISK_E10value_typeEPNSQ_ISL_E10value_typeEPSM_NS1_7vsmem_tEENKUlT_SK_SL_SM_E_clISE_PiSF_SF_EESJ_SZ_SK_SL_SM_EUlSZ_E_NS1_11comp_targetILNS1_3genE0ELNS1_11target_archE4294967295ELNS1_3gpuE0ELNS1_3repE0EEENS1_48merge_mergepath_partition_config_static_selectorELNS0_4arch9wavefront6targetE0EEEvSL_,comdat
	.protected	_ZN7rocprim17ROCPRIM_400000_NS6detail17trampoline_kernelINS0_14default_configENS1_38merge_sort_block_merge_config_selectorIiNS0_10empty_typeEEEZZNS1_27merge_sort_block_merge_implIS3_N6thrust23THRUST_200600_302600_NS6detail15normal_iteratorINS9_10device_ptrIiEEEEPS5_jNS1_19radix_merge_compareILb1ELb1EiNS0_19identity_decomposerEEEEE10hipError_tT0_T1_T2_jT3_P12ihipStream_tbPNSt15iterator_traitsISK_E10value_typeEPNSQ_ISL_E10value_typeEPSM_NS1_7vsmem_tEENKUlT_SK_SL_SM_E_clISE_PiSF_SF_EESJ_SZ_SK_SL_SM_EUlSZ_E_NS1_11comp_targetILNS1_3genE0ELNS1_11target_archE4294967295ELNS1_3gpuE0ELNS1_3repE0EEENS1_48merge_mergepath_partition_config_static_selectorELNS0_4arch9wavefront6targetE0EEEvSL_ ; -- Begin function _ZN7rocprim17ROCPRIM_400000_NS6detail17trampoline_kernelINS0_14default_configENS1_38merge_sort_block_merge_config_selectorIiNS0_10empty_typeEEEZZNS1_27merge_sort_block_merge_implIS3_N6thrust23THRUST_200600_302600_NS6detail15normal_iteratorINS9_10device_ptrIiEEEEPS5_jNS1_19radix_merge_compareILb1ELb1EiNS0_19identity_decomposerEEEEE10hipError_tT0_T1_T2_jT3_P12ihipStream_tbPNSt15iterator_traitsISK_E10value_typeEPNSQ_ISL_E10value_typeEPSM_NS1_7vsmem_tEENKUlT_SK_SL_SM_E_clISE_PiSF_SF_EESJ_SZ_SK_SL_SM_EUlSZ_E_NS1_11comp_targetILNS1_3genE0ELNS1_11target_archE4294967295ELNS1_3gpuE0ELNS1_3repE0EEENS1_48merge_mergepath_partition_config_static_selectorELNS0_4arch9wavefront6targetE0EEEvSL_
	.globl	_ZN7rocprim17ROCPRIM_400000_NS6detail17trampoline_kernelINS0_14default_configENS1_38merge_sort_block_merge_config_selectorIiNS0_10empty_typeEEEZZNS1_27merge_sort_block_merge_implIS3_N6thrust23THRUST_200600_302600_NS6detail15normal_iteratorINS9_10device_ptrIiEEEEPS5_jNS1_19radix_merge_compareILb1ELb1EiNS0_19identity_decomposerEEEEE10hipError_tT0_T1_T2_jT3_P12ihipStream_tbPNSt15iterator_traitsISK_E10value_typeEPNSQ_ISL_E10value_typeEPSM_NS1_7vsmem_tEENKUlT_SK_SL_SM_E_clISE_PiSF_SF_EESJ_SZ_SK_SL_SM_EUlSZ_E_NS1_11comp_targetILNS1_3genE0ELNS1_11target_archE4294967295ELNS1_3gpuE0ELNS1_3repE0EEENS1_48merge_mergepath_partition_config_static_selectorELNS0_4arch9wavefront6targetE0EEEvSL_
	.p2align	8
	.type	_ZN7rocprim17ROCPRIM_400000_NS6detail17trampoline_kernelINS0_14default_configENS1_38merge_sort_block_merge_config_selectorIiNS0_10empty_typeEEEZZNS1_27merge_sort_block_merge_implIS3_N6thrust23THRUST_200600_302600_NS6detail15normal_iteratorINS9_10device_ptrIiEEEEPS5_jNS1_19radix_merge_compareILb1ELb1EiNS0_19identity_decomposerEEEEE10hipError_tT0_T1_T2_jT3_P12ihipStream_tbPNSt15iterator_traitsISK_E10value_typeEPNSQ_ISL_E10value_typeEPSM_NS1_7vsmem_tEENKUlT_SK_SL_SM_E_clISE_PiSF_SF_EESJ_SZ_SK_SL_SM_EUlSZ_E_NS1_11comp_targetILNS1_3genE0ELNS1_11target_archE4294967295ELNS1_3gpuE0ELNS1_3repE0EEENS1_48merge_mergepath_partition_config_static_selectorELNS0_4arch9wavefront6targetE0EEEvSL_,@function
_ZN7rocprim17ROCPRIM_400000_NS6detail17trampoline_kernelINS0_14default_configENS1_38merge_sort_block_merge_config_selectorIiNS0_10empty_typeEEEZZNS1_27merge_sort_block_merge_implIS3_N6thrust23THRUST_200600_302600_NS6detail15normal_iteratorINS9_10device_ptrIiEEEEPS5_jNS1_19radix_merge_compareILb1ELb1EiNS0_19identity_decomposerEEEEE10hipError_tT0_T1_T2_jT3_P12ihipStream_tbPNSt15iterator_traitsISK_E10value_typeEPNSQ_ISL_E10value_typeEPSM_NS1_7vsmem_tEENKUlT_SK_SL_SM_E_clISE_PiSF_SF_EESJ_SZ_SK_SL_SM_EUlSZ_E_NS1_11comp_targetILNS1_3genE0ELNS1_11target_archE4294967295ELNS1_3gpuE0ELNS1_3repE0EEENS1_48merge_mergepath_partition_config_static_selectorELNS0_4arch9wavefront6targetE0EEEvSL_: ; @_ZN7rocprim17ROCPRIM_400000_NS6detail17trampoline_kernelINS0_14default_configENS1_38merge_sort_block_merge_config_selectorIiNS0_10empty_typeEEEZZNS1_27merge_sort_block_merge_implIS3_N6thrust23THRUST_200600_302600_NS6detail15normal_iteratorINS9_10device_ptrIiEEEEPS5_jNS1_19radix_merge_compareILb1ELb1EiNS0_19identity_decomposerEEEEE10hipError_tT0_T1_T2_jT3_P12ihipStream_tbPNSt15iterator_traitsISK_E10value_typeEPNSQ_ISL_E10value_typeEPSM_NS1_7vsmem_tEENKUlT_SK_SL_SM_E_clISE_PiSF_SF_EESJ_SZ_SK_SL_SM_EUlSZ_E_NS1_11comp_targetILNS1_3genE0ELNS1_11target_archE4294967295ELNS1_3gpuE0ELNS1_3repE0EEENS1_48merge_mergepath_partition_config_static_selectorELNS0_4arch9wavefront6targetE0EEEvSL_
; %bb.0:
	.section	.rodata,"a",@progbits
	.p2align	6, 0x0
	.amdhsa_kernel _ZN7rocprim17ROCPRIM_400000_NS6detail17trampoline_kernelINS0_14default_configENS1_38merge_sort_block_merge_config_selectorIiNS0_10empty_typeEEEZZNS1_27merge_sort_block_merge_implIS3_N6thrust23THRUST_200600_302600_NS6detail15normal_iteratorINS9_10device_ptrIiEEEEPS5_jNS1_19radix_merge_compareILb1ELb1EiNS0_19identity_decomposerEEEEE10hipError_tT0_T1_T2_jT3_P12ihipStream_tbPNSt15iterator_traitsISK_E10value_typeEPNSQ_ISL_E10value_typeEPSM_NS1_7vsmem_tEENKUlT_SK_SL_SM_E_clISE_PiSF_SF_EESJ_SZ_SK_SL_SM_EUlSZ_E_NS1_11comp_targetILNS1_3genE0ELNS1_11target_archE4294967295ELNS1_3gpuE0ELNS1_3repE0EEENS1_48merge_mergepath_partition_config_static_selectorELNS0_4arch9wavefront6targetE0EEEvSL_
		.amdhsa_group_segment_fixed_size 0
		.amdhsa_private_segment_fixed_size 0
		.amdhsa_kernarg_size 40
		.amdhsa_user_sgpr_count 6
		.amdhsa_user_sgpr_private_segment_buffer 1
		.amdhsa_user_sgpr_dispatch_ptr 0
		.amdhsa_user_sgpr_queue_ptr 0
		.amdhsa_user_sgpr_kernarg_segment_ptr 1
		.amdhsa_user_sgpr_dispatch_id 0
		.amdhsa_user_sgpr_flat_scratch_init 0
		.amdhsa_user_sgpr_private_segment_size 0
		.amdhsa_wavefront_size32 1
		.amdhsa_uses_dynamic_stack 0
		.amdhsa_system_sgpr_private_segment_wavefront_offset 0
		.amdhsa_system_sgpr_workgroup_id_x 1
		.amdhsa_system_sgpr_workgroup_id_y 0
		.amdhsa_system_sgpr_workgroup_id_z 0
		.amdhsa_system_sgpr_workgroup_info 0
		.amdhsa_system_vgpr_workitem_id 0
		.amdhsa_next_free_vgpr 1
		.amdhsa_next_free_sgpr 1
		.amdhsa_reserve_vcc 0
		.amdhsa_reserve_flat_scratch 0
		.amdhsa_float_round_mode_32 0
		.amdhsa_float_round_mode_16_64 0
		.amdhsa_float_denorm_mode_32 3
		.amdhsa_float_denorm_mode_16_64 3
		.amdhsa_dx10_clamp 1
		.amdhsa_ieee_mode 1
		.amdhsa_fp16_overflow 0
		.amdhsa_workgroup_processor_mode 1
		.amdhsa_memory_ordered 1
		.amdhsa_forward_progress 1
		.amdhsa_shared_vgpr_count 0
		.amdhsa_exception_fp_ieee_invalid_op 0
		.amdhsa_exception_fp_denorm_src 0
		.amdhsa_exception_fp_ieee_div_zero 0
		.amdhsa_exception_fp_ieee_overflow 0
		.amdhsa_exception_fp_ieee_underflow 0
		.amdhsa_exception_fp_ieee_inexact 0
		.amdhsa_exception_int_div_zero 0
	.end_amdhsa_kernel
	.section	.text._ZN7rocprim17ROCPRIM_400000_NS6detail17trampoline_kernelINS0_14default_configENS1_38merge_sort_block_merge_config_selectorIiNS0_10empty_typeEEEZZNS1_27merge_sort_block_merge_implIS3_N6thrust23THRUST_200600_302600_NS6detail15normal_iteratorINS9_10device_ptrIiEEEEPS5_jNS1_19radix_merge_compareILb1ELb1EiNS0_19identity_decomposerEEEEE10hipError_tT0_T1_T2_jT3_P12ihipStream_tbPNSt15iterator_traitsISK_E10value_typeEPNSQ_ISL_E10value_typeEPSM_NS1_7vsmem_tEENKUlT_SK_SL_SM_E_clISE_PiSF_SF_EESJ_SZ_SK_SL_SM_EUlSZ_E_NS1_11comp_targetILNS1_3genE0ELNS1_11target_archE4294967295ELNS1_3gpuE0ELNS1_3repE0EEENS1_48merge_mergepath_partition_config_static_selectorELNS0_4arch9wavefront6targetE0EEEvSL_,"axG",@progbits,_ZN7rocprim17ROCPRIM_400000_NS6detail17trampoline_kernelINS0_14default_configENS1_38merge_sort_block_merge_config_selectorIiNS0_10empty_typeEEEZZNS1_27merge_sort_block_merge_implIS3_N6thrust23THRUST_200600_302600_NS6detail15normal_iteratorINS9_10device_ptrIiEEEEPS5_jNS1_19radix_merge_compareILb1ELb1EiNS0_19identity_decomposerEEEEE10hipError_tT0_T1_T2_jT3_P12ihipStream_tbPNSt15iterator_traitsISK_E10value_typeEPNSQ_ISL_E10value_typeEPSM_NS1_7vsmem_tEENKUlT_SK_SL_SM_E_clISE_PiSF_SF_EESJ_SZ_SK_SL_SM_EUlSZ_E_NS1_11comp_targetILNS1_3genE0ELNS1_11target_archE4294967295ELNS1_3gpuE0ELNS1_3repE0EEENS1_48merge_mergepath_partition_config_static_selectorELNS0_4arch9wavefront6targetE0EEEvSL_,comdat
.Lfunc_end294:
	.size	_ZN7rocprim17ROCPRIM_400000_NS6detail17trampoline_kernelINS0_14default_configENS1_38merge_sort_block_merge_config_selectorIiNS0_10empty_typeEEEZZNS1_27merge_sort_block_merge_implIS3_N6thrust23THRUST_200600_302600_NS6detail15normal_iteratorINS9_10device_ptrIiEEEEPS5_jNS1_19radix_merge_compareILb1ELb1EiNS0_19identity_decomposerEEEEE10hipError_tT0_T1_T2_jT3_P12ihipStream_tbPNSt15iterator_traitsISK_E10value_typeEPNSQ_ISL_E10value_typeEPSM_NS1_7vsmem_tEENKUlT_SK_SL_SM_E_clISE_PiSF_SF_EESJ_SZ_SK_SL_SM_EUlSZ_E_NS1_11comp_targetILNS1_3genE0ELNS1_11target_archE4294967295ELNS1_3gpuE0ELNS1_3repE0EEENS1_48merge_mergepath_partition_config_static_selectorELNS0_4arch9wavefront6targetE0EEEvSL_, .Lfunc_end294-_ZN7rocprim17ROCPRIM_400000_NS6detail17trampoline_kernelINS0_14default_configENS1_38merge_sort_block_merge_config_selectorIiNS0_10empty_typeEEEZZNS1_27merge_sort_block_merge_implIS3_N6thrust23THRUST_200600_302600_NS6detail15normal_iteratorINS9_10device_ptrIiEEEEPS5_jNS1_19radix_merge_compareILb1ELb1EiNS0_19identity_decomposerEEEEE10hipError_tT0_T1_T2_jT3_P12ihipStream_tbPNSt15iterator_traitsISK_E10value_typeEPNSQ_ISL_E10value_typeEPSM_NS1_7vsmem_tEENKUlT_SK_SL_SM_E_clISE_PiSF_SF_EESJ_SZ_SK_SL_SM_EUlSZ_E_NS1_11comp_targetILNS1_3genE0ELNS1_11target_archE4294967295ELNS1_3gpuE0ELNS1_3repE0EEENS1_48merge_mergepath_partition_config_static_selectorELNS0_4arch9wavefront6targetE0EEEvSL_
                                        ; -- End function
	.set _ZN7rocprim17ROCPRIM_400000_NS6detail17trampoline_kernelINS0_14default_configENS1_38merge_sort_block_merge_config_selectorIiNS0_10empty_typeEEEZZNS1_27merge_sort_block_merge_implIS3_N6thrust23THRUST_200600_302600_NS6detail15normal_iteratorINS9_10device_ptrIiEEEEPS5_jNS1_19radix_merge_compareILb1ELb1EiNS0_19identity_decomposerEEEEE10hipError_tT0_T1_T2_jT3_P12ihipStream_tbPNSt15iterator_traitsISK_E10value_typeEPNSQ_ISL_E10value_typeEPSM_NS1_7vsmem_tEENKUlT_SK_SL_SM_E_clISE_PiSF_SF_EESJ_SZ_SK_SL_SM_EUlSZ_E_NS1_11comp_targetILNS1_3genE0ELNS1_11target_archE4294967295ELNS1_3gpuE0ELNS1_3repE0EEENS1_48merge_mergepath_partition_config_static_selectorELNS0_4arch9wavefront6targetE0EEEvSL_.num_vgpr, 0
	.set _ZN7rocprim17ROCPRIM_400000_NS6detail17trampoline_kernelINS0_14default_configENS1_38merge_sort_block_merge_config_selectorIiNS0_10empty_typeEEEZZNS1_27merge_sort_block_merge_implIS3_N6thrust23THRUST_200600_302600_NS6detail15normal_iteratorINS9_10device_ptrIiEEEEPS5_jNS1_19radix_merge_compareILb1ELb1EiNS0_19identity_decomposerEEEEE10hipError_tT0_T1_T2_jT3_P12ihipStream_tbPNSt15iterator_traitsISK_E10value_typeEPNSQ_ISL_E10value_typeEPSM_NS1_7vsmem_tEENKUlT_SK_SL_SM_E_clISE_PiSF_SF_EESJ_SZ_SK_SL_SM_EUlSZ_E_NS1_11comp_targetILNS1_3genE0ELNS1_11target_archE4294967295ELNS1_3gpuE0ELNS1_3repE0EEENS1_48merge_mergepath_partition_config_static_selectorELNS0_4arch9wavefront6targetE0EEEvSL_.num_agpr, 0
	.set _ZN7rocprim17ROCPRIM_400000_NS6detail17trampoline_kernelINS0_14default_configENS1_38merge_sort_block_merge_config_selectorIiNS0_10empty_typeEEEZZNS1_27merge_sort_block_merge_implIS3_N6thrust23THRUST_200600_302600_NS6detail15normal_iteratorINS9_10device_ptrIiEEEEPS5_jNS1_19radix_merge_compareILb1ELb1EiNS0_19identity_decomposerEEEEE10hipError_tT0_T1_T2_jT3_P12ihipStream_tbPNSt15iterator_traitsISK_E10value_typeEPNSQ_ISL_E10value_typeEPSM_NS1_7vsmem_tEENKUlT_SK_SL_SM_E_clISE_PiSF_SF_EESJ_SZ_SK_SL_SM_EUlSZ_E_NS1_11comp_targetILNS1_3genE0ELNS1_11target_archE4294967295ELNS1_3gpuE0ELNS1_3repE0EEENS1_48merge_mergepath_partition_config_static_selectorELNS0_4arch9wavefront6targetE0EEEvSL_.numbered_sgpr, 0
	.set _ZN7rocprim17ROCPRIM_400000_NS6detail17trampoline_kernelINS0_14default_configENS1_38merge_sort_block_merge_config_selectorIiNS0_10empty_typeEEEZZNS1_27merge_sort_block_merge_implIS3_N6thrust23THRUST_200600_302600_NS6detail15normal_iteratorINS9_10device_ptrIiEEEEPS5_jNS1_19radix_merge_compareILb1ELb1EiNS0_19identity_decomposerEEEEE10hipError_tT0_T1_T2_jT3_P12ihipStream_tbPNSt15iterator_traitsISK_E10value_typeEPNSQ_ISL_E10value_typeEPSM_NS1_7vsmem_tEENKUlT_SK_SL_SM_E_clISE_PiSF_SF_EESJ_SZ_SK_SL_SM_EUlSZ_E_NS1_11comp_targetILNS1_3genE0ELNS1_11target_archE4294967295ELNS1_3gpuE0ELNS1_3repE0EEENS1_48merge_mergepath_partition_config_static_selectorELNS0_4arch9wavefront6targetE0EEEvSL_.num_named_barrier, 0
	.set _ZN7rocprim17ROCPRIM_400000_NS6detail17trampoline_kernelINS0_14default_configENS1_38merge_sort_block_merge_config_selectorIiNS0_10empty_typeEEEZZNS1_27merge_sort_block_merge_implIS3_N6thrust23THRUST_200600_302600_NS6detail15normal_iteratorINS9_10device_ptrIiEEEEPS5_jNS1_19radix_merge_compareILb1ELb1EiNS0_19identity_decomposerEEEEE10hipError_tT0_T1_T2_jT3_P12ihipStream_tbPNSt15iterator_traitsISK_E10value_typeEPNSQ_ISL_E10value_typeEPSM_NS1_7vsmem_tEENKUlT_SK_SL_SM_E_clISE_PiSF_SF_EESJ_SZ_SK_SL_SM_EUlSZ_E_NS1_11comp_targetILNS1_3genE0ELNS1_11target_archE4294967295ELNS1_3gpuE0ELNS1_3repE0EEENS1_48merge_mergepath_partition_config_static_selectorELNS0_4arch9wavefront6targetE0EEEvSL_.private_seg_size, 0
	.set _ZN7rocprim17ROCPRIM_400000_NS6detail17trampoline_kernelINS0_14default_configENS1_38merge_sort_block_merge_config_selectorIiNS0_10empty_typeEEEZZNS1_27merge_sort_block_merge_implIS3_N6thrust23THRUST_200600_302600_NS6detail15normal_iteratorINS9_10device_ptrIiEEEEPS5_jNS1_19radix_merge_compareILb1ELb1EiNS0_19identity_decomposerEEEEE10hipError_tT0_T1_T2_jT3_P12ihipStream_tbPNSt15iterator_traitsISK_E10value_typeEPNSQ_ISL_E10value_typeEPSM_NS1_7vsmem_tEENKUlT_SK_SL_SM_E_clISE_PiSF_SF_EESJ_SZ_SK_SL_SM_EUlSZ_E_NS1_11comp_targetILNS1_3genE0ELNS1_11target_archE4294967295ELNS1_3gpuE0ELNS1_3repE0EEENS1_48merge_mergepath_partition_config_static_selectorELNS0_4arch9wavefront6targetE0EEEvSL_.uses_vcc, 0
	.set _ZN7rocprim17ROCPRIM_400000_NS6detail17trampoline_kernelINS0_14default_configENS1_38merge_sort_block_merge_config_selectorIiNS0_10empty_typeEEEZZNS1_27merge_sort_block_merge_implIS3_N6thrust23THRUST_200600_302600_NS6detail15normal_iteratorINS9_10device_ptrIiEEEEPS5_jNS1_19radix_merge_compareILb1ELb1EiNS0_19identity_decomposerEEEEE10hipError_tT0_T1_T2_jT3_P12ihipStream_tbPNSt15iterator_traitsISK_E10value_typeEPNSQ_ISL_E10value_typeEPSM_NS1_7vsmem_tEENKUlT_SK_SL_SM_E_clISE_PiSF_SF_EESJ_SZ_SK_SL_SM_EUlSZ_E_NS1_11comp_targetILNS1_3genE0ELNS1_11target_archE4294967295ELNS1_3gpuE0ELNS1_3repE0EEENS1_48merge_mergepath_partition_config_static_selectorELNS0_4arch9wavefront6targetE0EEEvSL_.uses_flat_scratch, 0
	.set _ZN7rocprim17ROCPRIM_400000_NS6detail17trampoline_kernelINS0_14default_configENS1_38merge_sort_block_merge_config_selectorIiNS0_10empty_typeEEEZZNS1_27merge_sort_block_merge_implIS3_N6thrust23THRUST_200600_302600_NS6detail15normal_iteratorINS9_10device_ptrIiEEEEPS5_jNS1_19radix_merge_compareILb1ELb1EiNS0_19identity_decomposerEEEEE10hipError_tT0_T1_T2_jT3_P12ihipStream_tbPNSt15iterator_traitsISK_E10value_typeEPNSQ_ISL_E10value_typeEPSM_NS1_7vsmem_tEENKUlT_SK_SL_SM_E_clISE_PiSF_SF_EESJ_SZ_SK_SL_SM_EUlSZ_E_NS1_11comp_targetILNS1_3genE0ELNS1_11target_archE4294967295ELNS1_3gpuE0ELNS1_3repE0EEENS1_48merge_mergepath_partition_config_static_selectorELNS0_4arch9wavefront6targetE0EEEvSL_.has_dyn_sized_stack, 0
	.set _ZN7rocprim17ROCPRIM_400000_NS6detail17trampoline_kernelINS0_14default_configENS1_38merge_sort_block_merge_config_selectorIiNS0_10empty_typeEEEZZNS1_27merge_sort_block_merge_implIS3_N6thrust23THRUST_200600_302600_NS6detail15normal_iteratorINS9_10device_ptrIiEEEEPS5_jNS1_19radix_merge_compareILb1ELb1EiNS0_19identity_decomposerEEEEE10hipError_tT0_T1_T2_jT3_P12ihipStream_tbPNSt15iterator_traitsISK_E10value_typeEPNSQ_ISL_E10value_typeEPSM_NS1_7vsmem_tEENKUlT_SK_SL_SM_E_clISE_PiSF_SF_EESJ_SZ_SK_SL_SM_EUlSZ_E_NS1_11comp_targetILNS1_3genE0ELNS1_11target_archE4294967295ELNS1_3gpuE0ELNS1_3repE0EEENS1_48merge_mergepath_partition_config_static_selectorELNS0_4arch9wavefront6targetE0EEEvSL_.has_recursion, 0
	.set _ZN7rocprim17ROCPRIM_400000_NS6detail17trampoline_kernelINS0_14default_configENS1_38merge_sort_block_merge_config_selectorIiNS0_10empty_typeEEEZZNS1_27merge_sort_block_merge_implIS3_N6thrust23THRUST_200600_302600_NS6detail15normal_iteratorINS9_10device_ptrIiEEEEPS5_jNS1_19radix_merge_compareILb1ELb1EiNS0_19identity_decomposerEEEEE10hipError_tT0_T1_T2_jT3_P12ihipStream_tbPNSt15iterator_traitsISK_E10value_typeEPNSQ_ISL_E10value_typeEPSM_NS1_7vsmem_tEENKUlT_SK_SL_SM_E_clISE_PiSF_SF_EESJ_SZ_SK_SL_SM_EUlSZ_E_NS1_11comp_targetILNS1_3genE0ELNS1_11target_archE4294967295ELNS1_3gpuE0ELNS1_3repE0EEENS1_48merge_mergepath_partition_config_static_selectorELNS0_4arch9wavefront6targetE0EEEvSL_.has_indirect_call, 0
	.section	.AMDGPU.csdata,"",@progbits
; Kernel info:
; codeLenInByte = 0
; TotalNumSgprs: 0
; NumVgprs: 0
; ScratchSize: 0
; MemoryBound: 0
; FloatMode: 240
; IeeeMode: 1
; LDSByteSize: 0 bytes/workgroup (compile time only)
; SGPRBlocks: 0
; VGPRBlocks: 0
; NumSGPRsForWavesPerEU: 1
; NumVGPRsForWavesPerEU: 1
; Occupancy: 16
; WaveLimiterHint : 0
; COMPUTE_PGM_RSRC2:SCRATCH_EN: 0
; COMPUTE_PGM_RSRC2:USER_SGPR: 6
; COMPUTE_PGM_RSRC2:TRAP_HANDLER: 0
; COMPUTE_PGM_RSRC2:TGID_X_EN: 1
; COMPUTE_PGM_RSRC2:TGID_Y_EN: 0
; COMPUTE_PGM_RSRC2:TGID_Z_EN: 0
; COMPUTE_PGM_RSRC2:TIDIG_COMP_CNT: 0
	.section	.text._ZN7rocprim17ROCPRIM_400000_NS6detail17trampoline_kernelINS0_14default_configENS1_38merge_sort_block_merge_config_selectorIiNS0_10empty_typeEEEZZNS1_27merge_sort_block_merge_implIS3_N6thrust23THRUST_200600_302600_NS6detail15normal_iteratorINS9_10device_ptrIiEEEEPS5_jNS1_19radix_merge_compareILb1ELb1EiNS0_19identity_decomposerEEEEE10hipError_tT0_T1_T2_jT3_P12ihipStream_tbPNSt15iterator_traitsISK_E10value_typeEPNSQ_ISL_E10value_typeEPSM_NS1_7vsmem_tEENKUlT_SK_SL_SM_E_clISE_PiSF_SF_EESJ_SZ_SK_SL_SM_EUlSZ_E_NS1_11comp_targetILNS1_3genE10ELNS1_11target_archE1201ELNS1_3gpuE5ELNS1_3repE0EEENS1_48merge_mergepath_partition_config_static_selectorELNS0_4arch9wavefront6targetE0EEEvSL_,"axG",@progbits,_ZN7rocprim17ROCPRIM_400000_NS6detail17trampoline_kernelINS0_14default_configENS1_38merge_sort_block_merge_config_selectorIiNS0_10empty_typeEEEZZNS1_27merge_sort_block_merge_implIS3_N6thrust23THRUST_200600_302600_NS6detail15normal_iteratorINS9_10device_ptrIiEEEEPS5_jNS1_19radix_merge_compareILb1ELb1EiNS0_19identity_decomposerEEEEE10hipError_tT0_T1_T2_jT3_P12ihipStream_tbPNSt15iterator_traitsISK_E10value_typeEPNSQ_ISL_E10value_typeEPSM_NS1_7vsmem_tEENKUlT_SK_SL_SM_E_clISE_PiSF_SF_EESJ_SZ_SK_SL_SM_EUlSZ_E_NS1_11comp_targetILNS1_3genE10ELNS1_11target_archE1201ELNS1_3gpuE5ELNS1_3repE0EEENS1_48merge_mergepath_partition_config_static_selectorELNS0_4arch9wavefront6targetE0EEEvSL_,comdat
	.protected	_ZN7rocprim17ROCPRIM_400000_NS6detail17trampoline_kernelINS0_14default_configENS1_38merge_sort_block_merge_config_selectorIiNS0_10empty_typeEEEZZNS1_27merge_sort_block_merge_implIS3_N6thrust23THRUST_200600_302600_NS6detail15normal_iteratorINS9_10device_ptrIiEEEEPS5_jNS1_19radix_merge_compareILb1ELb1EiNS0_19identity_decomposerEEEEE10hipError_tT0_T1_T2_jT3_P12ihipStream_tbPNSt15iterator_traitsISK_E10value_typeEPNSQ_ISL_E10value_typeEPSM_NS1_7vsmem_tEENKUlT_SK_SL_SM_E_clISE_PiSF_SF_EESJ_SZ_SK_SL_SM_EUlSZ_E_NS1_11comp_targetILNS1_3genE10ELNS1_11target_archE1201ELNS1_3gpuE5ELNS1_3repE0EEENS1_48merge_mergepath_partition_config_static_selectorELNS0_4arch9wavefront6targetE0EEEvSL_ ; -- Begin function _ZN7rocprim17ROCPRIM_400000_NS6detail17trampoline_kernelINS0_14default_configENS1_38merge_sort_block_merge_config_selectorIiNS0_10empty_typeEEEZZNS1_27merge_sort_block_merge_implIS3_N6thrust23THRUST_200600_302600_NS6detail15normal_iteratorINS9_10device_ptrIiEEEEPS5_jNS1_19radix_merge_compareILb1ELb1EiNS0_19identity_decomposerEEEEE10hipError_tT0_T1_T2_jT3_P12ihipStream_tbPNSt15iterator_traitsISK_E10value_typeEPNSQ_ISL_E10value_typeEPSM_NS1_7vsmem_tEENKUlT_SK_SL_SM_E_clISE_PiSF_SF_EESJ_SZ_SK_SL_SM_EUlSZ_E_NS1_11comp_targetILNS1_3genE10ELNS1_11target_archE1201ELNS1_3gpuE5ELNS1_3repE0EEENS1_48merge_mergepath_partition_config_static_selectorELNS0_4arch9wavefront6targetE0EEEvSL_
	.globl	_ZN7rocprim17ROCPRIM_400000_NS6detail17trampoline_kernelINS0_14default_configENS1_38merge_sort_block_merge_config_selectorIiNS0_10empty_typeEEEZZNS1_27merge_sort_block_merge_implIS3_N6thrust23THRUST_200600_302600_NS6detail15normal_iteratorINS9_10device_ptrIiEEEEPS5_jNS1_19radix_merge_compareILb1ELb1EiNS0_19identity_decomposerEEEEE10hipError_tT0_T1_T2_jT3_P12ihipStream_tbPNSt15iterator_traitsISK_E10value_typeEPNSQ_ISL_E10value_typeEPSM_NS1_7vsmem_tEENKUlT_SK_SL_SM_E_clISE_PiSF_SF_EESJ_SZ_SK_SL_SM_EUlSZ_E_NS1_11comp_targetILNS1_3genE10ELNS1_11target_archE1201ELNS1_3gpuE5ELNS1_3repE0EEENS1_48merge_mergepath_partition_config_static_selectorELNS0_4arch9wavefront6targetE0EEEvSL_
	.p2align	8
	.type	_ZN7rocprim17ROCPRIM_400000_NS6detail17trampoline_kernelINS0_14default_configENS1_38merge_sort_block_merge_config_selectorIiNS0_10empty_typeEEEZZNS1_27merge_sort_block_merge_implIS3_N6thrust23THRUST_200600_302600_NS6detail15normal_iteratorINS9_10device_ptrIiEEEEPS5_jNS1_19radix_merge_compareILb1ELb1EiNS0_19identity_decomposerEEEEE10hipError_tT0_T1_T2_jT3_P12ihipStream_tbPNSt15iterator_traitsISK_E10value_typeEPNSQ_ISL_E10value_typeEPSM_NS1_7vsmem_tEENKUlT_SK_SL_SM_E_clISE_PiSF_SF_EESJ_SZ_SK_SL_SM_EUlSZ_E_NS1_11comp_targetILNS1_3genE10ELNS1_11target_archE1201ELNS1_3gpuE5ELNS1_3repE0EEENS1_48merge_mergepath_partition_config_static_selectorELNS0_4arch9wavefront6targetE0EEEvSL_,@function
_ZN7rocprim17ROCPRIM_400000_NS6detail17trampoline_kernelINS0_14default_configENS1_38merge_sort_block_merge_config_selectorIiNS0_10empty_typeEEEZZNS1_27merge_sort_block_merge_implIS3_N6thrust23THRUST_200600_302600_NS6detail15normal_iteratorINS9_10device_ptrIiEEEEPS5_jNS1_19radix_merge_compareILb1ELb1EiNS0_19identity_decomposerEEEEE10hipError_tT0_T1_T2_jT3_P12ihipStream_tbPNSt15iterator_traitsISK_E10value_typeEPNSQ_ISL_E10value_typeEPSM_NS1_7vsmem_tEENKUlT_SK_SL_SM_E_clISE_PiSF_SF_EESJ_SZ_SK_SL_SM_EUlSZ_E_NS1_11comp_targetILNS1_3genE10ELNS1_11target_archE1201ELNS1_3gpuE5ELNS1_3repE0EEENS1_48merge_mergepath_partition_config_static_selectorELNS0_4arch9wavefront6targetE0EEEvSL_: ; @_ZN7rocprim17ROCPRIM_400000_NS6detail17trampoline_kernelINS0_14default_configENS1_38merge_sort_block_merge_config_selectorIiNS0_10empty_typeEEEZZNS1_27merge_sort_block_merge_implIS3_N6thrust23THRUST_200600_302600_NS6detail15normal_iteratorINS9_10device_ptrIiEEEEPS5_jNS1_19radix_merge_compareILb1ELb1EiNS0_19identity_decomposerEEEEE10hipError_tT0_T1_T2_jT3_P12ihipStream_tbPNSt15iterator_traitsISK_E10value_typeEPNSQ_ISL_E10value_typeEPSM_NS1_7vsmem_tEENKUlT_SK_SL_SM_E_clISE_PiSF_SF_EESJ_SZ_SK_SL_SM_EUlSZ_E_NS1_11comp_targetILNS1_3genE10ELNS1_11target_archE1201ELNS1_3gpuE5ELNS1_3repE0EEENS1_48merge_mergepath_partition_config_static_selectorELNS0_4arch9wavefront6targetE0EEEvSL_
; %bb.0:
	.section	.rodata,"a",@progbits
	.p2align	6, 0x0
	.amdhsa_kernel _ZN7rocprim17ROCPRIM_400000_NS6detail17trampoline_kernelINS0_14default_configENS1_38merge_sort_block_merge_config_selectorIiNS0_10empty_typeEEEZZNS1_27merge_sort_block_merge_implIS3_N6thrust23THRUST_200600_302600_NS6detail15normal_iteratorINS9_10device_ptrIiEEEEPS5_jNS1_19radix_merge_compareILb1ELb1EiNS0_19identity_decomposerEEEEE10hipError_tT0_T1_T2_jT3_P12ihipStream_tbPNSt15iterator_traitsISK_E10value_typeEPNSQ_ISL_E10value_typeEPSM_NS1_7vsmem_tEENKUlT_SK_SL_SM_E_clISE_PiSF_SF_EESJ_SZ_SK_SL_SM_EUlSZ_E_NS1_11comp_targetILNS1_3genE10ELNS1_11target_archE1201ELNS1_3gpuE5ELNS1_3repE0EEENS1_48merge_mergepath_partition_config_static_selectorELNS0_4arch9wavefront6targetE0EEEvSL_
		.amdhsa_group_segment_fixed_size 0
		.amdhsa_private_segment_fixed_size 0
		.amdhsa_kernarg_size 40
		.amdhsa_user_sgpr_count 6
		.amdhsa_user_sgpr_private_segment_buffer 1
		.amdhsa_user_sgpr_dispatch_ptr 0
		.amdhsa_user_sgpr_queue_ptr 0
		.amdhsa_user_sgpr_kernarg_segment_ptr 1
		.amdhsa_user_sgpr_dispatch_id 0
		.amdhsa_user_sgpr_flat_scratch_init 0
		.amdhsa_user_sgpr_private_segment_size 0
		.amdhsa_wavefront_size32 1
		.amdhsa_uses_dynamic_stack 0
		.amdhsa_system_sgpr_private_segment_wavefront_offset 0
		.amdhsa_system_sgpr_workgroup_id_x 1
		.amdhsa_system_sgpr_workgroup_id_y 0
		.amdhsa_system_sgpr_workgroup_id_z 0
		.amdhsa_system_sgpr_workgroup_info 0
		.amdhsa_system_vgpr_workitem_id 0
		.amdhsa_next_free_vgpr 1
		.amdhsa_next_free_sgpr 1
		.amdhsa_reserve_vcc 0
		.amdhsa_reserve_flat_scratch 0
		.amdhsa_float_round_mode_32 0
		.amdhsa_float_round_mode_16_64 0
		.amdhsa_float_denorm_mode_32 3
		.amdhsa_float_denorm_mode_16_64 3
		.amdhsa_dx10_clamp 1
		.amdhsa_ieee_mode 1
		.amdhsa_fp16_overflow 0
		.amdhsa_workgroup_processor_mode 1
		.amdhsa_memory_ordered 1
		.amdhsa_forward_progress 1
		.amdhsa_shared_vgpr_count 0
		.amdhsa_exception_fp_ieee_invalid_op 0
		.amdhsa_exception_fp_denorm_src 0
		.amdhsa_exception_fp_ieee_div_zero 0
		.amdhsa_exception_fp_ieee_overflow 0
		.amdhsa_exception_fp_ieee_underflow 0
		.amdhsa_exception_fp_ieee_inexact 0
		.amdhsa_exception_int_div_zero 0
	.end_amdhsa_kernel
	.section	.text._ZN7rocprim17ROCPRIM_400000_NS6detail17trampoline_kernelINS0_14default_configENS1_38merge_sort_block_merge_config_selectorIiNS0_10empty_typeEEEZZNS1_27merge_sort_block_merge_implIS3_N6thrust23THRUST_200600_302600_NS6detail15normal_iteratorINS9_10device_ptrIiEEEEPS5_jNS1_19radix_merge_compareILb1ELb1EiNS0_19identity_decomposerEEEEE10hipError_tT0_T1_T2_jT3_P12ihipStream_tbPNSt15iterator_traitsISK_E10value_typeEPNSQ_ISL_E10value_typeEPSM_NS1_7vsmem_tEENKUlT_SK_SL_SM_E_clISE_PiSF_SF_EESJ_SZ_SK_SL_SM_EUlSZ_E_NS1_11comp_targetILNS1_3genE10ELNS1_11target_archE1201ELNS1_3gpuE5ELNS1_3repE0EEENS1_48merge_mergepath_partition_config_static_selectorELNS0_4arch9wavefront6targetE0EEEvSL_,"axG",@progbits,_ZN7rocprim17ROCPRIM_400000_NS6detail17trampoline_kernelINS0_14default_configENS1_38merge_sort_block_merge_config_selectorIiNS0_10empty_typeEEEZZNS1_27merge_sort_block_merge_implIS3_N6thrust23THRUST_200600_302600_NS6detail15normal_iteratorINS9_10device_ptrIiEEEEPS5_jNS1_19radix_merge_compareILb1ELb1EiNS0_19identity_decomposerEEEEE10hipError_tT0_T1_T2_jT3_P12ihipStream_tbPNSt15iterator_traitsISK_E10value_typeEPNSQ_ISL_E10value_typeEPSM_NS1_7vsmem_tEENKUlT_SK_SL_SM_E_clISE_PiSF_SF_EESJ_SZ_SK_SL_SM_EUlSZ_E_NS1_11comp_targetILNS1_3genE10ELNS1_11target_archE1201ELNS1_3gpuE5ELNS1_3repE0EEENS1_48merge_mergepath_partition_config_static_selectorELNS0_4arch9wavefront6targetE0EEEvSL_,comdat
.Lfunc_end295:
	.size	_ZN7rocprim17ROCPRIM_400000_NS6detail17trampoline_kernelINS0_14default_configENS1_38merge_sort_block_merge_config_selectorIiNS0_10empty_typeEEEZZNS1_27merge_sort_block_merge_implIS3_N6thrust23THRUST_200600_302600_NS6detail15normal_iteratorINS9_10device_ptrIiEEEEPS5_jNS1_19radix_merge_compareILb1ELb1EiNS0_19identity_decomposerEEEEE10hipError_tT0_T1_T2_jT3_P12ihipStream_tbPNSt15iterator_traitsISK_E10value_typeEPNSQ_ISL_E10value_typeEPSM_NS1_7vsmem_tEENKUlT_SK_SL_SM_E_clISE_PiSF_SF_EESJ_SZ_SK_SL_SM_EUlSZ_E_NS1_11comp_targetILNS1_3genE10ELNS1_11target_archE1201ELNS1_3gpuE5ELNS1_3repE0EEENS1_48merge_mergepath_partition_config_static_selectorELNS0_4arch9wavefront6targetE0EEEvSL_, .Lfunc_end295-_ZN7rocprim17ROCPRIM_400000_NS6detail17trampoline_kernelINS0_14default_configENS1_38merge_sort_block_merge_config_selectorIiNS0_10empty_typeEEEZZNS1_27merge_sort_block_merge_implIS3_N6thrust23THRUST_200600_302600_NS6detail15normal_iteratorINS9_10device_ptrIiEEEEPS5_jNS1_19radix_merge_compareILb1ELb1EiNS0_19identity_decomposerEEEEE10hipError_tT0_T1_T2_jT3_P12ihipStream_tbPNSt15iterator_traitsISK_E10value_typeEPNSQ_ISL_E10value_typeEPSM_NS1_7vsmem_tEENKUlT_SK_SL_SM_E_clISE_PiSF_SF_EESJ_SZ_SK_SL_SM_EUlSZ_E_NS1_11comp_targetILNS1_3genE10ELNS1_11target_archE1201ELNS1_3gpuE5ELNS1_3repE0EEENS1_48merge_mergepath_partition_config_static_selectorELNS0_4arch9wavefront6targetE0EEEvSL_
                                        ; -- End function
	.set _ZN7rocprim17ROCPRIM_400000_NS6detail17trampoline_kernelINS0_14default_configENS1_38merge_sort_block_merge_config_selectorIiNS0_10empty_typeEEEZZNS1_27merge_sort_block_merge_implIS3_N6thrust23THRUST_200600_302600_NS6detail15normal_iteratorINS9_10device_ptrIiEEEEPS5_jNS1_19radix_merge_compareILb1ELb1EiNS0_19identity_decomposerEEEEE10hipError_tT0_T1_T2_jT3_P12ihipStream_tbPNSt15iterator_traitsISK_E10value_typeEPNSQ_ISL_E10value_typeEPSM_NS1_7vsmem_tEENKUlT_SK_SL_SM_E_clISE_PiSF_SF_EESJ_SZ_SK_SL_SM_EUlSZ_E_NS1_11comp_targetILNS1_3genE10ELNS1_11target_archE1201ELNS1_3gpuE5ELNS1_3repE0EEENS1_48merge_mergepath_partition_config_static_selectorELNS0_4arch9wavefront6targetE0EEEvSL_.num_vgpr, 0
	.set _ZN7rocprim17ROCPRIM_400000_NS6detail17trampoline_kernelINS0_14default_configENS1_38merge_sort_block_merge_config_selectorIiNS0_10empty_typeEEEZZNS1_27merge_sort_block_merge_implIS3_N6thrust23THRUST_200600_302600_NS6detail15normal_iteratorINS9_10device_ptrIiEEEEPS5_jNS1_19radix_merge_compareILb1ELb1EiNS0_19identity_decomposerEEEEE10hipError_tT0_T1_T2_jT3_P12ihipStream_tbPNSt15iterator_traitsISK_E10value_typeEPNSQ_ISL_E10value_typeEPSM_NS1_7vsmem_tEENKUlT_SK_SL_SM_E_clISE_PiSF_SF_EESJ_SZ_SK_SL_SM_EUlSZ_E_NS1_11comp_targetILNS1_3genE10ELNS1_11target_archE1201ELNS1_3gpuE5ELNS1_3repE0EEENS1_48merge_mergepath_partition_config_static_selectorELNS0_4arch9wavefront6targetE0EEEvSL_.num_agpr, 0
	.set _ZN7rocprim17ROCPRIM_400000_NS6detail17trampoline_kernelINS0_14default_configENS1_38merge_sort_block_merge_config_selectorIiNS0_10empty_typeEEEZZNS1_27merge_sort_block_merge_implIS3_N6thrust23THRUST_200600_302600_NS6detail15normal_iteratorINS9_10device_ptrIiEEEEPS5_jNS1_19radix_merge_compareILb1ELb1EiNS0_19identity_decomposerEEEEE10hipError_tT0_T1_T2_jT3_P12ihipStream_tbPNSt15iterator_traitsISK_E10value_typeEPNSQ_ISL_E10value_typeEPSM_NS1_7vsmem_tEENKUlT_SK_SL_SM_E_clISE_PiSF_SF_EESJ_SZ_SK_SL_SM_EUlSZ_E_NS1_11comp_targetILNS1_3genE10ELNS1_11target_archE1201ELNS1_3gpuE5ELNS1_3repE0EEENS1_48merge_mergepath_partition_config_static_selectorELNS0_4arch9wavefront6targetE0EEEvSL_.numbered_sgpr, 0
	.set _ZN7rocprim17ROCPRIM_400000_NS6detail17trampoline_kernelINS0_14default_configENS1_38merge_sort_block_merge_config_selectorIiNS0_10empty_typeEEEZZNS1_27merge_sort_block_merge_implIS3_N6thrust23THRUST_200600_302600_NS6detail15normal_iteratorINS9_10device_ptrIiEEEEPS5_jNS1_19radix_merge_compareILb1ELb1EiNS0_19identity_decomposerEEEEE10hipError_tT0_T1_T2_jT3_P12ihipStream_tbPNSt15iterator_traitsISK_E10value_typeEPNSQ_ISL_E10value_typeEPSM_NS1_7vsmem_tEENKUlT_SK_SL_SM_E_clISE_PiSF_SF_EESJ_SZ_SK_SL_SM_EUlSZ_E_NS1_11comp_targetILNS1_3genE10ELNS1_11target_archE1201ELNS1_3gpuE5ELNS1_3repE0EEENS1_48merge_mergepath_partition_config_static_selectorELNS0_4arch9wavefront6targetE0EEEvSL_.num_named_barrier, 0
	.set _ZN7rocprim17ROCPRIM_400000_NS6detail17trampoline_kernelINS0_14default_configENS1_38merge_sort_block_merge_config_selectorIiNS0_10empty_typeEEEZZNS1_27merge_sort_block_merge_implIS3_N6thrust23THRUST_200600_302600_NS6detail15normal_iteratorINS9_10device_ptrIiEEEEPS5_jNS1_19radix_merge_compareILb1ELb1EiNS0_19identity_decomposerEEEEE10hipError_tT0_T1_T2_jT3_P12ihipStream_tbPNSt15iterator_traitsISK_E10value_typeEPNSQ_ISL_E10value_typeEPSM_NS1_7vsmem_tEENKUlT_SK_SL_SM_E_clISE_PiSF_SF_EESJ_SZ_SK_SL_SM_EUlSZ_E_NS1_11comp_targetILNS1_3genE10ELNS1_11target_archE1201ELNS1_3gpuE5ELNS1_3repE0EEENS1_48merge_mergepath_partition_config_static_selectorELNS0_4arch9wavefront6targetE0EEEvSL_.private_seg_size, 0
	.set _ZN7rocprim17ROCPRIM_400000_NS6detail17trampoline_kernelINS0_14default_configENS1_38merge_sort_block_merge_config_selectorIiNS0_10empty_typeEEEZZNS1_27merge_sort_block_merge_implIS3_N6thrust23THRUST_200600_302600_NS6detail15normal_iteratorINS9_10device_ptrIiEEEEPS5_jNS1_19radix_merge_compareILb1ELb1EiNS0_19identity_decomposerEEEEE10hipError_tT0_T1_T2_jT3_P12ihipStream_tbPNSt15iterator_traitsISK_E10value_typeEPNSQ_ISL_E10value_typeEPSM_NS1_7vsmem_tEENKUlT_SK_SL_SM_E_clISE_PiSF_SF_EESJ_SZ_SK_SL_SM_EUlSZ_E_NS1_11comp_targetILNS1_3genE10ELNS1_11target_archE1201ELNS1_3gpuE5ELNS1_3repE0EEENS1_48merge_mergepath_partition_config_static_selectorELNS0_4arch9wavefront6targetE0EEEvSL_.uses_vcc, 0
	.set _ZN7rocprim17ROCPRIM_400000_NS6detail17trampoline_kernelINS0_14default_configENS1_38merge_sort_block_merge_config_selectorIiNS0_10empty_typeEEEZZNS1_27merge_sort_block_merge_implIS3_N6thrust23THRUST_200600_302600_NS6detail15normal_iteratorINS9_10device_ptrIiEEEEPS5_jNS1_19radix_merge_compareILb1ELb1EiNS0_19identity_decomposerEEEEE10hipError_tT0_T1_T2_jT3_P12ihipStream_tbPNSt15iterator_traitsISK_E10value_typeEPNSQ_ISL_E10value_typeEPSM_NS1_7vsmem_tEENKUlT_SK_SL_SM_E_clISE_PiSF_SF_EESJ_SZ_SK_SL_SM_EUlSZ_E_NS1_11comp_targetILNS1_3genE10ELNS1_11target_archE1201ELNS1_3gpuE5ELNS1_3repE0EEENS1_48merge_mergepath_partition_config_static_selectorELNS0_4arch9wavefront6targetE0EEEvSL_.uses_flat_scratch, 0
	.set _ZN7rocprim17ROCPRIM_400000_NS6detail17trampoline_kernelINS0_14default_configENS1_38merge_sort_block_merge_config_selectorIiNS0_10empty_typeEEEZZNS1_27merge_sort_block_merge_implIS3_N6thrust23THRUST_200600_302600_NS6detail15normal_iteratorINS9_10device_ptrIiEEEEPS5_jNS1_19radix_merge_compareILb1ELb1EiNS0_19identity_decomposerEEEEE10hipError_tT0_T1_T2_jT3_P12ihipStream_tbPNSt15iterator_traitsISK_E10value_typeEPNSQ_ISL_E10value_typeEPSM_NS1_7vsmem_tEENKUlT_SK_SL_SM_E_clISE_PiSF_SF_EESJ_SZ_SK_SL_SM_EUlSZ_E_NS1_11comp_targetILNS1_3genE10ELNS1_11target_archE1201ELNS1_3gpuE5ELNS1_3repE0EEENS1_48merge_mergepath_partition_config_static_selectorELNS0_4arch9wavefront6targetE0EEEvSL_.has_dyn_sized_stack, 0
	.set _ZN7rocprim17ROCPRIM_400000_NS6detail17trampoline_kernelINS0_14default_configENS1_38merge_sort_block_merge_config_selectorIiNS0_10empty_typeEEEZZNS1_27merge_sort_block_merge_implIS3_N6thrust23THRUST_200600_302600_NS6detail15normal_iteratorINS9_10device_ptrIiEEEEPS5_jNS1_19radix_merge_compareILb1ELb1EiNS0_19identity_decomposerEEEEE10hipError_tT0_T1_T2_jT3_P12ihipStream_tbPNSt15iterator_traitsISK_E10value_typeEPNSQ_ISL_E10value_typeEPSM_NS1_7vsmem_tEENKUlT_SK_SL_SM_E_clISE_PiSF_SF_EESJ_SZ_SK_SL_SM_EUlSZ_E_NS1_11comp_targetILNS1_3genE10ELNS1_11target_archE1201ELNS1_3gpuE5ELNS1_3repE0EEENS1_48merge_mergepath_partition_config_static_selectorELNS0_4arch9wavefront6targetE0EEEvSL_.has_recursion, 0
	.set _ZN7rocprim17ROCPRIM_400000_NS6detail17trampoline_kernelINS0_14default_configENS1_38merge_sort_block_merge_config_selectorIiNS0_10empty_typeEEEZZNS1_27merge_sort_block_merge_implIS3_N6thrust23THRUST_200600_302600_NS6detail15normal_iteratorINS9_10device_ptrIiEEEEPS5_jNS1_19radix_merge_compareILb1ELb1EiNS0_19identity_decomposerEEEEE10hipError_tT0_T1_T2_jT3_P12ihipStream_tbPNSt15iterator_traitsISK_E10value_typeEPNSQ_ISL_E10value_typeEPSM_NS1_7vsmem_tEENKUlT_SK_SL_SM_E_clISE_PiSF_SF_EESJ_SZ_SK_SL_SM_EUlSZ_E_NS1_11comp_targetILNS1_3genE10ELNS1_11target_archE1201ELNS1_3gpuE5ELNS1_3repE0EEENS1_48merge_mergepath_partition_config_static_selectorELNS0_4arch9wavefront6targetE0EEEvSL_.has_indirect_call, 0
	.section	.AMDGPU.csdata,"",@progbits
; Kernel info:
; codeLenInByte = 0
; TotalNumSgprs: 0
; NumVgprs: 0
; ScratchSize: 0
; MemoryBound: 0
; FloatMode: 240
; IeeeMode: 1
; LDSByteSize: 0 bytes/workgroup (compile time only)
; SGPRBlocks: 0
; VGPRBlocks: 0
; NumSGPRsForWavesPerEU: 1
; NumVGPRsForWavesPerEU: 1
; Occupancy: 16
; WaveLimiterHint : 0
; COMPUTE_PGM_RSRC2:SCRATCH_EN: 0
; COMPUTE_PGM_RSRC2:USER_SGPR: 6
; COMPUTE_PGM_RSRC2:TRAP_HANDLER: 0
; COMPUTE_PGM_RSRC2:TGID_X_EN: 1
; COMPUTE_PGM_RSRC2:TGID_Y_EN: 0
; COMPUTE_PGM_RSRC2:TGID_Z_EN: 0
; COMPUTE_PGM_RSRC2:TIDIG_COMP_CNT: 0
	.section	.text._ZN7rocprim17ROCPRIM_400000_NS6detail17trampoline_kernelINS0_14default_configENS1_38merge_sort_block_merge_config_selectorIiNS0_10empty_typeEEEZZNS1_27merge_sort_block_merge_implIS3_N6thrust23THRUST_200600_302600_NS6detail15normal_iteratorINS9_10device_ptrIiEEEEPS5_jNS1_19radix_merge_compareILb1ELb1EiNS0_19identity_decomposerEEEEE10hipError_tT0_T1_T2_jT3_P12ihipStream_tbPNSt15iterator_traitsISK_E10value_typeEPNSQ_ISL_E10value_typeEPSM_NS1_7vsmem_tEENKUlT_SK_SL_SM_E_clISE_PiSF_SF_EESJ_SZ_SK_SL_SM_EUlSZ_E_NS1_11comp_targetILNS1_3genE5ELNS1_11target_archE942ELNS1_3gpuE9ELNS1_3repE0EEENS1_48merge_mergepath_partition_config_static_selectorELNS0_4arch9wavefront6targetE0EEEvSL_,"axG",@progbits,_ZN7rocprim17ROCPRIM_400000_NS6detail17trampoline_kernelINS0_14default_configENS1_38merge_sort_block_merge_config_selectorIiNS0_10empty_typeEEEZZNS1_27merge_sort_block_merge_implIS3_N6thrust23THRUST_200600_302600_NS6detail15normal_iteratorINS9_10device_ptrIiEEEEPS5_jNS1_19radix_merge_compareILb1ELb1EiNS0_19identity_decomposerEEEEE10hipError_tT0_T1_T2_jT3_P12ihipStream_tbPNSt15iterator_traitsISK_E10value_typeEPNSQ_ISL_E10value_typeEPSM_NS1_7vsmem_tEENKUlT_SK_SL_SM_E_clISE_PiSF_SF_EESJ_SZ_SK_SL_SM_EUlSZ_E_NS1_11comp_targetILNS1_3genE5ELNS1_11target_archE942ELNS1_3gpuE9ELNS1_3repE0EEENS1_48merge_mergepath_partition_config_static_selectorELNS0_4arch9wavefront6targetE0EEEvSL_,comdat
	.protected	_ZN7rocprim17ROCPRIM_400000_NS6detail17trampoline_kernelINS0_14default_configENS1_38merge_sort_block_merge_config_selectorIiNS0_10empty_typeEEEZZNS1_27merge_sort_block_merge_implIS3_N6thrust23THRUST_200600_302600_NS6detail15normal_iteratorINS9_10device_ptrIiEEEEPS5_jNS1_19radix_merge_compareILb1ELb1EiNS0_19identity_decomposerEEEEE10hipError_tT0_T1_T2_jT3_P12ihipStream_tbPNSt15iterator_traitsISK_E10value_typeEPNSQ_ISL_E10value_typeEPSM_NS1_7vsmem_tEENKUlT_SK_SL_SM_E_clISE_PiSF_SF_EESJ_SZ_SK_SL_SM_EUlSZ_E_NS1_11comp_targetILNS1_3genE5ELNS1_11target_archE942ELNS1_3gpuE9ELNS1_3repE0EEENS1_48merge_mergepath_partition_config_static_selectorELNS0_4arch9wavefront6targetE0EEEvSL_ ; -- Begin function _ZN7rocprim17ROCPRIM_400000_NS6detail17trampoline_kernelINS0_14default_configENS1_38merge_sort_block_merge_config_selectorIiNS0_10empty_typeEEEZZNS1_27merge_sort_block_merge_implIS3_N6thrust23THRUST_200600_302600_NS6detail15normal_iteratorINS9_10device_ptrIiEEEEPS5_jNS1_19radix_merge_compareILb1ELb1EiNS0_19identity_decomposerEEEEE10hipError_tT0_T1_T2_jT3_P12ihipStream_tbPNSt15iterator_traitsISK_E10value_typeEPNSQ_ISL_E10value_typeEPSM_NS1_7vsmem_tEENKUlT_SK_SL_SM_E_clISE_PiSF_SF_EESJ_SZ_SK_SL_SM_EUlSZ_E_NS1_11comp_targetILNS1_3genE5ELNS1_11target_archE942ELNS1_3gpuE9ELNS1_3repE0EEENS1_48merge_mergepath_partition_config_static_selectorELNS0_4arch9wavefront6targetE0EEEvSL_
	.globl	_ZN7rocprim17ROCPRIM_400000_NS6detail17trampoline_kernelINS0_14default_configENS1_38merge_sort_block_merge_config_selectorIiNS0_10empty_typeEEEZZNS1_27merge_sort_block_merge_implIS3_N6thrust23THRUST_200600_302600_NS6detail15normal_iteratorINS9_10device_ptrIiEEEEPS5_jNS1_19radix_merge_compareILb1ELb1EiNS0_19identity_decomposerEEEEE10hipError_tT0_T1_T2_jT3_P12ihipStream_tbPNSt15iterator_traitsISK_E10value_typeEPNSQ_ISL_E10value_typeEPSM_NS1_7vsmem_tEENKUlT_SK_SL_SM_E_clISE_PiSF_SF_EESJ_SZ_SK_SL_SM_EUlSZ_E_NS1_11comp_targetILNS1_3genE5ELNS1_11target_archE942ELNS1_3gpuE9ELNS1_3repE0EEENS1_48merge_mergepath_partition_config_static_selectorELNS0_4arch9wavefront6targetE0EEEvSL_
	.p2align	8
	.type	_ZN7rocprim17ROCPRIM_400000_NS6detail17trampoline_kernelINS0_14default_configENS1_38merge_sort_block_merge_config_selectorIiNS0_10empty_typeEEEZZNS1_27merge_sort_block_merge_implIS3_N6thrust23THRUST_200600_302600_NS6detail15normal_iteratorINS9_10device_ptrIiEEEEPS5_jNS1_19radix_merge_compareILb1ELb1EiNS0_19identity_decomposerEEEEE10hipError_tT0_T1_T2_jT3_P12ihipStream_tbPNSt15iterator_traitsISK_E10value_typeEPNSQ_ISL_E10value_typeEPSM_NS1_7vsmem_tEENKUlT_SK_SL_SM_E_clISE_PiSF_SF_EESJ_SZ_SK_SL_SM_EUlSZ_E_NS1_11comp_targetILNS1_3genE5ELNS1_11target_archE942ELNS1_3gpuE9ELNS1_3repE0EEENS1_48merge_mergepath_partition_config_static_selectorELNS0_4arch9wavefront6targetE0EEEvSL_,@function
_ZN7rocprim17ROCPRIM_400000_NS6detail17trampoline_kernelINS0_14default_configENS1_38merge_sort_block_merge_config_selectorIiNS0_10empty_typeEEEZZNS1_27merge_sort_block_merge_implIS3_N6thrust23THRUST_200600_302600_NS6detail15normal_iteratorINS9_10device_ptrIiEEEEPS5_jNS1_19radix_merge_compareILb1ELb1EiNS0_19identity_decomposerEEEEE10hipError_tT0_T1_T2_jT3_P12ihipStream_tbPNSt15iterator_traitsISK_E10value_typeEPNSQ_ISL_E10value_typeEPSM_NS1_7vsmem_tEENKUlT_SK_SL_SM_E_clISE_PiSF_SF_EESJ_SZ_SK_SL_SM_EUlSZ_E_NS1_11comp_targetILNS1_3genE5ELNS1_11target_archE942ELNS1_3gpuE9ELNS1_3repE0EEENS1_48merge_mergepath_partition_config_static_selectorELNS0_4arch9wavefront6targetE0EEEvSL_: ; @_ZN7rocprim17ROCPRIM_400000_NS6detail17trampoline_kernelINS0_14default_configENS1_38merge_sort_block_merge_config_selectorIiNS0_10empty_typeEEEZZNS1_27merge_sort_block_merge_implIS3_N6thrust23THRUST_200600_302600_NS6detail15normal_iteratorINS9_10device_ptrIiEEEEPS5_jNS1_19radix_merge_compareILb1ELb1EiNS0_19identity_decomposerEEEEE10hipError_tT0_T1_T2_jT3_P12ihipStream_tbPNSt15iterator_traitsISK_E10value_typeEPNSQ_ISL_E10value_typeEPSM_NS1_7vsmem_tEENKUlT_SK_SL_SM_E_clISE_PiSF_SF_EESJ_SZ_SK_SL_SM_EUlSZ_E_NS1_11comp_targetILNS1_3genE5ELNS1_11target_archE942ELNS1_3gpuE9ELNS1_3repE0EEENS1_48merge_mergepath_partition_config_static_selectorELNS0_4arch9wavefront6targetE0EEEvSL_
; %bb.0:
	.section	.rodata,"a",@progbits
	.p2align	6, 0x0
	.amdhsa_kernel _ZN7rocprim17ROCPRIM_400000_NS6detail17trampoline_kernelINS0_14default_configENS1_38merge_sort_block_merge_config_selectorIiNS0_10empty_typeEEEZZNS1_27merge_sort_block_merge_implIS3_N6thrust23THRUST_200600_302600_NS6detail15normal_iteratorINS9_10device_ptrIiEEEEPS5_jNS1_19radix_merge_compareILb1ELb1EiNS0_19identity_decomposerEEEEE10hipError_tT0_T1_T2_jT3_P12ihipStream_tbPNSt15iterator_traitsISK_E10value_typeEPNSQ_ISL_E10value_typeEPSM_NS1_7vsmem_tEENKUlT_SK_SL_SM_E_clISE_PiSF_SF_EESJ_SZ_SK_SL_SM_EUlSZ_E_NS1_11comp_targetILNS1_3genE5ELNS1_11target_archE942ELNS1_3gpuE9ELNS1_3repE0EEENS1_48merge_mergepath_partition_config_static_selectorELNS0_4arch9wavefront6targetE0EEEvSL_
		.amdhsa_group_segment_fixed_size 0
		.amdhsa_private_segment_fixed_size 0
		.amdhsa_kernarg_size 40
		.amdhsa_user_sgpr_count 6
		.amdhsa_user_sgpr_private_segment_buffer 1
		.amdhsa_user_sgpr_dispatch_ptr 0
		.amdhsa_user_sgpr_queue_ptr 0
		.amdhsa_user_sgpr_kernarg_segment_ptr 1
		.amdhsa_user_sgpr_dispatch_id 0
		.amdhsa_user_sgpr_flat_scratch_init 0
		.amdhsa_user_sgpr_private_segment_size 0
		.amdhsa_wavefront_size32 1
		.amdhsa_uses_dynamic_stack 0
		.amdhsa_system_sgpr_private_segment_wavefront_offset 0
		.amdhsa_system_sgpr_workgroup_id_x 1
		.amdhsa_system_sgpr_workgroup_id_y 0
		.amdhsa_system_sgpr_workgroup_id_z 0
		.amdhsa_system_sgpr_workgroup_info 0
		.amdhsa_system_vgpr_workitem_id 0
		.amdhsa_next_free_vgpr 1
		.amdhsa_next_free_sgpr 1
		.amdhsa_reserve_vcc 0
		.amdhsa_reserve_flat_scratch 0
		.amdhsa_float_round_mode_32 0
		.amdhsa_float_round_mode_16_64 0
		.amdhsa_float_denorm_mode_32 3
		.amdhsa_float_denorm_mode_16_64 3
		.amdhsa_dx10_clamp 1
		.amdhsa_ieee_mode 1
		.amdhsa_fp16_overflow 0
		.amdhsa_workgroup_processor_mode 1
		.amdhsa_memory_ordered 1
		.amdhsa_forward_progress 1
		.amdhsa_shared_vgpr_count 0
		.amdhsa_exception_fp_ieee_invalid_op 0
		.amdhsa_exception_fp_denorm_src 0
		.amdhsa_exception_fp_ieee_div_zero 0
		.amdhsa_exception_fp_ieee_overflow 0
		.amdhsa_exception_fp_ieee_underflow 0
		.amdhsa_exception_fp_ieee_inexact 0
		.amdhsa_exception_int_div_zero 0
	.end_amdhsa_kernel
	.section	.text._ZN7rocprim17ROCPRIM_400000_NS6detail17trampoline_kernelINS0_14default_configENS1_38merge_sort_block_merge_config_selectorIiNS0_10empty_typeEEEZZNS1_27merge_sort_block_merge_implIS3_N6thrust23THRUST_200600_302600_NS6detail15normal_iteratorINS9_10device_ptrIiEEEEPS5_jNS1_19radix_merge_compareILb1ELb1EiNS0_19identity_decomposerEEEEE10hipError_tT0_T1_T2_jT3_P12ihipStream_tbPNSt15iterator_traitsISK_E10value_typeEPNSQ_ISL_E10value_typeEPSM_NS1_7vsmem_tEENKUlT_SK_SL_SM_E_clISE_PiSF_SF_EESJ_SZ_SK_SL_SM_EUlSZ_E_NS1_11comp_targetILNS1_3genE5ELNS1_11target_archE942ELNS1_3gpuE9ELNS1_3repE0EEENS1_48merge_mergepath_partition_config_static_selectorELNS0_4arch9wavefront6targetE0EEEvSL_,"axG",@progbits,_ZN7rocprim17ROCPRIM_400000_NS6detail17trampoline_kernelINS0_14default_configENS1_38merge_sort_block_merge_config_selectorIiNS0_10empty_typeEEEZZNS1_27merge_sort_block_merge_implIS3_N6thrust23THRUST_200600_302600_NS6detail15normal_iteratorINS9_10device_ptrIiEEEEPS5_jNS1_19radix_merge_compareILb1ELb1EiNS0_19identity_decomposerEEEEE10hipError_tT0_T1_T2_jT3_P12ihipStream_tbPNSt15iterator_traitsISK_E10value_typeEPNSQ_ISL_E10value_typeEPSM_NS1_7vsmem_tEENKUlT_SK_SL_SM_E_clISE_PiSF_SF_EESJ_SZ_SK_SL_SM_EUlSZ_E_NS1_11comp_targetILNS1_3genE5ELNS1_11target_archE942ELNS1_3gpuE9ELNS1_3repE0EEENS1_48merge_mergepath_partition_config_static_selectorELNS0_4arch9wavefront6targetE0EEEvSL_,comdat
.Lfunc_end296:
	.size	_ZN7rocprim17ROCPRIM_400000_NS6detail17trampoline_kernelINS0_14default_configENS1_38merge_sort_block_merge_config_selectorIiNS0_10empty_typeEEEZZNS1_27merge_sort_block_merge_implIS3_N6thrust23THRUST_200600_302600_NS6detail15normal_iteratorINS9_10device_ptrIiEEEEPS5_jNS1_19radix_merge_compareILb1ELb1EiNS0_19identity_decomposerEEEEE10hipError_tT0_T1_T2_jT3_P12ihipStream_tbPNSt15iterator_traitsISK_E10value_typeEPNSQ_ISL_E10value_typeEPSM_NS1_7vsmem_tEENKUlT_SK_SL_SM_E_clISE_PiSF_SF_EESJ_SZ_SK_SL_SM_EUlSZ_E_NS1_11comp_targetILNS1_3genE5ELNS1_11target_archE942ELNS1_3gpuE9ELNS1_3repE0EEENS1_48merge_mergepath_partition_config_static_selectorELNS0_4arch9wavefront6targetE0EEEvSL_, .Lfunc_end296-_ZN7rocprim17ROCPRIM_400000_NS6detail17trampoline_kernelINS0_14default_configENS1_38merge_sort_block_merge_config_selectorIiNS0_10empty_typeEEEZZNS1_27merge_sort_block_merge_implIS3_N6thrust23THRUST_200600_302600_NS6detail15normal_iteratorINS9_10device_ptrIiEEEEPS5_jNS1_19radix_merge_compareILb1ELb1EiNS0_19identity_decomposerEEEEE10hipError_tT0_T1_T2_jT3_P12ihipStream_tbPNSt15iterator_traitsISK_E10value_typeEPNSQ_ISL_E10value_typeEPSM_NS1_7vsmem_tEENKUlT_SK_SL_SM_E_clISE_PiSF_SF_EESJ_SZ_SK_SL_SM_EUlSZ_E_NS1_11comp_targetILNS1_3genE5ELNS1_11target_archE942ELNS1_3gpuE9ELNS1_3repE0EEENS1_48merge_mergepath_partition_config_static_selectorELNS0_4arch9wavefront6targetE0EEEvSL_
                                        ; -- End function
	.set _ZN7rocprim17ROCPRIM_400000_NS6detail17trampoline_kernelINS0_14default_configENS1_38merge_sort_block_merge_config_selectorIiNS0_10empty_typeEEEZZNS1_27merge_sort_block_merge_implIS3_N6thrust23THRUST_200600_302600_NS6detail15normal_iteratorINS9_10device_ptrIiEEEEPS5_jNS1_19radix_merge_compareILb1ELb1EiNS0_19identity_decomposerEEEEE10hipError_tT0_T1_T2_jT3_P12ihipStream_tbPNSt15iterator_traitsISK_E10value_typeEPNSQ_ISL_E10value_typeEPSM_NS1_7vsmem_tEENKUlT_SK_SL_SM_E_clISE_PiSF_SF_EESJ_SZ_SK_SL_SM_EUlSZ_E_NS1_11comp_targetILNS1_3genE5ELNS1_11target_archE942ELNS1_3gpuE9ELNS1_3repE0EEENS1_48merge_mergepath_partition_config_static_selectorELNS0_4arch9wavefront6targetE0EEEvSL_.num_vgpr, 0
	.set _ZN7rocprim17ROCPRIM_400000_NS6detail17trampoline_kernelINS0_14default_configENS1_38merge_sort_block_merge_config_selectorIiNS0_10empty_typeEEEZZNS1_27merge_sort_block_merge_implIS3_N6thrust23THRUST_200600_302600_NS6detail15normal_iteratorINS9_10device_ptrIiEEEEPS5_jNS1_19radix_merge_compareILb1ELb1EiNS0_19identity_decomposerEEEEE10hipError_tT0_T1_T2_jT3_P12ihipStream_tbPNSt15iterator_traitsISK_E10value_typeEPNSQ_ISL_E10value_typeEPSM_NS1_7vsmem_tEENKUlT_SK_SL_SM_E_clISE_PiSF_SF_EESJ_SZ_SK_SL_SM_EUlSZ_E_NS1_11comp_targetILNS1_3genE5ELNS1_11target_archE942ELNS1_3gpuE9ELNS1_3repE0EEENS1_48merge_mergepath_partition_config_static_selectorELNS0_4arch9wavefront6targetE0EEEvSL_.num_agpr, 0
	.set _ZN7rocprim17ROCPRIM_400000_NS6detail17trampoline_kernelINS0_14default_configENS1_38merge_sort_block_merge_config_selectorIiNS0_10empty_typeEEEZZNS1_27merge_sort_block_merge_implIS3_N6thrust23THRUST_200600_302600_NS6detail15normal_iteratorINS9_10device_ptrIiEEEEPS5_jNS1_19radix_merge_compareILb1ELb1EiNS0_19identity_decomposerEEEEE10hipError_tT0_T1_T2_jT3_P12ihipStream_tbPNSt15iterator_traitsISK_E10value_typeEPNSQ_ISL_E10value_typeEPSM_NS1_7vsmem_tEENKUlT_SK_SL_SM_E_clISE_PiSF_SF_EESJ_SZ_SK_SL_SM_EUlSZ_E_NS1_11comp_targetILNS1_3genE5ELNS1_11target_archE942ELNS1_3gpuE9ELNS1_3repE0EEENS1_48merge_mergepath_partition_config_static_selectorELNS0_4arch9wavefront6targetE0EEEvSL_.numbered_sgpr, 0
	.set _ZN7rocprim17ROCPRIM_400000_NS6detail17trampoline_kernelINS0_14default_configENS1_38merge_sort_block_merge_config_selectorIiNS0_10empty_typeEEEZZNS1_27merge_sort_block_merge_implIS3_N6thrust23THRUST_200600_302600_NS6detail15normal_iteratorINS9_10device_ptrIiEEEEPS5_jNS1_19radix_merge_compareILb1ELb1EiNS0_19identity_decomposerEEEEE10hipError_tT0_T1_T2_jT3_P12ihipStream_tbPNSt15iterator_traitsISK_E10value_typeEPNSQ_ISL_E10value_typeEPSM_NS1_7vsmem_tEENKUlT_SK_SL_SM_E_clISE_PiSF_SF_EESJ_SZ_SK_SL_SM_EUlSZ_E_NS1_11comp_targetILNS1_3genE5ELNS1_11target_archE942ELNS1_3gpuE9ELNS1_3repE0EEENS1_48merge_mergepath_partition_config_static_selectorELNS0_4arch9wavefront6targetE0EEEvSL_.num_named_barrier, 0
	.set _ZN7rocprim17ROCPRIM_400000_NS6detail17trampoline_kernelINS0_14default_configENS1_38merge_sort_block_merge_config_selectorIiNS0_10empty_typeEEEZZNS1_27merge_sort_block_merge_implIS3_N6thrust23THRUST_200600_302600_NS6detail15normal_iteratorINS9_10device_ptrIiEEEEPS5_jNS1_19radix_merge_compareILb1ELb1EiNS0_19identity_decomposerEEEEE10hipError_tT0_T1_T2_jT3_P12ihipStream_tbPNSt15iterator_traitsISK_E10value_typeEPNSQ_ISL_E10value_typeEPSM_NS1_7vsmem_tEENKUlT_SK_SL_SM_E_clISE_PiSF_SF_EESJ_SZ_SK_SL_SM_EUlSZ_E_NS1_11comp_targetILNS1_3genE5ELNS1_11target_archE942ELNS1_3gpuE9ELNS1_3repE0EEENS1_48merge_mergepath_partition_config_static_selectorELNS0_4arch9wavefront6targetE0EEEvSL_.private_seg_size, 0
	.set _ZN7rocprim17ROCPRIM_400000_NS6detail17trampoline_kernelINS0_14default_configENS1_38merge_sort_block_merge_config_selectorIiNS0_10empty_typeEEEZZNS1_27merge_sort_block_merge_implIS3_N6thrust23THRUST_200600_302600_NS6detail15normal_iteratorINS9_10device_ptrIiEEEEPS5_jNS1_19radix_merge_compareILb1ELb1EiNS0_19identity_decomposerEEEEE10hipError_tT0_T1_T2_jT3_P12ihipStream_tbPNSt15iterator_traitsISK_E10value_typeEPNSQ_ISL_E10value_typeEPSM_NS1_7vsmem_tEENKUlT_SK_SL_SM_E_clISE_PiSF_SF_EESJ_SZ_SK_SL_SM_EUlSZ_E_NS1_11comp_targetILNS1_3genE5ELNS1_11target_archE942ELNS1_3gpuE9ELNS1_3repE0EEENS1_48merge_mergepath_partition_config_static_selectorELNS0_4arch9wavefront6targetE0EEEvSL_.uses_vcc, 0
	.set _ZN7rocprim17ROCPRIM_400000_NS6detail17trampoline_kernelINS0_14default_configENS1_38merge_sort_block_merge_config_selectorIiNS0_10empty_typeEEEZZNS1_27merge_sort_block_merge_implIS3_N6thrust23THRUST_200600_302600_NS6detail15normal_iteratorINS9_10device_ptrIiEEEEPS5_jNS1_19radix_merge_compareILb1ELb1EiNS0_19identity_decomposerEEEEE10hipError_tT0_T1_T2_jT3_P12ihipStream_tbPNSt15iterator_traitsISK_E10value_typeEPNSQ_ISL_E10value_typeEPSM_NS1_7vsmem_tEENKUlT_SK_SL_SM_E_clISE_PiSF_SF_EESJ_SZ_SK_SL_SM_EUlSZ_E_NS1_11comp_targetILNS1_3genE5ELNS1_11target_archE942ELNS1_3gpuE9ELNS1_3repE0EEENS1_48merge_mergepath_partition_config_static_selectorELNS0_4arch9wavefront6targetE0EEEvSL_.uses_flat_scratch, 0
	.set _ZN7rocprim17ROCPRIM_400000_NS6detail17trampoline_kernelINS0_14default_configENS1_38merge_sort_block_merge_config_selectorIiNS0_10empty_typeEEEZZNS1_27merge_sort_block_merge_implIS3_N6thrust23THRUST_200600_302600_NS6detail15normal_iteratorINS9_10device_ptrIiEEEEPS5_jNS1_19radix_merge_compareILb1ELb1EiNS0_19identity_decomposerEEEEE10hipError_tT0_T1_T2_jT3_P12ihipStream_tbPNSt15iterator_traitsISK_E10value_typeEPNSQ_ISL_E10value_typeEPSM_NS1_7vsmem_tEENKUlT_SK_SL_SM_E_clISE_PiSF_SF_EESJ_SZ_SK_SL_SM_EUlSZ_E_NS1_11comp_targetILNS1_3genE5ELNS1_11target_archE942ELNS1_3gpuE9ELNS1_3repE0EEENS1_48merge_mergepath_partition_config_static_selectorELNS0_4arch9wavefront6targetE0EEEvSL_.has_dyn_sized_stack, 0
	.set _ZN7rocprim17ROCPRIM_400000_NS6detail17trampoline_kernelINS0_14default_configENS1_38merge_sort_block_merge_config_selectorIiNS0_10empty_typeEEEZZNS1_27merge_sort_block_merge_implIS3_N6thrust23THRUST_200600_302600_NS6detail15normal_iteratorINS9_10device_ptrIiEEEEPS5_jNS1_19radix_merge_compareILb1ELb1EiNS0_19identity_decomposerEEEEE10hipError_tT0_T1_T2_jT3_P12ihipStream_tbPNSt15iterator_traitsISK_E10value_typeEPNSQ_ISL_E10value_typeEPSM_NS1_7vsmem_tEENKUlT_SK_SL_SM_E_clISE_PiSF_SF_EESJ_SZ_SK_SL_SM_EUlSZ_E_NS1_11comp_targetILNS1_3genE5ELNS1_11target_archE942ELNS1_3gpuE9ELNS1_3repE0EEENS1_48merge_mergepath_partition_config_static_selectorELNS0_4arch9wavefront6targetE0EEEvSL_.has_recursion, 0
	.set _ZN7rocprim17ROCPRIM_400000_NS6detail17trampoline_kernelINS0_14default_configENS1_38merge_sort_block_merge_config_selectorIiNS0_10empty_typeEEEZZNS1_27merge_sort_block_merge_implIS3_N6thrust23THRUST_200600_302600_NS6detail15normal_iteratorINS9_10device_ptrIiEEEEPS5_jNS1_19radix_merge_compareILb1ELb1EiNS0_19identity_decomposerEEEEE10hipError_tT0_T1_T2_jT3_P12ihipStream_tbPNSt15iterator_traitsISK_E10value_typeEPNSQ_ISL_E10value_typeEPSM_NS1_7vsmem_tEENKUlT_SK_SL_SM_E_clISE_PiSF_SF_EESJ_SZ_SK_SL_SM_EUlSZ_E_NS1_11comp_targetILNS1_3genE5ELNS1_11target_archE942ELNS1_3gpuE9ELNS1_3repE0EEENS1_48merge_mergepath_partition_config_static_selectorELNS0_4arch9wavefront6targetE0EEEvSL_.has_indirect_call, 0
	.section	.AMDGPU.csdata,"",@progbits
; Kernel info:
; codeLenInByte = 0
; TotalNumSgprs: 0
; NumVgprs: 0
; ScratchSize: 0
; MemoryBound: 0
; FloatMode: 240
; IeeeMode: 1
; LDSByteSize: 0 bytes/workgroup (compile time only)
; SGPRBlocks: 0
; VGPRBlocks: 0
; NumSGPRsForWavesPerEU: 1
; NumVGPRsForWavesPerEU: 1
; Occupancy: 16
; WaveLimiterHint : 0
; COMPUTE_PGM_RSRC2:SCRATCH_EN: 0
; COMPUTE_PGM_RSRC2:USER_SGPR: 6
; COMPUTE_PGM_RSRC2:TRAP_HANDLER: 0
; COMPUTE_PGM_RSRC2:TGID_X_EN: 1
; COMPUTE_PGM_RSRC2:TGID_Y_EN: 0
; COMPUTE_PGM_RSRC2:TGID_Z_EN: 0
; COMPUTE_PGM_RSRC2:TIDIG_COMP_CNT: 0
	.section	.text._ZN7rocprim17ROCPRIM_400000_NS6detail17trampoline_kernelINS0_14default_configENS1_38merge_sort_block_merge_config_selectorIiNS0_10empty_typeEEEZZNS1_27merge_sort_block_merge_implIS3_N6thrust23THRUST_200600_302600_NS6detail15normal_iteratorINS9_10device_ptrIiEEEEPS5_jNS1_19radix_merge_compareILb1ELb1EiNS0_19identity_decomposerEEEEE10hipError_tT0_T1_T2_jT3_P12ihipStream_tbPNSt15iterator_traitsISK_E10value_typeEPNSQ_ISL_E10value_typeEPSM_NS1_7vsmem_tEENKUlT_SK_SL_SM_E_clISE_PiSF_SF_EESJ_SZ_SK_SL_SM_EUlSZ_E_NS1_11comp_targetILNS1_3genE4ELNS1_11target_archE910ELNS1_3gpuE8ELNS1_3repE0EEENS1_48merge_mergepath_partition_config_static_selectorELNS0_4arch9wavefront6targetE0EEEvSL_,"axG",@progbits,_ZN7rocprim17ROCPRIM_400000_NS6detail17trampoline_kernelINS0_14default_configENS1_38merge_sort_block_merge_config_selectorIiNS0_10empty_typeEEEZZNS1_27merge_sort_block_merge_implIS3_N6thrust23THRUST_200600_302600_NS6detail15normal_iteratorINS9_10device_ptrIiEEEEPS5_jNS1_19radix_merge_compareILb1ELb1EiNS0_19identity_decomposerEEEEE10hipError_tT0_T1_T2_jT3_P12ihipStream_tbPNSt15iterator_traitsISK_E10value_typeEPNSQ_ISL_E10value_typeEPSM_NS1_7vsmem_tEENKUlT_SK_SL_SM_E_clISE_PiSF_SF_EESJ_SZ_SK_SL_SM_EUlSZ_E_NS1_11comp_targetILNS1_3genE4ELNS1_11target_archE910ELNS1_3gpuE8ELNS1_3repE0EEENS1_48merge_mergepath_partition_config_static_selectorELNS0_4arch9wavefront6targetE0EEEvSL_,comdat
	.protected	_ZN7rocprim17ROCPRIM_400000_NS6detail17trampoline_kernelINS0_14default_configENS1_38merge_sort_block_merge_config_selectorIiNS0_10empty_typeEEEZZNS1_27merge_sort_block_merge_implIS3_N6thrust23THRUST_200600_302600_NS6detail15normal_iteratorINS9_10device_ptrIiEEEEPS5_jNS1_19radix_merge_compareILb1ELb1EiNS0_19identity_decomposerEEEEE10hipError_tT0_T1_T2_jT3_P12ihipStream_tbPNSt15iterator_traitsISK_E10value_typeEPNSQ_ISL_E10value_typeEPSM_NS1_7vsmem_tEENKUlT_SK_SL_SM_E_clISE_PiSF_SF_EESJ_SZ_SK_SL_SM_EUlSZ_E_NS1_11comp_targetILNS1_3genE4ELNS1_11target_archE910ELNS1_3gpuE8ELNS1_3repE0EEENS1_48merge_mergepath_partition_config_static_selectorELNS0_4arch9wavefront6targetE0EEEvSL_ ; -- Begin function _ZN7rocprim17ROCPRIM_400000_NS6detail17trampoline_kernelINS0_14default_configENS1_38merge_sort_block_merge_config_selectorIiNS0_10empty_typeEEEZZNS1_27merge_sort_block_merge_implIS3_N6thrust23THRUST_200600_302600_NS6detail15normal_iteratorINS9_10device_ptrIiEEEEPS5_jNS1_19radix_merge_compareILb1ELb1EiNS0_19identity_decomposerEEEEE10hipError_tT0_T1_T2_jT3_P12ihipStream_tbPNSt15iterator_traitsISK_E10value_typeEPNSQ_ISL_E10value_typeEPSM_NS1_7vsmem_tEENKUlT_SK_SL_SM_E_clISE_PiSF_SF_EESJ_SZ_SK_SL_SM_EUlSZ_E_NS1_11comp_targetILNS1_3genE4ELNS1_11target_archE910ELNS1_3gpuE8ELNS1_3repE0EEENS1_48merge_mergepath_partition_config_static_selectorELNS0_4arch9wavefront6targetE0EEEvSL_
	.globl	_ZN7rocprim17ROCPRIM_400000_NS6detail17trampoline_kernelINS0_14default_configENS1_38merge_sort_block_merge_config_selectorIiNS0_10empty_typeEEEZZNS1_27merge_sort_block_merge_implIS3_N6thrust23THRUST_200600_302600_NS6detail15normal_iteratorINS9_10device_ptrIiEEEEPS5_jNS1_19radix_merge_compareILb1ELb1EiNS0_19identity_decomposerEEEEE10hipError_tT0_T1_T2_jT3_P12ihipStream_tbPNSt15iterator_traitsISK_E10value_typeEPNSQ_ISL_E10value_typeEPSM_NS1_7vsmem_tEENKUlT_SK_SL_SM_E_clISE_PiSF_SF_EESJ_SZ_SK_SL_SM_EUlSZ_E_NS1_11comp_targetILNS1_3genE4ELNS1_11target_archE910ELNS1_3gpuE8ELNS1_3repE0EEENS1_48merge_mergepath_partition_config_static_selectorELNS0_4arch9wavefront6targetE0EEEvSL_
	.p2align	8
	.type	_ZN7rocprim17ROCPRIM_400000_NS6detail17trampoline_kernelINS0_14default_configENS1_38merge_sort_block_merge_config_selectorIiNS0_10empty_typeEEEZZNS1_27merge_sort_block_merge_implIS3_N6thrust23THRUST_200600_302600_NS6detail15normal_iteratorINS9_10device_ptrIiEEEEPS5_jNS1_19radix_merge_compareILb1ELb1EiNS0_19identity_decomposerEEEEE10hipError_tT0_T1_T2_jT3_P12ihipStream_tbPNSt15iterator_traitsISK_E10value_typeEPNSQ_ISL_E10value_typeEPSM_NS1_7vsmem_tEENKUlT_SK_SL_SM_E_clISE_PiSF_SF_EESJ_SZ_SK_SL_SM_EUlSZ_E_NS1_11comp_targetILNS1_3genE4ELNS1_11target_archE910ELNS1_3gpuE8ELNS1_3repE0EEENS1_48merge_mergepath_partition_config_static_selectorELNS0_4arch9wavefront6targetE0EEEvSL_,@function
_ZN7rocprim17ROCPRIM_400000_NS6detail17trampoline_kernelINS0_14default_configENS1_38merge_sort_block_merge_config_selectorIiNS0_10empty_typeEEEZZNS1_27merge_sort_block_merge_implIS3_N6thrust23THRUST_200600_302600_NS6detail15normal_iteratorINS9_10device_ptrIiEEEEPS5_jNS1_19radix_merge_compareILb1ELb1EiNS0_19identity_decomposerEEEEE10hipError_tT0_T1_T2_jT3_P12ihipStream_tbPNSt15iterator_traitsISK_E10value_typeEPNSQ_ISL_E10value_typeEPSM_NS1_7vsmem_tEENKUlT_SK_SL_SM_E_clISE_PiSF_SF_EESJ_SZ_SK_SL_SM_EUlSZ_E_NS1_11comp_targetILNS1_3genE4ELNS1_11target_archE910ELNS1_3gpuE8ELNS1_3repE0EEENS1_48merge_mergepath_partition_config_static_selectorELNS0_4arch9wavefront6targetE0EEEvSL_: ; @_ZN7rocprim17ROCPRIM_400000_NS6detail17trampoline_kernelINS0_14default_configENS1_38merge_sort_block_merge_config_selectorIiNS0_10empty_typeEEEZZNS1_27merge_sort_block_merge_implIS3_N6thrust23THRUST_200600_302600_NS6detail15normal_iteratorINS9_10device_ptrIiEEEEPS5_jNS1_19radix_merge_compareILb1ELb1EiNS0_19identity_decomposerEEEEE10hipError_tT0_T1_T2_jT3_P12ihipStream_tbPNSt15iterator_traitsISK_E10value_typeEPNSQ_ISL_E10value_typeEPSM_NS1_7vsmem_tEENKUlT_SK_SL_SM_E_clISE_PiSF_SF_EESJ_SZ_SK_SL_SM_EUlSZ_E_NS1_11comp_targetILNS1_3genE4ELNS1_11target_archE910ELNS1_3gpuE8ELNS1_3repE0EEENS1_48merge_mergepath_partition_config_static_selectorELNS0_4arch9wavefront6targetE0EEEvSL_
; %bb.0:
	.section	.rodata,"a",@progbits
	.p2align	6, 0x0
	.amdhsa_kernel _ZN7rocprim17ROCPRIM_400000_NS6detail17trampoline_kernelINS0_14default_configENS1_38merge_sort_block_merge_config_selectorIiNS0_10empty_typeEEEZZNS1_27merge_sort_block_merge_implIS3_N6thrust23THRUST_200600_302600_NS6detail15normal_iteratorINS9_10device_ptrIiEEEEPS5_jNS1_19radix_merge_compareILb1ELb1EiNS0_19identity_decomposerEEEEE10hipError_tT0_T1_T2_jT3_P12ihipStream_tbPNSt15iterator_traitsISK_E10value_typeEPNSQ_ISL_E10value_typeEPSM_NS1_7vsmem_tEENKUlT_SK_SL_SM_E_clISE_PiSF_SF_EESJ_SZ_SK_SL_SM_EUlSZ_E_NS1_11comp_targetILNS1_3genE4ELNS1_11target_archE910ELNS1_3gpuE8ELNS1_3repE0EEENS1_48merge_mergepath_partition_config_static_selectorELNS0_4arch9wavefront6targetE0EEEvSL_
		.amdhsa_group_segment_fixed_size 0
		.amdhsa_private_segment_fixed_size 0
		.amdhsa_kernarg_size 40
		.amdhsa_user_sgpr_count 6
		.amdhsa_user_sgpr_private_segment_buffer 1
		.amdhsa_user_sgpr_dispatch_ptr 0
		.amdhsa_user_sgpr_queue_ptr 0
		.amdhsa_user_sgpr_kernarg_segment_ptr 1
		.amdhsa_user_sgpr_dispatch_id 0
		.amdhsa_user_sgpr_flat_scratch_init 0
		.amdhsa_user_sgpr_private_segment_size 0
		.amdhsa_wavefront_size32 1
		.amdhsa_uses_dynamic_stack 0
		.amdhsa_system_sgpr_private_segment_wavefront_offset 0
		.amdhsa_system_sgpr_workgroup_id_x 1
		.amdhsa_system_sgpr_workgroup_id_y 0
		.amdhsa_system_sgpr_workgroup_id_z 0
		.amdhsa_system_sgpr_workgroup_info 0
		.amdhsa_system_vgpr_workitem_id 0
		.amdhsa_next_free_vgpr 1
		.amdhsa_next_free_sgpr 1
		.amdhsa_reserve_vcc 0
		.amdhsa_reserve_flat_scratch 0
		.amdhsa_float_round_mode_32 0
		.amdhsa_float_round_mode_16_64 0
		.amdhsa_float_denorm_mode_32 3
		.amdhsa_float_denorm_mode_16_64 3
		.amdhsa_dx10_clamp 1
		.amdhsa_ieee_mode 1
		.amdhsa_fp16_overflow 0
		.amdhsa_workgroup_processor_mode 1
		.amdhsa_memory_ordered 1
		.amdhsa_forward_progress 1
		.amdhsa_shared_vgpr_count 0
		.amdhsa_exception_fp_ieee_invalid_op 0
		.amdhsa_exception_fp_denorm_src 0
		.amdhsa_exception_fp_ieee_div_zero 0
		.amdhsa_exception_fp_ieee_overflow 0
		.amdhsa_exception_fp_ieee_underflow 0
		.amdhsa_exception_fp_ieee_inexact 0
		.amdhsa_exception_int_div_zero 0
	.end_amdhsa_kernel
	.section	.text._ZN7rocprim17ROCPRIM_400000_NS6detail17trampoline_kernelINS0_14default_configENS1_38merge_sort_block_merge_config_selectorIiNS0_10empty_typeEEEZZNS1_27merge_sort_block_merge_implIS3_N6thrust23THRUST_200600_302600_NS6detail15normal_iteratorINS9_10device_ptrIiEEEEPS5_jNS1_19radix_merge_compareILb1ELb1EiNS0_19identity_decomposerEEEEE10hipError_tT0_T1_T2_jT3_P12ihipStream_tbPNSt15iterator_traitsISK_E10value_typeEPNSQ_ISL_E10value_typeEPSM_NS1_7vsmem_tEENKUlT_SK_SL_SM_E_clISE_PiSF_SF_EESJ_SZ_SK_SL_SM_EUlSZ_E_NS1_11comp_targetILNS1_3genE4ELNS1_11target_archE910ELNS1_3gpuE8ELNS1_3repE0EEENS1_48merge_mergepath_partition_config_static_selectorELNS0_4arch9wavefront6targetE0EEEvSL_,"axG",@progbits,_ZN7rocprim17ROCPRIM_400000_NS6detail17trampoline_kernelINS0_14default_configENS1_38merge_sort_block_merge_config_selectorIiNS0_10empty_typeEEEZZNS1_27merge_sort_block_merge_implIS3_N6thrust23THRUST_200600_302600_NS6detail15normal_iteratorINS9_10device_ptrIiEEEEPS5_jNS1_19radix_merge_compareILb1ELb1EiNS0_19identity_decomposerEEEEE10hipError_tT0_T1_T2_jT3_P12ihipStream_tbPNSt15iterator_traitsISK_E10value_typeEPNSQ_ISL_E10value_typeEPSM_NS1_7vsmem_tEENKUlT_SK_SL_SM_E_clISE_PiSF_SF_EESJ_SZ_SK_SL_SM_EUlSZ_E_NS1_11comp_targetILNS1_3genE4ELNS1_11target_archE910ELNS1_3gpuE8ELNS1_3repE0EEENS1_48merge_mergepath_partition_config_static_selectorELNS0_4arch9wavefront6targetE0EEEvSL_,comdat
.Lfunc_end297:
	.size	_ZN7rocprim17ROCPRIM_400000_NS6detail17trampoline_kernelINS0_14default_configENS1_38merge_sort_block_merge_config_selectorIiNS0_10empty_typeEEEZZNS1_27merge_sort_block_merge_implIS3_N6thrust23THRUST_200600_302600_NS6detail15normal_iteratorINS9_10device_ptrIiEEEEPS5_jNS1_19radix_merge_compareILb1ELb1EiNS0_19identity_decomposerEEEEE10hipError_tT0_T1_T2_jT3_P12ihipStream_tbPNSt15iterator_traitsISK_E10value_typeEPNSQ_ISL_E10value_typeEPSM_NS1_7vsmem_tEENKUlT_SK_SL_SM_E_clISE_PiSF_SF_EESJ_SZ_SK_SL_SM_EUlSZ_E_NS1_11comp_targetILNS1_3genE4ELNS1_11target_archE910ELNS1_3gpuE8ELNS1_3repE0EEENS1_48merge_mergepath_partition_config_static_selectorELNS0_4arch9wavefront6targetE0EEEvSL_, .Lfunc_end297-_ZN7rocprim17ROCPRIM_400000_NS6detail17trampoline_kernelINS0_14default_configENS1_38merge_sort_block_merge_config_selectorIiNS0_10empty_typeEEEZZNS1_27merge_sort_block_merge_implIS3_N6thrust23THRUST_200600_302600_NS6detail15normal_iteratorINS9_10device_ptrIiEEEEPS5_jNS1_19radix_merge_compareILb1ELb1EiNS0_19identity_decomposerEEEEE10hipError_tT0_T1_T2_jT3_P12ihipStream_tbPNSt15iterator_traitsISK_E10value_typeEPNSQ_ISL_E10value_typeEPSM_NS1_7vsmem_tEENKUlT_SK_SL_SM_E_clISE_PiSF_SF_EESJ_SZ_SK_SL_SM_EUlSZ_E_NS1_11comp_targetILNS1_3genE4ELNS1_11target_archE910ELNS1_3gpuE8ELNS1_3repE0EEENS1_48merge_mergepath_partition_config_static_selectorELNS0_4arch9wavefront6targetE0EEEvSL_
                                        ; -- End function
	.set _ZN7rocprim17ROCPRIM_400000_NS6detail17trampoline_kernelINS0_14default_configENS1_38merge_sort_block_merge_config_selectorIiNS0_10empty_typeEEEZZNS1_27merge_sort_block_merge_implIS3_N6thrust23THRUST_200600_302600_NS6detail15normal_iteratorINS9_10device_ptrIiEEEEPS5_jNS1_19radix_merge_compareILb1ELb1EiNS0_19identity_decomposerEEEEE10hipError_tT0_T1_T2_jT3_P12ihipStream_tbPNSt15iterator_traitsISK_E10value_typeEPNSQ_ISL_E10value_typeEPSM_NS1_7vsmem_tEENKUlT_SK_SL_SM_E_clISE_PiSF_SF_EESJ_SZ_SK_SL_SM_EUlSZ_E_NS1_11comp_targetILNS1_3genE4ELNS1_11target_archE910ELNS1_3gpuE8ELNS1_3repE0EEENS1_48merge_mergepath_partition_config_static_selectorELNS0_4arch9wavefront6targetE0EEEvSL_.num_vgpr, 0
	.set _ZN7rocprim17ROCPRIM_400000_NS6detail17trampoline_kernelINS0_14default_configENS1_38merge_sort_block_merge_config_selectorIiNS0_10empty_typeEEEZZNS1_27merge_sort_block_merge_implIS3_N6thrust23THRUST_200600_302600_NS6detail15normal_iteratorINS9_10device_ptrIiEEEEPS5_jNS1_19radix_merge_compareILb1ELb1EiNS0_19identity_decomposerEEEEE10hipError_tT0_T1_T2_jT3_P12ihipStream_tbPNSt15iterator_traitsISK_E10value_typeEPNSQ_ISL_E10value_typeEPSM_NS1_7vsmem_tEENKUlT_SK_SL_SM_E_clISE_PiSF_SF_EESJ_SZ_SK_SL_SM_EUlSZ_E_NS1_11comp_targetILNS1_3genE4ELNS1_11target_archE910ELNS1_3gpuE8ELNS1_3repE0EEENS1_48merge_mergepath_partition_config_static_selectorELNS0_4arch9wavefront6targetE0EEEvSL_.num_agpr, 0
	.set _ZN7rocprim17ROCPRIM_400000_NS6detail17trampoline_kernelINS0_14default_configENS1_38merge_sort_block_merge_config_selectorIiNS0_10empty_typeEEEZZNS1_27merge_sort_block_merge_implIS3_N6thrust23THRUST_200600_302600_NS6detail15normal_iteratorINS9_10device_ptrIiEEEEPS5_jNS1_19radix_merge_compareILb1ELb1EiNS0_19identity_decomposerEEEEE10hipError_tT0_T1_T2_jT3_P12ihipStream_tbPNSt15iterator_traitsISK_E10value_typeEPNSQ_ISL_E10value_typeEPSM_NS1_7vsmem_tEENKUlT_SK_SL_SM_E_clISE_PiSF_SF_EESJ_SZ_SK_SL_SM_EUlSZ_E_NS1_11comp_targetILNS1_3genE4ELNS1_11target_archE910ELNS1_3gpuE8ELNS1_3repE0EEENS1_48merge_mergepath_partition_config_static_selectorELNS0_4arch9wavefront6targetE0EEEvSL_.numbered_sgpr, 0
	.set _ZN7rocprim17ROCPRIM_400000_NS6detail17trampoline_kernelINS0_14default_configENS1_38merge_sort_block_merge_config_selectorIiNS0_10empty_typeEEEZZNS1_27merge_sort_block_merge_implIS3_N6thrust23THRUST_200600_302600_NS6detail15normal_iteratorINS9_10device_ptrIiEEEEPS5_jNS1_19radix_merge_compareILb1ELb1EiNS0_19identity_decomposerEEEEE10hipError_tT0_T1_T2_jT3_P12ihipStream_tbPNSt15iterator_traitsISK_E10value_typeEPNSQ_ISL_E10value_typeEPSM_NS1_7vsmem_tEENKUlT_SK_SL_SM_E_clISE_PiSF_SF_EESJ_SZ_SK_SL_SM_EUlSZ_E_NS1_11comp_targetILNS1_3genE4ELNS1_11target_archE910ELNS1_3gpuE8ELNS1_3repE0EEENS1_48merge_mergepath_partition_config_static_selectorELNS0_4arch9wavefront6targetE0EEEvSL_.num_named_barrier, 0
	.set _ZN7rocprim17ROCPRIM_400000_NS6detail17trampoline_kernelINS0_14default_configENS1_38merge_sort_block_merge_config_selectorIiNS0_10empty_typeEEEZZNS1_27merge_sort_block_merge_implIS3_N6thrust23THRUST_200600_302600_NS6detail15normal_iteratorINS9_10device_ptrIiEEEEPS5_jNS1_19radix_merge_compareILb1ELb1EiNS0_19identity_decomposerEEEEE10hipError_tT0_T1_T2_jT3_P12ihipStream_tbPNSt15iterator_traitsISK_E10value_typeEPNSQ_ISL_E10value_typeEPSM_NS1_7vsmem_tEENKUlT_SK_SL_SM_E_clISE_PiSF_SF_EESJ_SZ_SK_SL_SM_EUlSZ_E_NS1_11comp_targetILNS1_3genE4ELNS1_11target_archE910ELNS1_3gpuE8ELNS1_3repE0EEENS1_48merge_mergepath_partition_config_static_selectorELNS0_4arch9wavefront6targetE0EEEvSL_.private_seg_size, 0
	.set _ZN7rocprim17ROCPRIM_400000_NS6detail17trampoline_kernelINS0_14default_configENS1_38merge_sort_block_merge_config_selectorIiNS0_10empty_typeEEEZZNS1_27merge_sort_block_merge_implIS3_N6thrust23THRUST_200600_302600_NS6detail15normal_iteratorINS9_10device_ptrIiEEEEPS5_jNS1_19radix_merge_compareILb1ELb1EiNS0_19identity_decomposerEEEEE10hipError_tT0_T1_T2_jT3_P12ihipStream_tbPNSt15iterator_traitsISK_E10value_typeEPNSQ_ISL_E10value_typeEPSM_NS1_7vsmem_tEENKUlT_SK_SL_SM_E_clISE_PiSF_SF_EESJ_SZ_SK_SL_SM_EUlSZ_E_NS1_11comp_targetILNS1_3genE4ELNS1_11target_archE910ELNS1_3gpuE8ELNS1_3repE0EEENS1_48merge_mergepath_partition_config_static_selectorELNS0_4arch9wavefront6targetE0EEEvSL_.uses_vcc, 0
	.set _ZN7rocprim17ROCPRIM_400000_NS6detail17trampoline_kernelINS0_14default_configENS1_38merge_sort_block_merge_config_selectorIiNS0_10empty_typeEEEZZNS1_27merge_sort_block_merge_implIS3_N6thrust23THRUST_200600_302600_NS6detail15normal_iteratorINS9_10device_ptrIiEEEEPS5_jNS1_19radix_merge_compareILb1ELb1EiNS0_19identity_decomposerEEEEE10hipError_tT0_T1_T2_jT3_P12ihipStream_tbPNSt15iterator_traitsISK_E10value_typeEPNSQ_ISL_E10value_typeEPSM_NS1_7vsmem_tEENKUlT_SK_SL_SM_E_clISE_PiSF_SF_EESJ_SZ_SK_SL_SM_EUlSZ_E_NS1_11comp_targetILNS1_3genE4ELNS1_11target_archE910ELNS1_3gpuE8ELNS1_3repE0EEENS1_48merge_mergepath_partition_config_static_selectorELNS0_4arch9wavefront6targetE0EEEvSL_.uses_flat_scratch, 0
	.set _ZN7rocprim17ROCPRIM_400000_NS6detail17trampoline_kernelINS0_14default_configENS1_38merge_sort_block_merge_config_selectorIiNS0_10empty_typeEEEZZNS1_27merge_sort_block_merge_implIS3_N6thrust23THRUST_200600_302600_NS6detail15normal_iteratorINS9_10device_ptrIiEEEEPS5_jNS1_19radix_merge_compareILb1ELb1EiNS0_19identity_decomposerEEEEE10hipError_tT0_T1_T2_jT3_P12ihipStream_tbPNSt15iterator_traitsISK_E10value_typeEPNSQ_ISL_E10value_typeEPSM_NS1_7vsmem_tEENKUlT_SK_SL_SM_E_clISE_PiSF_SF_EESJ_SZ_SK_SL_SM_EUlSZ_E_NS1_11comp_targetILNS1_3genE4ELNS1_11target_archE910ELNS1_3gpuE8ELNS1_3repE0EEENS1_48merge_mergepath_partition_config_static_selectorELNS0_4arch9wavefront6targetE0EEEvSL_.has_dyn_sized_stack, 0
	.set _ZN7rocprim17ROCPRIM_400000_NS6detail17trampoline_kernelINS0_14default_configENS1_38merge_sort_block_merge_config_selectorIiNS0_10empty_typeEEEZZNS1_27merge_sort_block_merge_implIS3_N6thrust23THRUST_200600_302600_NS6detail15normal_iteratorINS9_10device_ptrIiEEEEPS5_jNS1_19radix_merge_compareILb1ELb1EiNS0_19identity_decomposerEEEEE10hipError_tT0_T1_T2_jT3_P12ihipStream_tbPNSt15iterator_traitsISK_E10value_typeEPNSQ_ISL_E10value_typeEPSM_NS1_7vsmem_tEENKUlT_SK_SL_SM_E_clISE_PiSF_SF_EESJ_SZ_SK_SL_SM_EUlSZ_E_NS1_11comp_targetILNS1_3genE4ELNS1_11target_archE910ELNS1_3gpuE8ELNS1_3repE0EEENS1_48merge_mergepath_partition_config_static_selectorELNS0_4arch9wavefront6targetE0EEEvSL_.has_recursion, 0
	.set _ZN7rocprim17ROCPRIM_400000_NS6detail17trampoline_kernelINS0_14default_configENS1_38merge_sort_block_merge_config_selectorIiNS0_10empty_typeEEEZZNS1_27merge_sort_block_merge_implIS3_N6thrust23THRUST_200600_302600_NS6detail15normal_iteratorINS9_10device_ptrIiEEEEPS5_jNS1_19radix_merge_compareILb1ELb1EiNS0_19identity_decomposerEEEEE10hipError_tT0_T1_T2_jT3_P12ihipStream_tbPNSt15iterator_traitsISK_E10value_typeEPNSQ_ISL_E10value_typeEPSM_NS1_7vsmem_tEENKUlT_SK_SL_SM_E_clISE_PiSF_SF_EESJ_SZ_SK_SL_SM_EUlSZ_E_NS1_11comp_targetILNS1_3genE4ELNS1_11target_archE910ELNS1_3gpuE8ELNS1_3repE0EEENS1_48merge_mergepath_partition_config_static_selectorELNS0_4arch9wavefront6targetE0EEEvSL_.has_indirect_call, 0
	.section	.AMDGPU.csdata,"",@progbits
; Kernel info:
; codeLenInByte = 0
; TotalNumSgprs: 0
; NumVgprs: 0
; ScratchSize: 0
; MemoryBound: 0
; FloatMode: 240
; IeeeMode: 1
; LDSByteSize: 0 bytes/workgroup (compile time only)
; SGPRBlocks: 0
; VGPRBlocks: 0
; NumSGPRsForWavesPerEU: 1
; NumVGPRsForWavesPerEU: 1
; Occupancy: 16
; WaveLimiterHint : 0
; COMPUTE_PGM_RSRC2:SCRATCH_EN: 0
; COMPUTE_PGM_RSRC2:USER_SGPR: 6
; COMPUTE_PGM_RSRC2:TRAP_HANDLER: 0
; COMPUTE_PGM_RSRC2:TGID_X_EN: 1
; COMPUTE_PGM_RSRC2:TGID_Y_EN: 0
; COMPUTE_PGM_RSRC2:TGID_Z_EN: 0
; COMPUTE_PGM_RSRC2:TIDIG_COMP_CNT: 0
	.section	.text._ZN7rocprim17ROCPRIM_400000_NS6detail17trampoline_kernelINS0_14default_configENS1_38merge_sort_block_merge_config_selectorIiNS0_10empty_typeEEEZZNS1_27merge_sort_block_merge_implIS3_N6thrust23THRUST_200600_302600_NS6detail15normal_iteratorINS9_10device_ptrIiEEEEPS5_jNS1_19radix_merge_compareILb1ELb1EiNS0_19identity_decomposerEEEEE10hipError_tT0_T1_T2_jT3_P12ihipStream_tbPNSt15iterator_traitsISK_E10value_typeEPNSQ_ISL_E10value_typeEPSM_NS1_7vsmem_tEENKUlT_SK_SL_SM_E_clISE_PiSF_SF_EESJ_SZ_SK_SL_SM_EUlSZ_E_NS1_11comp_targetILNS1_3genE3ELNS1_11target_archE908ELNS1_3gpuE7ELNS1_3repE0EEENS1_48merge_mergepath_partition_config_static_selectorELNS0_4arch9wavefront6targetE0EEEvSL_,"axG",@progbits,_ZN7rocprim17ROCPRIM_400000_NS6detail17trampoline_kernelINS0_14default_configENS1_38merge_sort_block_merge_config_selectorIiNS0_10empty_typeEEEZZNS1_27merge_sort_block_merge_implIS3_N6thrust23THRUST_200600_302600_NS6detail15normal_iteratorINS9_10device_ptrIiEEEEPS5_jNS1_19radix_merge_compareILb1ELb1EiNS0_19identity_decomposerEEEEE10hipError_tT0_T1_T2_jT3_P12ihipStream_tbPNSt15iterator_traitsISK_E10value_typeEPNSQ_ISL_E10value_typeEPSM_NS1_7vsmem_tEENKUlT_SK_SL_SM_E_clISE_PiSF_SF_EESJ_SZ_SK_SL_SM_EUlSZ_E_NS1_11comp_targetILNS1_3genE3ELNS1_11target_archE908ELNS1_3gpuE7ELNS1_3repE0EEENS1_48merge_mergepath_partition_config_static_selectorELNS0_4arch9wavefront6targetE0EEEvSL_,comdat
	.protected	_ZN7rocprim17ROCPRIM_400000_NS6detail17trampoline_kernelINS0_14default_configENS1_38merge_sort_block_merge_config_selectorIiNS0_10empty_typeEEEZZNS1_27merge_sort_block_merge_implIS3_N6thrust23THRUST_200600_302600_NS6detail15normal_iteratorINS9_10device_ptrIiEEEEPS5_jNS1_19radix_merge_compareILb1ELb1EiNS0_19identity_decomposerEEEEE10hipError_tT0_T1_T2_jT3_P12ihipStream_tbPNSt15iterator_traitsISK_E10value_typeEPNSQ_ISL_E10value_typeEPSM_NS1_7vsmem_tEENKUlT_SK_SL_SM_E_clISE_PiSF_SF_EESJ_SZ_SK_SL_SM_EUlSZ_E_NS1_11comp_targetILNS1_3genE3ELNS1_11target_archE908ELNS1_3gpuE7ELNS1_3repE0EEENS1_48merge_mergepath_partition_config_static_selectorELNS0_4arch9wavefront6targetE0EEEvSL_ ; -- Begin function _ZN7rocprim17ROCPRIM_400000_NS6detail17trampoline_kernelINS0_14default_configENS1_38merge_sort_block_merge_config_selectorIiNS0_10empty_typeEEEZZNS1_27merge_sort_block_merge_implIS3_N6thrust23THRUST_200600_302600_NS6detail15normal_iteratorINS9_10device_ptrIiEEEEPS5_jNS1_19radix_merge_compareILb1ELb1EiNS0_19identity_decomposerEEEEE10hipError_tT0_T1_T2_jT3_P12ihipStream_tbPNSt15iterator_traitsISK_E10value_typeEPNSQ_ISL_E10value_typeEPSM_NS1_7vsmem_tEENKUlT_SK_SL_SM_E_clISE_PiSF_SF_EESJ_SZ_SK_SL_SM_EUlSZ_E_NS1_11comp_targetILNS1_3genE3ELNS1_11target_archE908ELNS1_3gpuE7ELNS1_3repE0EEENS1_48merge_mergepath_partition_config_static_selectorELNS0_4arch9wavefront6targetE0EEEvSL_
	.globl	_ZN7rocprim17ROCPRIM_400000_NS6detail17trampoline_kernelINS0_14default_configENS1_38merge_sort_block_merge_config_selectorIiNS0_10empty_typeEEEZZNS1_27merge_sort_block_merge_implIS3_N6thrust23THRUST_200600_302600_NS6detail15normal_iteratorINS9_10device_ptrIiEEEEPS5_jNS1_19radix_merge_compareILb1ELb1EiNS0_19identity_decomposerEEEEE10hipError_tT0_T1_T2_jT3_P12ihipStream_tbPNSt15iterator_traitsISK_E10value_typeEPNSQ_ISL_E10value_typeEPSM_NS1_7vsmem_tEENKUlT_SK_SL_SM_E_clISE_PiSF_SF_EESJ_SZ_SK_SL_SM_EUlSZ_E_NS1_11comp_targetILNS1_3genE3ELNS1_11target_archE908ELNS1_3gpuE7ELNS1_3repE0EEENS1_48merge_mergepath_partition_config_static_selectorELNS0_4arch9wavefront6targetE0EEEvSL_
	.p2align	8
	.type	_ZN7rocprim17ROCPRIM_400000_NS6detail17trampoline_kernelINS0_14default_configENS1_38merge_sort_block_merge_config_selectorIiNS0_10empty_typeEEEZZNS1_27merge_sort_block_merge_implIS3_N6thrust23THRUST_200600_302600_NS6detail15normal_iteratorINS9_10device_ptrIiEEEEPS5_jNS1_19radix_merge_compareILb1ELb1EiNS0_19identity_decomposerEEEEE10hipError_tT0_T1_T2_jT3_P12ihipStream_tbPNSt15iterator_traitsISK_E10value_typeEPNSQ_ISL_E10value_typeEPSM_NS1_7vsmem_tEENKUlT_SK_SL_SM_E_clISE_PiSF_SF_EESJ_SZ_SK_SL_SM_EUlSZ_E_NS1_11comp_targetILNS1_3genE3ELNS1_11target_archE908ELNS1_3gpuE7ELNS1_3repE0EEENS1_48merge_mergepath_partition_config_static_selectorELNS0_4arch9wavefront6targetE0EEEvSL_,@function
_ZN7rocprim17ROCPRIM_400000_NS6detail17trampoline_kernelINS0_14default_configENS1_38merge_sort_block_merge_config_selectorIiNS0_10empty_typeEEEZZNS1_27merge_sort_block_merge_implIS3_N6thrust23THRUST_200600_302600_NS6detail15normal_iteratorINS9_10device_ptrIiEEEEPS5_jNS1_19radix_merge_compareILb1ELb1EiNS0_19identity_decomposerEEEEE10hipError_tT0_T1_T2_jT3_P12ihipStream_tbPNSt15iterator_traitsISK_E10value_typeEPNSQ_ISL_E10value_typeEPSM_NS1_7vsmem_tEENKUlT_SK_SL_SM_E_clISE_PiSF_SF_EESJ_SZ_SK_SL_SM_EUlSZ_E_NS1_11comp_targetILNS1_3genE3ELNS1_11target_archE908ELNS1_3gpuE7ELNS1_3repE0EEENS1_48merge_mergepath_partition_config_static_selectorELNS0_4arch9wavefront6targetE0EEEvSL_: ; @_ZN7rocprim17ROCPRIM_400000_NS6detail17trampoline_kernelINS0_14default_configENS1_38merge_sort_block_merge_config_selectorIiNS0_10empty_typeEEEZZNS1_27merge_sort_block_merge_implIS3_N6thrust23THRUST_200600_302600_NS6detail15normal_iteratorINS9_10device_ptrIiEEEEPS5_jNS1_19radix_merge_compareILb1ELb1EiNS0_19identity_decomposerEEEEE10hipError_tT0_T1_T2_jT3_P12ihipStream_tbPNSt15iterator_traitsISK_E10value_typeEPNSQ_ISL_E10value_typeEPSM_NS1_7vsmem_tEENKUlT_SK_SL_SM_E_clISE_PiSF_SF_EESJ_SZ_SK_SL_SM_EUlSZ_E_NS1_11comp_targetILNS1_3genE3ELNS1_11target_archE908ELNS1_3gpuE7ELNS1_3repE0EEENS1_48merge_mergepath_partition_config_static_selectorELNS0_4arch9wavefront6targetE0EEEvSL_
; %bb.0:
	.section	.rodata,"a",@progbits
	.p2align	6, 0x0
	.amdhsa_kernel _ZN7rocprim17ROCPRIM_400000_NS6detail17trampoline_kernelINS0_14default_configENS1_38merge_sort_block_merge_config_selectorIiNS0_10empty_typeEEEZZNS1_27merge_sort_block_merge_implIS3_N6thrust23THRUST_200600_302600_NS6detail15normal_iteratorINS9_10device_ptrIiEEEEPS5_jNS1_19radix_merge_compareILb1ELb1EiNS0_19identity_decomposerEEEEE10hipError_tT0_T1_T2_jT3_P12ihipStream_tbPNSt15iterator_traitsISK_E10value_typeEPNSQ_ISL_E10value_typeEPSM_NS1_7vsmem_tEENKUlT_SK_SL_SM_E_clISE_PiSF_SF_EESJ_SZ_SK_SL_SM_EUlSZ_E_NS1_11comp_targetILNS1_3genE3ELNS1_11target_archE908ELNS1_3gpuE7ELNS1_3repE0EEENS1_48merge_mergepath_partition_config_static_selectorELNS0_4arch9wavefront6targetE0EEEvSL_
		.amdhsa_group_segment_fixed_size 0
		.amdhsa_private_segment_fixed_size 0
		.amdhsa_kernarg_size 40
		.amdhsa_user_sgpr_count 6
		.amdhsa_user_sgpr_private_segment_buffer 1
		.amdhsa_user_sgpr_dispatch_ptr 0
		.amdhsa_user_sgpr_queue_ptr 0
		.amdhsa_user_sgpr_kernarg_segment_ptr 1
		.amdhsa_user_sgpr_dispatch_id 0
		.amdhsa_user_sgpr_flat_scratch_init 0
		.amdhsa_user_sgpr_private_segment_size 0
		.amdhsa_wavefront_size32 1
		.amdhsa_uses_dynamic_stack 0
		.amdhsa_system_sgpr_private_segment_wavefront_offset 0
		.amdhsa_system_sgpr_workgroup_id_x 1
		.amdhsa_system_sgpr_workgroup_id_y 0
		.amdhsa_system_sgpr_workgroup_id_z 0
		.amdhsa_system_sgpr_workgroup_info 0
		.amdhsa_system_vgpr_workitem_id 0
		.amdhsa_next_free_vgpr 1
		.amdhsa_next_free_sgpr 1
		.amdhsa_reserve_vcc 0
		.amdhsa_reserve_flat_scratch 0
		.amdhsa_float_round_mode_32 0
		.amdhsa_float_round_mode_16_64 0
		.amdhsa_float_denorm_mode_32 3
		.amdhsa_float_denorm_mode_16_64 3
		.amdhsa_dx10_clamp 1
		.amdhsa_ieee_mode 1
		.amdhsa_fp16_overflow 0
		.amdhsa_workgroup_processor_mode 1
		.amdhsa_memory_ordered 1
		.amdhsa_forward_progress 1
		.amdhsa_shared_vgpr_count 0
		.amdhsa_exception_fp_ieee_invalid_op 0
		.amdhsa_exception_fp_denorm_src 0
		.amdhsa_exception_fp_ieee_div_zero 0
		.amdhsa_exception_fp_ieee_overflow 0
		.amdhsa_exception_fp_ieee_underflow 0
		.amdhsa_exception_fp_ieee_inexact 0
		.amdhsa_exception_int_div_zero 0
	.end_amdhsa_kernel
	.section	.text._ZN7rocprim17ROCPRIM_400000_NS6detail17trampoline_kernelINS0_14default_configENS1_38merge_sort_block_merge_config_selectorIiNS0_10empty_typeEEEZZNS1_27merge_sort_block_merge_implIS3_N6thrust23THRUST_200600_302600_NS6detail15normal_iteratorINS9_10device_ptrIiEEEEPS5_jNS1_19radix_merge_compareILb1ELb1EiNS0_19identity_decomposerEEEEE10hipError_tT0_T1_T2_jT3_P12ihipStream_tbPNSt15iterator_traitsISK_E10value_typeEPNSQ_ISL_E10value_typeEPSM_NS1_7vsmem_tEENKUlT_SK_SL_SM_E_clISE_PiSF_SF_EESJ_SZ_SK_SL_SM_EUlSZ_E_NS1_11comp_targetILNS1_3genE3ELNS1_11target_archE908ELNS1_3gpuE7ELNS1_3repE0EEENS1_48merge_mergepath_partition_config_static_selectorELNS0_4arch9wavefront6targetE0EEEvSL_,"axG",@progbits,_ZN7rocprim17ROCPRIM_400000_NS6detail17trampoline_kernelINS0_14default_configENS1_38merge_sort_block_merge_config_selectorIiNS0_10empty_typeEEEZZNS1_27merge_sort_block_merge_implIS3_N6thrust23THRUST_200600_302600_NS6detail15normal_iteratorINS9_10device_ptrIiEEEEPS5_jNS1_19radix_merge_compareILb1ELb1EiNS0_19identity_decomposerEEEEE10hipError_tT0_T1_T2_jT3_P12ihipStream_tbPNSt15iterator_traitsISK_E10value_typeEPNSQ_ISL_E10value_typeEPSM_NS1_7vsmem_tEENKUlT_SK_SL_SM_E_clISE_PiSF_SF_EESJ_SZ_SK_SL_SM_EUlSZ_E_NS1_11comp_targetILNS1_3genE3ELNS1_11target_archE908ELNS1_3gpuE7ELNS1_3repE0EEENS1_48merge_mergepath_partition_config_static_selectorELNS0_4arch9wavefront6targetE0EEEvSL_,comdat
.Lfunc_end298:
	.size	_ZN7rocprim17ROCPRIM_400000_NS6detail17trampoline_kernelINS0_14default_configENS1_38merge_sort_block_merge_config_selectorIiNS0_10empty_typeEEEZZNS1_27merge_sort_block_merge_implIS3_N6thrust23THRUST_200600_302600_NS6detail15normal_iteratorINS9_10device_ptrIiEEEEPS5_jNS1_19radix_merge_compareILb1ELb1EiNS0_19identity_decomposerEEEEE10hipError_tT0_T1_T2_jT3_P12ihipStream_tbPNSt15iterator_traitsISK_E10value_typeEPNSQ_ISL_E10value_typeEPSM_NS1_7vsmem_tEENKUlT_SK_SL_SM_E_clISE_PiSF_SF_EESJ_SZ_SK_SL_SM_EUlSZ_E_NS1_11comp_targetILNS1_3genE3ELNS1_11target_archE908ELNS1_3gpuE7ELNS1_3repE0EEENS1_48merge_mergepath_partition_config_static_selectorELNS0_4arch9wavefront6targetE0EEEvSL_, .Lfunc_end298-_ZN7rocprim17ROCPRIM_400000_NS6detail17trampoline_kernelINS0_14default_configENS1_38merge_sort_block_merge_config_selectorIiNS0_10empty_typeEEEZZNS1_27merge_sort_block_merge_implIS3_N6thrust23THRUST_200600_302600_NS6detail15normal_iteratorINS9_10device_ptrIiEEEEPS5_jNS1_19radix_merge_compareILb1ELb1EiNS0_19identity_decomposerEEEEE10hipError_tT0_T1_T2_jT3_P12ihipStream_tbPNSt15iterator_traitsISK_E10value_typeEPNSQ_ISL_E10value_typeEPSM_NS1_7vsmem_tEENKUlT_SK_SL_SM_E_clISE_PiSF_SF_EESJ_SZ_SK_SL_SM_EUlSZ_E_NS1_11comp_targetILNS1_3genE3ELNS1_11target_archE908ELNS1_3gpuE7ELNS1_3repE0EEENS1_48merge_mergepath_partition_config_static_selectorELNS0_4arch9wavefront6targetE0EEEvSL_
                                        ; -- End function
	.set _ZN7rocprim17ROCPRIM_400000_NS6detail17trampoline_kernelINS0_14default_configENS1_38merge_sort_block_merge_config_selectorIiNS0_10empty_typeEEEZZNS1_27merge_sort_block_merge_implIS3_N6thrust23THRUST_200600_302600_NS6detail15normal_iteratorINS9_10device_ptrIiEEEEPS5_jNS1_19radix_merge_compareILb1ELb1EiNS0_19identity_decomposerEEEEE10hipError_tT0_T1_T2_jT3_P12ihipStream_tbPNSt15iterator_traitsISK_E10value_typeEPNSQ_ISL_E10value_typeEPSM_NS1_7vsmem_tEENKUlT_SK_SL_SM_E_clISE_PiSF_SF_EESJ_SZ_SK_SL_SM_EUlSZ_E_NS1_11comp_targetILNS1_3genE3ELNS1_11target_archE908ELNS1_3gpuE7ELNS1_3repE0EEENS1_48merge_mergepath_partition_config_static_selectorELNS0_4arch9wavefront6targetE0EEEvSL_.num_vgpr, 0
	.set _ZN7rocprim17ROCPRIM_400000_NS6detail17trampoline_kernelINS0_14default_configENS1_38merge_sort_block_merge_config_selectorIiNS0_10empty_typeEEEZZNS1_27merge_sort_block_merge_implIS3_N6thrust23THRUST_200600_302600_NS6detail15normal_iteratorINS9_10device_ptrIiEEEEPS5_jNS1_19radix_merge_compareILb1ELb1EiNS0_19identity_decomposerEEEEE10hipError_tT0_T1_T2_jT3_P12ihipStream_tbPNSt15iterator_traitsISK_E10value_typeEPNSQ_ISL_E10value_typeEPSM_NS1_7vsmem_tEENKUlT_SK_SL_SM_E_clISE_PiSF_SF_EESJ_SZ_SK_SL_SM_EUlSZ_E_NS1_11comp_targetILNS1_3genE3ELNS1_11target_archE908ELNS1_3gpuE7ELNS1_3repE0EEENS1_48merge_mergepath_partition_config_static_selectorELNS0_4arch9wavefront6targetE0EEEvSL_.num_agpr, 0
	.set _ZN7rocprim17ROCPRIM_400000_NS6detail17trampoline_kernelINS0_14default_configENS1_38merge_sort_block_merge_config_selectorIiNS0_10empty_typeEEEZZNS1_27merge_sort_block_merge_implIS3_N6thrust23THRUST_200600_302600_NS6detail15normal_iteratorINS9_10device_ptrIiEEEEPS5_jNS1_19radix_merge_compareILb1ELb1EiNS0_19identity_decomposerEEEEE10hipError_tT0_T1_T2_jT3_P12ihipStream_tbPNSt15iterator_traitsISK_E10value_typeEPNSQ_ISL_E10value_typeEPSM_NS1_7vsmem_tEENKUlT_SK_SL_SM_E_clISE_PiSF_SF_EESJ_SZ_SK_SL_SM_EUlSZ_E_NS1_11comp_targetILNS1_3genE3ELNS1_11target_archE908ELNS1_3gpuE7ELNS1_3repE0EEENS1_48merge_mergepath_partition_config_static_selectorELNS0_4arch9wavefront6targetE0EEEvSL_.numbered_sgpr, 0
	.set _ZN7rocprim17ROCPRIM_400000_NS6detail17trampoline_kernelINS0_14default_configENS1_38merge_sort_block_merge_config_selectorIiNS0_10empty_typeEEEZZNS1_27merge_sort_block_merge_implIS3_N6thrust23THRUST_200600_302600_NS6detail15normal_iteratorINS9_10device_ptrIiEEEEPS5_jNS1_19radix_merge_compareILb1ELb1EiNS0_19identity_decomposerEEEEE10hipError_tT0_T1_T2_jT3_P12ihipStream_tbPNSt15iterator_traitsISK_E10value_typeEPNSQ_ISL_E10value_typeEPSM_NS1_7vsmem_tEENKUlT_SK_SL_SM_E_clISE_PiSF_SF_EESJ_SZ_SK_SL_SM_EUlSZ_E_NS1_11comp_targetILNS1_3genE3ELNS1_11target_archE908ELNS1_3gpuE7ELNS1_3repE0EEENS1_48merge_mergepath_partition_config_static_selectorELNS0_4arch9wavefront6targetE0EEEvSL_.num_named_barrier, 0
	.set _ZN7rocprim17ROCPRIM_400000_NS6detail17trampoline_kernelINS0_14default_configENS1_38merge_sort_block_merge_config_selectorIiNS0_10empty_typeEEEZZNS1_27merge_sort_block_merge_implIS3_N6thrust23THRUST_200600_302600_NS6detail15normal_iteratorINS9_10device_ptrIiEEEEPS5_jNS1_19radix_merge_compareILb1ELb1EiNS0_19identity_decomposerEEEEE10hipError_tT0_T1_T2_jT3_P12ihipStream_tbPNSt15iterator_traitsISK_E10value_typeEPNSQ_ISL_E10value_typeEPSM_NS1_7vsmem_tEENKUlT_SK_SL_SM_E_clISE_PiSF_SF_EESJ_SZ_SK_SL_SM_EUlSZ_E_NS1_11comp_targetILNS1_3genE3ELNS1_11target_archE908ELNS1_3gpuE7ELNS1_3repE0EEENS1_48merge_mergepath_partition_config_static_selectorELNS0_4arch9wavefront6targetE0EEEvSL_.private_seg_size, 0
	.set _ZN7rocprim17ROCPRIM_400000_NS6detail17trampoline_kernelINS0_14default_configENS1_38merge_sort_block_merge_config_selectorIiNS0_10empty_typeEEEZZNS1_27merge_sort_block_merge_implIS3_N6thrust23THRUST_200600_302600_NS6detail15normal_iteratorINS9_10device_ptrIiEEEEPS5_jNS1_19radix_merge_compareILb1ELb1EiNS0_19identity_decomposerEEEEE10hipError_tT0_T1_T2_jT3_P12ihipStream_tbPNSt15iterator_traitsISK_E10value_typeEPNSQ_ISL_E10value_typeEPSM_NS1_7vsmem_tEENKUlT_SK_SL_SM_E_clISE_PiSF_SF_EESJ_SZ_SK_SL_SM_EUlSZ_E_NS1_11comp_targetILNS1_3genE3ELNS1_11target_archE908ELNS1_3gpuE7ELNS1_3repE0EEENS1_48merge_mergepath_partition_config_static_selectorELNS0_4arch9wavefront6targetE0EEEvSL_.uses_vcc, 0
	.set _ZN7rocprim17ROCPRIM_400000_NS6detail17trampoline_kernelINS0_14default_configENS1_38merge_sort_block_merge_config_selectorIiNS0_10empty_typeEEEZZNS1_27merge_sort_block_merge_implIS3_N6thrust23THRUST_200600_302600_NS6detail15normal_iteratorINS9_10device_ptrIiEEEEPS5_jNS1_19radix_merge_compareILb1ELb1EiNS0_19identity_decomposerEEEEE10hipError_tT0_T1_T2_jT3_P12ihipStream_tbPNSt15iterator_traitsISK_E10value_typeEPNSQ_ISL_E10value_typeEPSM_NS1_7vsmem_tEENKUlT_SK_SL_SM_E_clISE_PiSF_SF_EESJ_SZ_SK_SL_SM_EUlSZ_E_NS1_11comp_targetILNS1_3genE3ELNS1_11target_archE908ELNS1_3gpuE7ELNS1_3repE0EEENS1_48merge_mergepath_partition_config_static_selectorELNS0_4arch9wavefront6targetE0EEEvSL_.uses_flat_scratch, 0
	.set _ZN7rocprim17ROCPRIM_400000_NS6detail17trampoline_kernelINS0_14default_configENS1_38merge_sort_block_merge_config_selectorIiNS0_10empty_typeEEEZZNS1_27merge_sort_block_merge_implIS3_N6thrust23THRUST_200600_302600_NS6detail15normal_iteratorINS9_10device_ptrIiEEEEPS5_jNS1_19radix_merge_compareILb1ELb1EiNS0_19identity_decomposerEEEEE10hipError_tT0_T1_T2_jT3_P12ihipStream_tbPNSt15iterator_traitsISK_E10value_typeEPNSQ_ISL_E10value_typeEPSM_NS1_7vsmem_tEENKUlT_SK_SL_SM_E_clISE_PiSF_SF_EESJ_SZ_SK_SL_SM_EUlSZ_E_NS1_11comp_targetILNS1_3genE3ELNS1_11target_archE908ELNS1_3gpuE7ELNS1_3repE0EEENS1_48merge_mergepath_partition_config_static_selectorELNS0_4arch9wavefront6targetE0EEEvSL_.has_dyn_sized_stack, 0
	.set _ZN7rocprim17ROCPRIM_400000_NS6detail17trampoline_kernelINS0_14default_configENS1_38merge_sort_block_merge_config_selectorIiNS0_10empty_typeEEEZZNS1_27merge_sort_block_merge_implIS3_N6thrust23THRUST_200600_302600_NS6detail15normal_iteratorINS9_10device_ptrIiEEEEPS5_jNS1_19radix_merge_compareILb1ELb1EiNS0_19identity_decomposerEEEEE10hipError_tT0_T1_T2_jT3_P12ihipStream_tbPNSt15iterator_traitsISK_E10value_typeEPNSQ_ISL_E10value_typeEPSM_NS1_7vsmem_tEENKUlT_SK_SL_SM_E_clISE_PiSF_SF_EESJ_SZ_SK_SL_SM_EUlSZ_E_NS1_11comp_targetILNS1_3genE3ELNS1_11target_archE908ELNS1_3gpuE7ELNS1_3repE0EEENS1_48merge_mergepath_partition_config_static_selectorELNS0_4arch9wavefront6targetE0EEEvSL_.has_recursion, 0
	.set _ZN7rocprim17ROCPRIM_400000_NS6detail17trampoline_kernelINS0_14default_configENS1_38merge_sort_block_merge_config_selectorIiNS0_10empty_typeEEEZZNS1_27merge_sort_block_merge_implIS3_N6thrust23THRUST_200600_302600_NS6detail15normal_iteratorINS9_10device_ptrIiEEEEPS5_jNS1_19radix_merge_compareILb1ELb1EiNS0_19identity_decomposerEEEEE10hipError_tT0_T1_T2_jT3_P12ihipStream_tbPNSt15iterator_traitsISK_E10value_typeEPNSQ_ISL_E10value_typeEPSM_NS1_7vsmem_tEENKUlT_SK_SL_SM_E_clISE_PiSF_SF_EESJ_SZ_SK_SL_SM_EUlSZ_E_NS1_11comp_targetILNS1_3genE3ELNS1_11target_archE908ELNS1_3gpuE7ELNS1_3repE0EEENS1_48merge_mergepath_partition_config_static_selectorELNS0_4arch9wavefront6targetE0EEEvSL_.has_indirect_call, 0
	.section	.AMDGPU.csdata,"",@progbits
; Kernel info:
; codeLenInByte = 0
; TotalNumSgprs: 0
; NumVgprs: 0
; ScratchSize: 0
; MemoryBound: 0
; FloatMode: 240
; IeeeMode: 1
; LDSByteSize: 0 bytes/workgroup (compile time only)
; SGPRBlocks: 0
; VGPRBlocks: 0
; NumSGPRsForWavesPerEU: 1
; NumVGPRsForWavesPerEU: 1
; Occupancy: 16
; WaveLimiterHint : 0
; COMPUTE_PGM_RSRC2:SCRATCH_EN: 0
; COMPUTE_PGM_RSRC2:USER_SGPR: 6
; COMPUTE_PGM_RSRC2:TRAP_HANDLER: 0
; COMPUTE_PGM_RSRC2:TGID_X_EN: 1
; COMPUTE_PGM_RSRC2:TGID_Y_EN: 0
; COMPUTE_PGM_RSRC2:TGID_Z_EN: 0
; COMPUTE_PGM_RSRC2:TIDIG_COMP_CNT: 0
	.section	.text._ZN7rocprim17ROCPRIM_400000_NS6detail17trampoline_kernelINS0_14default_configENS1_38merge_sort_block_merge_config_selectorIiNS0_10empty_typeEEEZZNS1_27merge_sort_block_merge_implIS3_N6thrust23THRUST_200600_302600_NS6detail15normal_iteratorINS9_10device_ptrIiEEEEPS5_jNS1_19radix_merge_compareILb1ELb1EiNS0_19identity_decomposerEEEEE10hipError_tT0_T1_T2_jT3_P12ihipStream_tbPNSt15iterator_traitsISK_E10value_typeEPNSQ_ISL_E10value_typeEPSM_NS1_7vsmem_tEENKUlT_SK_SL_SM_E_clISE_PiSF_SF_EESJ_SZ_SK_SL_SM_EUlSZ_E_NS1_11comp_targetILNS1_3genE2ELNS1_11target_archE906ELNS1_3gpuE6ELNS1_3repE0EEENS1_48merge_mergepath_partition_config_static_selectorELNS0_4arch9wavefront6targetE0EEEvSL_,"axG",@progbits,_ZN7rocprim17ROCPRIM_400000_NS6detail17trampoline_kernelINS0_14default_configENS1_38merge_sort_block_merge_config_selectorIiNS0_10empty_typeEEEZZNS1_27merge_sort_block_merge_implIS3_N6thrust23THRUST_200600_302600_NS6detail15normal_iteratorINS9_10device_ptrIiEEEEPS5_jNS1_19radix_merge_compareILb1ELb1EiNS0_19identity_decomposerEEEEE10hipError_tT0_T1_T2_jT3_P12ihipStream_tbPNSt15iterator_traitsISK_E10value_typeEPNSQ_ISL_E10value_typeEPSM_NS1_7vsmem_tEENKUlT_SK_SL_SM_E_clISE_PiSF_SF_EESJ_SZ_SK_SL_SM_EUlSZ_E_NS1_11comp_targetILNS1_3genE2ELNS1_11target_archE906ELNS1_3gpuE6ELNS1_3repE0EEENS1_48merge_mergepath_partition_config_static_selectorELNS0_4arch9wavefront6targetE0EEEvSL_,comdat
	.protected	_ZN7rocprim17ROCPRIM_400000_NS6detail17trampoline_kernelINS0_14default_configENS1_38merge_sort_block_merge_config_selectorIiNS0_10empty_typeEEEZZNS1_27merge_sort_block_merge_implIS3_N6thrust23THRUST_200600_302600_NS6detail15normal_iteratorINS9_10device_ptrIiEEEEPS5_jNS1_19radix_merge_compareILb1ELb1EiNS0_19identity_decomposerEEEEE10hipError_tT0_T1_T2_jT3_P12ihipStream_tbPNSt15iterator_traitsISK_E10value_typeEPNSQ_ISL_E10value_typeEPSM_NS1_7vsmem_tEENKUlT_SK_SL_SM_E_clISE_PiSF_SF_EESJ_SZ_SK_SL_SM_EUlSZ_E_NS1_11comp_targetILNS1_3genE2ELNS1_11target_archE906ELNS1_3gpuE6ELNS1_3repE0EEENS1_48merge_mergepath_partition_config_static_selectorELNS0_4arch9wavefront6targetE0EEEvSL_ ; -- Begin function _ZN7rocprim17ROCPRIM_400000_NS6detail17trampoline_kernelINS0_14default_configENS1_38merge_sort_block_merge_config_selectorIiNS0_10empty_typeEEEZZNS1_27merge_sort_block_merge_implIS3_N6thrust23THRUST_200600_302600_NS6detail15normal_iteratorINS9_10device_ptrIiEEEEPS5_jNS1_19radix_merge_compareILb1ELb1EiNS0_19identity_decomposerEEEEE10hipError_tT0_T1_T2_jT3_P12ihipStream_tbPNSt15iterator_traitsISK_E10value_typeEPNSQ_ISL_E10value_typeEPSM_NS1_7vsmem_tEENKUlT_SK_SL_SM_E_clISE_PiSF_SF_EESJ_SZ_SK_SL_SM_EUlSZ_E_NS1_11comp_targetILNS1_3genE2ELNS1_11target_archE906ELNS1_3gpuE6ELNS1_3repE0EEENS1_48merge_mergepath_partition_config_static_selectorELNS0_4arch9wavefront6targetE0EEEvSL_
	.globl	_ZN7rocprim17ROCPRIM_400000_NS6detail17trampoline_kernelINS0_14default_configENS1_38merge_sort_block_merge_config_selectorIiNS0_10empty_typeEEEZZNS1_27merge_sort_block_merge_implIS3_N6thrust23THRUST_200600_302600_NS6detail15normal_iteratorINS9_10device_ptrIiEEEEPS5_jNS1_19radix_merge_compareILb1ELb1EiNS0_19identity_decomposerEEEEE10hipError_tT0_T1_T2_jT3_P12ihipStream_tbPNSt15iterator_traitsISK_E10value_typeEPNSQ_ISL_E10value_typeEPSM_NS1_7vsmem_tEENKUlT_SK_SL_SM_E_clISE_PiSF_SF_EESJ_SZ_SK_SL_SM_EUlSZ_E_NS1_11comp_targetILNS1_3genE2ELNS1_11target_archE906ELNS1_3gpuE6ELNS1_3repE0EEENS1_48merge_mergepath_partition_config_static_selectorELNS0_4arch9wavefront6targetE0EEEvSL_
	.p2align	8
	.type	_ZN7rocprim17ROCPRIM_400000_NS6detail17trampoline_kernelINS0_14default_configENS1_38merge_sort_block_merge_config_selectorIiNS0_10empty_typeEEEZZNS1_27merge_sort_block_merge_implIS3_N6thrust23THRUST_200600_302600_NS6detail15normal_iteratorINS9_10device_ptrIiEEEEPS5_jNS1_19radix_merge_compareILb1ELb1EiNS0_19identity_decomposerEEEEE10hipError_tT0_T1_T2_jT3_P12ihipStream_tbPNSt15iterator_traitsISK_E10value_typeEPNSQ_ISL_E10value_typeEPSM_NS1_7vsmem_tEENKUlT_SK_SL_SM_E_clISE_PiSF_SF_EESJ_SZ_SK_SL_SM_EUlSZ_E_NS1_11comp_targetILNS1_3genE2ELNS1_11target_archE906ELNS1_3gpuE6ELNS1_3repE0EEENS1_48merge_mergepath_partition_config_static_selectorELNS0_4arch9wavefront6targetE0EEEvSL_,@function
_ZN7rocprim17ROCPRIM_400000_NS6detail17trampoline_kernelINS0_14default_configENS1_38merge_sort_block_merge_config_selectorIiNS0_10empty_typeEEEZZNS1_27merge_sort_block_merge_implIS3_N6thrust23THRUST_200600_302600_NS6detail15normal_iteratorINS9_10device_ptrIiEEEEPS5_jNS1_19radix_merge_compareILb1ELb1EiNS0_19identity_decomposerEEEEE10hipError_tT0_T1_T2_jT3_P12ihipStream_tbPNSt15iterator_traitsISK_E10value_typeEPNSQ_ISL_E10value_typeEPSM_NS1_7vsmem_tEENKUlT_SK_SL_SM_E_clISE_PiSF_SF_EESJ_SZ_SK_SL_SM_EUlSZ_E_NS1_11comp_targetILNS1_3genE2ELNS1_11target_archE906ELNS1_3gpuE6ELNS1_3repE0EEENS1_48merge_mergepath_partition_config_static_selectorELNS0_4arch9wavefront6targetE0EEEvSL_: ; @_ZN7rocprim17ROCPRIM_400000_NS6detail17trampoline_kernelINS0_14default_configENS1_38merge_sort_block_merge_config_selectorIiNS0_10empty_typeEEEZZNS1_27merge_sort_block_merge_implIS3_N6thrust23THRUST_200600_302600_NS6detail15normal_iteratorINS9_10device_ptrIiEEEEPS5_jNS1_19radix_merge_compareILb1ELb1EiNS0_19identity_decomposerEEEEE10hipError_tT0_T1_T2_jT3_P12ihipStream_tbPNSt15iterator_traitsISK_E10value_typeEPNSQ_ISL_E10value_typeEPSM_NS1_7vsmem_tEENKUlT_SK_SL_SM_E_clISE_PiSF_SF_EESJ_SZ_SK_SL_SM_EUlSZ_E_NS1_11comp_targetILNS1_3genE2ELNS1_11target_archE906ELNS1_3gpuE6ELNS1_3repE0EEENS1_48merge_mergepath_partition_config_static_selectorELNS0_4arch9wavefront6targetE0EEEvSL_
; %bb.0:
	.section	.rodata,"a",@progbits
	.p2align	6, 0x0
	.amdhsa_kernel _ZN7rocprim17ROCPRIM_400000_NS6detail17trampoline_kernelINS0_14default_configENS1_38merge_sort_block_merge_config_selectorIiNS0_10empty_typeEEEZZNS1_27merge_sort_block_merge_implIS3_N6thrust23THRUST_200600_302600_NS6detail15normal_iteratorINS9_10device_ptrIiEEEEPS5_jNS1_19radix_merge_compareILb1ELb1EiNS0_19identity_decomposerEEEEE10hipError_tT0_T1_T2_jT3_P12ihipStream_tbPNSt15iterator_traitsISK_E10value_typeEPNSQ_ISL_E10value_typeEPSM_NS1_7vsmem_tEENKUlT_SK_SL_SM_E_clISE_PiSF_SF_EESJ_SZ_SK_SL_SM_EUlSZ_E_NS1_11comp_targetILNS1_3genE2ELNS1_11target_archE906ELNS1_3gpuE6ELNS1_3repE0EEENS1_48merge_mergepath_partition_config_static_selectorELNS0_4arch9wavefront6targetE0EEEvSL_
		.amdhsa_group_segment_fixed_size 0
		.amdhsa_private_segment_fixed_size 0
		.amdhsa_kernarg_size 40
		.amdhsa_user_sgpr_count 6
		.amdhsa_user_sgpr_private_segment_buffer 1
		.amdhsa_user_sgpr_dispatch_ptr 0
		.amdhsa_user_sgpr_queue_ptr 0
		.amdhsa_user_sgpr_kernarg_segment_ptr 1
		.amdhsa_user_sgpr_dispatch_id 0
		.amdhsa_user_sgpr_flat_scratch_init 0
		.amdhsa_user_sgpr_private_segment_size 0
		.amdhsa_wavefront_size32 1
		.amdhsa_uses_dynamic_stack 0
		.amdhsa_system_sgpr_private_segment_wavefront_offset 0
		.amdhsa_system_sgpr_workgroup_id_x 1
		.amdhsa_system_sgpr_workgroup_id_y 0
		.amdhsa_system_sgpr_workgroup_id_z 0
		.amdhsa_system_sgpr_workgroup_info 0
		.amdhsa_system_vgpr_workitem_id 0
		.amdhsa_next_free_vgpr 1
		.amdhsa_next_free_sgpr 1
		.amdhsa_reserve_vcc 0
		.amdhsa_reserve_flat_scratch 0
		.amdhsa_float_round_mode_32 0
		.amdhsa_float_round_mode_16_64 0
		.amdhsa_float_denorm_mode_32 3
		.amdhsa_float_denorm_mode_16_64 3
		.amdhsa_dx10_clamp 1
		.amdhsa_ieee_mode 1
		.amdhsa_fp16_overflow 0
		.amdhsa_workgroup_processor_mode 1
		.amdhsa_memory_ordered 1
		.amdhsa_forward_progress 1
		.amdhsa_shared_vgpr_count 0
		.amdhsa_exception_fp_ieee_invalid_op 0
		.amdhsa_exception_fp_denorm_src 0
		.amdhsa_exception_fp_ieee_div_zero 0
		.amdhsa_exception_fp_ieee_overflow 0
		.amdhsa_exception_fp_ieee_underflow 0
		.amdhsa_exception_fp_ieee_inexact 0
		.amdhsa_exception_int_div_zero 0
	.end_amdhsa_kernel
	.section	.text._ZN7rocprim17ROCPRIM_400000_NS6detail17trampoline_kernelINS0_14default_configENS1_38merge_sort_block_merge_config_selectorIiNS0_10empty_typeEEEZZNS1_27merge_sort_block_merge_implIS3_N6thrust23THRUST_200600_302600_NS6detail15normal_iteratorINS9_10device_ptrIiEEEEPS5_jNS1_19radix_merge_compareILb1ELb1EiNS0_19identity_decomposerEEEEE10hipError_tT0_T1_T2_jT3_P12ihipStream_tbPNSt15iterator_traitsISK_E10value_typeEPNSQ_ISL_E10value_typeEPSM_NS1_7vsmem_tEENKUlT_SK_SL_SM_E_clISE_PiSF_SF_EESJ_SZ_SK_SL_SM_EUlSZ_E_NS1_11comp_targetILNS1_3genE2ELNS1_11target_archE906ELNS1_3gpuE6ELNS1_3repE0EEENS1_48merge_mergepath_partition_config_static_selectorELNS0_4arch9wavefront6targetE0EEEvSL_,"axG",@progbits,_ZN7rocprim17ROCPRIM_400000_NS6detail17trampoline_kernelINS0_14default_configENS1_38merge_sort_block_merge_config_selectorIiNS0_10empty_typeEEEZZNS1_27merge_sort_block_merge_implIS3_N6thrust23THRUST_200600_302600_NS6detail15normal_iteratorINS9_10device_ptrIiEEEEPS5_jNS1_19radix_merge_compareILb1ELb1EiNS0_19identity_decomposerEEEEE10hipError_tT0_T1_T2_jT3_P12ihipStream_tbPNSt15iterator_traitsISK_E10value_typeEPNSQ_ISL_E10value_typeEPSM_NS1_7vsmem_tEENKUlT_SK_SL_SM_E_clISE_PiSF_SF_EESJ_SZ_SK_SL_SM_EUlSZ_E_NS1_11comp_targetILNS1_3genE2ELNS1_11target_archE906ELNS1_3gpuE6ELNS1_3repE0EEENS1_48merge_mergepath_partition_config_static_selectorELNS0_4arch9wavefront6targetE0EEEvSL_,comdat
.Lfunc_end299:
	.size	_ZN7rocprim17ROCPRIM_400000_NS6detail17trampoline_kernelINS0_14default_configENS1_38merge_sort_block_merge_config_selectorIiNS0_10empty_typeEEEZZNS1_27merge_sort_block_merge_implIS3_N6thrust23THRUST_200600_302600_NS6detail15normal_iteratorINS9_10device_ptrIiEEEEPS5_jNS1_19radix_merge_compareILb1ELb1EiNS0_19identity_decomposerEEEEE10hipError_tT0_T1_T2_jT3_P12ihipStream_tbPNSt15iterator_traitsISK_E10value_typeEPNSQ_ISL_E10value_typeEPSM_NS1_7vsmem_tEENKUlT_SK_SL_SM_E_clISE_PiSF_SF_EESJ_SZ_SK_SL_SM_EUlSZ_E_NS1_11comp_targetILNS1_3genE2ELNS1_11target_archE906ELNS1_3gpuE6ELNS1_3repE0EEENS1_48merge_mergepath_partition_config_static_selectorELNS0_4arch9wavefront6targetE0EEEvSL_, .Lfunc_end299-_ZN7rocprim17ROCPRIM_400000_NS6detail17trampoline_kernelINS0_14default_configENS1_38merge_sort_block_merge_config_selectorIiNS0_10empty_typeEEEZZNS1_27merge_sort_block_merge_implIS3_N6thrust23THRUST_200600_302600_NS6detail15normal_iteratorINS9_10device_ptrIiEEEEPS5_jNS1_19radix_merge_compareILb1ELb1EiNS0_19identity_decomposerEEEEE10hipError_tT0_T1_T2_jT3_P12ihipStream_tbPNSt15iterator_traitsISK_E10value_typeEPNSQ_ISL_E10value_typeEPSM_NS1_7vsmem_tEENKUlT_SK_SL_SM_E_clISE_PiSF_SF_EESJ_SZ_SK_SL_SM_EUlSZ_E_NS1_11comp_targetILNS1_3genE2ELNS1_11target_archE906ELNS1_3gpuE6ELNS1_3repE0EEENS1_48merge_mergepath_partition_config_static_selectorELNS0_4arch9wavefront6targetE0EEEvSL_
                                        ; -- End function
	.set _ZN7rocprim17ROCPRIM_400000_NS6detail17trampoline_kernelINS0_14default_configENS1_38merge_sort_block_merge_config_selectorIiNS0_10empty_typeEEEZZNS1_27merge_sort_block_merge_implIS3_N6thrust23THRUST_200600_302600_NS6detail15normal_iteratorINS9_10device_ptrIiEEEEPS5_jNS1_19radix_merge_compareILb1ELb1EiNS0_19identity_decomposerEEEEE10hipError_tT0_T1_T2_jT3_P12ihipStream_tbPNSt15iterator_traitsISK_E10value_typeEPNSQ_ISL_E10value_typeEPSM_NS1_7vsmem_tEENKUlT_SK_SL_SM_E_clISE_PiSF_SF_EESJ_SZ_SK_SL_SM_EUlSZ_E_NS1_11comp_targetILNS1_3genE2ELNS1_11target_archE906ELNS1_3gpuE6ELNS1_3repE0EEENS1_48merge_mergepath_partition_config_static_selectorELNS0_4arch9wavefront6targetE0EEEvSL_.num_vgpr, 0
	.set _ZN7rocprim17ROCPRIM_400000_NS6detail17trampoline_kernelINS0_14default_configENS1_38merge_sort_block_merge_config_selectorIiNS0_10empty_typeEEEZZNS1_27merge_sort_block_merge_implIS3_N6thrust23THRUST_200600_302600_NS6detail15normal_iteratorINS9_10device_ptrIiEEEEPS5_jNS1_19radix_merge_compareILb1ELb1EiNS0_19identity_decomposerEEEEE10hipError_tT0_T1_T2_jT3_P12ihipStream_tbPNSt15iterator_traitsISK_E10value_typeEPNSQ_ISL_E10value_typeEPSM_NS1_7vsmem_tEENKUlT_SK_SL_SM_E_clISE_PiSF_SF_EESJ_SZ_SK_SL_SM_EUlSZ_E_NS1_11comp_targetILNS1_3genE2ELNS1_11target_archE906ELNS1_3gpuE6ELNS1_3repE0EEENS1_48merge_mergepath_partition_config_static_selectorELNS0_4arch9wavefront6targetE0EEEvSL_.num_agpr, 0
	.set _ZN7rocprim17ROCPRIM_400000_NS6detail17trampoline_kernelINS0_14default_configENS1_38merge_sort_block_merge_config_selectorIiNS0_10empty_typeEEEZZNS1_27merge_sort_block_merge_implIS3_N6thrust23THRUST_200600_302600_NS6detail15normal_iteratorINS9_10device_ptrIiEEEEPS5_jNS1_19radix_merge_compareILb1ELb1EiNS0_19identity_decomposerEEEEE10hipError_tT0_T1_T2_jT3_P12ihipStream_tbPNSt15iterator_traitsISK_E10value_typeEPNSQ_ISL_E10value_typeEPSM_NS1_7vsmem_tEENKUlT_SK_SL_SM_E_clISE_PiSF_SF_EESJ_SZ_SK_SL_SM_EUlSZ_E_NS1_11comp_targetILNS1_3genE2ELNS1_11target_archE906ELNS1_3gpuE6ELNS1_3repE0EEENS1_48merge_mergepath_partition_config_static_selectorELNS0_4arch9wavefront6targetE0EEEvSL_.numbered_sgpr, 0
	.set _ZN7rocprim17ROCPRIM_400000_NS6detail17trampoline_kernelINS0_14default_configENS1_38merge_sort_block_merge_config_selectorIiNS0_10empty_typeEEEZZNS1_27merge_sort_block_merge_implIS3_N6thrust23THRUST_200600_302600_NS6detail15normal_iteratorINS9_10device_ptrIiEEEEPS5_jNS1_19radix_merge_compareILb1ELb1EiNS0_19identity_decomposerEEEEE10hipError_tT0_T1_T2_jT3_P12ihipStream_tbPNSt15iterator_traitsISK_E10value_typeEPNSQ_ISL_E10value_typeEPSM_NS1_7vsmem_tEENKUlT_SK_SL_SM_E_clISE_PiSF_SF_EESJ_SZ_SK_SL_SM_EUlSZ_E_NS1_11comp_targetILNS1_3genE2ELNS1_11target_archE906ELNS1_3gpuE6ELNS1_3repE0EEENS1_48merge_mergepath_partition_config_static_selectorELNS0_4arch9wavefront6targetE0EEEvSL_.num_named_barrier, 0
	.set _ZN7rocprim17ROCPRIM_400000_NS6detail17trampoline_kernelINS0_14default_configENS1_38merge_sort_block_merge_config_selectorIiNS0_10empty_typeEEEZZNS1_27merge_sort_block_merge_implIS3_N6thrust23THRUST_200600_302600_NS6detail15normal_iteratorINS9_10device_ptrIiEEEEPS5_jNS1_19radix_merge_compareILb1ELb1EiNS0_19identity_decomposerEEEEE10hipError_tT0_T1_T2_jT3_P12ihipStream_tbPNSt15iterator_traitsISK_E10value_typeEPNSQ_ISL_E10value_typeEPSM_NS1_7vsmem_tEENKUlT_SK_SL_SM_E_clISE_PiSF_SF_EESJ_SZ_SK_SL_SM_EUlSZ_E_NS1_11comp_targetILNS1_3genE2ELNS1_11target_archE906ELNS1_3gpuE6ELNS1_3repE0EEENS1_48merge_mergepath_partition_config_static_selectorELNS0_4arch9wavefront6targetE0EEEvSL_.private_seg_size, 0
	.set _ZN7rocprim17ROCPRIM_400000_NS6detail17trampoline_kernelINS0_14default_configENS1_38merge_sort_block_merge_config_selectorIiNS0_10empty_typeEEEZZNS1_27merge_sort_block_merge_implIS3_N6thrust23THRUST_200600_302600_NS6detail15normal_iteratorINS9_10device_ptrIiEEEEPS5_jNS1_19radix_merge_compareILb1ELb1EiNS0_19identity_decomposerEEEEE10hipError_tT0_T1_T2_jT3_P12ihipStream_tbPNSt15iterator_traitsISK_E10value_typeEPNSQ_ISL_E10value_typeEPSM_NS1_7vsmem_tEENKUlT_SK_SL_SM_E_clISE_PiSF_SF_EESJ_SZ_SK_SL_SM_EUlSZ_E_NS1_11comp_targetILNS1_3genE2ELNS1_11target_archE906ELNS1_3gpuE6ELNS1_3repE0EEENS1_48merge_mergepath_partition_config_static_selectorELNS0_4arch9wavefront6targetE0EEEvSL_.uses_vcc, 0
	.set _ZN7rocprim17ROCPRIM_400000_NS6detail17trampoline_kernelINS0_14default_configENS1_38merge_sort_block_merge_config_selectorIiNS0_10empty_typeEEEZZNS1_27merge_sort_block_merge_implIS3_N6thrust23THRUST_200600_302600_NS6detail15normal_iteratorINS9_10device_ptrIiEEEEPS5_jNS1_19radix_merge_compareILb1ELb1EiNS0_19identity_decomposerEEEEE10hipError_tT0_T1_T2_jT3_P12ihipStream_tbPNSt15iterator_traitsISK_E10value_typeEPNSQ_ISL_E10value_typeEPSM_NS1_7vsmem_tEENKUlT_SK_SL_SM_E_clISE_PiSF_SF_EESJ_SZ_SK_SL_SM_EUlSZ_E_NS1_11comp_targetILNS1_3genE2ELNS1_11target_archE906ELNS1_3gpuE6ELNS1_3repE0EEENS1_48merge_mergepath_partition_config_static_selectorELNS0_4arch9wavefront6targetE0EEEvSL_.uses_flat_scratch, 0
	.set _ZN7rocprim17ROCPRIM_400000_NS6detail17trampoline_kernelINS0_14default_configENS1_38merge_sort_block_merge_config_selectorIiNS0_10empty_typeEEEZZNS1_27merge_sort_block_merge_implIS3_N6thrust23THRUST_200600_302600_NS6detail15normal_iteratorINS9_10device_ptrIiEEEEPS5_jNS1_19radix_merge_compareILb1ELb1EiNS0_19identity_decomposerEEEEE10hipError_tT0_T1_T2_jT3_P12ihipStream_tbPNSt15iterator_traitsISK_E10value_typeEPNSQ_ISL_E10value_typeEPSM_NS1_7vsmem_tEENKUlT_SK_SL_SM_E_clISE_PiSF_SF_EESJ_SZ_SK_SL_SM_EUlSZ_E_NS1_11comp_targetILNS1_3genE2ELNS1_11target_archE906ELNS1_3gpuE6ELNS1_3repE0EEENS1_48merge_mergepath_partition_config_static_selectorELNS0_4arch9wavefront6targetE0EEEvSL_.has_dyn_sized_stack, 0
	.set _ZN7rocprim17ROCPRIM_400000_NS6detail17trampoline_kernelINS0_14default_configENS1_38merge_sort_block_merge_config_selectorIiNS0_10empty_typeEEEZZNS1_27merge_sort_block_merge_implIS3_N6thrust23THRUST_200600_302600_NS6detail15normal_iteratorINS9_10device_ptrIiEEEEPS5_jNS1_19radix_merge_compareILb1ELb1EiNS0_19identity_decomposerEEEEE10hipError_tT0_T1_T2_jT3_P12ihipStream_tbPNSt15iterator_traitsISK_E10value_typeEPNSQ_ISL_E10value_typeEPSM_NS1_7vsmem_tEENKUlT_SK_SL_SM_E_clISE_PiSF_SF_EESJ_SZ_SK_SL_SM_EUlSZ_E_NS1_11comp_targetILNS1_3genE2ELNS1_11target_archE906ELNS1_3gpuE6ELNS1_3repE0EEENS1_48merge_mergepath_partition_config_static_selectorELNS0_4arch9wavefront6targetE0EEEvSL_.has_recursion, 0
	.set _ZN7rocprim17ROCPRIM_400000_NS6detail17trampoline_kernelINS0_14default_configENS1_38merge_sort_block_merge_config_selectorIiNS0_10empty_typeEEEZZNS1_27merge_sort_block_merge_implIS3_N6thrust23THRUST_200600_302600_NS6detail15normal_iteratorINS9_10device_ptrIiEEEEPS5_jNS1_19radix_merge_compareILb1ELb1EiNS0_19identity_decomposerEEEEE10hipError_tT0_T1_T2_jT3_P12ihipStream_tbPNSt15iterator_traitsISK_E10value_typeEPNSQ_ISL_E10value_typeEPSM_NS1_7vsmem_tEENKUlT_SK_SL_SM_E_clISE_PiSF_SF_EESJ_SZ_SK_SL_SM_EUlSZ_E_NS1_11comp_targetILNS1_3genE2ELNS1_11target_archE906ELNS1_3gpuE6ELNS1_3repE0EEENS1_48merge_mergepath_partition_config_static_selectorELNS0_4arch9wavefront6targetE0EEEvSL_.has_indirect_call, 0
	.section	.AMDGPU.csdata,"",@progbits
; Kernel info:
; codeLenInByte = 0
; TotalNumSgprs: 0
; NumVgprs: 0
; ScratchSize: 0
; MemoryBound: 0
; FloatMode: 240
; IeeeMode: 1
; LDSByteSize: 0 bytes/workgroup (compile time only)
; SGPRBlocks: 0
; VGPRBlocks: 0
; NumSGPRsForWavesPerEU: 1
; NumVGPRsForWavesPerEU: 1
; Occupancy: 16
; WaveLimiterHint : 0
; COMPUTE_PGM_RSRC2:SCRATCH_EN: 0
; COMPUTE_PGM_RSRC2:USER_SGPR: 6
; COMPUTE_PGM_RSRC2:TRAP_HANDLER: 0
; COMPUTE_PGM_RSRC2:TGID_X_EN: 1
; COMPUTE_PGM_RSRC2:TGID_Y_EN: 0
; COMPUTE_PGM_RSRC2:TGID_Z_EN: 0
; COMPUTE_PGM_RSRC2:TIDIG_COMP_CNT: 0
	.section	.text._ZN7rocprim17ROCPRIM_400000_NS6detail17trampoline_kernelINS0_14default_configENS1_38merge_sort_block_merge_config_selectorIiNS0_10empty_typeEEEZZNS1_27merge_sort_block_merge_implIS3_N6thrust23THRUST_200600_302600_NS6detail15normal_iteratorINS9_10device_ptrIiEEEEPS5_jNS1_19radix_merge_compareILb1ELb1EiNS0_19identity_decomposerEEEEE10hipError_tT0_T1_T2_jT3_P12ihipStream_tbPNSt15iterator_traitsISK_E10value_typeEPNSQ_ISL_E10value_typeEPSM_NS1_7vsmem_tEENKUlT_SK_SL_SM_E_clISE_PiSF_SF_EESJ_SZ_SK_SL_SM_EUlSZ_E_NS1_11comp_targetILNS1_3genE9ELNS1_11target_archE1100ELNS1_3gpuE3ELNS1_3repE0EEENS1_48merge_mergepath_partition_config_static_selectorELNS0_4arch9wavefront6targetE0EEEvSL_,"axG",@progbits,_ZN7rocprim17ROCPRIM_400000_NS6detail17trampoline_kernelINS0_14default_configENS1_38merge_sort_block_merge_config_selectorIiNS0_10empty_typeEEEZZNS1_27merge_sort_block_merge_implIS3_N6thrust23THRUST_200600_302600_NS6detail15normal_iteratorINS9_10device_ptrIiEEEEPS5_jNS1_19radix_merge_compareILb1ELb1EiNS0_19identity_decomposerEEEEE10hipError_tT0_T1_T2_jT3_P12ihipStream_tbPNSt15iterator_traitsISK_E10value_typeEPNSQ_ISL_E10value_typeEPSM_NS1_7vsmem_tEENKUlT_SK_SL_SM_E_clISE_PiSF_SF_EESJ_SZ_SK_SL_SM_EUlSZ_E_NS1_11comp_targetILNS1_3genE9ELNS1_11target_archE1100ELNS1_3gpuE3ELNS1_3repE0EEENS1_48merge_mergepath_partition_config_static_selectorELNS0_4arch9wavefront6targetE0EEEvSL_,comdat
	.protected	_ZN7rocprim17ROCPRIM_400000_NS6detail17trampoline_kernelINS0_14default_configENS1_38merge_sort_block_merge_config_selectorIiNS0_10empty_typeEEEZZNS1_27merge_sort_block_merge_implIS3_N6thrust23THRUST_200600_302600_NS6detail15normal_iteratorINS9_10device_ptrIiEEEEPS5_jNS1_19radix_merge_compareILb1ELb1EiNS0_19identity_decomposerEEEEE10hipError_tT0_T1_T2_jT3_P12ihipStream_tbPNSt15iterator_traitsISK_E10value_typeEPNSQ_ISL_E10value_typeEPSM_NS1_7vsmem_tEENKUlT_SK_SL_SM_E_clISE_PiSF_SF_EESJ_SZ_SK_SL_SM_EUlSZ_E_NS1_11comp_targetILNS1_3genE9ELNS1_11target_archE1100ELNS1_3gpuE3ELNS1_3repE0EEENS1_48merge_mergepath_partition_config_static_selectorELNS0_4arch9wavefront6targetE0EEEvSL_ ; -- Begin function _ZN7rocprim17ROCPRIM_400000_NS6detail17trampoline_kernelINS0_14default_configENS1_38merge_sort_block_merge_config_selectorIiNS0_10empty_typeEEEZZNS1_27merge_sort_block_merge_implIS3_N6thrust23THRUST_200600_302600_NS6detail15normal_iteratorINS9_10device_ptrIiEEEEPS5_jNS1_19radix_merge_compareILb1ELb1EiNS0_19identity_decomposerEEEEE10hipError_tT0_T1_T2_jT3_P12ihipStream_tbPNSt15iterator_traitsISK_E10value_typeEPNSQ_ISL_E10value_typeEPSM_NS1_7vsmem_tEENKUlT_SK_SL_SM_E_clISE_PiSF_SF_EESJ_SZ_SK_SL_SM_EUlSZ_E_NS1_11comp_targetILNS1_3genE9ELNS1_11target_archE1100ELNS1_3gpuE3ELNS1_3repE0EEENS1_48merge_mergepath_partition_config_static_selectorELNS0_4arch9wavefront6targetE0EEEvSL_
	.globl	_ZN7rocprim17ROCPRIM_400000_NS6detail17trampoline_kernelINS0_14default_configENS1_38merge_sort_block_merge_config_selectorIiNS0_10empty_typeEEEZZNS1_27merge_sort_block_merge_implIS3_N6thrust23THRUST_200600_302600_NS6detail15normal_iteratorINS9_10device_ptrIiEEEEPS5_jNS1_19radix_merge_compareILb1ELb1EiNS0_19identity_decomposerEEEEE10hipError_tT0_T1_T2_jT3_P12ihipStream_tbPNSt15iterator_traitsISK_E10value_typeEPNSQ_ISL_E10value_typeEPSM_NS1_7vsmem_tEENKUlT_SK_SL_SM_E_clISE_PiSF_SF_EESJ_SZ_SK_SL_SM_EUlSZ_E_NS1_11comp_targetILNS1_3genE9ELNS1_11target_archE1100ELNS1_3gpuE3ELNS1_3repE0EEENS1_48merge_mergepath_partition_config_static_selectorELNS0_4arch9wavefront6targetE0EEEvSL_
	.p2align	8
	.type	_ZN7rocprim17ROCPRIM_400000_NS6detail17trampoline_kernelINS0_14default_configENS1_38merge_sort_block_merge_config_selectorIiNS0_10empty_typeEEEZZNS1_27merge_sort_block_merge_implIS3_N6thrust23THRUST_200600_302600_NS6detail15normal_iteratorINS9_10device_ptrIiEEEEPS5_jNS1_19radix_merge_compareILb1ELb1EiNS0_19identity_decomposerEEEEE10hipError_tT0_T1_T2_jT3_P12ihipStream_tbPNSt15iterator_traitsISK_E10value_typeEPNSQ_ISL_E10value_typeEPSM_NS1_7vsmem_tEENKUlT_SK_SL_SM_E_clISE_PiSF_SF_EESJ_SZ_SK_SL_SM_EUlSZ_E_NS1_11comp_targetILNS1_3genE9ELNS1_11target_archE1100ELNS1_3gpuE3ELNS1_3repE0EEENS1_48merge_mergepath_partition_config_static_selectorELNS0_4arch9wavefront6targetE0EEEvSL_,@function
_ZN7rocprim17ROCPRIM_400000_NS6detail17trampoline_kernelINS0_14default_configENS1_38merge_sort_block_merge_config_selectorIiNS0_10empty_typeEEEZZNS1_27merge_sort_block_merge_implIS3_N6thrust23THRUST_200600_302600_NS6detail15normal_iteratorINS9_10device_ptrIiEEEEPS5_jNS1_19radix_merge_compareILb1ELb1EiNS0_19identity_decomposerEEEEE10hipError_tT0_T1_T2_jT3_P12ihipStream_tbPNSt15iterator_traitsISK_E10value_typeEPNSQ_ISL_E10value_typeEPSM_NS1_7vsmem_tEENKUlT_SK_SL_SM_E_clISE_PiSF_SF_EESJ_SZ_SK_SL_SM_EUlSZ_E_NS1_11comp_targetILNS1_3genE9ELNS1_11target_archE1100ELNS1_3gpuE3ELNS1_3repE0EEENS1_48merge_mergepath_partition_config_static_selectorELNS0_4arch9wavefront6targetE0EEEvSL_: ; @_ZN7rocprim17ROCPRIM_400000_NS6detail17trampoline_kernelINS0_14default_configENS1_38merge_sort_block_merge_config_selectorIiNS0_10empty_typeEEEZZNS1_27merge_sort_block_merge_implIS3_N6thrust23THRUST_200600_302600_NS6detail15normal_iteratorINS9_10device_ptrIiEEEEPS5_jNS1_19radix_merge_compareILb1ELb1EiNS0_19identity_decomposerEEEEE10hipError_tT0_T1_T2_jT3_P12ihipStream_tbPNSt15iterator_traitsISK_E10value_typeEPNSQ_ISL_E10value_typeEPSM_NS1_7vsmem_tEENKUlT_SK_SL_SM_E_clISE_PiSF_SF_EESJ_SZ_SK_SL_SM_EUlSZ_E_NS1_11comp_targetILNS1_3genE9ELNS1_11target_archE1100ELNS1_3gpuE3ELNS1_3repE0EEENS1_48merge_mergepath_partition_config_static_selectorELNS0_4arch9wavefront6targetE0EEEvSL_
; %bb.0:
	.section	.rodata,"a",@progbits
	.p2align	6, 0x0
	.amdhsa_kernel _ZN7rocprim17ROCPRIM_400000_NS6detail17trampoline_kernelINS0_14default_configENS1_38merge_sort_block_merge_config_selectorIiNS0_10empty_typeEEEZZNS1_27merge_sort_block_merge_implIS3_N6thrust23THRUST_200600_302600_NS6detail15normal_iteratorINS9_10device_ptrIiEEEEPS5_jNS1_19radix_merge_compareILb1ELb1EiNS0_19identity_decomposerEEEEE10hipError_tT0_T1_T2_jT3_P12ihipStream_tbPNSt15iterator_traitsISK_E10value_typeEPNSQ_ISL_E10value_typeEPSM_NS1_7vsmem_tEENKUlT_SK_SL_SM_E_clISE_PiSF_SF_EESJ_SZ_SK_SL_SM_EUlSZ_E_NS1_11comp_targetILNS1_3genE9ELNS1_11target_archE1100ELNS1_3gpuE3ELNS1_3repE0EEENS1_48merge_mergepath_partition_config_static_selectorELNS0_4arch9wavefront6targetE0EEEvSL_
		.amdhsa_group_segment_fixed_size 0
		.amdhsa_private_segment_fixed_size 0
		.amdhsa_kernarg_size 40
		.amdhsa_user_sgpr_count 6
		.amdhsa_user_sgpr_private_segment_buffer 1
		.amdhsa_user_sgpr_dispatch_ptr 0
		.amdhsa_user_sgpr_queue_ptr 0
		.amdhsa_user_sgpr_kernarg_segment_ptr 1
		.amdhsa_user_sgpr_dispatch_id 0
		.amdhsa_user_sgpr_flat_scratch_init 0
		.amdhsa_user_sgpr_private_segment_size 0
		.amdhsa_wavefront_size32 1
		.amdhsa_uses_dynamic_stack 0
		.amdhsa_system_sgpr_private_segment_wavefront_offset 0
		.amdhsa_system_sgpr_workgroup_id_x 1
		.amdhsa_system_sgpr_workgroup_id_y 0
		.amdhsa_system_sgpr_workgroup_id_z 0
		.amdhsa_system_sgpr_workgroup_info 0
		.amdhsa_system_vgpr_workitem_id 0
		.amdhsa_next_free_vgpr 1
		.amdhsa_next_free_sgpr 1
		.amdhsa_reserve_vcc 0
		.amdhsa_reserve_flat_scratch 0
		.amdhsa_float_round_mode_32 0
		.amdhsa_float_round_mode_16_64 0
		.amdhsa_float_denorm_mode_32 3
		.amdhsa_float_denorm_mode_16_64 3
		.amdhsa_dx10_clamp 1
		.amdhsa_ieee_mode 1
		.amdhsa_fp16_overflow 0
		.amdhsa_workgroup_processor_mode 1
		.amdhsa_memory_ordered 1
		.amdhsa_forward_progress 1
		.amdhsa_shared_vgpr_count 0
		.amdhsa_exception_fp_ieee_invalid_op 0
		.amdhsa_exception_fp_denorm_src 0
		.amdhsa_exception_fp_ieee_div_zero 0
		.amdhsa_exception_fp_ieee_overflow 0
		.amdhsa_exception_fp_ieee_underflow 0
		.amdhsa_exception_fp_ieee_inexact 0
		.amdhsa_exception_int_div_zero 0
	.end_amdhsa_kernel
	.section	.text._ZN7rocprim17ROCPRIM_400000_NS6detail17trampoline_kernelINS0_14default_configENS1_38merge_sort_block_merge_config_selectorIiNS0_10empty_typeEEEZZNS1_27merge_sort_block_merge_implIS3_N6thrust23THRUST_200600_302600_NS6detail15normal_iteratorINS9_10device_ptrIiEEEEPS5_jNS1_19radix_merge_compareILb1ELb1EiNS0_19identity_decomposerEEEEE10hipError_tT0_T1_T2_jT3_P12ihipStream_tbPNSt15iterator_traitsISK_E10value_typeEPNSQ_ISL_E10value_typeEPSM_NS1_7vsmem_tEENKUlT_SK_SL_SM_E_clISE_PiSF_SF_EESJ_SZ_SK_SL_SM_EUlSZ_E_NS1_11comp_targetILNS1_3genE9ELNS1_11target_archE1100ELNS1_3gpuE3ELNS1_3repE0EEENS1_48merge_mergepath_partition_config_static_selectorELNS0_4arch9wavefront6targetE0EEEvSL_,"axG",@progbits,_ZN7rocprim17ROCPRIM_400000_NS6detail17trampoline_kernelINS0_14default_configENS1_38merge_sort_block_merge_config_selectorIiNS0_10empty_typeEEEZZNS1_27merge_sort_block_merge_implIS3_N6thrust23THRUST_200600_302600_NS6detail15normal_iteratorINS9_10device_ptrIiEEEEPS5_jNS1_19radix_merge_compareILb1ELb1EiNS0_19identity_decomposerEEEEE10hipError_tT0_T1_T2_jT3_P12ihipStream_tbPNSt15iterator_traitsISK_E10value_typeEPNSQ_ISL_E10value_typeEPSM_NS1_7vsmem_tEENKUlT_SK_SL_SM_E_clISE_PiSF_SF_EESJ_SZ_SK_SL_SM_EUlSZ_E_NS1_11comp_targetILNS1_3genE9ELNS1_11target_archE1100ELNS1_3gpuE3ELNS1_3repE0EEENS1_48merge_mergepath_partition_config_static_selectorELNS0_4arch9wavefront6targetE0EEEvSL_,comdat
.Lfunc_end300:
	.size	_ZN7rocprim17ROCPRIM_400000_NS6detail17trampoline_kernelINS0_14default_configENS1_38merge_sort_block_merge_config_selectorIiNS0_10empty_typeEEEZZNS1_27merge_sort_block_merge_implIS3_N6thrust23THRUST_200600_302600_NS6detail15normal_iteratorINS9_10device_ptrIiEEEEPS5_jNS1_19radix_merge_compareILb1ELb1EiNS0_19identity_decomposerEEEEE10hipError_tT0_T1_T2_jT3_P12ihipStream_tbPNSt15iterator_traitsISK_E10value_typeEPNSQ_ISL_E10value_typeEPSM_NS1_7vsmem_tEENKUlT_SK_SL_SM_E_clISE_PiSF_SF_EESJ_SZ_SK_SL_SM_EUlSZ_E_NS1_11comp_targetILNS1_3genE9ELNS1_11target_archE1100ELNS1_3gpuE3ELNS1_3repE0EEENS1_48merge_mergepath_partition_config_static_selectorELNS0_4arch9wavefront6targetE0EEEvSL_, .Lfunc_end300-_ZN7rocprim17ROCPRIM_400000_NS6detail17trampoline_kernelINS0_14default_configENS1_38merge_sort_block_merge_config_selectorIiNS0_10empty_typeEEEZZNS1_27merge_sort_block_merge_implIS3_N6thrust23THRUST_200600_302600_NS6detail15normal_iteratorINS9_10device_ptrIiEEEEPS5_jNS1_19radix_merge_compareILb1ELb1EiNS0_19identity_decomposerEEEEE10hipError_tT0_T1_T2_jT3_P12ihipStream_tbPNSt15iterator_traitsISK_E10value_typeEPNSQ_ISL_E10value_typeEPSM_NS1_7vsmem_tEENKUlT_SK_SL_SM_E_clISE_PiSF_SF_EESJ_SZ_SK_SL_SM_EUlSZ_E_NS1_11comp_targetILNS1_3genE9ELNS1_11target_archE1100ELNS1_3gpuE3ELNS1_3repE0EEENS1_48merge_mergepath_partition_config_static_selectorELNS0_4arch9wavefront6targetE0EEEvSL_
                                        ; -- End function
	.set _ZN7rocprim17ROCPRIM_400000_NS6detail17trampoline_kernelINS0_14default_configENS1_38merge_sort_block_merge_config_selectorIiNS0_10empty_typeEEEZZNS1_27merge_sort_block_merge_implIS3_N6thrust23THRUST_200600_302600_NS6detail15normal_iteratorINS9_10device_ptrIiEEEEPS5_jNS1_19radix_merge_compareILb1ELb1EiNS0_19identity_decomposerEEEEE10hipError_tT0_T1_T2_jT3_P12ihipStream_tbPNSt15iterator_traitsISK_E10value_typeEPNSQ_ISL_E10value_typeEPSM_NS1_7vsmem_tEENKUlT_SK_SL_SM_E_clISE_PiSF_SF_EESJ_SZ_SK_SL_SM_EUlSZ_E_NS1_11comp_targetILNS1_3genE9ELNS1_11target_archE1100ELNS1_3gpuE3ELNS1_3repE0EEENS1_48merge_mergepath_partition_config_static_selectorELNS0_4arch9wavefront6targetE0EEEvSL_.num_vgpr, 0
	.set _ZN7rocprim17ROCPRIM_400000_NS6detail17trampoline_kernelINS0_14default_configENS1_38merge_sort_block_merge_config_selectorIiNS0_10empty_typeEEEZZNS1_27merge_sort_block_merge_implIS3_N6thrust23THRUST_200600_302600_NS6detail15normal_iteratorINS9_10device_ptrIiEEEEPS5_jNS1_19radix_merge_compareILb1ELb1EiNS0_19identity_decomposerEEEEE10hipError_tT0_T1_T2_jT3_P12ihipStream_tbPNSt15iterator_traitsISK_E10value_typeEPNSQ_ISL_E10value_typeEPSM_NS1_7vsmem_tEENKUlT_SK_SL_SM_E_clISE_PiSF_SF_EESJ_SZ_SK_SL_SM_EUlSZ_E_NS1_11comp_targetILNS1_3genE9ELNS1_11target_archE1100ELNS1_3gpuE3ELNS1_3repE0EEENS1_48merge_mergepath_partition_config_static_selectorELNS0_4arch9wavefront6targetE0EEEvSL_.num_agpr, 0
	.set _ZN7rocprim17ROCPRIM_400000_NS6detail17trampoline_kernelINS0_14default_configENS1_38merge_sort_block_merge_config_selectorIiNS0_10empty_typeEEEZZNS1_27merge_sort_block_merge_implIS3_N6thrust23THRUST_200600_302600_NS6detail15normal_iteratorINS9_10device_ptrIiEEEEPS5_jNS1_19radix_merge_compareILb1ELb1EiNS0_19identity_decomposerEEEEE10hipError_tT0_T1_T2_jT3_P12ihipStream_tbPNSt15iterator_traitsISK_E10value_typeEPNSQ_ISL_E10value_typeEPSM_NS1_7vsmem_tEENKUlT_SK_SL_SM_E_clISE_PiSF_SF_EESJ_SZ_SK_SL_SM_EUlSZ_E_NS1_11comp_targetILNS1_3genE9ELNS1_11target_archE1100ELNS1_3gpuE3ELNS1_3repE0EEENS1_48merge_mergepath_partition_config_static_selectorELNS0_4arch9wavefront6targetE0EEEvSL_.numbered_sgpr, 0
	.set _ZN7rocprim17ROCPRIM_400000_NS6detail17trampoline_kernelINS0_14default_configENS1_38merge_sort_block_merge_config_selectorIiNS0_10empty_typeEEEZZNS1_27merge_sort_block_merge_implIS3_N6thrust23THRUST_200600_302600_NS6detail15normal_iteratorINS9_10device_ptrIiEEEEPS5_jNS1_19radix_merge_compareILb1ELb1EiNS0_19identity_decomposerEEEEE10hipError_tT0_T1_T2_jT3_P12ihipStream_tbPNSt15iterator_traitsISK_E10value_typeEPNSQ_ISL_E10value_typeEPSM_NS1_7vsmem_tEENKUlT_SK_SL_SM_E_clISE_PiSF_SF_EESJ_SZ_SK_SL_SM_EUlSZ_E_NS1_11comp_targetILNS1_3genE9ELNS1_11target_archE1100ELNS1_3gpuE3ELNS1_3repE0EEENS1_48merge_mergepath_partition_config_static_selectorELNS0_4arch9wavefront6targetE0EEEvSL_.num_named_barrier, 0
	.set _ZN7rocprim17ROCPRIM_400000_NS6detail17trampoline_kernelINS0_14default_configENS1_38merge_sort_block_merge_config_selectorIiNS0_10empty_typeEEEZZNS1_27merge_sort_block_merge_implIS3_N6thrust23THRUST_200600_302600_NS6detail15normal_iteratorINS9_10device_ptrIiEEEEPS5_jNS1_19radix_merge_compareILb1ELb1EiNS0_19identity_decomposerEEEEE10hipError_tT0_T1_T2_jT3_P12ihipStream_tbPNSt15iterator_traitsISK_E10value_typeEPNSQ_ISL_E10value_typeEPSM_NS1_7vsmem_tEENKUlT_SK_SL_SM_E_clISE_PiSF_SF_EESJ_SZ_SK_SL_SM_EUlSZ_E_NS1_11comp_targetILNS1_3genE9ELNS1_11target_archE1100ELNS1_3gpuE3ELNS1_3repE0EEENS1_48merge_mergepath_partition_config_static_selectorELNS0_4arch9wavefront6targetE0EEEvSL_.private_seg_size, 0
	.set _ZN7rocprim17ROCPRIM_400000_NS6detail17trampoline_kernelINS0_14default_configENS1_38merge_sort_block_merge_config_selectorIiNS0_10empty_typeEEEZZNS1_27merge_sort_block_merge_implIS3_N6thrust23THRUST_200600_302600_NS6detail15normal_iteratorINS9_10device_ptrIiEEEEPS5_jNS1_19radix_merge_compareILb1ELb1EiNS0_19identity_decomposerEEEEE10hipError_tT0_T1_T2_jT3_P12ihipStream_tbPNSt15iterator_traitsISK_E10value_typeEPNSQ_ISL_E10value_typeEPSM_NS1_7vsmem_tEENKUlT_SK_SL_SM_E_clISE_PiSF_SF_EESJ_SZ_SK_SL_SM_EUlSZ_E_NS1_11comp_targetILNS1_3genE9ELNS1_11target_archE1100ELNS1_3gpuE3ELNS1_3repE0EEENS1_48merge_mergepath_partition_config_static_selectorELNS0_4arch9wavefront6targetE0EEEvSL_.uses_vcc, 0
	.set _ZN7rocprim17ROCPRIM_400000_NS6detail17trampoline_kernelINS0_14default_configENS1_38merge_sort_block_merge_config_selectorIiNS0_10empty_typeEEEZZNS1_27merge_sort_block_merge_implIS3_N6thrust23THRUST_200600_302600_NS6detail15normal_iteratorINS9_10device_ptrIiEEEEPS5_jNS1_19radix_merge_compareILb1ELb1EiNS0_19identity_decomposerEEEEE10hipError_tT0_T1_T2_jT3_P12ihipStream_tbPNSt15iterator_traitsISK_E10value_typeEPNSQ_ISL_E10value_typeEPSM_NS1_7vsmem_tEENKUlT_SK_SL_SM_E_clISE_PiSF_SF_EESJ_SZ_SK_SL_SM_EUlSZ_E_NS1_11comp_targetILNS1_3genE9ELNS1_11target_archE1100ELNS1_3gpuE3ELNS1_3repE0EEENS1_48merge_mergepath_partition_config_static_selectorELNS0_4arch9wavefront6targetE0EEEvSL_.uses_flat_scratch, 0
	.set _ZN7rocprim17ROCPRIM_400000_NS6detail17trampoline_kernelINS0_14default_configENS1_38merge_sort_block_merge_config_selectorIiNS0_10empty_typeEEEZZNS1_27merge_sort_block_merge_implIS3_N6thrust23THRUST_200600_302600_NS6detail15normal_iteratorINS9_10device_ptrIiEEEEPS5_jNS1_19radix_merge_compareILb1ELb1EiNS0_19identity_decomposerEEEEE10hipError_tT0_T1_T2_jT3_P12ihipStream_tbPNSt15iterator_traitsISK_E10value_typeEPNSQ_ISL_E10value_typeEPSM_NS1_7vsmem_tEENKUlT_SK_SL_SM_E_clISE_PiSF_SF_EESJ_SZ_SK_SL_SM_EUlSZ_E_NS1_11comp_targetILNS1_3genE9ELNS1_11target_archE1100ELNS1_3gpuE3ELNS1_3repE0EEENS1_48merge_mergepath_partition_config_static_selectorELNS0_4arch9wavefront6targetE0EEEvSL_.has_dyn_sized_stack, 0
	.set _ZN7rocprim17ROCPRIM_400000_NS6detail17trampoline_kernelINS0_14default_configENS1_38merge_sort_block_merge_config_selectorIiNS0_10empty_typeEEEZZNS1_27merge_sort_block_merge_implIS3_N6thrust23THRUST_200600_302600_NS6detail15normal_iteratorINS9_10device_ptrIiEEEEPS5_jNS1_19radix_merge_compareILb1ELb1EiNS0_19identity_decomposerEEEEE10hipError_tT0_T1_T2_jT3_P12ihipStream_tbPNSt15iterator_traitsISK_E10value_typeEPNSQ_ISL_E10value_typeEPSM_NS1_7vsmem_tEENKUlT_SK_SL_SM_E_clISE_PiSF_SF_EESJ_SZ_SK_SL_SM_EUlSZ_E_NS1_11comp_targetILNS1_3genE9ELNS1_11target_archE1100ELNS1_3gpuE3ELNS1_3repE0EEENS1_48merge_mergepath_partition_config_static_selectorELNS0_4arch9wavefront6targetE0EEEvSL_.has_recursion, 0
	.set _ZN7rocprim17ROCPRIM_400000_NS6detail17trampoline_kernelINS0_14default_configENS1_38merge_sort_block_merge_config_selectorIiNS0_10empty_typeEEEZZNS1_27merge_sort_block_merge_implIS3_N6thrust23THRUST_200600_302600_NS6detail15normal_iteratorINS9_10device_ptrIiEEEEPS5_jNS1_19radix_merge_compareILb1ELb1EiNS0_19identity_decomposerEEEEE10hipError_tT0_T1_T2_jT3_P12ihipStream_tbPNSt15iterator_traitsISK_E10value_typeEPNSQ_ISL_E10value_typeEPSM_NS1_7vsmem_tEENKUlT_SK_SL_SM_E_clISE_PiSF_SF_EESJ_SZ_SK_SL_SM_EUlSZ_E_NS1_11comp_targetILNS1_3genE9ELNS1_11target_archE1100ELNS1_3gpuE3ELNS1_3repE0EEENS1_48merge_mergepath_partition_config_static_selectorELNS0_4arch9wavefront6targetE0EEEvSL_.has_indirect_call, 0
	.section	.AMDGPU.csdata,"",@progbits
; Kernel info:
; codeLenInByte = 0
; TotalNumSgprs: 0
; NumVgprs: 0
; ScratchSize: 0
; MemoryBound: 0
; FloatMode: 240
; IeeeMode: 1
; LDSByteSize: 0 bytes/workgroup (compile time only)
; SGPRBlocks: 0
; VGPRBlocks: 0
; NumSGPRsForWavesPerEU: 1
; NumVGPRsForWavesPerEU: 1
; Occupancy: 16
; WaveLimiterHint : 0
; COMPUTE_PGM_RSRC2:SCRATCH_EN: 0
; COMPUTE_PGM_RSRC2:USER_SGPR: 6
; COMPUTE_PGM_RSRC2:TRAP_HANDLER: 0
; COMPUTE_PGM_RSRC2:TGID_X_EN: 1
; COMPUTE_PGM_RSRC2:TGID_Y_EN: 0
; COMPUTE_PGM_RSRC2:TGID_Z_EN: 0
; COMPUTE_PGM_RSRC2:TIDIG_COMP_CNT: 0
	.section	.text._ZN7rocprim17ROCPRIM_400000_NS6detail17trampoline_kernelINS0_14default_configENS1_38merge_sort_block_merge_config_selectorIiNS0_10empty_typeEEEZZNS1_27merge_sort_block_merge_implIS3_N6thrust23THRUST_200600_302600_NS6detail15normal_iteratorINS9_10device_ptrIiEEEEPS5_jNS1_19radix_merge_compareILb1ELb1EiNS0_19identity_decomposerEEEEE10hipError_tT0_T1_T2_jT3_P12ihipStream_tbPNSt15iterator_traitsISK_E10value_typeEPNSQ_ISL_E10value_typeEPSM_NS1_7vsmem_tEENKUlT_SK_SL_SM_E_clISE_PiSF_SF_EESJ_SZ_SK_SL_SM_EUlSZ_E_NS1_11comp_targetILNS1_3genE8ELNS1_11target_archE1030ELNS1_3gpuE2ELNS1_3repE0EEENS1_48merge_mergepath_partition_config_static_selectorELNS0_4arch9wavefront6targetE0EEEvSL_,"axG",@progbits,_ZN7rocprim17ROCPRIM_400000_NS6detail17trampoline_kernelINS0_14default_configENS1_38merge_sort_block_merge_config_selectorIiNS0_10empty_typeEEEZZNS1_27merge_sort_block_merge_implIS3_N6thrust23THRUST_200600_302600_NS6detail15normal_iteratorINS9_10device_ptrIiEEEEPS5_jNS1_19radix_merge_compareILb1ELb1EiNS0_19identity_decomposerEEEEE10hipError_tT0_T1_T2_jT3_P12ihipStream_tbPNSt15iterator_traitsISK_E10value_typeEPNSQ_ISL_E10value_typeEPSM_NS1_7vsmem_tEENKUlT_SK_SL_SM_E_clISE_PiSF_SF_EESJ_SZ_SK_SL_SM_EUlSZ_E_NS1_11comp_targetILNS1_3genE8ELNS1_11target_archE1030ELNS1_3gpuE2ELNS1_3repE0EEENS1_48merge_mergepath_partition_config_static_selectorELNS0_4arch9wavefront6targetE0EEEvSL_,comdat
	.protected	_ZN7rocprim17ROCPRIM_400000_NS6detail17trampoline_kernelINS0_14default_configENS1_38merge_sort_block_merge_config_selectorIiNS0_10empty_typeEEEZZNS1_27merge_sort_block_merge_implIS3_N6thrust23THRUST_200600_302600_NS6detail15normal_iteratorINS9_10device_ptrIiEEEEPS5_jNS1_19radix_merge_compareILb1ELb1EiNS0_19identity_decomposerEEEEE10hipError_tT0_T1_T2_jT3_P12ihipStream_tbPNSt15iterator_traitsISK_E10value_typeEPNSQ_ISL_E10value_typeEPSM_NS1_7vsmem_tEENKUlT_SK_SL_SM_E_clISE_PiSF_SF_EESJ_SZ_SK_SL_SM_EUlSZ_E_NS1_11comp_targetILNS1_3genE8ELNS1_11target_archE1030ELNS1_3gpuE2ELNS1_3repE0EEENS1_48merge_mergepath_partition_config_static_selectorELNS0_4arch9wavefront6targetE0EEEvSL_ ; -- Begin function _ZN7rocprim17ROCPRIM_400000_NS6detail17trampoline_kernelINS0_14default_configENS1_38merge_sort_block_merge_config_selectorIiNS0_10empty_typeEEEZZNS1_27merge_sort_block_merge_implIS3_N6thrust23THRUST_200600_302600_NS6detail15normal_iteratorINS9_10device_ptrIiEEEEPS5_jNS1_19radix_merge_compareILb1ELb1EiNS0_19identity_decomposerEEEEE10hipError_tT0_T1_T2_jT3_P12ihipStream_tbPNSt15iterator_traitsISK_E10value_typeEPNSQ_ISL_E10value_typeEPSM_NS1_7vsmem_tEENKUlT_SK_SL_SM_E_clISE_PiSF_SF_EESJ_SZ_SK_SL_SM_EUlSZ_E_NS1_11comp_targetILNS1_3genE8ELNS1_11target_archE1030ELNS1_3gpuE2ELNS1_3repE0EEENS1_48merge_mergepath_partition_config_static_selectorELNS0_4arch9wavefront6targetE0EEEvSL_
	.globl	_ZN7rocprim17ROCPRIM_400000_NS6detail17trampoline_kernelINS0_14default_configENS1_38merge_sort_block_merge_config_selectorIiNS0_10empty_typeEEEZZNS1_27merge_sort_block_merge_implIS3_N6thrust23THRUST_200600_302600_NS6detail15normal_iteratorINS9_10device_ptrIiEEEEPS5_jNS1_19radix_merge_compareILb1ELb1EiNS0_19identity_decomposerEEEEE10hipError_tT0_T1_T2_jT3_P12ihipStream_tbPNSt15iterator_traitsISK_E10value_typeEPNSQ_ISL_E10value_typeEPSM_NS1_7vsmem_tEENKUlT_SK_SL_SM_E_clISE_PiSF_SF_EESJ_SZ_SK_SL_SM_EUlSZ_E_NS1_11comp_targetILNS1_3genE8ELNS1_11target_archE1030ELNS1_3gpuE2ELNS1_3repE0EEENS1_48merge_mergepath_partition_config_static_selectorELNS0_4arch9wavefront6targetE0EEEvSL_
	.p2align	8
	.type	_ZN7rocprim17ROCPRIM_400000_NS6detail17trampoline_kernelINS0_14default_configENS1_38merge_sort_block_merge_config_selectorIiNS0_10empty_typeEEEZZNS1_27merge_sort_block_merge_implIS3_N6thrust23THRUST_200600_302600_NS6detail15normal_iteratorINS9_10device_ptrIiEEEEPS5_jNS1_19radix_merge_compareILb1ELb1EiNS0_19identity_decomposerEEEEE10hipError_tT0_T1_T2_jT3_P12ihipStream_tbPNSt15iterator_traitsISK_E10value_typeEPNSQ_ISL_E10value_typeEPSM_NS1_7vsmem_tEENKUlT_SK_SL_SM_E_clISE_PiSF_SF_EESJ_SZ_SK_SL_SM_EUlSZ_E_NS1_11comp_targetILNS1_3genE8ELNS1_11target_archE1030ELNS1_3gpuE2ELNS1_3repE0EEENS1_48merge_mergepath_partition_config_static_selectorELNS0_4arch9wavefront6targetE0EEEvSL_,@function
_ZN7rocprim17ROCPRIM_400000_NS6detail17trampoline_kernelINS0_14default_configENS1_38merge_sort_block_merge_config_selectorIiNS0_10empty_typeEEEZZNS1_27merge_sort_block_merge_implIS3_N6thrust23THRUST_200600_302600_NS6detail15normal_iteratorINS9_10device_ptrIiEEEEPS5_jNS1_19radix_merge_compareILb1ELb1EiNS0_19identity_decomposerEEEEE10hipError_tT0_T1_T2_jT3_P12ihipStream_tbPNSt15iterator_traitsISK_E10value_typeEPNSQ_ISL_E10value_typeEPSM_NS1_7vsmem_tEENKUlT_SK_SL_SM_E_clISE_PiSF_SF_EESJ_SZ_SK_SL_SM_EUlSZ_E_NS1_11comp_targetILNS1_3genE8ELNS1_11target_archE1030ELNS1_3gpuE2ELNS1_3repE0EEENS1_48merge_mergepath_partition_config_static_selectorELNS0_4arch9wavefront6targetE0EEEvSL_: ; @_ZN7rocprim17ROCPRIM_400000_NS6detail17trampoline_kernelINS0_14default_configENS1_38merge_sort_block_merge_config_selectorIiNS0_10empty_typeEEEZZNS1_27merge_sort_block_merge_implIS3_N6thrust23THRUST_200600_302600_NS6detail15normal_iteratorINS9_10device_ptrIiEEEEPS5_jNS1_19radix_merge_compareILb1ELb1EiNS0_19identity_decomposerEEEEE10hipError_tT0_T1_T2_jT3_P12ihipStream_tbPNSt15iterator_traitsISK_E10value_typeEPNSQ_ISL_E10value_typeEPSM_NS1_7vsmem_tEENKUlT_SK_SL_SM_E_clISE_PiSF_SF_EESJ_SZ_SK_SL_SM_EUlSZ_E_NS1_11comp_targetILNS1_3genE8ELNS1_11target_archE1030ELNS1_3gpuE2ELNS1_3repE0EEENS1_48merge_mergepath_partition_config_static_selectorELNS0_4arch9wavefront6targetE0EEEvSL_
; %bb.0:
	s_load_dword s0, s[4:5], 0x0
	v_lshl_or_b32 v0, s6, 7, v0
	s_waitcnt lgkmcnt(0)
	v_cmp_gt_u32_e32 vcc_lo, s0, v0
	s_and_saveexec_b32 s0, vcc_lo
	s_cbranch_execz .LBB301_6
; %bb.1:
	s_load_dwordx2 s[0:1], s[4:5], 0x4
	s_waitcnt lgkmcnt(0)
	s_lshr_b32 s2, s0, 9
	s_and_b32 s2, s2, 0x7ffffe
	s_sub_i32 s3, 0, s2
	s_add_i32 s2, s2, -1
	v_and_b32_e32 v1, s3, v0
	v_and_b32_e32 v5, s2, v0
	s_mov_b32 s3, 0
	s_mov_b32 s2, exec_lo
	v_lshlrev_b32_e32 v1, 10, v1
	v_add_nc_u32_e32 v2, s0, v1
	v_min_u32_e32 v4, s1, v2
	v_min_u32_e32 v2, s1, v1
	v_add_nc_u32_e32 v3, s0, v4
	v_min_u32_e32 v1, s1, v3
	s_load_dwordx2 s[0:1], s[4:5], 0x20
	v_lshlrev_b32_e32 v3, 10, v5
	v_sub_nc_u32_e32 v5, v1, v2
	v_sub_nc_u32_e32 v6, v1, v4
	v_min_u32_e32 v1, v5, v3
	v_sub_nc_u32_e32 v3, v4, v2
	v_sub_nc_u32_e64 v6, v1, v6 clamp
	v_min_u32_e32 v7, v1, v3
	v_cmpx_lt_u32_e64 v6, v7
	s_cbranch_execz .LBB301_5
; %bb.2:
	s_load_dwordx2 s[6:7], s[4:5], 0x10
	v_mov_b32_e32 v5, 0
	s_load_dword s4, s[4:5], 0x18
	v_mov_b32_e32 v3, v5
	v_lshlrev_b64 v[10:11], 2, v[4:5]
	v_lshlrev_b64 v[8:9], 2, v[2:3]
	s_waitcnt lgkmcnt(0)
	v_add_co_u32 v3, vcc_lo, s6, v8
	v_add_co_ci_u32_e64 v8, null, s7, v9, vcc_lo
	v_add_co_u32 v9, vcc_lo, s6, v10
	v_add_co_ci_u32_e64 v10, null, s7, v11, vcc_lo
	.p2align	6
.LBB301_3:                              ; =>This Inner Loop Header: Depth=1
	v_add_nc_u32_e32 v4, v7, v6
	v_mov_b32_e32 v12, v5
	v_lshrrev_b32_e32 v4, 1, v4
	v_xad_u32 v11, v4, -1, v1
	v_lshlrev_b64 v[13:14], 2, v[4:5]
	v_lshlrev_b64 v[11:12], 2, v[11:12]
	v_add_co_u32 v13, vcc_lo, v3, v13
	v_add_co_ci_u32_e64 v14, null, v8, v14, vcc_lo
	v_add_co_u32 v11, vcc_lo, v9, v11
	v_add_co_ci_u32_e64 v12, null, v10, v12, vcc_lo
	s_clause 0x1
	flat_load_dword v13, v[13:14]
	flat_load_dword v11, v[11:12]
	s_waitcnt vmcnt(1) lgkmcnt(1)
	v_and_b32_e32 v12, s4, v13
	s_waitcnt vmcnt(0) lgkmcnt(0)
	v_and_b32_e32 v11, s4, v11
	v_add_nc_u32_e32 v13, 1, v4
	v_cmp_gt_i32_e32 vcc_lo, v11, v12
	v_cndmask_b32_e32 v7, v7, v4, vcc_lo
	v_cndmask_b32_e32 v6, v13, v6, vcc_lo
	v_cmp_ge_u32_e32 vcc_lo, v6, v7
	s_or_b32 s3, vcc_lo, s3
	s_andn2_b32 exec_lo, exec_lo, s3
	s_cbranch_execnz .LBB301_3
; %bb.4:
	s_or_b32 exec_lo, exec_lo, s3
.LBB301_5:
	s_or_b32 exec_lo, exec_lo, s2
	v_mov_b32_e32 v1, 0
	v_add_nc_u32_e32 v2, v6, v2
	v_lshlrev_b64 v[0:1], 2, v[0:1]
	s_waitcnt lgkmcnt(0)
	v_add_co_u32 v0, vcc_lo, s0, v0
	v_add_co_ci_u32_e64 v1, null, s1, v1, vcc_lo
	global_store_dword v[0:1], v2, off
.LBB301_6:
	s_endpgm
	.section	.rodata,"a",@progbits
	.p2align	6, 0x0
	.amdhsa_kernel _ZN7rocprim17ROCPRIM_400000_NS6detail17trampoline_kernelINS0_14default_configENS1_38merge_sort_block_merge_config_selectorIiNS0_10empty_typeEEEZZNS1_27merge_sort_block_merge_implIS3_N6thrust23THRUST_200600_302600_NS6detail15normal_iteratorINS9_10device_ptrIiEEEEPS5_jNS1_19radix_merge_compareILb1ELb1EiNS0_19identity_decomposerEEEEE10hipError_tT0_T1_T2_jT3_P12ihipStream_tbPNSt15iterator_traitsISK_E10value_typeEPNSQ_ISL_E10value_typeEPSM_NS1_7vsmem_tEENKUlT_SK_SL_SM_E_clISE_PiSF_SF_EESJ_SZ_SK_SL_SM_EUlSZ_E_NS1_11comp_targetILNS1_3genE8ELNS1_11target_archE1030ELNS1_3gpuE2ELNS1_3repE0EEENS1_48merge_mergepath_partition_config_static_selectorELNS0_4arch9wavefront6targetE0EEEvSL_
		.amdhsa_group_segment_fixed_size 0
		.amdhsa_private_segment_fixed_size 0
		.amdhsa_kernarg_size 40
		.amdhsa_user_sgpr_count 6
		.amdhsa_user_sgpr_private_segment_buffer 1
		.amdhsa_user_sgpr_dispatch_ptr 0
		.amdhsa_user_sgpr_queue_ptr 0
		.amdhsa_user_sgpr_kernarg_segment_ptr 1
		.amdhsa_user_sgpr_dispatch_id 0
		.amdhsa_user_sgpr_flat_scratch_init 0
		.amdhsa_user_sgpr_private_segment_size 0
		.amdhsa_wavefront_size32 1
		.amdhsa_uses_dynamic_stack 0
		.amdhsa_system_sgpr_private_segment_wavefront_offset 0
		.amdhsa_system_sgpr_workgroup_id_x 1
		.amdhsa_system_sgpr_workgroup_id_y 0
		.amdhsa_system_sgpr_workgroup_id_z 0
		.amdhsa_system_sgpr_workgroup_info 0
		.amdhsa_system_vgpr_workitem_id 0
		.amdhsa_next_free_vgpr 15
		.amdhsa_next_free_sgpr 8
		.amdhsa_reserve_vcc 1
		.amdhsa_reserve_flat_scratch 1
		.amdhsa_float_round_mode_32 0
		.amdhsa_float_round_mode_16_64 0
		.amdhsa_float_denorm_mode_32 3
		.amdhsa_float_denorm_mode_16_64 3
		.amdhsa_dx10_clamp 1
		.amdhsa_ieee_mode 1
		.amdhsa_fp16_overflow 0
		.amdhsa_workgroup_processor_mode 1
		.amdhsa_memory_ordered 1
		.amdhsa_forward_progress 1
		.amdhsa_shared_vgpr_count 0
		.amdhsa_exception_fp_ieee_invalid_op 0
		.amdhsa_exception_fp_denorm_src 0
		.amdhsa_exception_fp_ieee_div_zero 0
		.amdhsa_exception_fp_ieee_overflow 0
		.amdhsa_exception_fp_ieee_underflow 0
		.amdhsa_exception_fp_ieee_inexact 0
		.amdhsa_exception_int_div_zero 0
	.end_amdhsa_kernel
	.section	.text._ZN7rocprim17ROCPRIM_400000_NS6detail17trampoline_kernelINS0_14default_configENS1_38merge_sort_block_merge_config_selectorIiNS0_10empty_typeEEEZZNS1_27merge_sort_block_merge_implIS3_N6thrust23THRUST_200600_302600_NS6detail15normal_iteratorINS9_10device_ptrIiEEEEPS5_jNS1_19radix_merge_compareILb1ELb1EiNS0_19identity_decomposerEEEEE10hipError_tT0_T1_T2_jT3_P12ihipStream_tbPNSt15iterator_traitsISK_E10value_typeEPNSQ_ISL_E10value_typeEPSM_NS1_7vsmem_tEENKUlT_SK_SL_SM_E_clISE_PiSF_SF_EESJ_SZ_SK_SL_SM_EUlSZ_E_NS1_11comp_targetILNS1_3genE8ELNS1_11target_archE1030ELNS1_3gpuE2ELNS1_3repE0EEENS1_48merge_mergepath_partition_config_static_selectorELNS0_4arch9wavefront6targetE0EEEvSL_,"axG",@progbits,_ZN7rocprim17ROCPRIM_400000_NS6detail17trampoline_kernelINS0_14default_configENS1_38merge_sort_block_merge_config_selectorIiNS0_10empty_typeEEEZZNS1_27merge_sort_block_merge_implIS3_N6thrust23THRUST_200600_302600_NS6detail15normal_iteratorINS9_10device_ptrIiEEEEPS5_jNS1_19radix_merge_compareILb1ELb1EiNS0_19identity_decomposerEEEEE10hipError_tT0_T1_T2_jT3_P12ihipStream_tbPNSt15iterator_traitsISK_E10value_typeEPNSQ_ISL_E10value_typeEPSM_NS1_7vsmem_tEENKUlT_SK_SL_SM_E_clISE_PiSF_SF_EESJ_SZ_SK_SL_SM_EUlSZ_E_NS1_11comp_targetILNS1_3genE8ELNS1_11target_archE1030ELNS1_3gpuE2ELNS1_3repE0EEENS1_48merge_mergepath_partition_config_static_selectorELNS0_4arch9wavefront6targetE0EEEvSL_,comdat
.Lfunc_end301:
	.size	_ZN7rocprim17ROCPRIM_400000_NS6detail17trampoline_kernelINS0_14default_configENS1_38merge_sort_block_merge_config_selectorIiNS0_10empty_typeEEEZZNS1_27merge_sort_block_merge_implIS3_N6thrust23THRUST_200600_302600_NS6detail15normal_iteratorINS9_10device_ptrIiEEEEPS5_jNS1_19radix_merge_compareILb1ELb1EiNS0_19identity_decomposerEEEEE10hipError_tT0_T1_T2_jT3_P12ihipStream_tbPNSt15iterator_traitsISK_E10value_typeEPNSQ_ISL_E10value_typeEPSM_NS1_7vsmem_tEENKUlT_SK_SL_SM_E_clISE_PiSF_SF_EESJ_SZ_SK_SL_SM_EUlSZ_E_NS1_11comp_targetILNS1_3genE8ELNS1_11target_archE1030ELNS1_3gpuE2ELNS1_3repE0EEENS1_48merge_mergepath_partition_config_static_selectorELNS0_4arch9wavefront6targetE0EEEvSL_, .Lfunc_end301-_ZN7rocprim17ROCPRIM_400000_NS6detail17trampoline_kernelINS0_14default_configENS1_38merge_sort_block_merge_config_selectorIiNS0_10empty_typeEEEZZNS1_27merge_sort_block_merge_implIS3_N6thrust23THRUST_200600_302600_NS6detail15normal_iteratorINS9_10device_ptrIiEEEEPS5_jNS1_19radix_merge_compareILb1ELb1EiNS0_19identity_decomposerEEEEE10hipError_tT0_T1_T2_jT3_P12ihipStream_tbPNSt15iterator_traitsISK_E10value_typeEPNSQ_ISL_E10value_typeEPSM_NS1_7vsmem_tEENKUlT_SK_SL_SM_E_clISE_PiSF_SF_EESJ_SZ_SK_SL_SM_EUlSZ_E_NS1_11comp_targetILNS1_3genE8ELNS1_11target_archE1030ELNS1_3gpuE2ELNS1_3repE0EEENS1_48merge_mergepath_partition_config_static_selectorELNS0_4arch9wavefront6targetE0EEEvSL_
                                        ; -- End function
	.set _ZN7rocprim17ROCPRIM_400000_NS6detail17trampoline_kernelINS0_14default_configENS1_38merge_sort_block_merge_config_selectorIiNS0_10empty_typeEEEZZNS1_27merge_sort_block_merge_implIS3_N6thrust23THRUST_200600_302600_NS6detail15normal_iteratorINS9_10device_ptrIiEEEEPS5_jNS1_19radix_merge_compareILb1ELb1EiNS0_19identity_decomposerEEEEE10hipError_tT0_T1_T2_jT3_P12ihipStream_tbPNSt15iterator_traitsISK_E10value_typeEPNSQ_ISL_E10value_typeEPSM_NS1_7vsmem_tEENKUlT_SK_SL_SM_E_clISE_PiSF_SF_EESJ_SZ_SK_SL_SM_EUlSZ_E_NS1_11comp_targetILNS1_3genE8ELNS1_11target_archE1030ELNS1_3gpuE2ELNS1_3repE0EEENS1_48merge_mergepath_partition_config_static_selectorELNS0_4arch9wavefront6targetE0EEEvSL_.num_vgpr, 15
	.set _ZN7rocprim17ROCPRIM_400000_NS6detail17trampoline_kernelINS0_14default_configENS1_38merge_sort_block_merge_config_selectorIiNS0_10empty_typeEEEZZNS1_27merge_sort_block_merge_implIS3_N6thrust23THRUST_200600_302600_NS6detail15normal_iteratorINS9_10device_ptrIiEEEEPS5_jNS1_19radix_merge_compareILb1ELb1EiNS0_19identity_decomposerEEEEE10hipError_tT0_T1_T2_jT3_P12ihipStream_tbPNSt15iterator_traitsISK_E10value_typeEPNSQ_ISL_E10value_typeEPSM_NS1_7vsmem_tEENKUlT_SK_SL_SM_E_clISE_PiSF_SF_EESJ_SZ_SK_SL_SM_EUlSZ_E_NS1_11comp_targetILNS1_3genE8ELNS1_11target_archE1030ELNS1_3gpuE2ELNS1_3repE0EEENS1_48merge_mergepath_partition_config_static_selectorELNS0_4arch9wavefront6targetE0EEEvSL_.num_agpr, 0
	.set _ZN7rocprim17ROCPRIM_400000_NS6detail17trampoline_kernelINS0_14default_configENS1_38merge_sort_block_merge_config_selectorIiNS0_10empty_typeEEEZZNS1_27merge_sort_block_merge_implIS3_N6thrust23THRUST_200600_302600_NS6detail15normal_iteratorINS9_10device_ptrIiEEEEPS5_jNS1_19radix_merge_compareILb1ELb1EiNS0_19identity_decomposerEEEEE10hipError_tT0_T1_T2_jT3_P12ihipStream_tbPNSt15iterator_traitsISK_E10value_typeEPNSQ_ISL_E10value_typeEPSM_NS1_7vsmem_tEENKUlT_SK_SL_SM_E_clISE_PiSF_SF_EESJ_SZ_SK_SL_SM_EUlSZ_E_NS1_11comp_targetILNS1_3genE8ELNS1_11target_archE1030ELNS1_3gpuE2ELNS1_3repE0EEENS1_48merge_mergepath_partition_config_static_selectorELNS0_4arch9wavefront6targetE0EEEvSL_.numbered_sgpr, 8
	.set _ZN7rocprim17ROCPRIM_400000_NS6detail17trampoline_kernelINS0_14default_configENS1_38merge_sort_block_merge_config_selectorIiNS0_10empty_typeEEEZZNS1_27merge_sort_block_merge_implIS3_N6thrust23THRUST_200600_302600_NS6detail15normal_iteratorINS9_10device_ptrIiEEEEPS5_jNS1_19radix_merge_compareILb1ELb1EiNS0_19identity_decomposerEEEEE10hipError_tT0_T1_T2_jT3_P12ihipStream_tbPNSt15iterator_traitsISK_E10value_typeEPNSQ_ISL_E10value_typeEPSM_NS1_7vsmem_tEENKUlT_SK_SL_SM_E_clISE_PiSF_SF_EESJ_SZ_SK_SL_SM_EUlSZ_E_NS1_11comp_targetILNS1_3genE8ELNS1_11target_archE1030ELNS1_3gpuE2ELNS1_3repE0EEENS1_48merge_mergepath_partition_config_static_selectorELNS0_4arch9wavefront6targetE0EEEvSL_.num_named_barrier, 0
	.set _ZN7rocprim17ROCPRIM_400000_NS6detail17trampoline_kernelINS0_14default_configENS1_38merge_sort_block_merge_config_selectorIiNS0_10empty_typeEEEZZNS1_27merge_sort_block_merge_implIS3_N6thrust23THRUST_200600_302600_NS6detail15normal_iteratorINS9_10device_ptrIiEEEEPS5_jNS1_19radix_merge_compareILb1ELb1EiNS0_19identity_decomposerEEEEE10hipError_tT0_T1_T2_jT3_P12ihipStream_tbPNSt15iterator_traitsISK_E10value_typeEPNSQ_ISL_E10value_typeEPSM_NS1_7vsmem_tEENKUlT_SK_SL_SM_E_clISE_PiSF_SF_EESJ_SZ_SK_SL_SM_EUlSZ_E_NS1_11comp_targetILNS1_3genE8ELNS1_11target_archE1030ELNS1_3gpuE2ELNS1_3repE0EEENS1_48merge_mergepath_partition_config_static_selectorELNS0_4arch9wavefront6targetE0EEEvSL_.private_seg_size, 0
	.set _ZN7rocprim17ROCPRIM_400000_NS6detail17trampoline_kernelINS0_14default_configENS1_38merge_sort_block_merge_config_selectorIiNS0_10empty_typeEEEZZNS1_27merge_sort_block_merge_implIS3_N6thrust23THRUST_200600_302600_NS6detail15normal_iteratorINS9_10device_ptrIiEEEEPS5_jNS1_19radix_merge_compareILb1ELb1EiNS0_19identity_decomposerEEEEE10hipError_tT0_T1_T2_jT3_P12ihipStream_tbPNSt15iterator_traitsISK_E10value_typeEPNSQ_ISL_E10value_typeEPSM_NS1_7vsmem_tEENKUlT_SK_SL_SM_E_clISE_PiSF_SF_EESJ_SZ_SK_SL_SM_EUlSZ_E_NS1_11comp_targetILNS1_3genE8ELNS1_11target_archE1030ELNS1_3gpuE2ELNS1_3repE0EEENS1_48merge_mergepath_partition_config_static_selectorELNS0_4arch9wavefront6targetE0EEEvSL_.uses_vcc, 1
	.set _ZN7rocprim17ROCPRIM_400000_NS6detail17trampoline_kernelINS0_14default_configENS1_38merge_sort_block_merge_config_selectorIiNS0_10empty_typeEEEZZNS1_27merge_sort_block_merge_implIS3_N6thrust23THRUST_200600_302600_NS6detail15normal_iteratorINS9_10device_ptrIiEEEEPS5_jNS1_19radix_merge_compareILb1ELb1EiNS0_19identity_decomposerEEEEE10hipError_tT0_T1_T2_jT3_P12ihipStream_tbPNSt15iterator_traitsISK_E10value_typeEPNSQ_ISL_E10value_typeEPSM_NS1_7vsmem_tEENKUlT_SK_SL_SM_E_clISE_PiSF_SF_EESJ_SZ_SK_SL_SM_EUlSZ_E_NS1_11comp_targetILNS1_3genE8ELNS1_11target_archE1030ELNS1_3gpuE2ELNS1_3repE0EEENS1_48merge_mergepath_partition_config_static_selectorELNS0_4arch9wavefront6targetE0EEEvSL_.uses_flat_scratch, 1
	.set _ZN7rocprim17ROCPRIM_400000_NS6detail17trampoline_kernelINS0_14default_configENS1_38merge_sort_block_merge_config_selectorIiNS0_10empty_typeEEEZZNS1_27merge_sort_block_merge_implIS3_N6thrust23THRUST_200600_302600_NS6detail15normal_iteratorINS9_10device_ptrIiEEEEPS5_jNS1_19radix_merge_compareILb1ELb1EiNS0_19identity_decomposerEEEEE10hipError_tT0_T1_T2_jT3_P12ihipStream_tbPNSt15iterator_traitsISK_E10value_typeEPNSQ_ISL_E10value_typeEPSM_NS1_7vsmem_tEENKUlT_SK_SL_SM_E_clISE_PiSF_SF_EESJ_SZ_SK_SL_SM_EUlSZ_E_NS1_11comp_targetILNS1_3genE8ELNS1_11target_archE1030ELNS1_3gpuE2ELNS1_3repE0EEENS1_48merge_mergepath_partition_config_static_selectorELNS0_4arch9wavefront6targetE0EEEvSL_.has_dyn_sized_stack, 0
	.set _ZN7rocprim17ROCPRIM_400000_NS6detail17trampoline_kernelINS0_14default_configENS1_38merge_sort_block_merge_config_selectorIiNS0_10empty_typeEEEZZNS1_27merge_sort_block_merge_implIS3_N6thrust23THRUST_200600_302600_NS6detail15normal_iteratorINS9_10device_ptrIiEEEEPS5_jNS1_19radix_merge_compareILb1ELb1EiNS0_19identity_decomposerEEEEE10hipError_tT0_T1_T2_jT3_P12ihipStream_tbPNSt15iterator_traitsISK_E10value_typeEPNSQ_ISL_E10value_typeEPSM_NS1_7vsmem_tEENKUlT_SK_SL_SM_E_clISE_PiSF_SF_EESJ_SZ_SK_SL_SM_EUlSZ_E_NS1_11comp_targetILNS1_3genE8ELNS1_11target_archE1030ELNS1_3gpuE2ELNS1_3repE0EEENS1_48merge_mergepath_partition_config_static_selectorELNS0_4arch9wavefront6targetE0EEEvSL_.has_recursion, 0
	.set _ZN7rocprim17ROCPRIM_400000_NS6detail17trampoline_kernelINS0_14default_configENS1_38merge_sort_block_merge_config_selectorIiNS0_10empty_typeEEEZZNS1_27merge_sort_block_merge_implIS3_N6thrust23THRUST_200600_302600_NS6detail15normal_iteratorINS9_10device_ptrIiEEEEPS5_jNS1_19radix_merge_compareILb1ELb1EiNS0_19identity_decomposerEEEEE10hipError_tT0_T1_T2_jT3_P12ihipStream_tbPNSt15iterator_traitsISK_E10value_typeEPNSQ_ISL_E10value_typeEPSM_NS1_7vsmem_tEENKUlT_SK_SL_SM_E_clISE_PiSF_SF_EESJ_SZ_SK_SL_SM_EUlSZ_E_NS1_11comp_targetILNS1_3genE8ELNS1_11target_archE1030ELNS1_3gpuE2ELNS1_3repE0EEENS1_48merge_mergepath_partition_config_static_selectorELNS0_4arch9wavefront6targetE0EEEvSL_.has_indirect_call, 0
	.section	.AMDGPU.csdata,"",@progbits
; Kernel info:
; codeLenInByte = 448
; TotalNumSgprs: 10
; NumVgprs: 15
; ScratchSize: 0
; MemoryBound: 0
; FloatMode: 240
; IeeeMode: 1
; LDSByteSize: 0 bytes/workgroup (compile time only)
; SGPRBlocks: 0
; VGPRBlocks: 1
; NumSGPRsForWavesPerEU: 10
; NumVGPRsForWavesPerEU: 15
; Occupancy: 16
; WaveLimiterHint : 0
; COMPUTE_PGM_RSRC2:SCRATCH_EN: 0
; COMPUTE_PGM_RSRC2:USER_SGPR: 6
; COMPUTE_PGM_RSRC2:TRAP_HANDLER: 0
; COMPUTE_PGM_RSRC2:TGID_X_EN: 1
; COMPUTE_PGM_RSRC2:TGID_Y_EN: 0
; COMPUTE_PGM_RSRC2:TGID_Z_EN: 0
; COMPUTE_PGM_RSRC2:TIDIG_COMP_CNT: 0
	.section	.text._ZN7rocprim17ROCPRIM_400000_NS6detail17trampoline_kernelINS0_14default_configENS1_38merge_sort_block_merge_config_selectorIiNS0_10empty_typeEEEZZNS1_27merge_sort_block_merge_implIS3_N6thrust23THRUST_200600_302600_NS6detail15normal_iteratorINS9_10device_ptrIiEEEEPS5_jNS1_19radix_merge_compareILb1ELb1EiNS0_19identity_decomposerEEEEE10hipError_tT0_T1_T2_jT3_P12ihipStream_tbPNSt15iterator_traitsISK_E10value_typeEPNSQ_ISL_E10value_typeEPSM_NS1_7vsmem_tEENKUlT_SK_SL_SM_E_clISE_PiSF_SF_EESJ_SZ_SK_SL_SM_EUlSZ_E0_NS1_11comp_targetILNS1_3genE0ELNS1_11target_archE4294967295ELNS1_3gpuE0ELNS1_3repE0EEENS1_38merge_mergepath_config_static_selectorELNS0_4arch9wavefront6targetE0EEEvSL_,"axG",@progbits,_ZN7rocprim17ROCPRIM_400000_NS6detail17trampoline_kernelINS0_14default_configENS1_38merge_sort_block_merge_config_selectorIiNS0_10empty_typeEEEZZNS1_27merge_sort_block_merge_implIS3_N6thrust23THRUST_200600_302600_NS6detail15normal_iteratorINS9_10device_ptrIiEEEEPS5_jNS1_19radix_merge_compareILb1ELb1EiNS0_19identity_decomposerEEEEE10hipError_tT0_T1_T2_jT3_P12ihipStream_tbPNSt15iterator_traitsISK_E10value_typeEPNSQ_ISL_E10value_typeEPSM_NS1_7vsmem_tEENKUlT_SK_SL_SM_E_clISE_PiSF_SF_EESJ_SZ_SK_SL_SM_EUlSZ_E0_NS1_11comp_targetILNS1_3genE0ELNS1_11target_archE4294967295ELNS1_3gpuE0ELNS1_3repE0EEENS1_38merge_mergepath_config_static_selectorELNS0_4arch9wavefront6targetE0EEEvSL_,comdat
	.protected	_ZN7rocprim17ROCPRIM_400000_NS6detail17trampoline_kernelINS0_14default_configENS1_38merge_sort_block_merge_config_selectorIiNS0_10empty_typeEEEZZNS1_27merge_sort_block_merge_implIS3_N6thrust23THRUST_200600_302600_NS6detail15normal_iteratorINS9_10device_ptrIiEEEEPS5_jNS1_19radix_merge_compareILb1ELb1EiNS0_19identity_decomposerEEEEE10hipError_tT0_T1_T2_jT3_P12ihipStream_tbPNSt15iterator_traitsISK_E10value_typeEPNSQ_ISL_E10value_typeEPSM_NS1_7vsmem_tEENKUlT_SK_SL_SM_E_clISE_PiSF_SF_EESJ_SZ_SK_SL_SM_EUlSZ_E0_NS1_11comp_targetILNS1_3genE0ELNS1_11target_archE4294967295ELNS1_3gpuE0ELNS1_3repE0EEENS1_38merge_mergepath_config_static_selectorELNS0_4arch9wavefront6targetE0EEEvSL_ ; -- Begin function _ZN7rocprim17ROCPRIM_400000_NS6detail17trampoline_kernelINS0_14default_configENS1_38merge_sort_block_merge_config_selectorIiNS0_10empty_typeEEEZZNS1_27merge_sort_block_merge_implIS3_N6thrust23THRUST_200600_302600_NS6detail15normal_iteratorINS9_10device_ptrIiEEEEPS5_jNS1_19radix_merge_compareILb1ELb1EiNS0_19identity_decomposerEEEEE10hipError_tT0_T1_T2_jT3_P12ihipStream_tbPNSt15iterator_traitsISK_E10value_typeEPNSQ_ISL_E10value_typeEPSM_NS1_7vsmem_tEENKUlT_SK_SL_SM_E_clISE_PiSF_SF_EESJ_SZ_SK_SL_SM_EUlSZ_E0_NS1_11comp_targetILNS1_3genE0ELNS1_11target_archE4294967295ELNS1_3gpuE0ELNS1_3repE0EEENS1_38merge_mergepath_config_static_selectorELNS0_4arch9wavefront6targetE0EEEvSL_
	.globl	_ZN7rocprim17ROCPRIM_400000_NS6detail17trampoline_kernelINS0_14default_configENS1_38merge_sort_block_merge_config_selectorIiNS0_10empty_typeEEEZZNS1_27merge_sort_block_merge_implIS3_N6thrust23THRUST_200600_302600_NS6detail15normal_iteratorINS9_10device_ptrIiEEEEPS5_jNS1_19radix_merge_compareILb1ELb1EiNS0_19identity_decomposerEEEEE10hipError_tT0_T1_T2_jT3_P12ihipStream_tbPNSt15iterator_traitsISK_E10value_typeEPNSQ_ISL_E10value_typeEPSM_NS1_7vsmem_tEENKUlT_SK_SL_SM_E_clISE_PiSF_SF_EESJ_SZ_SK_SL_SM_EUlSZ_E0_NS1_11comp_targetILNS1_3genE0ELNS1_11target_archE4294967295ELNS1_3gpuE0ELNS1_3repE0EEENS1_38merge_mergepath_config_static_selectorELNS0_4arch9wavefront6targetE0EEEvSL_
	.p2align	8
	.type	_ZN7rocprim17ROCPRIM_400000_NS6detail17trampoline_kernelINS0_14default_configENS1_38merge_sort_block_merge_config_selectorIiNS0_10empty_typeEEEZZNS1_27merge_sort_block_merge_implIS3_N6thrust23THRUST_200600_302600_NS6detail15normal_iteratorINS9_10device_ptrIiEEEEPS5_jNS1_19radix_merge_compareILb1ELb1EiNS0_19identity_decomposerEEEEE10hipError_tT0_T1_T2_jT3_P12ihipStream_tbPNSt15iterator_traitsISK_E10value_typeEPNSQ_ISL_E10value_typeEPSM_NS1_7vsmem_tEENKUlT_SK_SL_SM_E_clISE_PiSF_SF_EESJ_SZ_SK_SL_SM_EUlSZ_E0_NS1_11comp_targetILNS1_3genE0ELNS1_11target_archE4294967295ELNS1_3gpuE0ELNS1_3repE0EEENS1_38merge_mergepath_config_static_selectorELNS0_4arch9wavefront6targetE0EEEvSL_,@function
_ZN7rocprim17ROCPRIM_400000_NS6detail17trampoline_kernelINS0_14default_configENS1_38merge_sort_block_merge_config_selectorIiNS0_10empty_typeEEEZZNS1_27merge_sort_block_merge_implIS3_N6thrust23THRUST_200600_302600_NS6detail15normal_iteratorINS9_10device_ptrIiEEEEPS5_jNS1_19radix_merge_compareILb1ELb1EiNS0_19identity_decomposerEEEEE10hipError_tT0_T1_T2_jT3_P12ihipStream_tbPNSt15iterator_traitsISK_E10value_typeEPNSQ_ISL_E10value_typeEPSM_NS1_7vsmem_tEENKUlT_SK_SL_SM_E_clISE_PiSF_SF_EESJ_SZ_SK_SL_SM_EUlSZ_E0_NS1_11comp_targetILNS1_3genE0ELNS1_11target_archE4294967295ELNS1_3gpuE0ELNS1_3repE0EEENS1_38merge_mergepath_config_static_selectorELNS0_4arch9wavefront6targetE0EEEvSL_: ; @_ZN7rocprim17ROCPRIM_400000_NS6detail17trampoline_kernelINS0_14default_configENS1_38merge_sort_block_merge_config_selectorIiNS0_10empty_typeEEEZZNS1_27merge_sort_block_merge_implIS3_N6thrust23THRUST_200600_302600_NS6detail15normal_iteratorINS9_10device_ptrIiEEEEPS5_jNS1_19radix_merge_compareILb1ELb1EiNS0_19identity_decomposerEEEEE10hipError_tT0_T1_T2_jT3_P12ihipStream_tbPNSt15iterator_traitsISK_E10value_typeEPNSQ_ISL_E10value_typeEPSM_NS1_7vsmem_tEENKUlT_SK_SL_SM_E_clISE_PiSF_SF_EESJ_SZ_SK_SL_SM_EUlSZ_E0_NS1_11comp_targetILNS1_3genE0ELNS1_11target_archE4294967295ELNS1_3gpuE0ELNS1_3repE0EEENS1_38merge_mergepath_config_static_selectorELNS0_4arch9wavefront6targetE0EEEvSL_
; %bb.0:
	.section	.rodata,"a",@progbits
	.p2align	6, 0x0
	.amdhsa_kernel _ZN7rocprim17ROCPRIM_400000_NS6detail17trampoline_kernelINS0_14default_configENS1_38merge_sort_block_merge_config_selectorIiNS0_10empty_typeEEEZZNS1_27merge_sort_block_merge_implIS3_N6thrust23THRUST_200600_302600_NS6detail15normal_iteratorINS9_10device_ptrIiEEEEPS5_jNS1_19radix_merge_compareILb1ELb1EiNS0_19identity_decomposerEEEEE10hipError_tT0_T1_T2_jT3_P12ihipStream_tbPNSt15iterator_traitsISK_E10value_typeEPNSQ_ISL_E10value_typeEPSM_NS1_7vsmem_tEENKUlT_SK_SL_SM_E_clISE_PiSF_SF_EESJ_SZ_SK_SL_SM_EUlSZ_E0_NS1_11comp_targetILNS1_3genE0ELNS1_11target_archE4294967295ELNS1_3gpuE0ELNS1_3repE0EEENS1_38merge_mergepath_config_static_selectorELNS0_4arch9wavefront6targetE0EEEvSL_
		.amdhsa_group_segment_fixed_size 0
		.amdhsa_private_segment_fixed_size 0
		.amdhsa_kernarg_size 64
		.amdhsa_user_sgpr_count 6
		.amdhsa_user_sgpr_private_segment_buffer 1
		.amdhsa_user_sgpr_dispatch_ptr 0
		.amdhsa_user_sgpr_queue_ptr 0
		.amdhsa_user_sgpr_kernarg_segment_ptr 1
		.amdhsa_user_sgpr_dispatch_id 0
		.amdhsa_user_sgpr_flat_scratch_init 0
		.amdhsa_user_sgpr_private_segment_size 0
		.amdhsa_wavefront_size32 1
		.amdhsa_uses_dynamic_stack 0
		.amdhsa_system_sgpr_private_segment_wavefront_offset 0
		.amdhsa_system_sgpr_workgroup_id_x 1
		.amdhsa_system_sgpr_workgroup_id_y 0
		.amdhsa_system_sgpr_workgroup_id_z 0
		.amdhsa_system_sgpr_workgroup_info 0
		.amdhsa_system_vgpr_workitem_id 0
		.amdhsa_next_free_vgpr 1
		.amdhsa_next_free_sgpr 1
		.amdhsa_reserve_vcc 0
		.amdhsa_reserve_flat_scratch 0
		.amdhsa_float_round_mode_32 0
		.amdhsa_float_round_mode_16_64 0
		.amdhsa_float_denorm_mode_32 3
		.amdhsa_float_denorm_mode_16_64 3
		.amdhsa_dx10_clamp 1
		.amdhsa_ieee_mode 1
		.amdhsa_fp16_overflow 0
		.amdhsa_workgroup_processor_mode 1
		.amdhsa_memory_ordered 1
		.amdhsa_forward_progress 1
		.amdhsa_shared_vgpr_count 0
		.amdhsa_exception_fp_ieee_invalid_op 0
		.amdhsa_exception_fp_denorm_src 0
		.amdhsa_exception_fp_ieee_div_zero 0
		.amdhsa_exception_fp_ieee_overflow 0
		.amdhsa_exception_fp_ieee_underflow 0
		.amdhsa_exception_fp_ieee_inexact 0
		.amdhsa_exception_int_div_zero 0
	.end_amdhsa_kernel
	.section	.text._ZN7rocprim17ROCPRIM_400000_NS6detail17trampoline_kernelINS0_14default_configENS1_38merge_sort_block_merge_config_selectorIiNS0_10empty_typeEEEZZNS1_27merge_sort_block_merge_implIS3_N6thrust23THRUST_200600_302600_NS6detail15normal_iteratorINS9_10device_ptrIiEEEEPS5_jNS1_19radix_merge_compareILb1ELb1EiNS0_19identity_decomposerEEEEE10hipError_tT0_T1_T2_jT3_P12ihipStream_tbPNSt15iterator_traitsISK_E10value_typeEPNSQ_ISL_E10value_typeEPSM_NS1_7vsmem_tEENKUlT_SK_SL_SM_E_clISE_PiSF_SF_EESJ_SZ_SK_SL_SM_EUlSZ_E0_NS1_11comp_targetILNS1_3genE0ELNS1_11target_archE4294967295ELNS1_3gpuE0ELNS1_3repE0EEENS1_38merge_mergepath_config_static_selectorELNS0_4arch9wavefront6targetE0EEEvSL_,"axG",@progbits,_ZN7rocprim17ROCPRIM_400000_NS6detail17trampoline_kernelINS0_14default_configENS1_38merge_sort_block_merge_config_selectorIiNS0_10empty_typeEEEZZNS1_27merge_sort_block_merge_implIS3_N6thrust23THRUST_200600_302600_NS6detail15normal_iteratorINS9_10device_ptrIiEEEEPS5_jNS1_19radix_merge_compareILb1ELb1EiNS0_19identity_decomposerEEEEE10hipError_tT0_T1_T2_jT3_P12ihipStream_tbPNSt15iterator_traitsISK_E10value_typeEPNSQ_ISL_E10value_typeEPSM_NS1_7vsmem_tEENKUlT_SK_SL_SM_E_clISE_PiSF_SF_EESJ_SZ_SK_SL_SM_EUlSZ_E0_NS1_11comp_targetILNS1_3genE0ELNS1_11target_archE4294967295ELNS1_3gpuE0ELNS1_3repE0EEENS1_38merge_mergepath_config_static_selectorELNS0_4arch9wavefront6targetE0EEEvSL_,comdat
.Lfunc_end302:
	.size	_ZN7rocprim17ROCPRIM_400000_NS6detail17trampoline_kernelINS0_14default_configENS1_38merge_sort_block_merge_config_selectorIiNS0_10empty_typeEEEZZNS1_27merge_sort_block_merge_implIS3_N6thrust23THRUST_200600_302600_NS6detail15normal_iteratorINS9_10device_ptrIiEEEEPS5_jNS1_19radix_merge_compareILb1ELb1EiNS0_19identity_decomposerEEEEE10hipError_tT0_T1_T2_jT3_P12ihipStream_tbPNSt15iterator_traitsISK_E10value_typeEPNSQ_ISL_E10value_typeEPSM_NS1_7vsmem_tEENKUlT_SK_SL_SM_E_clISE_PiSF_SF_EESJ_SZ_SK_SL_SM_EUlSZ_E0_NS1_11comp_targetILNS1_3genE0ELNS1_11target_archE4294967295ELNS1_3gpuE0ELNS1_3repE0EEENS1_38merge_mergepath_config_static_selectorELNS0_4arch9wavefront6targetE0EEEvSL_, .Lfunc_end302-_ZN7rocprim17ROCPRIM_400000_NS6detail17trampoline_kernelINS0_14default_configENS1_38merge_sort_block_merge_config_selectorIiNS0_10empty_typeEEEZZNS1_27merge_sort_block_merge_implIS3_N6thrust23THRUST_200600_302600_NS6detail15normal_iteratorINS9_10device_ptrIiEEEEPS5_jNS1_19radix_merge_compareILb1ELb1EiNS0_19identity_decomposerEEEEE10hipError_tT0_T1_T2_jT3_P12ihipStream_tbPNSt15iterator_traitsISK_E10value_typeEPNSQ_ISL_E10value_typeEPSM_NS1_7vsmem_tEENKUlT_SK_SL_SM_E_clISE_PiSF_SF_EESJ_SZ_SK_SL_SM_EUlSZ_E0_NS1_11comp_targetILNS1_3genE0ELNS1_11target_archE4294967295ELNS1_3gpuE0ELNS1_3repE0EEENS1_38merge_mergepath_config_static_selectorELNS0_4arch9wavefront6targetE0EEEvSL_
                                        ; -- End function
	.set _ZN7rocprim17ROCPRIM_400000_NS6detail17trampoline_kernelINS0_14default_configENS1_38merge_sort_block_merge_config_selectorIiNS0_10empty_typeEEEZZNS1_27merge_sort_block_merge_implIS3_N6thrust23THRUST_200600_302600_NS6detail15normal_iteratorINS9_10device_ptrIiEEEEPS5_jNS1_19radix_merge_compareILb1ELb1EiNS0_19identity_decomposerEEEEE10hipError_tT0_T1_T2_jT3_P12ihipStream_tbPNSt15iterator_traitsISK_E10value_typeEPNSQ_ISL_E10value_typeEPSM_NS1_7vsmem_tEENKUlT_SK_SL_SM_E_clISE_PiSF_SF_EESJ_SZ_SK_SL_SM_EUlSZ_E0_NS1_11comp_targetILNS1_3genE0ELNS1_11target_archE4294967295ELNS1_3gpuE0ELNS1_3repE0EEENS1_38merge_mergepath_config_static_selectorELNS0_4arch9wavefront6targetE0EEEvSL_.num_vgpr, 0
	.set _ZN7rocprim17ROCPRIM_400000_NS6detail17trampoline_kernelINS0_14default_configENS1_38merge_sort_block_merge_config_selectorIiNS0_10empty_typeEEEZZNS1_27merge_sort_block_merge_implIS3_N6thrust23THRUST_200600_302600_NS6detail15normal_iteratorINS9_10device_ptrIiEEEEPS5_jNS1_19radix_merge_compareILb1ELb1EiNS0_19identity_decomposerEEEEE10hipError_tT0_T1_T2_jT3_P12ihipStream_tbPNSt15iterator_traitsISK_E10value_typeEPNSQ_ISL_E10value_typeEPSM_NS1_7vsmem_tEENKUlT_SK_SL_SM_E_clISE_PiSF_SF_EESJ_SZ_SK_SL_SM_EUlSZ_E0_NS1_11comp_targetILNS1_3genE0ELNS1_11target_archE4294967295ELNS1_3gpuE0ELNS1_3repE0EEENS1_38merge_mergepath_config_static_selectorELNS0_4arch9wavefront6targetE0EEEvSL_.num_agpr, 0
	.set _ZN7rocprim17ROCPRIM_400000_NS6detail17trampoline_kernelINS0_14default_configENS1_38merge_sort_block_merge_config_selectorIiNS0_10empty_typeEEEZZNS1_27merge_sort_block_merge_implIS3_N6thrust23THRUST_200600_302600_NS6detail15normal_iteratorINS9_10device_ptrIiEEEEPS5_jNS1_19radix_merge_compareILb1ELb1EiNS0_19identity_decomposerEEEEE10hipError_tT0_T1_T2_jT3_P12ihipStream_tbPNSt15iterator_traitsISK_E10value_typeEPNSQ_ISL_E10value_typeEPSM_NS1_7vsmem_tEENKUlT_SK_SL_SM_E_clISE_PiSF_SF_EESJ_SZ_SK_SL_SM_EUlSZ_E0_NS1_11comp_targetILNS1_3genE0ELNS1_11target_archE4294967295ELNS1_3gpuE0ELNS1_3repE0EEENS1_38merge_mergepath_config_static_selectorELNS0_4arch9wavefront6targetE0EEEvSL_.numbered_sgpr, 0
	.set _ZN7rocprim17ROCPRIM_400000_NS6detail17trampoline_kernelINS0_14default_configENS1_38merge_sort_block_merge_config_selectorIiNS0_10empty_typeEEEZZNS1_27merge_sort_block_merge_implIS3_N6thrust23THRUST_200600_302600_NS6detail15normal_iteratorINS9_10device_ptrIiEEEEPS5_jNS1_19radix_merge_compareILb1ELb1EiNS0_19identity_decomposerEEEEE10hipError_tT0_T1_T2_jT3_P12ihipStream_tbPNSt15iterator_traitsISK_E10value_typeEPNSQ_ISL_E10value_typeEPSM_NS1_7vsmem_tEENKUlT_SK_SL_SM_E_clISE_PiSF_SF_EESJ_SZ_SK_SL_SM_EUlSZ_E0_NS1_11comp_targetILNS1_3genE0ELNS1_11target_archE4294967295ELNS1_3gpuE0ELNS1_3repE0EEENS1_38merge_mergepath_config_static_selectorELNS0_4arch9wavefront6targetE0EEEvSL_.num_named_barrier, 0
	.set _ZN7rocprim17ROCPRIM_400000_NS6detail17trampoline_kernelINS0_14default_configENS1_38merge_sort_block_merge_config_selectorIiNS0_10empty_typeEEEZZNS1_27merge_sort_block_merge_implIS3_N6thrust23THRUST_200600_302600_NS6detail15normal_iteratorINS9_10device_ptrIiEEEEPS5_jNS1_19radix_merge_compareILb1ELb1EiNS0_19identity_decomposerEEEEE10hipError_tT0_T1_T2_jT3_P12ihipStream_tbPNSt15iterator_traitsISK_E10value_typeEPNSQ_ISL_E10value_typeEPSM_NS1_7vsmem_tEENKUlT_SK_SL_SM_E_clISE_PiSF_SF_EESJ_SZ_SK_SL_SM_EUlSZ_E0_NS1_11comp_targetILNS1_3genE0ELNS1_11target_archE4294967295ELNS1_3gpuE0ELNS1_3repE0EEENS1_38merge_mergepath_config_static_selectorELNS0_4arch9wavefront6targetE0EEEvSL_.private_seg_size, 0
	.set _ZN7rocprim17ROCPRIM_400000_NS6detail17trampoline_kernelINS0_14default_configENS1_38merge_sort_block_merge_config_selectorIiNS0_10empty_typeEEEZZNS1_27merge_sort_block_merge_implIS3_N6thrust23THRUST_200600_302600_NS6detail15normal_iteratorINS9_10device_ptrIiEEEEPS5_jNS1_19radix_merge_compareILb1ELb1EiNS0_19identity_decomposerEEEEE10hipError_tT0_T1_T2_jT3_P12ihipStream_tbPNSt15iterator_traitsISK_E10value_typeEPNSQ_ISL_E10value_typeEPSM_NS1_7vsmem_tEENKUlT_SK_SL_SM_E_clISE_PiSF_SF_EESJ_SZ_SK_SL_SM_EUlSZ_E0_NS1_11comp_targetILNS1_3genE0ELNS1_11target_archE4294967295ELNS1_3gpuE0ELNS1_3repE0EEENS1_38merge_mergepath_config_static_selectorELNS0_4arch9wavefront6targetE0EEEvSL_.uses_vcc, 0
	.set _ZN7rocprim17ROCPRIM_400000_NS6detail17trampoline_kernelINS0_14default_configENS1_38merge_sort_block_merge_config_selectorIiNS0_10empty_typeEEEZZNS1_27merge_sort_block_merge_implIS3_N6thrust23THRUST_200600_302600_NS6detail15normal_iteratorINS9_10device_ptrIiEEEEPS5_jNS1_19radix_merge_compareILb1ELb1EiNS0_19identity_decomposerEEEEE10hipError_tT0_T1_T2_jT3_P12ihipStream_tbPNSt15iterator_traitsISK_E10value_typeEPNSQ_ISL_E10value_typeEPSM_NS1_7vsmem_tEENKUlT_SK_SL_SM_E_clISE_PiSF_SF_EESJ_SZ_SK_SL_SM_EUlSZ_E0_NS1_11comp_targetILNS1_3genE0ELNS1_11target_archE4294967295ELNS1_3gpuE0ELNS1_3repE0EEENS1_38merge_mergepath_config_static_selectorELNS0_4arch9wavefront6targetE0EEEvSL_.uses_flat_scratch, 0
	.set _ZN7rocprim17ROCPRIM_400000_NS6detail17trampoline_kernelINS0_14default_configENS1_38merge_sort_block_merge_config_selectorIiNS0_10empty_typeEEEZZNS1_27merge_sort_block_merge_implIS3_N6thrust23THRUST_200600_302600_NS6detail15normal_iteratorINS9_10device_ptrIiEEEEPS5_jNS1_19radix_merge_compareILb1ELb1EiNS0_19identity_decomposerEEEEE10hipError_tT0_T1_T2_jT3_P12ihipStream_tbPNSt15iterator_traitsISK_E10value_typeEPNSQ_ISL_E10value_typeEPSM_NS1_7vsmem_tEENKUlT_SK_SL_SM_E_clISE_PiSF_SF_EESJ_SZ_SK_SL_SM_EUlSZ_E0_NS1_11comp_targetILNS1_3genE0ELNS1_11target_archE4294967295ELNS1_3gpuE0ELNS1_3repE0EEENS1_38merge_mergepath_config_static_selectorELNS0_4arch9wavefront6targetE0EEEvSL_.has_dyn_sized_stack, 0
	.set _ZN7rocprim17ROCPRIM_400000_NS6detail17trampoline_kernelINS0_14default_configENS1_38merge_sort_block_merge_config_selectorIiNS0_10empty_typeEEEZZNS1_27merge_sort_block_merge_implIS3_N6thrust23THRUST_200600_302600_NS6detail15normal_iteratorINS9_10device_ptrIiEEEEPS5_jNS1_19radix_merge_compareILb1ELb1EiNS0_19identity_decomposerEEEEE10hipError_tT0_T1_T2_jT3_P12ihipStream_tbPNSt15iterator_traitsISK_E10value_typeEPNSQ_ISL_E10value_typeEPSM_NS1_7vsmem_tEENKUlT_SK_SL_SM_E_clISE_PiSF_SF_EESJ_SZ_SK_SL_SM_EUlSZ_E0_NS1_11comp_targetILNS1_3genE0ELNS1_11target_archE4294967295ELNS1_3gpuE0ELNS1_3repE0EEENS1_38merge_mergepath_config_static_selectorELNS0_4arch9wavefront6targetE0EEEvSL_.has_recursion, 0
	.set _ZN7rocprim17ROCPRIM_400000_NS6detail17trampoline_kernelINS0_14default_configENS1_38merge_sort_block_merge_config_selectorIiNS0_10empty_typeEEEZZNS1_27merge_sort_block_merge_implIS3_N6thrust23THRUST_200600_302600_NS6detail15normal_iteratorINS9_10device_ptrIiEEEEPS5_jNS1_19radix_merge_compareILb1ELb1EiNS0_19identity_decomposerEEEEE10hipError_tT0_T1_T2_jT3_P12ihipStream_tbPNSt15iterator_traitsISK_E10value_typeEPNSQ_ISL_E10value_typeEPSM_NS1_7vsmem_tEENKUlT_SK_SL_SM_E_clISE_PiSF_SF_EESJ_SZ_SK_SL_SM_EUlSZ_E0_NS1_11comp_targetILNS1_3genE0ELNS1_11target_archE4294967295ELNS1_3gpuE0ELNS1_3repE0EEENS1_38merge_mergepath_config_static_selectorELNS0_4arch9wavefront6targetE0EEEvSL_.has_indirect_call, 0
	.section	.AMDGPU.csdata,"",@progbits
; Kernel info:
; codeLenInByte = 0
; TotalNumSgprs: 0
; NumVgprs: 0
; ScratchSize: 0
; MemoryBound: 0
; FloatMode: 240
; IeeeMode: 1
; LDSByteSize: 0 bytes/workgroup (compile time only)
; SGPRBlocks: 0
; VGPRBlocks: 0
; NumSGPRsForWavesPerEU: 1
; NumVGPRsForWavesPerEU: 1
; Occupancy: 16
; WaveLimiterHint : 0
; COMPUTE_PGM_RSRC2:SCRATCH_EN: 0
; COMPUTE_PGM_RSRC2:USER_SGPR: 6
; COMPUTE_PGM_RSRC2:TRAP_HANDLER: 0
; COMPUTE_PGM_RSRC2:TGID_X_EN: 1
; COMPUTE_PGM_RSRC2:TGID_Y_EN: 0
; COMPUTE_PGM_RSRC2:TGID_Z_EN: 0
; COMPUTE_PGM_RSRC2:TIDIG_COMP_CNT: 0
	.section	.text._ZN7rocprim17ROCPRIM_400000_NS6detail17trampoline_kernelINS0_14default_configENS1_38merge_sort_block_merge_config_selectorIiNS0_10empty_typeEEEZZNS1_27merge_sort_block_merge_implIS3_N6thrust23THRUST_200600_302600_NS6detail15normal_iteratorINS9_10device_ptrIiEEEEPS5_jNS1_19radix_merge_compareILb1ELb1EiNS0_19identity_decomposerEEEEE10hipError_tT0_T1_T2_jT3_P12ihipStream_tbPNSt15iterator_traitsISK_E10value_typeEPNSQ_ISL_E10value_typeEPSM_NS1_7vsmem_tEENKUlT_SK_SL_SM_E_clISE_PiSF_SF_EESJ_SZ_SK_SL_SM_EUlSZ_E0_NS1_11comp_targetILNS1_3genE10ELNS1_11target_archE1201ELNS1_3gpuE5ELNS1_3repE0EEENS1_38merge_mergepath_config_static_selectorELNS0_4arch9wavefront6targetE0EEEvSL_,"axG",@progbits,_ZN7rocprim17ROCPRIM_400000_NS6detail17trampoline_kernelINS0_14default_configENS1_38merge_sort_block_merge_config_selectorIiNS0_10empty_typeEEEZZNS1_27merge_sort_block_merge_implIS3_N6thrust23THRUST_200600_302600_NS6detail15normal_iteratorINS9_10device_ptrIiEEEEPS5_jNS1_19radix_merge_compareILb1ELb1EiNS0_19identity_decomposerEEEEE10hipError_tT0_T1_T2_jT3_P12ihipStream_tbPNSt15iterator_traitsISK_E10value_typeEPNSQ_ISL_E10value_typeEPSM_NS1_7vsmem_tEENKUlT_SK_SL_SM_E_clISE_PiSF_SF_EESJ_SZ_SK_SL_SM_EUlSZ_E0_NS1_11comp_targetILNS1_3genE10ELNS1_11target_archE1201ELNS1_3gpuE5ELNS1_3repE0EEENS1_38merge_mergepath_config_static_selectorELNS0_4arch9wavefront6targetE0EEEvSL_,comdat
	.protected	_ZN7rocprim17ROCPRIM_400000_NS6detail17trampoline_kernelINS0_14default_configENS1_38merge_sort_block_merge_config_selectorIiNS0_10empty_typeEEEZZNS1_27merge_sort_block_merge_implIS3_N6thrust23THRUST_200600_302600_NS6detail15normal_iteratorINS9_10device_ptrIiEEEEPS5_jNS1_19radix_merge_compareILb1ELb1EiNS0_19identity_decomposerEEEEE10hipError_tT0_T1_T2_jT3_P12ihipStream_tbPNSt15iterator_traitsISK_E10value_typeEPNSQ_ISL_E10value_typeEPSM_NS1_7vsmem_tEENKUlT_SK_SL_SM_E_clISE_PiSF_SF_EESJ_SZ_SK_SL_SM_EUlSZ_E0_NS1_11comp_targetILNS1_3genE10ELNS1_11target_archE1201ELNS1_3gpuE5ELNS1_3repE0EEENS1_38merge_mergepath_config_static_selectorELNS0_4arch9wavefront6targetE0EEEvSL_ ; -- Begin function _ZN7rocprim17ROCPRIM_400000_NS6detail17trampoline_kernelINS0_14default_configENS1_38merge_sort_block_merge_config_selectorIiNS0_10empty_typeEEEZZNS1_27merge_sort_block_merge_implIS3_N6thrust23THRUST_200600_302600_NS6detail15normal_iteratorINS9_10device_ptrIiEEEEPS5_jNS1_19radix_merge_compareILb1ELb1EiNS0_19identity_decomposerEEEEE10hipError_tT0_T1_T2_jT3_P12ihipStream_tbPNSt15iterator_traitsISK_E10value_typeEPNSQ_ISL_E10value_typeEPSM_NS1_7vsmem_tEENKUlT_SK_SL_SM_E_clISE_PiSF_SF_EESJ_SZ_SK_SL_SM_EUlSZ_E0_NS1_11comp_targetILNS1_3genE10ELNS1_11target_archE1201ELNS1_3gpuE5ELNS1_3repE0EEENS1_38merge_mergepath_config_static_selectorELNS0_4arch9wavefront6targetE0EEEvSL_
	.globl	_ZN7rocprim17ROCPRIM_400000_NS6detail17trampoline_kernelINS0_14default_configENS1_38merge_sort_block_merge_config_selectorIiNS0_10empty_typeEEEZZNS1_27merge_sort_block_merge_implIS3_N6thrust23THRUST_200600_302600_NS6detail15normal_iteratorINS9_10device_ptrIiEEEEPS5_jNS1_19radix_merge_compareILb1ELb1EiNS0_19identity_decomposerEEEEE10hipError_tT0_T1_T2_jT3_P12ihipStream_tbPNSt15iterator_traitsISK_E10value_typeEPNSQ_ISL_E10value_typeEPSM_NS1_7vsmem_tEENKUlT_SK_SL_SM_E_clISE_PiSF_SF_EESJ_SZ_SK_SL_SM_EUlSZ_E0_NS1_11comp_targetILNS1_3genE10ELNS1_11target_archE1201ELNS1_3gpuE5ELNS1_3repE0EEENS1_38merge_mergepath_config_static_selectorELNS0_4arch9wavefront6targetE0EEEvSL_
	.p2align	8
	.type	_ZN7rocprim17ROCPRIM_400000_NS6detail17trampoline_kernelINS0_14default_configENS1_38merge_sort_block_merge_config_selectorIiNS0_10empty_typeEEEZZNS1_27merge_sort_block_merge_implIS3_N6thrust23THRUST_200600_302600_NS6detail15normal_iteratorINS9_10device_ptrIiEEEEPS5_jNS1_19radix_merge_compareILb1ELb1EiNS0_19identity_decomposerEEEEE10hipError_tT0_T1_T2_jT3_P12ihipStream_tbPNSt15iterator_traitsISK_E10value_typeEPNSQ_ISL_E10value_typeEPSM_NS1_7vsmem_tEENKUlT_SK_SL_SM_E_clISE_PiSF_SF_EESJ_SZ_SK_SL_SM_EUlSZ_E0_NS1_11comp_targetILNS1_3genE10ELNS1_11target_archE1201ELNS1_3gpuE5ELNS1_3repE0EEENS1_38merge_mergepath_config_static_selectorELNS0_4arch9wavefront6targetE0EEEvSL_,@function
_ZN7rocprim17ROCPRIM_400000_NS6detail17trampoline_kernelINS0_14default_configENS1_38merge_sort_block_merge_config_selectorIiNS0_10empty_typeEEEZZNS1_27merge_sort_block_merge_implIS3_N6thrust23THRUST_200600_302600_NS6detail15normal_iteratorINS9_10device_ptrIiEEEEPS5_jNS1_19radix_merge_compareILb1ELb1EiNS0_19identity_decomposerEEEEE10hipError_tT0_T1_T2_jT3_P12ihipStream_tbPNSt15iterator_traitsISK_E10value_typeEPNSQ_ISL_E10value_typeEPSM_NS1_7vsmem_tEENKUlT_SK_SL_SM_E_clISE_PiSF_SF_EESJ_SZ_SK_SL_SM_EUlSZ_E0_NS1_11comp_targetILNS1_3genE10ELNS1_11target_archE1201ELNS1_3gpuE5ELNS1_3repE0EEENS1_38merge_mergepath_config_static_selectorELNS0_4arch9wavefront6targetE0EEEvSL_: ; @_ZN7rocprim17ROCPRIM_400000_NS6detail17trampoline_kernelINS0_14default_configENS1_38merge_sort_block_merge_config_selectorIiNS0_10empty_typeEEEZZNS1_27merge_sort_block_merge_implIS3_N6thrust23THRUST_200600_302600_NS6detail15normal_iteratorINS9_10device_ptrIiEEEEPS5_jNS1_19radix_merge_compareILb1ELb1EiNS0_19identity_decomposerEEEEE10hipError_tT0_T1_T2_jT3_P12ihipStream_tbPNSt15iterator_traitsISK_E10value_typeEPNSQ_ISL_E10value_typeEPSM_NS1_7vsmem_tEENKUlT_SK_SL_SM_E_clISE_PiSF_SF_EESJ_SZ_SK_SL_SM_EUlSZ_E0_NS1_11comp_targetILNS1_3genE10ELNS1_11target_archE1201ELNS1_3gpuE5ELNS1_3repE0EEENS1_38merge_mergepath_config_static_selectorELNS0_4arch9wavefront6targetE0EEEvSL_
; %bb.0:
	.section	.rodata,"a",@progbits
	.p2align	6, 0x0
	.amdhsa_kernel _ZN7rocprim17ROCPRIM_400000_NS6detail17trampoline_kernelINS0_14default_configENS1_38merge_sort_block_merge_config_selectorIiNS0_10empty_typeEEEZZNS1_27merge_sort_block_merge_implIS3_N6thrust23THRUST_200600_302600_NS6detail15normal_iteratorINS9_10device_ptrIiEEEEPS5_jNS1_19radix_merge_compareILb1ELb1EiNS0_19identity_decomposerEEEEE10hipError_tT0_T1_T2_jT3_P12ihipStream_tbPNSt15iterator_traitsISK_E10value_typeEPNSQ_ISL_E10value_typeEPSM_NS1_7vsmem_tEENKUlT_SK_SL_SM_E_clISE_PiSF_SF_EESJ_SZ_SK_SL_SM_EUlSZ_E0_NS1_11comp_targetILNS1_3genE10ELNS1_11target_archE1201ELNS1_3gpuE5ELNS1_3repE0EEENS1_38merge_mergepath_config_static_selectorELNS0_4arch9wavefront6targetE0EEEvSL_
		.amdhsa_group_segment_fixed_size 0
		.amdhsa_private_segment_fixed_size 0
		.amdhsa_kernarg_size 64
		.amdhsa_user_sgpr_count 6
		.amdhsa_user_sgpr_private_segment_buffer 1
		.amdhsa_user_sgpr_dispatch_ptr 0
		.amdhsa_user_sgpr_queue_ptr 0
		.amdhsa_user_sgpr_kernarg_segment_ptr 1
		.amdhsa_user_sgpr_dispatch_id 0
		.amdhsa_user_sgpr_flat_scratch_init 0
		.amdhsa_user_sgpr_private_segment_size 0
		.amdhsa_wavefront_size32 1
		.amdhsa_uses_dynamic_stack 0
		.amdhsa_system_sgpr_private_segment_wavefront_offset 0
		.amdhsa_system_sgpr_workgroup_id_x 1
		.amdhsa_system_sgpr_workgroup_id_y 0
		.amdhsa_system_sgpr_workgroup_id_z 0
		.amdhsa_system_sgpr_workgroup_info 0
		.amdhsa_system_vgpr_workitem_id 0
		.amdhsa_next_free_vgpr 1
		.amdhsa_next_free_sgpr 1
		.amdhsa_reserve_vcc 0
		.amdhsa_reserve_flat_scratch 0
		.amdhsa_float_round_mode_32 0
		.amdhsa_float_round_mode_16_64 0
		.amdhsa_float_denorm_mode_32 3
		.amdhsa_float_denorm_mode_16_64 3
		.amdhsa_dx10_clamp 1
		.amdhsa_ieee_mode 1
		.amdhsa_fp16_overflow 0
		.amdhsa_workgroup_processor_mode 1
		.amdhsa_memory_ordered 1
		.amdhsa_forward_progress 1
		.amdhsa_shared_vgpr_count 0
		.amdhsa_exception_fp_ieee_invalid_op 0
		.amdhsa_exception_fp_denorm_src 0
		.amdhsa_exception_fp_ieee_div_zero 0
		.amdhsa_exception_fp_ieee_overflow 0
		.amdhsa_exception_fp_ieee_underflow 0
		.amdhsa_exception_fp_ieee_inexact 0
		.amdhsa_exception_int_div_zero 0
	.end_amdhsa_kernel
	.section	.text._ZN7rocprim17ROCPRIM_400000_NS6detail17trampoline_kernelINS0_14default_configENS1_38merge_sort_block_merge_config_selectorIiNS0_10empty_typeEEEZZNS1_27merge_sort_block_merge_implIS3_N6thrust23THRUST_200600_302600_NS6detail15normal_iteratorINS9_10device_ptrIiEEEEPS5_jNS1_19radix_merge_compareILb1ELb1EiNS0_19identity_decomposerEEEEE10hipError_tT0_T1_T2_jT3_P12ihipStream_tbPNSt15iterator_traitsISK_E10value_typeEPNSQ_ISL_E10value_typeEPSM_NS1_7vsmem_tEENKUlT_SK_SL_SM_E_clISE_PiSF_SF_EESJ_SZ_SK_SL_SM_EUlSZ_E0_NS1_11comp_targetILNS1_3genE10ELNS1_11target_archE1201ELNS1_3gpuE5ELNS1_3repE0EEENS1_38merge_mergepath_config_static_selectorELNS0_4arch9wavefront6targetE0EEEvSL_,"axG",@progbits,_ZN7rocprim17ROCPRIM_400000_NS6detail17trampoline_kernelINS0_14default_configENS1_38merge_sort_block_merge_config_selectorIiNS0_10empty_typeEEEZZNS1_27merge_sort_block_merge_implIS3_N6thrust23THRUST_200600_302600_NS6detail15normal_iteratorINS9_10device_ptrIiEEEEPS5_jNS1_19radix_merge_compareILb1ELb1EiNS0_19identity_decomposerEEEEE10hipError_tT0_T1_T2_jT3_P12ihipStream_tbPNSt15iterator_traitsISK_E10value_typeEPNSQ_ISL_E10value_typeEPSM_NS1_7vsmem_tEENKUlT_SK_SL_SM_E_clISE_PiSF_SF_EESJ_SZ_SK_SL_SM_EUlSZ_E0_NS1_11comp_targetILNS1_3genE10ELNS1_11target_archE1201ELNS1_3gpuE5ELNS1_3repE0EEENS1_38merge_mergepath_config_static_selectorELNS0_4arch9wavefront6targetE0EEEvSL_,comdat
.Lfunc_end303:
	.size	_ZN7rocprim17ROCPRIM_400000_NS6detail17trampoline_kernelINS0_14default_configENS1_38merge_sort_block_merge_config_selectorIiNS0_10empty_typeEEEZZNS1_27merge_sort_block_merge_implIS3_N6thrust23THRUST_200600_302600_NS6detail15normal_iteratorINS9_10device_ptrIiEEEEPS5_jNS1_19radix_merge_compareILb1ELb1EiNS0_19identity_decomposerEEEEE10hipError_tT0_T1_T2_jT3_P12ihipStream_tbPNSt15iterator_traitsISK_E10value_typeEPNSQ_ISL_E10value_typeEPSM_NS1_7vsmem_tEENKUlT_SK_SL_SM_E_clISE_PiSF_SF_EESJ_SZ_SK_SL_SM_EUlSZ_E0_NS1_11comp_targetILNS1_3genE10ELNS1_11target_archE1201ELNS1_3gpuE5ELNS1_3repE0EEENS1_38merge_mergepath_config_static_selectorELNS0_4arch9wavefront6targetE0EEEvSL_, .Lfunc_end303-_ZN7rocprim17ROCPRIM_400000_NS6detail17trampoline_kernelINS0_14default_configENS1_38merge_sort_block_merge_config_selectorIiNS0_10empty_typeEEEZZNS1_27merge_sort_block_merge_implIS3_N6thrust23THRUST_200600_302600_NS6detail15normal_iteratorINS9_10device_ptrIiEEEEPS5_jNS1_19radix_merge_compareILb1ELb1EiNS0_19identity_decomposerEEEEE10hipError_tT0_T1_T2_jT3_P12ihipStream_tbPNSt15iterator_traitsISK_E10value_typeEPNSQ_ISL_E10value_typeEPSM_NS1_7vsmem_tEENKUlT_SK_SL_SM_E_clISE_PiSF_SF_EESJ_SZ_SK_SL_SM_EUlSZ_E0_NS1_11comp_targetILNS1_3genE10ELNS1_11target_archE1201ELNS1_3gpuE5ELNS1_3repE0EEENS1_38merge_mergepath_config_static_selectorELNS0_4arch9wavefront6targetE0EEEvSL_
                                        ; -- End function
	.set _ZN7rocprim17ROCPRIM_400000_NS6detail17trampoline_kernelINS0_14default_configENS1_38merge_sort_block_merge_config_selectorIiNS0_10empty_typeEEEZZNS1_27merge_sort_block_merge_implIS3_N6thrust23THRUST_200600_302600_NS6detail15normal_iteratorINS9_10device_ptrIiEEEEPS5_jNS1_19radix_merge_compareILb1ELb1EiNS0_19identity_decomposerEEEEE10hipError_tT0_T1_T2_jT3_P12ihipStream_tbPNSt15iterator_traitsISK_E10value_typeEPNSQ_ISL_E10value_typeEPSM_NS1_7vsmem_tEENKUlT_SK_SL_SM_E_clISE_PiSF_SF_EESJ_SZ_SK_SL_SM_EUlSZ_E0_NS1_11comp_targetILNS1_3genE10ELNS1_11target_archE1201ELNS1_3gpuE5ELNS1_3repE0EEENS1_38merge_mergepath_config_static_selectorELNS0_4arch9wavefront6targetE0EEEvSL_.num_vgpr, 0
	.set _ZN7rocprim17ROCPRIM_400000_NS6detail17trampoline_kernelINS0_14default_configENS1_38merge_sort_block_merge_config_selectorIiNS0_10empty_typeEEEZZNS1_27merge_sort_block_merge_implIS3_N6thrust23THRUST_200600_302600_NS6detail15normal_iteratorINS9_10device_ptrIiEEEEPS5_jNS1_19radix_merge_compareILb1ELb1EiNS0_19identity_decomposerEEEEE10hipError_tT0_T1_T2_jT3_P12ihipStream_tbPNSt15iterator_traitsISK_E10value_typeEPNSQ_ISL_E10value_typeEPSM_NS1_7vsmem_tEENKUlT_SK_SL_SM_E_clISE_PiSF_SF_EESJ_SZ_SK_SL_SM_EUlSZ_E0_NS1_11comp_targetILNS1_3genE10ELNS1_11target_archE1201ELNS1_3gpuE5ELNS1_3repE0EEENS1_38merge_mergepath_config_static_selectorELNS0_4arch9wavefront6targetE0EEEvSL_.num_agpr, 0
	.set _ZN7rocprim17ROCPRIM_400000_NS6detail17trampoline_kernelINS0_14default_configENS1_38merge_sort_block_merge_config_selectorIiNS0_10empty_typeEEEZZNS1_27merge_sort_block_merge_implIS3_N6thrust23THRUST_200600_302600_NS6detail15normal_iteratorINS9_10device_ptrIiEEEEPS5_jNS1_19radix_merge_compareILb1ELb1EiNS0_19identity_decomposerEEEEE10hipError_tT0_T1_T2_jT3_P12ihipStream_tbPNSt15iterator_traitsISK_E10value_typeEPNSQ_ISL_E10value_typeEPSM_NS1_7vsmem_tEENKUlT_SK_SL_SM_E_clISE_PiSF_SF_EESJ_SZ_SK_SL_SM_EUlSZ_E0_NS1_11comp_targetILNS1_3genE10ELNS1_11target_archE1201ELNS1_3gpuE5ELNS1_3repE0EEENS1_38merge_mergepath_config_static_selectorELNS0_4arch9wavefront6targetE0EEEvSL_.numbered_sgpr, 0
	.set _ZN7rocprim17ROCPRIM_400000_NS6detail17trampoline_kernelINS0_14default_configENS1_38merge_sort_block_merge_config_selectorIiNS0_10empty_typeEEEZZNS1_27merge_sort_block_merge_implIS3_N6thrust23THRUST_200600_302600_NS6detail15normal_iteratorINS9_10device_ptrIiEEEEPS5_jNS1_19radix_merge_compareILb1ELb1EiNS0_19identity_decomposerEEEEE10hipError_tT0_T1_T2_jT3_P12ihipStream_tbPNSt15iterator_traitsISK_E10value_typeEPNSQ_ISL_E10value_typeEPSM_NS1_7vsmem_tEENKUlT_SK_SL_SM_E_clISE_PiSF_SF_EESJ_SZ_SK_SL_SM_EUlSZ_E0_NS1_11comp_targetILNS1_3genE10ELNS1_11target_archE1201ELNS1_3gpuE5ELNS1_3repE0EEENS1_38merge_mergepath_config_static_selectorELNS0_4arch9wavefront6targetE0EEEvSL_.num_named_barrier, 0
	.set _ZN7rocprim17ROCPRIM_400000_NS6detail17trampoline_kernelINS0_14default_configENS1_38merge_sort_block_merge_config_selectorIiNS0_10empty_typeEEEZZNS1_27merge_sort_block_merge_implIS3_N6thrust23THRUST_200600_302600_NS6detail15normal_iteratorINS9_10device_ptrIiEEEEPS5_jNS1_19radix_merge_compareILb1ELb1EiNS0_19identity_decomposerEEEEE10hipError_tT0_T1_T2_jT3_P12ihipStream_tbPNSt15iterator_traitsISK_E10value_typeEPNSQ_ISL_E10value_typeEPSM_NS1_7vsmem_tEENKUlT_SK_SL_SM_E_clISE_PiSF_SF_EESJ_SZ_SK_SL_SM_EUlSZ_E0_NS1_11comp_targetILNS1_3genE10ELNS1_11target_archE1201ELNS1_3gpuE5ELNS1_3repE0EEENS1_38merge_mergepath_config_static_selectorELNS0_4arch9wavefront6targetE0EEEvSL_.private_seg_size, 0
	.set _ZN7rocprim17ROCPRIM_400000_NS6detail17trampoline_kernelINS0_14default_configENS1_38merge_sort_block_merge_config_selectorIiNS0_10empty_typeEEEZZNS1_27merge_sort_block_merge_implIS3_N6thrust23THRUST_200600_302600_NS6detail15normal_iteratorINS9_10device_ptrIiEEEEPS5_jNS1_19radix_merge_compareILb1ELb1EiNS0_19identity_decomposerEEEEE10hipError_tT0_T1_T2_jT3_P12ihipStream_tbPNSt15iterator_traitsISK_E10value_typeEPNSQ_ISL_E10value_typeEPSM_NS1_7vsmem_tEENKUlT_SK_SL_SM_E_clISE_PiSF_SF_EESJ_SZ_SK_SL_SM_EUlSZ_E0_NS1_11comp_targetILNS1_3genE10ELNS1_11target_archE1201ELNS1_3gpuE5ELNS1_3repE0EEENS1_38merge_mergepath_config_static_selectorELNS0_4arch9wavefront6targetE0EEEvSL_.uses_vcc, 0
	.set _ZN7rocprim17ROCPRIM_400000_NS6detail17trampoline_kernelINS0_14default_configENS1_38merge_sort_block_merge_config_selectorIiNS0_10empty_typeEEEZZNS1_27merge_sort_block_merge_implIS3_N6thrust23THRUST_200600_302600_NS6detail15normal_iteratorINS9_10device_ptrIiEEEEPS5_jNS1_19radix_merge_compareILb1ELb1EiNS0_19identity_decomposerEEEEE10hipError_tT0_T1_T2_jT3_P12ihipStream_tbPNSt15iterator_traitsISK_E10value_typeEPNSQ_ISL_E10value_typeEPSM_NS1_7vsmem_tEENKUlT_SK_SL_SM_E_clISE_PiSF_SF_EESJ_SZ_SK_SL_SM_EUlSZ_E0_NS1_11comp_targetILNS1_3genE10ELNS1_11target_archE1201ELNS1_3gpuE5ELNS1_3repE0EEENS1_38merge_mergepath_config_static_selectorELNS0_4arch9wavefront6targetE0EEEvSL_.uses_flat_scratch, 0
	.set _ZN7rocprim17ROCPRIM_400000_NS6detail17trampoline_kernelINS0_14default_configENS1_38merge_sort_block_merge_config_selectorIiNS0_10empty_typeEEEZZNS1_27merge_sort_block_merge_implIS3_N6thrust23THRUST_200600_302600_NS6detail15normal_iteratorINS9_10device_ptrIiEEEEPS5_jNS1_19radix_merge_compareILb1ELb1EiNS0_19identity_decomposerEEEEE10hipError_tT0_T1_T2_jT3_P12ihipStream_tbPNSt15iterator_traitsISK_E10value_typeEPNSQ_ISL_E10value_typeEPSM_NS1_7vsmem_tEENKUlT_SK_SL_SM_E_clISE_PiSF_SF_EESJ_SZ_SK_SL_SM_EUlSZ_E0_NS1_11comp_targetILNS1_3genE10ELNS1_11target_archE1201ELNS1_3gpuE5ELNS1_3repE0EEENS1_38merge_mergepath_config_static_selectorELNS0_4arch9wavefront6targetE0EEEvSL_.has_dyn_sized_stack, 0
	.set _ZN7rocprim17ROCPRIM_400000_NS6detail17trampoline_kernelINS0_14default_configENS1_38merge_sort_block_merge_config_selectorIiNS0_10empty_typeEEEZZNS1_27merge_sort_block_merge_implIS3_N6thrust23THRUST_200600_302600_NS6detail15normal_iteratorINS9_10device_ptrIiEEEEPS5_jNS1_19radix_merge_compareILb1ELb1EiNS0_19identity_decomposerEEEEE10hipError_tT0_T1_T2_jT3_P12ihipStream_tbPNSt15iterator_traitsISK_E10value_typeEPNSQ_ISL_E10value_typeEPSM_NS1_7vsmem_tEENKUlT_SK_SL_SM_E_clISE_PiSF_SF_EESJ_SZ_SK_SL_SM_EUlSZ_E0_NS1_11comp_targetILNS1_3genE10ELNS1_11target_archE1201ELNS1_3gpuE5ELNS1_3repE0EEENS1_38merge_mergepath_config_static_selectorELNS0_4arch9wavefront6targetE0EEEvSL_.has_recursion, 0
	.set _ZN7rocprim17ROCPRIM_400000_NS6detail17trampoline_kernelINS0_14default_configENS1_38merge_sort_block_merge_config_selectorIiNS0_10empty_typeEEEZZNS1_27merge_sort_block_merge_implIS3_N6thrust23THRUST_200600_302600_NS6detail15normal_iteratorINS9_10device_ptrIiEEEEPS5_jNS1_19radix_merge_compareILb1ELb1EiNS0_19identity_decomposerEEEEE10hipError_tT0_T1_T2_jT3_P12ihipStream_tbPNSt15iterator_traitsISK_E10value_typeEPNSQ_ISL_E10value_typeEPSM_NS1_7vsmem_tEENKUlT_SK_SL_SM_E_clISE_PiSF_SF_EESJ_SZ_SK_SL_SM_EUlSZ_E0_NS1_11comp_targetILNS1_3genE10ELNS1_11target_archE1201ELNS1_3gpuE5ELNS1_3repE0EEENS1_38merge_mergepath_config_static_selectorELNS0_4arch9wavefront6targetE0EEEvSL_.has_indirect_call, 0
	.section	.AMDGPU.csdata,"",@progbits
; Kernel info:
; codeLenInByte = 0
; TotalNumSgprs: 0
; NumVgprs: 0
; ScratchSize: 0
; MemoryBound: 0
; FloatMode: 240
; IeeeMode: 1
; LDSByteSize: 0 bytes/workgroup (compile time only)
; SGPRBlocks: 0
; VGPRBlocks: 0
; NumSGPRsForWavesPerEU: 1
; NumVGPRsForWavesPerEU: 1
; Occupancy: 16
; WaveLimiterHint : 0
; COMPUTE_PGM_RSRC2:SCRATCH_EN: 0
; COMPUTE_PGM_RSRC2:USER_SGPR: 6
; COMPUTE_PGM_RSRC2:TRAP_HANDLER: 0
; COMPUTE_PGM_RSRC2:TGID_X_EN: 1
; COMPUTE_PGM_RSRC2:TGID_Y_EN: 0
; COMPUTE_PGM_RSRC2:TGID_Z_EN: 0
; COMPUTE_PGM_RSRC2:TIDIG_COMP_CNT: 0
	.section	.text._ZN7rocprim17ROCPRIM_400000_NS6detail17trampoline_kernelINS0_14default_configENS1_38merge_sort_block_merge_config_selectorIiNS0_10empty_typeEEEZZNS1_27merge_sort_block_merge_implIS3_N6thrust23THRUST_200600_302600_NS6detail15normal_iteratorINS9_10device_ptrIiEEEEPS5_jNS1_19radix_merge_compareILb1ELb1EiNS0_19identity_decomposerEEEEE10hipError_tT0_T1_T2_jT3_P12ihipStream_tbPNSt15iterator_traitsISK_E10value_typeEPNSQ_ISL_E10value_typeEPSM_NS1_7vsmem_tEENKUlT_SK_SL_SM_E_clISE_PiSF_SF_EESJ_SZ_SK_SL_SM_EUlSZ_E0_NS1_11comp_targetILNS1_3genE5ELNS1_11target_archE942ELNS1_3gpuE9ELNS1_3repE0EEENS1_38merge_mergepath_config_static_selectorELNS0_4arch9wavefront6targetE0EEEvSL_,"axG",@progbits,_ZN7rocprim17ROCPRIM_400000_NS6detail17trampoline_kernelINS0_14default_configENS1_38merge_sort_block_merge_config_selectorIiNS0_10empty_typeEEEZZNS1_27merge_sort_block_merge_implIS3_N6thrust23THRUST_200600_302600_NS6detail15normal_iteratorINS9_10device_ptrIiEEEEPS5_jNS1_19radix_merge_compareILb1ELb1EiNS0_19identity_decomposerEEEEE10hipError_tT0_T1_T2_jT3_P12ihipStream_tbPNSt15iterator_traitsISK_E10value_typeEPNSQ_ISL_E10value_typeEPSM_NS1_7vsmem_tEENKUlT_SK_SL_SM_E_clISE_PiSF_SF_EESJ_SZ_SK_SL_SM_EUlSZ_E0_NS1_11comp_targetILNS1_3genE5ELNS1_11target_archE942ELNS1_3gpuE9ELNS1_3repE0EEENS1_38merge_mergepath_config_static_selectorELNS0_4arch9wavefront6targetE0EEEvSL_,comdat
	.protected	_ZN7rocprim17ROCPRIM_400000_NS6detail17trampoline_kernelINS0_14default_configENS1_38merge_sort_block_merge_config_selectorIiNS0_10empty_typeEEEZZNS1_27merge_sort_block_merge_implIS3_N6thrust23THRUST_200600_302600_NS6detail15normal_iteratorINS9_10device_ptrIiEEEEPS5_jNS1_19radix_merge_compareILb1ELb1EiNS0_19identity_decomposerEEEEE10hipError_tT0_T1_T2_jT3_P12ihipStream_tbPNSt15iterator_traitsISK_E10value_typeEPNSQ_ISL_E10value_typeEPSM_NS1_7vsmem_tEENKUlT_SK_SL_SM_E_clISE_PiSF_SF_EESJ_SZ_SK_SL_SM_EUlSZ_E0_NS1_11comp_targetILNS1_3genE5ELNS1_11target_archE942ELNS1_3gpuE9ELNS1_3repE0EEENS1_38merge_mergepath_config_static_selectorELNS0_4arch9wavefront6targetE0EEEvSL_ ; -- Begin function _ZN7rocprim17ROCPRIM_400000_NS6detail17trampoline_kernelINS0_14default_configENS1_38merge_sort_block_merge_config_selectorIiNS0_10empty_typeEEEZZNS1_27merge_sort_block_merge_implIS3_N6thrust23THRUST_200600_302600_NS6detail15normal_iteratorINS9_10device_ptrIiEEEEPS5_jNS1_19radix_merge_compareILb1ELb1EiNS0_19identity_decomposerEEEEE10hipError_tT0_T1_T2_jT3_P12ihipStream_tbPNSt15iterator_traitsISK_E10value_typeEPNSQ_ISL_E10value_typeEPSM_NS1_7vsmem_tEENKUlT_SK_SL_SM_E_clISE_PiSF_SF_EESJ_SZ_SK_SL_SM_EUlSZ_E0_NS1_11comp_targetILNS1_3genE5ELNS1_11target_archE942ELNS1_3gpuE9ELNS1_3repE0EEENS1_38merge_mergepath_config_static_selectorELNS0_4arch9wavefront6targetE0EEEvSL_
	.globl	_ZN7rocprim17ROCPRIM_400000_NS6detail17trampoline_kernelINS0_14default_configENS1_38merge_sort_block_merge_config_selectorIiNS0_10empty_typeEEEZZNS1_27merge_sort_block_merge_implIS3_N6thrust23THRUST_200600_302600_NS6detail15normal_iteratorINS9_10device_ptrIiEEEEPS5_jNS1_19radix_merge_compareILb1ELb1EiNS0_19identity_decomposerEEEEE10hipError_tT0_T1_T2_jT3_P12ihipStream_tbPNSt15iterator_traitsISK_E10value_typeEPNSQ_ISL_E10value_typeEPSM_NS1_7vsmem_tEENKUlT_SK_SL_SM_E_clISE_PiSF_SF_EESJ_SZ_SK_SL_SM_EUlSZ_E0_NS1_11comp_targetILNS1_3genE5ELNS1_11target_archE942ELNS1_3gpuE9ELNS1_3repE0EEENS1_38merge_mergepath_config_static_selectorELNS0_4arch9wavefront6targetE0EEEvSL_
	.p2align	8
	.type	_ZN7rocprim17ROCPRIM_400000_NS6detail17trampoline_kernelINS0_14default_configENS1_38merge_sort_block_merge_config_selectorIiNS0_10empty_typeEEEZZNS1_27merge_sort_block_merge_implIS3_N6thrust23THRUST_200600_302600_NS6detail15normal_iteratorINS9_10device_ptrIiEEEEPS5_jNS1_19radix_merge_compareILb1ELb1EiNS0_19identity_decomposerEEEEE10hipError_tT0_T1_T2_jT3_P12ihipStream_tbPNSt15iterator_traitsISK_E10value_typeEPNSQ_ISL_E10value_typeEPSM_NS1_7vsmem_tEENKUlT_SK_SL_SM_E_clISE_PiSF_SF_EESJ_SZ_SK_SL_SM_EUlSZ_E0_NS1_11comp_targetILNS1_3genE5ELNS1_11target_archE942ELNS1_3gpuE9ELNS1_3repE0EEENS1_38merge_mergepath_config_static_selectorELNS0_4arch9wavefront6targetE0EEEvSL_,@function
_ZN7rocprim17ROCPRIM_400000_NS6detail17trampoline_kernelINS0_14default_configENS1_38merge_sort_block_merge_config_selectorIiNS0_10empty_typeEEEZZNS1_27merge_sort_block_merge_implIS3_N6thrust23THRUST_200600_302600_NS6detail15normal_iteratorINS9_10device_ptrIiEEEEPS5_jNS1_19radix_merge_compareILb1ELb1EiNS0_19identity_decomposerEEEEE10hipError_tT0_T1_T2_jT3_P12ihipStream_tbPNSt15iterator_traitsISK_E10value_typeEPNSQ_ISL_E10value_typeEPSM_NS1_7vsmem_tEENKUlT_SK_SL_SM_E_clISE_PiSF_SF_EESJ_SZ_SK_SL_SM_EUlSZ_E0_NS1_11comp_targetILNS1_3genE5ELNS1_11target_archE942ELNS1_3gpuE9ELNS1_3repE0EEENS1_38merge_mergepath_config_static_selectorELNS0_4arch9wavefront6targetE0EEEvSL_: ; @_ZN7rocprim17ROCPRIM_400000_NS6detail17trampoline_kernelINS0_14default_configENS1_38merge_sort_block_merge_config_selectorIiNS0_10empty_typeEEEZZNS1_27merge_sort_block_merge_implIS3_N6thrust23THRUST_200600_302600_NS6detail15normal_iteratorINS9_10device_ptrIiEEEEPS5_jNS1_19radix_merge_compareILb1ELb1EiNS0_19identity_decomposerEEEEE10hipError_tT0_T1_T2_jT3_P12ihipStream_tbPNSt15iterator_traitsISK_E10value_typeEPNSQ_ISL_E10value_typeEPSM_NS1_7vsmem_tEENKUlT_SK_SL_SM_E_clISE_PiSF_SF_EESJ_SZ_SK_SL_SM_EUlSZ_E0_NS1_11comp_targetILNS1_3genE5ELNS1_11target_archE942ELNS1_3gpuE9ELNS1_3repE0EEENS1_38merge_mergepath_config_static_selectorELNS0_4arch9wavefront6targetE0EEEvSL_
; %bb.0:
	.section	.rodata,"a",@progbits
	.p2align	6, 0x0
	.amdhsa_kernel _ZN7rocprim17ROCPRIM_400000_NS6detail17trampoline_kernelINS0_14default_configENS1_38merge_sort_block_merge_config_selectorIiNS0_10empty_typeEEEZZNS1_27merge_sort_block_merge_implIS3_N6thrust23THRUST_200600_302600_NS6detail15normal_iteratorINS9_10device_ptrIiEEEEPS5_jNS1_19radix_merge_compareILb1ELb1EiNS0_19identity_decomposerEEEEE10hipError_tT0_T1_T2_jT3_P12ihipStream_tbPNSt15iterator_traitsISK_E10value_typeEPNSQ_ISL_E10value_typeEPSM_NS1_7vsmem_tEENKUlT_SK_SL_SM_E_clISE_PiSF_SF_EESJ_SZ_SK_SL_SM_EUlSZ_E0_NS1_11comp_targetILNS1_3genE5ELNS1_11target_archE942ELNS1_3gpuE9ELNS1_3repE0EEENS1_38merge_mergepath_config_static_selectorELNS0_4arch9wavefront6targetE0EEEvSL_
		.amdhsa_group_segment_fixed_size 0
		.amdhsa_private_segment_fixed_size 0
		.amdhsa_kernarg_size 64
		.amdhsa_user_sgpr_count 6
		.amdhsa_user_sgpr_private_segment_buffer 1
		.amdhsa_user_sgpr_dispatch_ptr 0
		.amdhsa_user_sgpr_queue_ptr 0
		.amdhsa_user_sgpr_kernarg_segment_ptr 1
		.amdhsa_user_sgpr_dispatch_id 0
		.amdhsa_user_sgpr_flat_scratch_init 0
		.amdhsa_user_sgpr_private_segment_size 0
		.amdhsa_wavefront_size32 1
		.amdhsa_uses_dynamic_stack 0
		.amdhsa_system_sgpr_private_segment_wavefront_offset 0
		.amdhsa_system_sgpr_workgroup_id_x 1
		.amdhsa_system_sgpr_workgroup_id_y 0
		.amdhsa_system_sgpr_workgroup_id_z 0
		.amdhsa_system_sgpr_workgroup_info 0
		.amdhsa_system_vgpr_workitem_id 0
		.amdhsa_next_free_vgpr 1
		.amdhsa_next_free_sgpr 1
		.amdhsa_reserve_vcc 0
		.amdhsa_reserve_flat_scratch 0
		.amdhsa_float_round_mode_32 0
		.amdhsa_float_round_mode_16_64 0
		.amdhsa_float_denorm_mode_32 3
		.amdhsa_float_denorm_mode_16_64 3
		.amdhsa_dx10_clamp 1
		.amdhsa_ieee_mode 1
		.amdhsa_fp16_overflow 0
		.amdhsa_workgroup_processor_mode 1
		.amdhsa_memory_ordered 1
		.amdhsa_forward_progress 1
		.amdhsa_shared_vgpr_count 0
		.amdhsa_exception_fp_ieee_invalid_op 0
		.amdhsa_exception_fp_denorm_src 0
		.amdhsa_exception_fp_ieee_div_zero 0
		.amdhsa_exception_fp_ieee_overflow 0
		.amdhsa_exception_fp_ieee_underflow 0
		.amdhsa_exception_fp_ieee_inexact 0
		.amdhsa_exception_int_div_zero 0
	.end_amdhsa_kernel
	.section	.text._ZN7rocprim17ROCPRIM_400000_NS6detail17trampoline_kernelINS0_14default_configENS1_38merge_sort_block_merge_config_selectorIiNS0_10empty_typeEEEZZNS1_27merge_sort_block_merge_implIS3_N6thrust23THRUST_200600_302600_NS6detail15normal_iteratorINS9_10device_ptrIiEEEEPS5_jNS1_19radix_merge_compareILb1ELb1EiNS0_19identity_decomposerEEEEE10hipError_tT0_T1_T2_jT3_P12ihipStream_tbPNSt15iterator_traitsISK_E10value_typeEPNSQ_ISL_E10value_typeEPSM_NS1_7vsmem_tEENKUlT_SK_SL_SM_E_clISE_PiSF_SF_EESJ_SZ_SK_SL_SM_EUlSZ_E0_NS1_11comp_targetILNS1_3genE5ELNS1_11target_archE942ELNS1_3gpuE9ELNS1_3repE0EEENS1_38merge_mergepath_config_static_selectorELNS0_4arch9wavefront6targetE0EEEvSL_,"axG",@progbits,_ZN7rocprim17ROCPRIM_400000_NS6detail17trampoline_kernelINS0_14default_configENS1_38merge_sort_block_merge_config_selectorIiNS0_10empty_typeEEEZZNS1_27merge_sort_block_merge_implIS3_N6thrust23THRUST_200600_302600_NS6detail15normal_iteratorINS9_10device_ptrIiEEEEPS5_jNS1_19radix_merge_compareILb1ELb1EiNS0_19identity_decomposerEEEEE10hipError_tT0_T1_T2_jT3_P12ihipStream_tbPNSt15iterator_traitsISK_E10value_typeEPNSQ_ISL_E10value_typeEPSM_NS1_7vsmem_tEENKUlT_SK_SL_SM_E_clISE_PiSF_SF_EESJ_SZ_SK_SL_SM_EUlSZ_E0_NS1_11comp_targetILNS1_3genE5ELNS1_11target_archE942ELNS1_3gpuE9ELNS1_3repE0EEENS1_38merge_mergepath_config_static_selectorELNS0_4arch9wavefront6targetE0EEEvSL_,comdat
.Lfunc_end304:
	.size	_ZN7rocprim17ROCPRIM_400000_NS6detail17trampoline_kernelINS0_14default_configENS1_38merge_sort_block_merge_config_selectorIiNS0_10empty_typeEEEZZNS1_27merge_sort_block_merge_implIS3_N6thrust23THRUST_200600_302600_NS6detail15normal_iteratorINS9_10device_ptrIiEEEEPS5_jNS1_19radix_merge_compareILb1ELb1EiNS0_19identity_decomposerEEEEE10hipError_tT0_T1_T2_jT3_P12ihipStream_tbPNSt15iterator_traitsISK_E10value_typeEPNSQ_ISL_E10value_typeEPSM_NS1_7vsmem_tEENKUlT_SK_SL_SM_E_clISE_PiSF_SF_EESJ_SZ_SK_SL_SM_EUlSZ_E0_NS1_11comp_targetILNS1_3genE5ELNS1_11target_archE942ELNS1_3gpuE9ELNS1_3repE0EEENS1_38merge_mergepath_config_static_selectorELNS0_4arch9wavefront6targetE0EEEvSL_, .Lfunc_end304-_ZN7rocprim17ROCPRIM_400000_NS6detail17trampoline_kernelINS0_14default_configENS1_38merge_sort_block_merge_config_selectorIiNS0_10empty_typeEEEZZNS1_27merge_sort_block_merge_implIS3_N6thrust23THRUST_200600_302600_NS6detail15normal_iteratorINS9_10device_ptrIiEEEEPS5_jNS1_19radix_merge_compareILb1ELb1EiNS0_19identity_decomposerEEEEE10hipError_tT0_T1_T2_jT3_P12ihipStream_tbPNSt15iterator_traitsISK_E10value_typeEPNSQ_ISL_E10value_typeEPSM_NS1_7vsmem_tEENKUlT_SK_SL_SM_E_clISE_PiSF_SF_EESJ_SZ_SK_SL_SM_EUlSZ_E0_NS1_11comp_targetILNS1_3genE5ELNS1_11target_archE942ELNS1_3gpuE9ELNS1_3repE0EEENS1_38merge_mergepath_config_static_selectorELNS0_4arch9wavefront6targetE0EEEvSL_
                                        ; -- End function
	.set _ZN7rocprim17ROCPRIM_400000_NS6detail17trampoline_kernelINS0_14default_configENS1_38merge_sort_block_merge_config_selectorIiNS0_10empty_typeEEEZZNS1_27merge_sort_block_merge_implIS3_N6thrust23THRUST_200600_302600_NS6detail15normal_iteratorINS9_10device_ptrIiEEEEPS5_jNS1_19radix_merge_compareILb1ELb1EiNS0_19identity_decomposerEEEEE10hipError_tT0_T1_T2_jT3_P12ihipStream_tbPNSt15iterator_traitsISK_E10value_typeEPNSQ_ISL_E10value_typeEPSM_NS1_7vsmem_tEENKUlT_SK_SL_SM_E_clISE_PiSF_SF_EESJ_SZ_SK_SL_SM_EUlSZ_E0_NS1_11comp_targetILNS1_3genE5ELNS1_11target_archE942ELNS1_3gpuE9ELNS1_3repE0EEENS1_38merge_mergepath_config_static_selectorELNS0_4arch9wavefront6targetE0EEEvSL_.num_vgpr, 0
	.set _ZN7rocprim17ROCPRIM_400000_NS6detail17trampoline_kernelINS0_14default_configENS1_38merge_sort_block_merge_config_selectorIiNS0_10empty_typeEEEZZNS1_27merge_sort_block_merge_implIS3_N6thrust23THRUST_200600_302600_NS6detail15normal_iteratorINS9_10device_ptrIiEEEEPS5_jNS1_19radix_merge_compareILb1ELb1EiNS0_19identity_decomposerEEEEE10hipError_tT0_T1_T2_jT3_P12ihipStream_tbPNSt15iterator_traitsISK_E10value_typeEPNSQ_ISL_E10value_typeEPSM_NS1_7vsmem_tEENKUlT_SK_SL_SM_E_clISE_PiSF_SF_EESJ_SZ_SK_SL_SM_EUlSZ_E0_NS1_11comp_targetILNS1_3genE5ELNS1_11target_archE942ELNS1_3gpuE9ELNS1_3repE0EEENS1_38merge_mergepath_config_static_selectorELNS0_4arch9wavefront6targetE0EEEvSL_.num_agpr, 0
	.set _ZN7rocprim17ROCPRIM_400000_NS6detail17trampoline_kernelINS0_14default_configENS1_38merge_sort_block_merge_config_selectorIiNS0_10empty_typeEEEZZNS1_27merge_sort_block_merge_implIS3_N6thrust23THRUST_200600_302600_NS6detail15normal_iteratorINS9_10device_ptrIiEEEEPS5_jNS1_19radix_merge_compareILb1ELb1EiNS0_19identity_decomposerEEEEE10hipError_tT0_T1_T2_jT3_P12ihipStream_tbPNSt15iterator_traitsISK_E10value_typeEPNSQ_ISL_E10value_typeEPSM_NS1_7vsmem_tEENKUlT_SK_SL_SM_E_clISE_PiSF_SF_EESJ_SZ_SK_SL_SM_EUlSZ_E0_NS1_11comp_targetILNS1_3genE5ELNS1_11target_archE942ELNS1_3gpuE9ELNS1_3repE0EEENS1_38merge_mergepath_config_static_selectorELNS0_4arch9wavefront6targetE0EEEvSL_.numbered_sgpr, 0
	.set _ZN7rocprim17ROCPRIM_400000_NS6detail17trampoline_kernelINS0_14default_configENS1_38merge_sort_block_merge_config_selectorIiNS0_10empty_typeEEEZZNS1_27merge_sort_block_merge_implIS3_N6thrust23THRUST_200600_302600_NS6detail15normal_iteratorINS9_10device_ptrIiEEEEPS5_jNS1_19radix_merge_compareILb1ELb1EiNS0_19identity_decomposerEEEEE10hipError_tT0_T1_T2_jT3_P12ihipStream_tbPNSt15iterator_traitsISK_E10value_typeEPNSQ_ISL_E10value_typeEPSM_NS1_7vsmem_tEENKUlT_SK_SL_SM_E_clISE_PiSF_SF_EESJ_SZ_SK_SL_SM_EUlSZ_E0_NS1_11comp_targetILNS1_3genE5ELNS1_11target_archE942ELNS1_3gpuE9ELNS1_3repE0EEENS1_38merge_mergepath_config_static_selectorELNS0_4arch9wavefront6targetE0EEEvSL_.num_named_barrier, 0
	.set _ZN7rocprim17ROCPRIM_400000_NS6detail17trampoline_kernelINS0_14default_configENS1_38merge_sort_block_merge_config_selectorIiNS0_10empty_typeEEEZZNS1_27merge_sort_block_merge_implIS3_N6thrust23THRUST_200600_302600_NS6detail15normal_iteratorINS9_10device_ptrIiEEEEPS5_jNS1_19radix_merge_compareILb1ELb1EiNS0_19identity_decomposerEEEEE10hipError_tT0_T1_T2_jT3_P12ihipStream_tbPNSt15iterator_traitsISK_E10value_typeEPNSQ_ISL_E10value_typeEPSM_NS1_7vsmem_tEENKUlT_SK_SL_SM_E_clISE_PiSF_SF_EESJ_SZ_SK_SL_SM_EUlSZ_E0_NS1_11comp_targetILNS1_3genE5ELNS1_11target_archE942ELNS1_3gpuE9ELNS1_3repE0EEENS1_38merge_mergepath_config_static_selectorELNS0_4arch9wavefront6targetE0EEEvSL_.private_seg_size, 0
	.set _ZN7rocprim17ROCPRIM_400000_NS6detail17trampoline_kernelINS0_14default_configENS1_38merge_sort_block_merge_config_selectorIiNS0_10empty_typeEEEZZNS1_27merge_sort_block_merge_implIS3_N6thrust23THRUST_200600_302600_NS6detail15normal_iteratorINS9_10device_ptrIiEEEEPS5_jNS1_19radix_merge_compareILb1ELb1EiNS0_19identity_decomposerEEEEE10hipError_tT0_T1_T2_jT3_P12ihipStream_tbPNSt15iterator_traitsISK_E10value_typeEPNSQ_ISL_E10value_typeEPSM_NS1_7vsmem_tEENKUlT_SK_SL_SM_E_clISE_PiSF_SF_EESJ_SZ_SK_SL_SM_EUlSZ_E0_NS1_11comp_targetILNS1_3genE5ELNS1_11target_archE942ELNS1_3gpuE9ELNS1_3repE0EEENS1_38merge_mergepath_config_static_selectorELNS0_4arch9wavefront6targetE0EEEvSL_.uses_vcc, 0
	.set _ZN7rocprim17ROCPRIM_400000_NS6detail17trampoline_kernelINS0_14default_configENS1_38merge_sort_block_merge_config_selectorIiNS0_10empty_typeEEEZZNS1_27merge_sort_block_merge_implIS3_N6thrust23THRUST_200600_302600_NS6detail15normal_iteratorINS9_10device_ptrIiEEEEPS5_jNS1_19radix_merge_compareILb1ELb1EiNS0_19identity_decomposerEEEEE10hipError_tT0_T1_T2_jT3_P12ihipStream_tbPNSt15iterator_traitsISK_E10value_typeEPNSQ_ISL_E10value_typeEPSM_NS1_7vsmem_tEENKUlT_SK_SL_SM_E_clISE_PiSF_SF_EESJ_SZ_SK_SL_SM_EUlSZ_E0_NS1_11comp_targetILNS1_3genE5ELNS1_11target_archE942ELNS1_3gpuE9ELNS1_3repE0EEENS1_38merge_mergepath_config_static_selectorELNS0_4arch9wavefront6targetE0EEEvSL_.uses_flat_scratch, 0
	.set _ZN7rocprim17ROCPRIM_400000_NS6detail17trampoline_kernelINS0_14default_configENS1_38merge_sort_block_merge_config_selectorIiNS0_10empty_typeEEEZZNS1_27merge_sort_block_merge_implIS3_N6thrust23THRUST_200600_302600_NS6detail15normal_iteratorINS9_10device_ptrIiEEEEPS5_jNS1_19radix_merge_compareILb1ELb1EiNS0_19identity_decomposerEEEEE10hipError_tT0_T1_T2_jT3_P12ihipStream_tbPNSt15iterator_traitsISK_E10value_typeEPNSQ_ISL_E10value_typeEPSM_NS1_7vsmem_tEENKUlT_SK_SL_SM_E_clISE_PiSF_SF_EESJ_SZ_SK_SL_SM_EUlSZ_E0_NS1_11comp_targetILNS1_3genE5ELNS1_11target_archE942ELNS1_3gpuE9ELNS1_3repE0EEENS1_38merge_mergepath_config_static_selectorELNS0_4arch9wavefront6targetE0EEEvSL_.has_dyn_sized_stack, 0
	.set _ZN7rocprim17ROCPRIM_400000_NS6detail17trampoline_kernelINS0_14default_configENS1_38merge_sort_block_merge_config_selectorIiNS0_10empty_typeEEEZZNS1_27merge_sort_block_merge_implIS3_N6thrust23THRUST_200600_302600_NS6detail15normal_iteratorINS9_10device_ptrIiEEEEPS5_jNS1_19radix_merge_compareILb1ELb1EiNS0_19identity_decomposerEEEEE10hipError_tT0_T1_T2_jT3_P12ihipStream_tbPNSt15iterator_traitsISK_E10value_typeEPNSQ_ISL_E10value_typeEPSM_NS1_7vsmem_tEENKUlT_SK_SL_SM_E_clISE_PiSF_SF_EESJ_SZ_SK_SL_SM_EUlSZ_E0_NS1_11comp_targetILNS1_3genE5ELNS1_11target_archE942ELNS1_3gpuE9ELNS1_3repE0EEENS1_38merge_mergepath_config_static_selectorELNS0_4arch9wavefront6targetE0EEEvSL_.has_recursion, 0
	.set _ZN7rocprim17ROCPRIM_400000_NS6detail17trampoline_kernelINS0_14default_configENS1_38merge_sort_block_merge_config_selectorIiNS0_10empty_typeEEEZZNS1_27merge_sort_block_merge_implIS3_N6thrust23THRUST_200600_302600_NS6detail15normal_iteratorINS9_10device_ptrIiEEEEPS5_jNS1_19radix_merge_compareILb1ELb1EiNS0_19identity_decomposerEEEEE10hipError_tT0_T1_T2_jT3_P12ihipStream_tbPNSt15iterator_traitsISK_E10value_typeEPNSQ_ISL_E10value_typeEPSM_NS1_7vsmem_tEENKUlT_SK_SL_SM_E_clISE_PiSF_SF_EESJ_SZ_SK_SL_SM_EUlSZ_E0_NS1_11comp_targetILNS1_3genE5ELNS1_11target_archE942ELNS1_3gpuE9ELNS1_3repE0EEENS1_38merge_mergepath_config_static_selectorELNS0_4arch9wavefront6targetE0EEEvSL_.has_indirect_call, 0
	.section	.AMDGPU.csdata,"",@progbits
; Kernel info:
; codeLenInByte = 0
; TotalNumSgprs: 0
; NumVgprs: 0
; ScratchSize: 0
; MemoryBound: 0
; FloatMode: 240
; IeeeMode: 1
; LDSByteSize: 0 bytes/workgroup (compile time only)
; SGPRBlocks: 0
; VGPRBlocks: 0
; NumSGPRsForWavesPerEU: 1
; NumVGPRsForWavesPerEU: 1
; Occupancy: 16
; WaveLimiterHint : 0
; COMPUTE_PGM_RSRC2:SCRATCH_EN: 0
; COMPUTE_PGM_RSRC2:USER_SGPR: 6
; COMPUTE_PGM_RSRC2:TRAP_HANDLER: 0
; COMPUTE_PGM_RSRC2:TGID_X_EN: 1
; COMPUTE_PGM_RSRC2:TGID_Y_EN: 0
; COMPUTE_PGM_RSRC2:TGID_Z_EN: 0
; COMPUTE_PGM_RSRC2:TIDIG_COMP_CNT: 0
	.section	.text._ZN7rocprim17ROCPRIM_400000_NS6detail17trampoline_kernelINS0_14default_configENS1_38merge_sort_block_merge_config_selectorIiNS0_10empty_typeEEEZZNS1_27merge_sort_block_merge_implIS3_N6thrust23THRUST_200600_302600_NS6detail15normal_iteratorINS9_10device_ptrIiEEEEPS5_jNS1_19radix_merge_compareILb1ELb1EiNS0_19identity_decomposerEEEEE10hipError_tT0_T1_T2_jT3_P12ihipStream_tbPNSt15iterator_traitsISK_E10value_typeEPNSQ_ISL_E10value_typeEPSM_NS1_7vsmem_tEENKUlT_SK_SL_SM_E_clISE_PiSF_SF_EESJ_SZ_SK_SL_SM_EUlSZ_E0_NS1_11comp_targetILNS1_3genE4ELNS1_11target_archE910ELNS1_3gpuE8ELNS1_3repE0EEENS1_38merge_mergepath_config_static_selectorELNS0_4arch9wavefront6targetE0EEEvSL_,"axG",@progbits,_ZN7rocprim17ROCPRIM_400000_NS6detail17trampoline_kernelINS0_14default_configENS1_38merge_sort_block_merge_config_selectorIiNS0_10empty_typeEEEZZNS1_27merge_sort_block_merge_implIS3_N6thrust23THRUST_200600_302600_NS6detail15normal_iteratorINS9_10device_ptrIiEEEEPS5_jNS1_19radix_merge_compareILb1ELb1EiNS0_19identity_decomposerEEEEE10hipError_tT0_T1_T2_jT3_P12ihipStream_tbPNSt15iterator_traitsISK_E10value_typeEPNSQ_ISL_E10value_typeEPSM_NS1_7vsmem_tEENKUlT_SK_SL_SM_E_clISE_PiSF_SF_EESJ_SZ_SK_SL_SM_EUlSZ_E0_NS1_11comp_targetILNS1_3genE4ELNS1_11target_archE910ELNS1_3gpuE8ELNS1_3repE0EEENS1_38merge_mergepath_config_static_selectorELNS0_4arch9wavefront6targetE0EEEvSL_,comdat
	.protected	_ZN7rocprim17ROCPRIM_400000_NS6detail17trampoline_kernelINS0_14default_configENS1_38merge_sort_block_merge_config_selectorIiNS0_10empty_typeEEEZZNS1_27merge_sort_block_merge_implIS3_N6thrust23THRUST_200600_302600_NS6detail15normal_iteratorINS9_10device_ptrIiEEEEPS5_jNS1_19radix_merge_compareILb1ELb1EiNS0_19identity_decomposerEEEEE10hipError_tT0_T1_T2_jT3_P12ihipStream_tbPNSt15iterator_traitsISK_E10value_typeEPNSQ_ISL_E10value_typeEPSM_NS1_7vsmem_tEENKUlT_SK_SL_SM_E_clISE_PiSF_SF_EESJ_SZ_SK_SL_SM_EUlSZ_E0_NS1_11comp_targetILNS1_3genE4ELNS1_11target_archE910ELNS1_3gpuE8ELNS1_3repE0EEENS1_38merge_mergepath_config_static_selectorELNS0_4arch9wavefront6targetE0EEEvSL_ ; -- Begin function _ZN7rocprim17ROCPRIM_400000_NS6detail17trampoline_kernelINS0_14default_configENS1_38merge_sort_block_merge_config_selectorIiNS0_10empty_typeEEEZZNS1_27merge_sort_block_merge_implIS3_N6thrust23THRUST_200600_302600_NS6detail15normal_iteratorINS9_10device_ptrIiEEEEPS5_jNS1_19radix_merge_compareILb1ELb1EiNS0_19identity_decomposerEEEEE10hipError_tT0_T1_T2_jT3_P12ihipStream_tbPNSt15iterator_traitsISK_E10value_typeEPNSQ_ISL_E10value_typeEPSM_NS1_7vsmem_tEENKUlT_SK_SL_SM_E_clISE_PiSF_SF_EESJ_SZ_SK_SL_SM_EUlSZ_E0_NS1_11comp_targetILNS1_3genE4ELNS1_11target_archE910ELNS1_3gpuE8ELNS1_3repE0EEENS1_38merge_mergepath_config_static_selectorELNS0_4arch9wavefront6targetE0EEEvSL_
	.globl	_ZN7rocprim17ROCPRIM_400000_NS6detail17trampoline_kernelINS0_14default_configENS1_38merge_sort_block_merge_config_selectorIiNS0_10empty_typeEEEZZNS1_27merge_sort_block_merge_implIS3_N6thrust23THRUST_200600_302600_NS6detail15normal_iteratorINS9_10device_ptrIiEEEEPS5_jNS1_19radix_merge_compareILb1ELb1EiNS0_19identity_decomposerEEEEE10hipError_tT0_T1_T2_jT3_P12ihipStream_tbPNSt15iterator_traitsISK_E10value_typeEPNSQ_ISL_E10value_typeEPSM_NS1_7vsmem_tEENKUlT_SK_SL_SM_E_clISE_PiSF_SF_EESJ_SZ_SK_SL_SM_EUlSZ_E0_NS1_11comp_targetILNS1_3genE4ELNS1_11target_archE910ELNS1_3gpuE8ELNS1_3repE0EEENS1_38merge_mergepath_config_static_selectorELNS0_4arch9wavefront6targetE0EEEvSL_
	.p2align	8
	.type	_ZN7rocprim17ROCPRIM_400000_NS6detail17trampoline_kernelINS0_14default_configENS1_38merge_sort_block_merge_config_selectorIiNS0_10empty_typeEEEZZNS1_27merge_sort_block_merge_implIS3_N6thrust23THRUST_200600_302600_NS6detail15normal_iteratorINS9_10device_ptrIiEEEEPS5_jNS1_19radix_merge_compareILb1ELb1EiNS0_19identity_decomposerEEEEE10hipError_tT0_T1_T2_jT3_P12ihipStream_tbPNSt15iterator_traitsISK_E10value_typeEPNSQ_ISL_E10value_typeEPSM_NS1_7vsmem_tEENKUlT_SK_SL_SM_E_clISE_PiSF_SF_EESJ_SZ_SK_SL_SM_EUlSZ_E0_NS1_11comp_targetILNS1_3genE4ELNS1_11target_archE910ELNS1_3gpuE8ELNS1_3repE0EEENS1_38merge_mergepath_config_static_selectorELNS0_4arch9wavefront6targetE0EEEvSL_,@function
_ZN7rocprim17ROCPRIM_400000_NS6detail17trampoline_kernelINS0_14default_configENS1_38merge_sort_block_merge_config_selectorIiNS0_10empty_typeEEEZZNS1_27merge_sort_block_merge_implIS3_N6thrust23THRUST_200600_302600_NS6detail15normal_iteratorINS9_10device_ptrIiEEEEPS5_jNS1_19radix_merge_compareILb1ELb1EiNS0_19identity_decomposerEEEEE10hipError_tT0_T1_T2_jT3_P12ihipStream_tbPNSt15iterator_traitsISK_E10value_typeEPNSQ_ISL_E10value_typeEPSM_NS1_7vsmem_tEENKUlT_SK_SL_SM_E_clISE_PiSF_SF_EESJ_SZ_SK_SL_SM_EUlSZ_E0_NS1_11comp_targetILNS1_3genE4ELNS1_11target_archE910ELNS1_3gpuE8ELNS1_3repE0EEENS1_38merge_mergepath_config_static_selectorELNS0_4arch9wavefront6targetE0EEEvSL_: ; @_ZN7rocprim17ROCPRIM_400000_NS6detail17trampoline_kernelINS0_14default_configENS1_38merge_sort_block_merge_config_selectorIiNS0_10empty_typeEEEZZNS1_27merge_sort_block_merge_implIS3_N6thrust23THRUST_200600_302600_NS6detail15normal_iteratorINS9_10device_ptrIiEEEEPS5_jNS1_19radix_merge_compareILb1ELb1EiNS0_19identity_decomposerEEEEE10hipError_tT0_T1_T2_jT3_P12ihipStream_tbPNSt15iterator_traitsISK_E10value_typeEPNSQ_ISL_E10value_typeEPSM_NS1_7vsmem_tEENKUlT_SK_SL_SM_E_clISE_PiSF_SF_EESJ_SZ_SK_SL_SM_EUlSZ_E0_NS1_11comp_targetILNS1_3genE4ELNS1_11target_archE910ELNS1_3gpuE8ELNS1_3repE0EEENS1_38merge_mergepath_config_static_selectorELNS0_4arch9wavefront6targetE0EEEvSL_
; %bb.0:
	.section	.rodata,"a",@progbits
	.p2align	6, 0x0
	.amdhsa_kernel _ZN7rocprim17ROCPRIM_400000_NS6detail17trampoline_kernelINS0_14default_configENS1_38merge_sort_block_merge_config_selectorIiNS0_10empty_typeEEEZZNS1_27merge_sort_block_merge_implIS3_N6thrust23THRUST_200600_302600_NS6detail15normal_iteratorINS9_10device_ptrIiEEEEPS5_jNS1_19radix_merge_compareILb1ELb1EiNS0_19identity_decomposerEEEEE10hipError_tT0_T1_T2_jT3_P12ihipStream_tbPNSt15iterator_traitsISK_E10value_typeEPNSQ_ISL_E10value_typeEPSM_NS1_7vsmem_tEENKUlT_SK_SL_SM_E_clISE_PiSF_SF_EESJ_SZ_SK_SL_SM_EUlSZ_E0_NS1_11comp_targetILNS1_3genE4ELNS1_11target_archE910ELNS1_3gpuE8ELNS1_3repE0EEENS1_38merge_mergepath_config_static_selectorELNS0_4arch9wavefront6targetE0EEEvSL_
		.amdhsa_group_segment_fixed_size 0
		.amdhsa_private_segment_fixed_size 0
		.amdhsa_kernarg_size 64
		.amdhsa_user_sgpr_count 6
		.amdhsa_user_sgpr_private_segment_buffer 1
		.amdhsa_user_sgpr_dispatch_ptr 0
		.amdhsa_user_sgpr_queue_ptr 0
		.amdhsa_user_sgpr_kernarg_segment_ptr 1
		.amdhsa_user_sgpr_dispatch_id 0
		.amdhsa_user_sgpr_flat_scratch_init 0
		.amdhsa_user_sgpr_private_segment_size 0
		.amdhsa_wavefront_size32 1
		.amdhsa_uses_dynamic_stack 0
		.amdhsa_system_sgpr_private_segment_wavefront_offset 0
		.amdhsa_system_sgpr_workgroup_id_x 1
		.amdhsa_system_sgpr_workgroup_id_y 0
		.amdhsa_system_sgpr_workgroup_id_z 0
		.amdhsa_system_sgpr_workgroup_info 0
		.amdhsa_system_vgpr_workitem_id 0
		.amdhsa_next_free_vgpr 1
		.amdhsa_next_free_sgpr 1
		.amdhsa_reserve_vcc 0
		.amdhsa_reserve_flat_scratch 0
		.amdhsa_float_round_mode_32 0
		.amdhsa_float_round_mode_16_64 0
		.amdhsa_float_denorm_mode_32 3
		.amdhsa_float_denorm_mode_16_64 3
		.amdhsa_dx10_clamp 1
		.amdhsa_ieee_mode 1
		.amdhsa_fp16_overflow 0
		.amdhsa_workgroup_processor_mode 1
		.amdhsa_memory_ordered 1
		.amdhsa_forward_progress 1
		.amdhsa_shared_vgpr_count 0
		.amdhsa_exception_fp_ieee_invalid_op 0
		.amdhsa_exception_fp_denorm_src 0
		.amdhsa_exception_fp_ieee_div_zero 0
		.amdhsa_exception_fp_ieee_overflow 0
		.amdhsa_exception_fp_ieee_underflow 0
		.amdhsa_exception_fp_ieee_inexact 0
		.amdhsa_exception_int_div_zero 0
	.end_amdhsa_kernel
	.section	.text._ZN7rocprim17ROCPRIM_400000_NS6detail17trampoline_kernelINS0_14default_configENS1_38merge_sort_block_merge_config_selectorIiNS0_10empty_typeEEEZZNS1_27merge_sort_block_merge_implIS3_N6thrust23THRUST_200600_302600_NS6detail15normal_iteratorINS9_10device_ptrIiEEEEPS5_jNS1_19radix_merge_compareILb1ELb1EiNS0_19identity_decomposerEEEEE10hipError_tT0_T1_T2_jT3_P12ihipStream_tbPNSt15iterator_traitsISK_E10value_typeEPNSQ_ISL_E10value_typeEPSM_NS1_7vsmem_tEENKUlT_SK_SL_SM_E_clISE_PiSF_SF_EESJ_SZ_SK_SL_SM_EUlSZ_E0_NS1_11comp_targetILNS1_3genE4ELNS1_11target_archE910ELNS1_3gpuE8ELNS1_3repE0EEENS1_38merge_mergepath_config_static_selectorELNS0_4arch9wavefront6targetE0EEEvSL_,"axG",@progbits,_ZN7rocprim17ROCPRIM_400000_NS6detail17trampoline_kernelINS0_14default_configENS1_38merge_sort_block_merge_config_selectorIiNS0_10empty_typeEEEZZNS1_27merge_sort_block_merge_implIS3_N6thrust23THRUST_200600_302600_NS6detail15normal_iteratorINS9_10device_ptrIiEEEEPS5_jNS1_19radix_merge_compareILb1ELb1EiNS0_19identity_decomposerEEEEE10hipError_tT0_T1_T2_jT3_P12ihipStream_tbPNSt15iterator_traitsISK_E10value_typeEPNSQ_ISL_E10value_typeEPSM_NS1_7vsmem_tEENKUlT_SK_SL_SM_E_clISE_PiSF_SF_EESJ_SZ_SK_SL_SM_EUlSZ_E0_NS1_11comp_targetILNS1_3genE4ELNS1_11target_archE910ELNS1_3gpuE8ELNS1_3repE0EEENS1_38merge_mergepath_config_static_selectorELNS0_4arch9wavefront6targetE0EEEvSL_,comdat
.Lfunc_end305:
	.size	_ZN7rocprim17ROCPRIM_400000_NS6detail17trampoline_kernelINS0_14default_configENS1_38merge_sort_block_merge_config_selectorIiNS0_10empty_typeEEEZZNS1_27merge_sort_block_merge_implIS3_N6thrust23THRUST_200600_302600_NS6detail15normal_iteratorINS9_10device_ptrIiEEEEPS5_jNS1_19radix_merge_compareILb1ELb1EiNS0_19identity_decomposerEEEEE10hipError_tT0_T1_T2_jT3_P12ihipStream_tbPNSt15iterator_traitsISK_E10value_typeEPNSQ_ISL_E10value_typeEPSM_NS1_7vsmem_tEENKUlT_SK_SL_SM_E_clISE_PiSF_SF_EESJ_SZ_SK_SL_SM_EUlSZ_E0_NS1_11comp_targetILNS1_3genE4ELNS1_11target_archE910ELNS1_3gpuE8ELNS1_3repE0EEENS1_38merge_mergepath_config_static_selectorELNS0_4arch9wavefront6targetE0EEEvSL_, .Lfunc_end305-_ZN7rocprim17ROCPRIM_400000_NS6detail17trampoline_kernelINS0_14default_configENS1_38merge_sort_block_merge_config_selectorIiNS0_10empty_typeEEEZZNS1_27merge_sort_block_merge_implIS3_N6thrust23THRUST_200600_302600_NS6detail15normal_iteratorINS9_10device_ptrIiEEEEPS5_jNS1_19radix_merge_compareILb1ELb1EiNS0_19identity_decomposerEEEEE10hipError_tT0_T1_T2_jT3_P12ihipStream_tbPNSt15iterator_traitsISK_E10value_typeEPNSQ_ISL_E10value_typeEPSM_NS1_7vsmem_tEENKUlT_SK_SL_SM_E_clISE_PiSF_SF_EESJ_SZ_SK_SL_SM_EUlSZ_E0_NS1_11comp_targetILNS1_3genE4ELNS1_11target_archE910ELNS1_3gpuE8ELNS1_3repE0EEENS1_38merge_mergepath_config_static_selectorELNS0_4arch9wavefront6targetE0EEEvSL_
                                        ; -- End function
	.set _ZN7rocprim17ROCPRIM_400000_NS6detail17trampoline_kernelINS0_14default_configENS1_38merge_sort_block_merge_config_selectorIiNS0_10empty_typeEEEZZNS1_27merge_sort_block_merge_implIS3_N6thrust23THRUST_200600_302600_NS6detail15normal_iteratorINS9_10device_ptrIiEEEEPS5_jNS1_19radix_merge_compareILb1ELb1EiNS0_19identity_decomposerEEEEE10hipError_tT0_T1_T2_jT3_P12ihipStream_tbPNSt15iterator_traitsISK_E10value_typeEPNSQ_ISL_E10value_typeEPSM_NS1_7vsmem_tEENKUlT_SK_SL_SM_E_clISE_PiSF_SF_EESJ_SZ_SK_SL_SM_EUlSZ_E0_NS1_11comp_targetILNS1_3genE4ELNS1_11target_archE910ELNS1_3gpuE8ELNS1_3repE0EEENS1_38merge_mergepath_config_static_selectorELNS0_4arch9wavefront6targetE0EEEvSL_.num_vgpr, 0
	.set _ZN7rocprim17ROCPRIM_400000_NS6detail17trampoline_kernelINS0_14default_configENS1_38merge_sort_block_merge_config_selectorIiNS0_10empty_typeEEEZZNS1_27merge_sort_block_merge_implIS3_N6thrust23THRUST_200600_302600_NS6detail15normal_iteratorINS9_10device_ptrIiEEEEPS5_jNS1_19radix_merge_compareILb1ELb1EiNS0_19identity_decomposerEEEEE10hipError_tT0_T1_T2_jT3_P12ihipStream_tbPNSt15iterator_traitsISK_E10value_typeEPNSQ_ISL_E10value_typeEPSM_NS1_7vsmem_tEENKUlT_SK_SL_SM_E_clISE_PiSF_SF_EESJ_SZ_SK_SL_SM_EUlSZ_E0_NS1_11comp_targetILNS1_3genE4ELNS1_11target_archE910ELNS1_3gpuE8ELNS1_3repE0EEENS1_38merge_mergepath_config_static_selectorELNS0_4arch9wavefront6targetE0EEEvSL_.num_agpr, 0
	.set _ZN7rocprim17ROCPRIM_400000_NS6detail17trampoline_kernelINS0_14default_configENS1_38merge_sort_block_merge_config_selectorIiNS0_10empty_typeEEEZZNS1_27merge_sort_block_merge_implIS3_N6thrust23THRUST_200600_302600_NS6detail15normal_iteratorINS9_10device_ptrIiEEEEPS5_jNS1_19radix_merge_compareILb1ELb1EiNS0_19identity_decomposerEEEEE10hipError_tT0_T1_T2_jT3_P12ihipStream_tbPNSt15iterator_traitsISK_E10value_typeEPNSQ_ISL_E10value_typeEPSM_NS1_7vsmem_tEENKUlT_SK_SL_SM_E_clISE_PiSF_SF_EESJ_SZ_SK_SL_SM_EUlSZ_E0_NS1_11comp_targetILNS1_3genE4ELNS1_11target_archE910ELNS1_3gpuE8ELNS1_3repE0EEENS1_38merge_mergepath_config_static_selectorELNS0_4arch9wavefront6targetE0EEEvSL_.numbered_sgpr, 0
	.set _ZN7rocprim17ROCPRIM_400000_NS6detail17trampoline_kernelINS0_14default_configENS1_38merge_sort_block_merge_config_selectorIiNS0_10empty_typeEEEZZNS1_27merge_sort_block_merge_implIS3_N6thrust23THRUST_200600_302600_NS6detail15normal_iteratorINS9_10device_ptrIiEEEEPS5_jNS1_19radix_merge_compareILb1ELb1EiNS0_19identity_decomposerEEEEE10hipError_tT0_T1_T2_jT3_P12ihipStream_tbPNSt15iterator_traitsISK_E10value_typeEPNSQ_ISL_E10value_typeEPSM_NS1_7vsmem_tEENKUlT_SK_SL_SM_E_clISE_PiSF_SF_EESJ_SZ_SK_SL_SM_EUlSZ_E0_NS1_11comp_targetILNS1_3genE4ELNS1_11target_archE910ELNS1_3gpuE8ELNS1_3repE0EEENS1_38merge_mergepath_config_static_selectorELNS0_4arch9wavefront6targetE0EEEvSL_.num_named_barrier, 0
	.set _ZN7rocprim17ROCPRIM_400000_NS6detail17trampoline_kernelINS0_14default_configENS1_38merge_sort_block_merge_config_selectorIiNS0_10empty_typeEEEZZNS1_27merge_sort_block_merge_implIS3_N6thrust23THRUST_200600_302600_NS6detail15normal_iteratorINS9_10device_ptrIiEEEEPS5_jNS1_19radix_merge_compareILb1ELb1EiNS0_19identity_decomposerEEEEE10hipError_tT0_T1_T2_jT3_P12ihipStream_tbPNSt15iterator_traitsISK_E10value_typeEPNSQ_ISL_E10value_typeEPSM_NS1_7vsmem_tEENKUlT_SK_SL_SM_E_clISE_PiSF_SF_EESJ_SZ_SK_SL_SM_EUlSZ_E0_NS1_11comp_targetILNS1_3genE4ELNS1_11target_archE910ELNS1_3gpuE8ELNS1_3repE0EEENS1_38merge_mergepath_config_static_selectorELNS0_4arch9wavefront6targetE0EEEvSL_.private_seg_size, 0
	.set _ZN7rocprim17ROCPRIM_400000_NS6detail17trampoline_kernelINS0_14default_configENS1_38merge_sort_block_merge_config_selectorIiNS0_10empty_typeEEEZZNS1_27merge_sort_block_merge_implIS3_N6thrust23THRUST_200600_302600_NS6detail15normal_iteratorINS9_10device_ptrIiEEEEPS5_jNS1_19radix_merge_compareILb1ELb1EiNS0_19identity_decomposerEEEEE10hipError_tT0_T1_T2_jT3_P12ihipStream_tbPNSt15iterator_traitsISK_E10value_typeEPNSQ_ISL_E10value_typeEPSM_NS1_7vsmem_tEENKUlT_SK_SL_SM_E_clISE_PiSF_SF_EESJ_SZ_SK_SL_SM_EUlSZ_E0_NS1_11comp_targetILNS1_3genE4ELNS1_11target_archE910ELNS1_3gpuE8ELNS1_3repE0EEENS1_38merge_mergepath_config_static_selectorELNS0_4arch9wavefront6targetE0EEEvSL_.uses_vcc, 0
	.set _ZN7rocprim17ROCPRIM_400000_NS6detail17trampoline_kernelINS0_14default_configENS1_38merge_sort_block_merge_config_selectorIiNS0_10empty_typeEEEZZNS1_27merge_sort_block_merge_implIS3_N6thrust23THRUST_200600_302600_NS6detail15normal_iteratorINS9_10device_ptrIiEEEEPS5_jNS1_19radix_merge_compareILb1ELb1EiNS0_19identity_decomposerEEEEE10hipError_tT0_T1_T2_jT3_P12ihipStream_tbPNSt15iterator_traitsISK_E10value_typeEPNSQ_ISL_E10value_typeEPSM_NS1_7vsmem_tEENKUlT_SK_SL_SM_E_clISE_PiSF_SF_EESJ_SZ_SK_SL_SM_EUlSZ_E0_NS1_11comp_targetILNS1_3genE4ELNS1_11target_archE910ELNS1_3gpuE8ELNS1_3repE0EEENS1_38merge_mergepath_config_static_selectorELNS0_4arch9wavefront6targetE0EEEvSL_.uses_flat_scratch, 0
	.set _ZN7rocprim17ROCPRIM_400000_NS6detail17trampoline_kernelINS0_14default_configENS1_38merge_sort_block_merge_config_selectorIiNS0_10empty_typeEEEZZNS1_27merge_sort_block_merge_implIS3_N6thrust23THRUST_200600_302600_NS6detail15normal_iteratorINS9_10device_ptrIiEEEEPS5_jNS1_19radix_merge_compareILb1ELb1EiNS0_19identity_decomposerEEEEE10hipError_tT0_T1_T2_jT3_P12ihipStream_tbPNSt15iterator_traitsISK_E10value_typeEPNSQ_ISL_E10value_typeEPSM_NS1_7vsmem_tEENKUlT_SK_SL_SM_E_clISE_PiSF_SF_EESJ_SZ_SK_SL_SM_EUlSZ_E0_NS1_11comp_targetILNS1_3genE4ELNS1_11target_archE910ELNS1_3gpuE8ELNS1_3repE0EEENS1_38merge_mergepath_config_static_selectorELNS0_4arch9wavefront6targetE0EEEvSL_.has_dyn_sized_stack, 0
	.set _ZN7rocprim17ROCPRIM_400000_NS6detail17trampoline_kernelINS0_14default_configENS1_38merge_sort_block_merge_config_selectorIiNS0_10empty_typeEEEZZNS1_27merge_sort_block_merge_implIS3_N6thrust23THRUST_200600_302600_NS6detail15normal_iteratorINS9_10device_ptrIiEEEEPS5_jNS1_19radix_merge_compareILb1ELb1EiNS0_19identity_decomposerEEEEE10hipError_tT0_T1_T2_jT3_P12ihipStream_tbPNSt15iterator_traitsISK_E10value_typeEPNSQ_ISL_E10value_typeEPSM_NS1_7vsmem_tEENKUlT_SK_SL_SM_E_clISE_PiSF_SF_EESJ_SZ_SK_SL_SM_EUlSZ_E0_NS1_11comp_targetILNS1_3genE4ELNS1_11target_archE910ELNS1_3gpuE8ELNS1_3repE0EEENS1_38merge_mergepath_config_static_selectorELNS0_4arch9wavefront6targetE0EEEvSL_.has_recursion, 0
	.set _ZN7rocprim17ROCPRIM_400000_NS6detail17trampoline_kernelINS0_14default_configENS1_38merge_sort_block_merge_config_selectorIiNS0_10empty_typeEEEZZNS1_27merge_sort_block_merge_implIS3_N6thrust23THRUST_200600_302600_NS6detail15normal_iteratorINS9_10device_ptrIiEEEEPS5_jNS1_19radix_merge_compareILb1ELb1EiNS0_19identity_decomposerEEEEE10hipError_tT0_T1_T2_jT3_P12ihipStream_tbPNSt15iterator_traitsISK_E10value_typeEPNSQ_ISL_E10value_typeEPSM_NS1_7vsmem_tEENKUlT_SK_SL_SM_E_clISE_PiSF_SF_EESJ_SZ_SK_SL_SM_EUlSZ_E0_NS1_11comp_targetILNS1_3genE4ELNS1_11target_archE910ELNS1_3gpuE8ELNS1_3repE0EEENS1_38merge_mergepath_config_static_selectorELNS0_4arch9wavefront6targetE0EEEvSL_.has_indirect_call, 0
	.section	.AMDGPU.csdata,"",@progbits
; Kernel info:
; codeLenInByte = 0
; TotalNumSgprs: 0
; NumVgprs: 0
; ScratchSize: 0
; MemoryBound: 0
; FloatMode: 240
; IeeeMode: 1
; LDSByteSize: 0 bytes/workgroup (compile time only)
; SGPRBlocks: 0
; VGPRBlocks: 0
; NumSGPRsForWavesPerEU: 1
; NumVGPRsForWavesPerEU: 1
; Occupancy: 16
; WaveLimiterHint : 0
; COMPUTE_PGM_RSRC2:SCRATCH_EN: 0
; COMPUTE_PGM_RSRC2:USER_SGPR: 6
; COMPUTE_PGM_RSRC2:TRAP_HANDLER: 0
; COMPUTE_PGM_RSRC2:TGID_X_EN: 1
; COMPUTE_PGM_RSRC2:TGID_Y_EN: 0
; COMPUTE_PGM_RSRC2:TGID_Z_EN: 0
; COMPUTE_PGM_RSRC2:TIDIG_COMP_CNT: 0
	.section	.text._ZN7rocprim17ROCPRIM_400000_NS6detail17trampoline_kernelINS0_14default_configENS1_38merge_sort_block_merge_config_selectorIiNS0_10empty_typeEEEZZNS1_27merge_sort_block_merge_implIS3_N6thrust23THRUST_200600_302600_NS6detail15normal_iteratorINS9_10device_ptrIiEEEEPS5_jNS1_19radix_merge_compareILb1ELb1EiNS0_19identity_decomposerEEEEE10hipError_tT0_T1_T2_jT3_P12ihipStream_tbPNSt15iterator_traitsISK_E10value_typeEPNSQ_ISL_E10value_typeEPSM_NS1_7vsmem_tEENKUlT_SK_SL_SM_E_clISE_PiSF_SF_EESJ_SZ_SK_SL_SM_EUlSZ_E0_NS1_11comp_targetILNS1_3genE3ELNS1_11target_archE908ELNS1_3gpuE7ELNS1_3repE0EEENS1_38merge_mergepath_config_static_selectorELNS0_4arch9wavefront6targetE0EEEvSL_,"axG",@progbits,_ZN7rocprim17ROCPRIM_400000_NS6detail17trampoline_kernelINS0_14default_configENS1_38merge_sort_block_merge_config_selectorIiNS0_10empty_typeEEEZZNS1_27merge_sort_block_merge_implIS3_N6thrust23THRUST_200600_302600_NS6detail15normal_iteratorINS9_10device_ptrIiEEEEPS5_jNS1_19radix_merge_compareILb1ELb1EiNS0_19identity_decomposerEEEEE10hipError_tT0_T1_T2_jT3_P12ihipStream_tbPNSt15iterator_traitsISK_E10value_typeEPNSQ_ISL_E10value_typeEPSM_NS1_7vsmem_tEENKUlT_SK_SL_SM_E_clISE_PiSF_SF_EESJ_SZ_SK_SL_SM_EUlSZ_E0_NS1_11comp_targetILNS1_3genE3ELNS1_11target_archE908ELNS1_3gpuE7ELNS1_3repE0EEENS1_38merge_mergepath_config_static_selectorELNS0_4arch9wavefront6targetE0EEEvSL_,comdat
	.protected	_ZN7rocprim17ROCPRIM_400000_NS6detail17trampoline_kernelINS0_14default_configENS1_38merge_sort_block_merge_config_selectorIiNS0_10empty_typeEEEZZNS1_27merge_sort_block_merge_implIS3_N6thrust23THRUST_200600_302600_NS6detail15normal_iteratorINS9_10device_ptrIiEEEEPS5_jNS1_19radix_merge_compareILb1ELb1EiNS0_19identity_decomposerEEEEE10hipError_tT0_T1_T2_jT3_P12ihipStream_tbPNSt15iterator_traitsISK_E10value_typeEPNSQ_ISL_E10value_typeEPSM_NS1_7vsmem_tEENKUlT_SK_SL_SM_E_clISE_PiSF_SF_EESJ_SZ_SK_SL_SM_EUlSZ_E0_NS1_11comp_targetILNS1_3genE3ELNS1_11target_archE908ELNS1_3gpuE7ELNS1_3repE0EEENS1_38merge_mergepath_config_static_selectorELNS0_4arch9wavefront6targetE0EEEvSL_ ; -- Begin function _ZN7rocprim17ROCPRIM_400000_NS6detail17trampoline_kernelINS0_14default_configENS1_38merge_sort_block_merge_config_selectorIiNS0_10empty_typeEEEZZNS1_27merge_sort_block_merge_implIS3_N6thrust23THRUST_200600_302600_NS6detail15normal_iteratorINS9_10device_ptrIiEEEEPS5_jNS1_19radix_merge_compareILb1ELb1EiNS0_19identity_decomposerEEEEE10hipError_tT0_T1_T2_jT3_P12ihipStream_tbPNSt15iterator_traitsISK_E10value_typeEPNSQ_ISL_E10value_typeEPSM_NS1_7vsmem_tEENKUlT_SK_SL_SM_E_clISE_PiSF_SF_EESJ_SZ_SK_SL_SM_EUlSZ_E0_NS1_11comp_targetILNS1_3genE3ELNS1_11target_archE908ELNS1_3gpuE7ELNS1_3repE0EEENS1_38merge_mergepath_config_static_selectorELNS0_4arch9wavefront6targetE0EEEvSL_
	.globl	_ZN7rocprim17ROCPRIM_400000_NS6detail17trampoline_kernelINS0_14default_configENS1_38merge_sort_block_merge_config_selectorIiNS0_10empty_typeEEEZZNS1_27merge_sort_block_merge_implIS3_N6thrust23THRUST_200600_302600_NS6detail15normal_iteratorINS9_10device_ptrIiEEEEPS5_jNS1_19radix_merge_compareILb1ELb1EiNS0_19identity_decomposerEEEEE10hipError_tT0_T1_T2_jT3_P12ihipStream_tbPNSt15iterator_traitsISK_E10value_typeEPNSQ_ISL_E10value_typeEPSM_NS1_7vsmem_tEENKUlT_SK_SL_SM_E_clISE_PiSF_SF_EESJ_SZ_SK_SL_SM_EUlSZ_E0_NS1_11comp_targetILNS1_3genE3ELNS1_11target_archE908ELNS1_3gpuE7ELNS1_3repE0EEENS1_38merge_mergepath_config_static_selectorELNS0_4arch9wavefront6targetE0EEEvSL_
	.p2align	8
	.type	_ZN7rocprim17ROCPRIM_400000_NS6detail17trampoline_kernelINS0_14default_configENS1_38merge_sort_block_merge_config_selectorIiNS0_10empty_typeEEEZZNS1_27merge_sort_block_merge_implIS3_N6thrust23THRUST_200600_302600_NS6detail15normal_iteratorINS9_10device_ptrIiEEEEPS5_jNS1_19radix_merge_compareILb1ELb1EiNS0_19identity_decomposerEEEEE10hipError_tT0_T1_T2_jT3_P12ihipStream_tbPNSt15iterator_traitsISK_E10value_typeEPNSQ_ISL_E10value_typeEPSM_NS1_7vsmem_tEENKUlT_SK_SL_SM_E_clISE_PiSF_SF_EESJ_SZ_SK_SL_SM_EUlSZ_E0_NS1_11comp_targetILNS1_3genE3ELNS1_11target_archE908ELNS1_3gpuE7ELNS1_3repE0EEENS1_38merge_mergepath_config_static_selectorELNS0_4arch9wavefront6targetE0EEEvSL_,@function
_ZN7rocprim17ROCPRIM_400000_NS6detail17trampoline_kernelINS0_14default_configENS1_38merge_sort_block_merge_config_selectorIiNS0_10empty_typeEEEZZNS1_27merge_sort_block_merge_implIS3_N6thrust23THRUST_200600_302600_NS6detail15normal_iteratorINS9_10device_ptrIiEEEEPS5_jNS1_19radix_merge_compareILb1ELb1EiNS0_19identity_decomposerEEEEE10hipError_tT0_T1_T2_jT3_P12ihipStream_tbPNSt15iterator_traitsISK_E10value_typeEPNSQ_ISL_E10value_typeEPSM_NS1_7vsmem_tEENKUlT_SK_SL_SM_E_clISE_PiSF_SF_EESJ_SZ_SK_SL_SM_EUlSZ_E0_NS1_11comp_targetILNS1_3genE3ELNS1_11target_archE908ELNS1_3gpuE7ELNS1_3repE0EEENS1_38merge_mergepath_config_static_selectorELNS0_4arch9wavefront6targetE0EEEvSL_: ; @_ZN7rocprim17ROCPRIM_400000_NS6detail17trampoline_kernelINS0_14default_configENS1_38merge_sort_block_merge_config_selectorIiNS0_10empty_typeEEEZZNS1_27merge_sort_block_merge_implIS3_N6thrust23THRUST_200600_302600_NS6detail15normal_iteratorINS9_10device_ptrIiEEEEPS5_jNS1_19radix_merge_compareILb1ELb1EiNS0_19identity_decomposerEEEEE10hipError_tT0_T1_T2_jT3_P12ihipStream_tbPNSt15iterator_traitsISK_E10value_typeEPNSQ_ISL_E10value_typeEPSM_NS1_7vsmem_tEENKUlT_SK_SL_SM_E_clISE_PiSF_SF_EESJ_SZ_SK_SL_SM_EUlSZ_E0_NS1_11comp_targetILNS1_3genE3ELNS1_11target_archE908ELNS1_3gpuE7ELNS1_3repE0EEENS1_38merge_mergepath_config_static_selectorELNS0_4arch9wavefront6targetE0EEEvSL_
; %bb.0:
	.section	.rodata,"a",@progbits
	.p2align	6, 0x0
	.amdhsa_kernel _ZN7rocprim17ROCPRIM_400000_NS6detail17trampoline_kernelINS0_14default_configENS1_38merge_sort_block_merge_config_selectorIiNS0_10empty_typeEEEZZNS1_27merge_sort_block_merge_implIS3_N6thrust23THRUST_200600_302600_NS6detail15normal_iteratorINS9_10device_ptrIiEEEEPS5_jNS1_19radix_merge_compareILb1ELb1EiNS0_19identity_decomposerEEEEE10hipError_tT0_T1_T2_jT3_P12ihipStream_tbPNSt15iterator_traitsISK_E10value_typeEPNSQ_ISL_E10value_typeEPSM_NS1_7vsmem_tEENKUlT_SK_SL_SM_E_clISE_PiSF_SF_EESJ_SZ_SK_SL_SM_EUlSZ_E0_NS1_11comp_targetILNS1_3genE3ELNS1_11target_archE908ELNS1_3gpuE7ELNS1_3repE0EEENS1_38merge_mergepath_config_static_selectorELNS0_4arch9wavefront6targetE0EEEvSL_
		.amdhsa_group_segment_fixed_size 0
		.amdhsa_private_segment_fixed_size 0
		.amdhsa_kernarg_size 64
		.amdhsa_user_sgpr_count 6
		.amdhsa_user_sgpr_private_segment_buffer 1
		.amdhsa_user_sgpr_dispatch_ptr 0
		.amdhsa_user_sgpr_queue_ptr 0
		.amdhsa_user_sgpr_kernarg_segment_ptr 1
		.amdhsa_user_sgpr_dispatch_id 0
		.amdhsa_user_sgpr_flat_scratch_init 0
		.amdhsa_user_sgpr_private_segment_size 0
		.amdhsa_wavefront_size32 1
		.amdhsa_uses_dynamic_stack 0
		.amdhsa_system_sgpr_private_segment_wavefront_offset 0
		.amdhsa_system_sgpr_workgroup_id_x 1
		.amdhsa_system_sgpr_workgroup_id_y 0
		.amdhsa_system_sgpr_workgroup_id_z 0
		.amdhsa_system_sgpr_workgroup_info 0
		.amdhsa_system_vgpr_workitem_id 0
		.amdhsa_next_free_vgpr 1
		.amdhsa_next_free_sgpr 1
		.amdhsa_reserve_vcc 0
		.amdhsa_reserve_flat_scratch 0
		.amdhsa_float_round_mode_32 0
		.amdhsa_float_round_mode_16_64 0
		.amdhsa_float_denorm_mode_32 3
		.amdhsa_float_denorm_mode_16_64 3
		.amdhsa_dx10_clamp 1
		.amdhsa_ieee_mode 1
		.amdhsa_fp16_overflow 0
		.amdhsa_workgroup_processor_mode 1
		.amdhsa_memory_ordered 1
		.amdhsa_forward_progress 1
		.amdhsa_shared_vgpr_count 0
		.amdhsa_exception_fp_ieee_invalid_op 0
		.amdhsa_exception_fp_denorm_src 0
		.amdhsa_exception_fp_ieee_div_zero 0
		.amdhsa_exception_fp_ieee_overflow 0
		.amdhsa_exception_fp_ieee_underflow 0
		.amdhsa_exception_fp_ieee_inexact 0
		.amdhsa_exception_int_div_zero 0
	.end_amdhsa_kernel
	.section	.text._ZN7rocprim17ROCPRIM_400000_NS6detail17trampoline_kernelINS0_14default_configENS1_38merge_sort_block_merge_config_selectorIiNS0_10empty_typeEEEZZNS1_27merge_sort_block_merge_implIS3_N6thrust23THRUST_200600_302600_NS6detail15normal_iteratorINS9_10device_ptrIiEEEEPS5_jNS1_19radix_merge_compareILb1ELb1EiNS0_19identity_decomposerEEEEE10hipError_tT0_T1_T2_jT3_P12ihipStream_tbPNSt15iterator_traitsISK_E10value_typeEPNSQ_ISL_E10value_typeEPSM_NS1_7vsmem_tEENKUlT_SK_SL_SM_E_clISE_PiSF_SF_EESJ_SZ_SK_SL_SM_EUlSZ_E0_NS1_11comp_targetILNS1_3genE3ELNS1_11target_archE908ELNS1_3gpuE7ELNS1_3repE0EEENS1_38merge_mergepath_config_static_selectorELNS0_4arch9wavefront6targetE0EEEvSL_,"axG",@progbits,_ZN7rocprim17ROCPRIM_400000_NS6detail17trampoline_kernelINS0_14default_configENS1_38merge_sort_block_merge_config_selectorIiNS0_10empty_typeEEEZZNS1_27merge_sort_block_merge_implIS3_N6thrust23THRUST_200600_302600_NS6detail15normal_iteratorINS9_10device_ptrIiEEEEPS5_jNS1_19radix_merge_compareILb1ELb1EiNS0_19identity_decomposerEEEEE10hipError_tT0_T1_T2_jT3_P12ihipStream_tbPNSt15iterator_traitsISK_E10value_typeEPNSQ_ISL_E10value_typeEPSM_NS1_7vsmem_tEENKUlT_SK_SL_SM_E_clISE_PiSF_SF_EESJ_SZ_SK_SL_SM_EUlSZ_E0_NS1_11comp_targetILNS1_3genE3ELNS1_11target_archE908ELNS1_3gpuE7ELNS1_3repE0EEENS1_38merge_mergepath_config_static_selectorELNS0_4arch9wavefront6targetE0EEEvSL_,comdat
.Lfunc_end306:
	.size	_ZN7rocprim17ROCPRIM_400000_NS6detail17trampoline_kernelINS0_14default_configENS1_38merge_sort_block_merge_config_selectorIiNS0_10empty_typeEEEZZNS1_27merge_sort_block_merge_implIS3_N6thrust23THRUST_200600_302600_NS6detail15normal_iteratorINS9_10device_ptrIiEEEEPS5_jNS1_19radix_merge_compareILb1ELb1EiNS0_19identity_decomposerEEEEE10hipError_tT0_T1_T2_jT3_P12ihipStream_tbPNSt15iterator_traitsISK_E10value_typeEPNSQ_ISL_E10value_typeEPSM_NS1_7vsmem_tEENKUlT_SK_SL_SM_E_clISE_PiSF_SF_EESJ_SZ_SK_SL_SM_EUlSZ_E0_NS1_11comp_targetILNS1_3genE3ELNS1_11target_archE908ELNS1_3gpuE7ELNS1_3repE0EEENS1_38merge_mergepath_config_static_selectorELNS0_4arch9wavefront6targetE0EEEvSL_, .Lfunc_end306-_ZN7rocprim17ROCPRIM_400000_NS6detail17trampoline_kernelINS0_14default_configENS1_38merge_sort_block_merge_config_selectorIiNS0_10empty_typeEEEZZNS1_27merge_sort_block_merge_implIS3_N6thrust23THRUST_200600_302600_NS6detail15normal_iteratorINS9_10device_ptrIiEEEEPS5_jNS1_19radix_merge_compareILb1ELb1EiNS0_19identity_decomposerEEEEE10hipError_tT0_T1_T2_jT3_P12ihipStream_tbPNSt15iterator_traitsISK_E10value_typeEPNSQ_ISL_E10value_typeEPSM_NS1_7vsmem_tEENKUlT_SK_SL_SM_E_clISE_PiSF_SF_EESJ_SZ_SK_SL_SM_EUlSZ_E0_NS1_11comp_targetILNS1_3genE3ELNS1_11target_archE908ELNS1_3gpuE7ELNS1_3repE0EEENS1_38merge_mergepath_config_static_selectorELNS0_4arch9wavefront6targetE0EEEvSL_
                                        ; -- End function
	.set _ZN7rocprim17ROCPRIM_400000_NS6detail17trampoline_kernelINS0_14default_configENS1_38merge_sort_block_merge_config_selectorIiNS0_10empty_typeEEEZZNS1_27merge_sort_block_merge_implIS3_N6thrust23THRUST_200600_302600_NS6detail15normal_iteratorINS9_10device_ptrIiEEEEPS5_jNS1_19radix_merge_compareILb1ELb1EiNS0_19identity_decomposerEEEEE10hipError_tT0_T1_T2_jT3_P12ihipStream_tbPNSt15iterator_traitsISK_E10value_typeEPNSQ_ISL_E10value_typeEPSM_NS1_7vsmem_tEENKUlT_SK_SL_SM_E_clISE_PiSF_SF_EESJ_SZ_SK_SL_SM_EUlSZ_E0_NS1_11comp_targetILNS1_3genE3ELNS1_11target_archE908ELNS1_3gpuE7ELNS1_3repE0EEENS1_38merge_mergepath_config_static_selectorELNS0_4arch9wavefront6targetE0EEEvSL_.num_vgpr, 0
	.set _ZN7rocprim17ROCPRIM_400000_NS6detail17trampoline_kernelINS0_14default_configENS1_38merge_sort_block_merge_config_selectorIiNS0_10empty_typeEEEZZNS1_27merge_sort_block_merge_implIS3_N6thrust23THRUST_200600_302600_NS6detail15normal_iteratorINS9_10device_ptrIiEEEEPS5_jNS1_19radix_merge_compareILb1ELb1EiNS0_19identity_decomposerEEEEE10hipError_tT0_T1_T2_jT3_P12ihipStream_tbPNSt15iterator_traitsISK_E10value_typeEPNSQ_ISL_E10value_typeEPSM_NS1_7vsmem_tEENKUlT_SK_SL_SM_E_clISE_PiSF_SF_EESJ_SZ_SK_SL_SM_EUlSZ_E0_NS1_11comp_targetILNS1_3genE3ELNS1_11target_archE908ELNS1_3gpuE7ELNS1_3repE0EEENS1_38merge_mergepath_config_static_selectorELNS0_4arch9wavefront6targetE0EEEvSL_.num_agpr, 0
	.set _ZN7rocprim17ROCPRIM_400000_NS6detail17trampoline_kernelINS0_14default_configENS1_38merge_sort_block_merge_config_selectorIiNS0_10empty_typeEEEZZNS1_27merge_sort_block_merge_implIS3_N6thrust23THRUST_200600_302600_NS6detail15normal_iteratorINS9_10device_ptrIiEEEEPS5_jNS1_19radix_merge_compareILb1ELb1EiNS0_19identity_decomposerEEEEE10hipError_tT0_T1_T2_jT3_P12ihipStream_tbPNSt15iterator_traitsISK_E10value_typeEPNSQ_ISL_E10value_typeEPSM_NS1_7vsmem_tEENKUlT_SK_SL_SM_E_clISE_PiSF_SF_EESJ_SZ_SK_SL_SM_EUlSZ_E0_NS1_11comp_targetILNS1_3genE3ELNS1_11target_archE908ELNS1_3gpuE7ELNS1_3repE0EEENS1_38merge_mergepath_config_static_selectorELNS0_4arch9wavefront6targetE0EEEvSL_.numbered_sgpr, 0
	.set _ZN7rocprim17ROCPRIM_400000_NS6detail17trampoline_kernelINS0_14default_configENS1_38merge_sort_block_merge_config_selectorIiNS0_10empty_typeEEEZZNS1_27merge_sort_block_merge_implIS3_N6thrust23THRUST_200600_302600_NS6detail15normal_iteratorINS9_10device_ptrIiEEEEPS5_jNS1_19radix_merge_compareILb1ELb1EiNS0_19identity_decomposerEEEEE10hipError_tT0_T1_T2_jT3_P12ihipStream_tbPNSt15iterator_traitsISK_E10value_typeEPNSQ_ISL_E10value_typeEPSM_NS1_7vsmem_tEENKUlT_SK_SL_SM_E_clISE_PiSF_SF_EESJ_SZ_SK_SL_SM_EUlSZ_E0_NS1_11comp_targetILNS1_3genE3ELNS1_11target_archE908ELNS1_3gpuE7ELNS1_3repE0EEENS1_38merge_mergepath_config_static_selectorELNS0_4arch9wavefront6targetE0EEEvSL_.num_named_barrier, 0
	.set _ZN7rocprim17ROCPRIM_400000_NS6detail17trampoline_kernelINS0_14default_configENS1_38merge_sort_block_merge_config_selectorIiNS0_10empty_typeEEEZZNS1_27merge_sort_block_merge_implIS3_N6thrust23THRUST_200600_302600_NS6detail15normal_iteratorINS9_10device_ptrIiEEEEPS5_jNS1_19radix_merge_compareILb1ELb1EiNS0_19identity_decomposerEEEEE10hipError_tT0_T1_T2_jT3_P12ihipStream_tbPNSt15iterator_traitsISK_E10value_typeEPNSQ_ISL_E10value_typeEPSM_NS1_7vsmem_tEENKUlT_SK_SL_SM_E_clISE_PiSF_SF_EESJ_SZ_SK_SL_SM_EUlSZ_E0_NS1_11comp_targetILNS1_3genE3ELNS1_11target_archE908ELNS1_3gpuE7ELNS1_3repE0EEENS1_38merge_mergepath_config_static_selectorELNS0_4arch9wavefront6targetE0EEEvSL_.private_seg_size, 0
	.set _ZN7rocprim17ROCPRIM_400000_NS6detail17trampoline_kernelINS0_14default_configENS1_38merge_sort_block_merge_config_selectorIiNS0_10empty_typeEEEZZNS1_27merge_sort_block_merge_implIS3_N6thrust23THRUST_200600_302600_NS6detail15normal_iteratorINS9_10device_ptrIiEEEEPS5_jNS1_19radix_merge_compareILb1ELb1EiNS0_19identity_decomposerEEEEE10hipError_tT0_T1_T2_jT3_P12ihipStream_tbPNSt15iterator_traitsISK_E10value_typeEPNSQ_ISL_E10value_typeEPSM_NS1_7vsmem_tEENKUlT_SK_SL_SM_E_clISE_PiSF_SF_EESJ_SZ_SK_SL_SM_EUlSZ_E0_NS1_11comp_targetILNS1_3genE3ELNS1_11target_archE908ELNS1_3gpuE7ELNS1_3repE0EEENS1_38merge_mergepath_config_static_selectorELNS0_4arch9wavefront6targetE0EEEvSL_.uses_vcc, 0
	.set _ZN7rocprim17ROCPRIM_400000_NS6detail17trampoline_kernelINS0_14default_configENS1_38merge_sort_block_merge_config_selectorIiNS0_10empty_typeEEEZZNS1_27merge_sort_block_merge_implIS3_N6thrust23THRUST_200600_302600_NS6detail15normal_iteratorINS9_10device_ptrIiEEEEPS5_jNS1_19radix_merge_compareILb1ELb1EiNS0_19identity_decomposerEEEEE10hipError_tT0_T1_T2_jT3_P12ihipStream_tbPNSt15iterator_traitsISK_E10value_typeEPNSQ_ISL_E10value_typeEPSM_NS1_7vsmem_tEENKUlT_SK_SL_SM_E_clISE_PiSF_SF_EESJ_SZ_SK_SL_SM_EUlSZ_E0_NS1_11comp_targetILNS1_3genE3ELNS1_11target_archE908ELNS1_3gpuE7ELNS1_3repE0EEENS1_38merge_mergepath_config_static_selectorELNS0_4arch9wavefront6targetE0EEEvSL_.uses_flat_scratch, 0
	.set _ZN7rocprim17ROCPRIM_400000_NS6detail17trampoline_kernelINS0_14default_configENS1_38merge_sort_block_merge_config_selectorIiNS0_10empty_typeEEEZZNS1_27merge_sort_block_merge_implIS3_N6thrust23THRUST_200600_302600_NS6detail15normal_iteratorINS9_10device_ptrIiEEEEPS5_jNS1_19radix_merge_compareILb1ELb1EiNS0_19identity_decomposerEEEEE10hipError_tT0_T1_T2_jT3_P12ihipStream_tbPNSt15iterator_traitsISK_E10value_typeEPNSQ_ISL_E10value_typeEPSM_NS1_7vsmem_tEENKUlT_SK_SL_SM_E_clISE_PiSF_SF_EESJ_SZ_SK_SL_SM_EUlSZ_E0_NS1_11comp_targetILNS1_3genE3ELNS1_11target_archE908ELNS1_3gpuE7ELNS1_3repE0EEENS1_38merge_mergepath_config_static_selectorELNS0_4arch9wavefront6targetE0EEEvSL_.has_dyn_sized_stack, 0
	.set _ZN7rocprim17ROCPRIM_400000_NS6detail17trampoline_kernelINS0_14default_configENS1_38merge_sort_block_merge_config_selectorIiNS0_10empty_typeEEEZZNS1_27merge_sort_block_merge_implIS3_N6thrust23THRUST_200600_302600_NS6detail15normal_iteratorINS9_10device_ptrIiEEEEPS5_jNS1_19radix_merge_compareILb1ELb1EiNS0_19identity_decomposerEEEEE10hipError_tT0_T1_T2_jT3_P12ihipStream_tbPNSt15iterator_traitsISK_E10value_typeEPNSQ_ISL_E10value_typeEPSM_NS1_7vsmem_tEENKUlT_SK_SL_SM_E_clISE_PiSF_SF_EESJ_SZ_SK_SL_SM_EUlSZ_E0_NS1_11comp_targetILNS1_3genE3ELNS1_11target_archE908ELNS1_3gpuE7ELNS1_3repE0EEENS1_38merge_mergepath_config_static_selectorELNS0_4arch9wavefront6targetE0EEEvSL_.has_recursion, 0
	.set _ZN7rocprim17ROCPRIM_400000_NS6detail17trampoline_kernelINS0_14default_configENS1_38merge_sort_block_merge_config_selectorIiNS0_10empty_typeEEEZZNS1_27merge_sort_block_merge_implIS3_N6thrust23THRUST_200600_302600_NS6detail15normal_iteratorINS9_10device_ptrIiEEEEPS5_jNS1_19radix_merge_compareILb1ELb1EiNS0_19identity_decomposerEEEEE10hipError_tT0_T1_T2_jT3_P12ihipStream_tbPNSt15iterator_traitsISK_E10value_typeEPNSQ_ISL_E10value_typeEPSM_NS1_7vsmem_tEENKUlT_SK_SL_SM_E_clISE_PiSF_SF_EESJ_SZ_SK_SL_SM_EUlSZ_E0_NS1_11comp_targetILNS1_3genE3ELNS1_11target_archE908ELNS1_3gpuE7ELNS1_3repE0EEENS1_38merge_mergepath_config_static_selectorELNS0_4arch9wavefront6targetE0EEEvSL_.has_indirect_call, 0
	.section	.AMDGPU.csdata,"",@progbits
; Kernel info:
; codeLenInByte = 0
; TotalNumSgprs: 0
; NumVgprs: 0
; ScratchSize: 0
; MemoryBound: 0
; FloatMode: 240
; IeeeMode: 1
; LDSByteSize: 0 bytes/workgroup (compile time only)
; SGPRBlocks: 0
; VGPRBlocks: 0
; NumSGPRsForWavesPerEU: 1
; NumVGPRsForWavesPerEU: 1
; Occupancy: 16
; WaveLimiterHint : 0
; COMPUTE_PGM_RSRC2:SCRATCH_EN: 0
; COMPUTE_PGM_RSRC2:USER_SGPR: 6
; COMPUTE_PGM_RSRC2:TRAP_HANDLER: 0
; COMPUTE_PGM_RSRC2:TGID_X_EN: 1
; COMPUTE_PGM_RSRC2:TGID_Y_EN: 0
; COMPUTE_PGM_RSRC2:TGID_Z_EN: 0
; COMPUTE_PGM_RSRC2:TIDIG_COMP_CNT: 0
	.section	.text._ZN7rocprim17ROCPRIM_400000_NS6detail17trampoline_kernelINS0_14default_configENS1_38merge_sort_block_merge_config_selectorIiNS0_10empty_typeEEEZZNS1_27merge_sort_block_merge_implIS3_N6thrust23THRUST_200600_302600_NS6detail15normal_iteratorINS9_10device_ptrIiEEEEPS5_jNS1_19radix_merge_compareILb1ELb1EiNS0_19identity_decomposerEEEEE10hipError_tT0_T1_T2_jT3_P12ihipStream_tbPNSt15iterator_traitsISK_E10value_typeEPNSQ_ISL_E10value_typeEPSM_NS1_7vsmem_tEENKUlT_SK_SL_SM_E_clISE_PiSF_SF_EESJ_SZ_SK_SL_SM_EUlSZ_E0_NS1_11comp_targetILNS1_3genE2ELNS1_11target_archE906ELNS1_3gpuE6ELNS1_3repE0EEENS1_38merge_mergepath_config_static_selectorELNS0_4arch9wavefront6targetE0EEEvSL_,"axG",@progbits,_ZN7rocprim17ROCPRIM_400000_NS6detail17trampoline_kernelINS0_14default_configENS1_38merge_sort_block_merge_config_selectorIiNS0_10empty_typeEEEZZNS1_27merge_sort_block_merge_implIS3_N6thrust23THRUST_200600_302600_NS6detail15normal_iteratorINS9_10device_ptrIiEEEEPS5_jNS1_19radix_merge_compareILb1ELb1EiNS0_19identity_decomposerEEEEE10hipError_tT0_T1_T2_jT3_P12ihipStream_tbPNSt15iterator_traitsISK_E10value_typeEPNSQ_ISL_E10value_typeEPSM_NS1_7vsmem_tEENKUlT_SK_SL_SM_E_clISE_PiSF_SF_EESJ_SZ_SK_SL_SM_EUlSZ_E0_NS1_11comp_targetILNS1_3genE2ELNS1_11target_archE906ELNS1_3gpuE6ELNS1_3repE0EEENS1_38merge_mergepath_config_static_selectorELNS0_4arch9wavefront6targetE0EEEvSL_,comdat
	.protected	_ZN7rocprim17ROCPRIM_400000_NS6detail17trampoline_kernelINS0_14default_configENS1_38merge_sort_block_merge_config_selectorIiNS0_10empty_typeEEEZZNS1_27merge_sort_block_merge_implIS3_N6thrust23THRUST_200600_302600_NS6detail15normal_iteratorINS9_10device_ptrIiEEEEPS5_jNS1_19radix_merge_compareILb1ELb1EiNS0_19identity_decomposerEEEEE10hipError_tT0_T1_T2_jT3_P12ihipStream_tbPNSt15iterator_traitsISK_E10value_typeEPNSQ_ISL_E10value_typeEPSM_NS1_7vsmem_tEENKUlT_SK_SL_SM_E_clISE_PiSF_SF_EESJ_SZ_SK_SL_SM_EUlSZ_E0_NS1_11comp_targetILNS1_3genE2ELNS1_11target_archE906ELNS1_3gpuE6ELNS1_3repE0EEENS1_38merge_mergepath_config_static_selectorELNS0_4arch9wavefront6targetE0EEEvSL_ ; -- Begin function _ZN7rocprim17ROCPRIM_400000_NS6detail17trampoline_kernelINS0_14default_configENS1_38merge_sort_block_merge_config_selectorIiNS0_10empty_typeEEEZZNS1_27merge_sort_block_merge_implIS3_N6thrust23THRUST_200600_302600_NS6detail15normal_iteratorINS9_10device_ptrIiEEEEPS5_jNS1_19radix_merge_compareILb1ELb1EiNS0_19identity_decomposerEEEEE10hipError_tT0_T1_T2_jT3_P12ihipStream_tbPNSt15iterator_traitsISK_E10value_typeEPNSQ_ISL_E10value_typeEPSM_NS1_7vsmem_tEENKUlT_SK_SL_SM_E_clISE_PiSF_SF_EESJ_SZ_SK_SL_SM_EUlSZ_E0_NS1_11comp_targetILNS1_3genE2ELNS1_11target_archE906ELNS1_3gpuE6ELNS1_3repE0EEENS1_38merge_mergepath_config_static_selectorELNS0_4arch9wavefront6targetE0EEEvSL_
	.globl	_ZN7rocprim17ROCPRIM_400000_NS6detail17trampoline_kernelINS0_14default_configENS1_38merge_sort_block_merge_config_selectorIiNS0_10empty_typeEEEZZNS1_27merge_sort_block_merge_implIS3_N6thrust23THRUST_200600_302600_NS6detail15normal_iteratorINS9_10device_ptrIiEEEEPS5_jNS1_19radix_merge_compareILb1ELb1EiNS0_19identity_decomposerEEEEE10hipError_tT0_T1_T2_jT3_P12ihipStream_tbPNSt15iterator_traitsISK_E10value_typeEPNSQ_ISL_E10value_typeEPSM_NS1_7vsmem_tEENKUlT_SK_SL_SM_E_clISE_PiSF_SF_EESJ_SZ_SK_SL_SM_EUlSZ_E0_NS1_11comp_targetILNS1_3genE2ELNS1_11target_archE906ELNS1_3gpuE6ELNS1_3repE0EEENS1_38merge_mergepath_config_static_selectorELNS0_4arch9wavefront6targetE0EEEvSL_
	.p2align	8
	.type	_ZN7rocprim17ROCPRIM_400000_NS6detail17trampoline_kernelINS0_14default_configENS1_38merge_sort_block_merge_config_selectorIiNS0_10empty_typeEEEZZNS1_27merge_sort_block_merge_implIS3_N6thrust23THRUST_200600_302600_NS6detail15normal_iteratorINS9_10device_ptrIiEEEEPS5_jNS1_19radix_merge_compareILb1ELb1EiNS0_19identity_decomposerEEEEE10hipError_tT0_T1_T2_jT3_P12ihipStream_tbPNSt15iterator_traitsISK_E10value_typeEPNSQ_ISL_E10value_typeEPSM_NS1_7vsmem_tEENKUlT_SK_SL_SM_E_clISE_PiSF_SF_EESJ_SZ_SK_SL_SM_EUlSZ_E0_NS1_11comp_targetILNS1_3genE2ELNS1_11target_archE906ELNS1_3gpuE6ELNS1_3repE0EEENS1_38merge_mergepath_config_static_selectorELNS0_4arch9wavefront6targetE0EEEvSL_,@function
_ZN7rocprim17ROCPRIM_400000_NS6detail17trampoline_kernelINS0_14default_configENS1_38merge_sort_block_merge_config_selectorIiNS0_10empty_typeEEEZZNS1_27merge_sort_block_merge_implIS3_N6thrust23THRUST_200600_302600_NS6detail15normal_iteratorINS9_10device_ptrIiEEEEPS5_jNS1_19radix_merge_compareILb1ELb1EiNS0_19identity_decomposerEEEEE10hipError_tT0_T1_T2_jT3_P12ihipStream_tbPNSt15iterator_traitsISK_E10value_typeEPNSQ_ISL_E10value_typeEPSM_NS1_7vsmem_tEENKUlT_SK_SL_SM_E_clISE_PiSF_SF_EESJ_SZ_SK_SL_SM_EUlSZ_E0_NS1_11comp_targetILNS1_3genE2ELNS1_11target_archE906ELNS1_3gpuE6ELNS1_3repE0EEENS1_38merge_mergepath_config_static_selectorELNS0_4arch9wavefront6targetE0EEEvSL_: ; @_ZN7rocprim17ROCPRIM_400000_NS6detail17trampoline_kernelINS0_14default_configENS1_38merge_sort_block_merge_config_selectorIiNS0_10empty_typeEEEZZNS1_27merge_sort_block_merge_implIS3_N6thrust23THRUST_200600_302600_NS6detail15normal_iteratorINS9_10device_ptrIiEEEEPS5_jNS1_19radix_merge_compareILb1ELb1EiNS0_19identity_decomposerEEEEE10hipError_tT0_T1_T2_jT3_P12ihipStream_tbPNSt15iterator_traitsISK_E10value_typeEPNSQ_ISL_E10value_typeEPSM_NS1_7vsmem_tEENKUlT_SK_SL_SM_E_clISE_PiSF_SF_EESJ_SZ_SK_SL_SM_EUlSZ_E0_NS1_11comp_targetILNS1_3genE2ELNS1_11target_archE906ELNS1_3gpuE6ELNS1_3repE0EEENS1_38merge_mergepath_config_static_selectorELNS0_4arch9wavefront6targetE0EEEvSL_
; %bb.0:
	.section	.rodata,"a",@progbits
	.p2align	6, 0x0
	.amdhsa_kernel _ZN7rocprim17ROCPRIM_400000_NS6detail17trampoline_kernelINS0_14default_configENS1_38merge_sort_block_merge_config_selectorIiNS0_10empty_typeEEEZZNS1_27merge_sort_block_merge_implIS3_N6thrust23THRUST_200600_302600_NS6detail15normal_iteratorINS9_10device_ptrIiEEEEPS5_jNS1_19radix_merge_compareILb1ELb1EiNS0_19identity_decomposerEEEEE10hipError_tT0_T1_T2_jT3_P12ihipStream_tbPNSt15iterator_traitsISK_E10value_typeEPNSQ_ISL_E10value_typeEPSM_NS1_7vsmem_tEENKUlT_SK_SL_SM_E_clISE_PiSF_SF_EESJ_SZ_SK_SL_SM_EUlSZ_E0_NS1_11comp_targetILNS1_3genE2ELNS1_11target_archE906ELNS1_3gpuE6ELNS1_3repE0EEENS1_38merge_mergepath_config_static_selectorELNS0_4arch9wavefront6targetE0EEEvSL_
		.amdhsa_group_segment_fixed_size 0
		.amdhsa_private_segment_fixed_size 0
		.amdhsa_kernarg_size 64
		.amdhsa_user_sgpr_count 6
		.amdhsa_user_sgpr_private_segment_buffer 1
		.amdhsa_user_sgpr_dispatch_ptr 0
		.amdhsa_user_sgpr_queue_ptr 0
		.amdhsa_user_sgpr_kernarg_segment_ptr 1
		.amdhsa_user_sgpr_dispatch_id 0
		.amdhsa_user_sgpr_flat_scratch_init 0
		.amdhsa_user_sgpr_private_segment_size 0
		.amdhsa_wavefront_size32 1
		.amdhsa_uses_dynamic_stack 0
		.amdhsa_system_sgpr_private_segment_wavefront_offset 0
		.amdhsa_system_sgpr_workgroup_id_x 1
		.amdhsa_system_sgpr_workgroup_id_y 0
		.amdhsa_system_sgpr_workgroup_id_z 0
		.amdhsa_system_sgpr_workgroup_info 0
		.amdhsa_system_vgpr_workitem_id 0
		.amdhsa_next_free_vgpr 1
		.amdhsa_next_free_sgpr 1
		.amdhsa_reserve_vcc 0
		.amdhsa_reserve_flat_scratch 0
		.amdhsa_float_round_mode_32 0
		.amdhsa_float_round_mode_16_64 0
		.amdhsa_float_denorm_mode_32 3
		.amdhsa_float_denorm_mode_16_64 3
		.amdhsa_dx10_clamp 1
		.amdhsa_ieee_mode 1
		.amdhsa_fp16_overflow 0
		.amdhsa_workgroup_processor_mode 1
		.amdhsa_memory_ordered 1
		.amdhsa_forward_progress 1
		.amdhsa_shared_vgpr_count 0
		.amdhsa_exception_fp_ieee_invalid_op 0
		.amdhsa_exception_fp_denorm_src 0
		.amdhsa_exception_fp_ieee_div_zero 0
		.amdhsa_exception_fp_ieee_overflow 0
		.amdhsa_exception_fp_ieee_underflow 0
		.amdhsa_exception_fp_ieee_inexact 0
		.amdhsa_exception_int_div_zero 0
	.end_amdhsa_kernel
	.section	.text._ZN7rocprim17ROCPRIM_400000_NS6detail17trampoline_kernelINS0_14default_configENS1_38merge_sort_block_merge_config_selectorIiNS0_10empty_typeEEEZZNS1_27merge_sort_block_merge_implIS3_N6thrust23THRUST_200600_302600_NS6detail15normal_iteratorINS9_10device_ptrIiEEEEPS5_jNS1_19radix_merge_compareILb1ELb1EiNS0_19identity_decomposerEEEEE10hipError_tT0_T1_T2_jT3_P12ihipStream_tbPNSt15iterator_traitsISK_E10value_typeEPNSQ_ISL_E10value_typeEPSM_NS1_7vsmem_tEENKUlT_SK_SL_SM_E_clISE_PiSF_SF_EESJ_SZ_SK_SL_SM_EUlSZ_E0_NS1_11comp_targetILNS1_3genE2ELNS1_11target_archE906ELNS1_3gpuE6ELNS1_3repE0EEENS1_38merge_mergepath_config_static_selectorELNS0_4arch9wavefront6targetE0EEEvSL_,"axG",@progbits,_ZN7rocprim17ROCPRIM_400000_NS6detail17trampoline_kernelINS0_14default_configENS1_38merge_sort_block_merge_config_selectorIiNS0_10empty_typeEEEZZNS1_27merge_sort_block_merge_implIS3_N6thrust23THRUST_200600_302600_NS6detail15normal_iteratorINS9_10device_ptrIiEEEEPS5_jNS1_19radix_merge_compareILb1ELb1EiNS0_19identity_decomposerEEEEE10hipError_tT0_T1_T2_jT3_P12ihipStream_tbPNSt15iterator_traitsISK_E10value_typeEPNSQ_ISL_E10value_typeEPSM_NS1_7vsmem_tEENKUlT_SK_SL_SM_E_clISE_PiSF_SF_EESJ_SZ_SK_SL_SM_EUlSZ_E0_NS1_11comp_targetILNS1_3genE2ELNS1_11target_archE906ELNS1_3gpuE6ELNS1_3repE0EEENS1_38merge_mergepath_config_static_selectorELNS0_4arch9wavefront6targetE0EEEvSL_,comdat
.Lfunc_end307:
	.size	_ZN7rocprim17ROCPRIM_400000_NS6detail17trampoline_kernelINS0_14default_configENS1_38merge_sort_block_merge_config_selectorIiNS0_10empty_typeEEEZZNS1_27merge_sort_block_merge_implIS3_N6thrust23THRUST_200600_302600_NS6detail15normal_iteratorINS9_10device_ptrIiEEEEPS5_jNS1_19radix_merge_compareILb1ELb1EiNS0_19identity_decomposerEEEEE10hipError_tT0_T1_T2_jT3_P12ihipStream_tbPNSt15iterator_traitsISK_E10value_typeEPNSQ_ISL_E10value_typeEPSM_NS1_7vsmem_tEENKUlT_SK_SL_SM_E_clISE_PiSF_SF_EESJ_SZ_SK_SL_SM_EUlSZ_E0_NS1_11comp_targetILNS1_3genE2ELNS1_11target_archE906ELNS1_3gpuE6ELNS1_3repE0EEENS1_38merge_mergepath_config_static_selectorELNS0_4arch9wavefront6targetE0EEEvSL_, .Lfunc_end307-_ZN7rocprim17ROCPRIM_400000_NS6detail17trampoline_kernelINS0_14default_configENS1_38merge_sort_block_merge_config_selectorIiNS0_10empty_typeEEEZZNS1_27merge_sort_block_merge_implIS3_N6thrust23THRUST_200600_302600_NS6detail15normal_iteratorINS9_10device_ptrIiEEEEPS5_jNS1_19radix_merge_compareILb1ELb1EiNS0_19identity_decomposerEEEEE10hipError_tT0_T1_T2_jT3_P12ihipStream_tbPNSt15iterator_traitsISK_E10value_typeEPNSQ_ISL_E10value_typeEPSM_NS1_7vsmem_tEENKUlT_SK_SL_SM_E_clISE_PiSF_SF_EESJ_SZ_SK_SL_SM_EUlSZ_E0_NS1_11comp_targetILNS1_3genE2ELNS1_11target_archE906ELNS1_3gpuE6ELNS1_3repE0EEENS1_38merge_mergepath_config_static_selectorELNS0_4arch9wavefront6targetE0EEEvSL_
                                        ; -- End function
	.set _ZN7rocprim17ROCPRIM_400000_NS6detail17trampoline_kernelINS0_14default_configENS1_38merge_sort_block_merge_config_selectorIiNS0_10empty_typeEEEZZNS1_27merge_sort_block_merge_implIS3_N6thrust23THRUST_200600_302600_NS6detail15normal_iteratorINS9_10device_ptrIiEEEEPS5_jNS1_19radix_merge_compareILb1ELb1EiNS0_19identity_decomposerEEEEE10hipError_tT0_T1_T2_jT3_P12ihipStream_tbPNSt15iterator_traitsISK_E10value_typeEPNSQ_ISL_E10value_typeEPSM_NS1_7vsmem_tEENKUlT_SK_SL_SM_E_clISE_PiSF_SF_EESJ_SZ_SK_SL_SM_EUlSZ_E0_NS1_11comp_targetILNS1_3genE2ELNS1_11target_archE906ELNS1_3gpuE6ELNS1_3repE0EEENS1_38merge_mergepath_config_static_selectorELNS0_4arch9wavefront6targetE0EEEvSL_.num_vgpr, 0
	.set _ZN7rocprim17ROCPRIM_400000_NS6detail17trampoline_kernelINS0_14default_configENS1_38merge_sort_block_merge_config_selectorIiNS0_10empty_typeEEEZZNS1_27merge_sort_block_merge_implIS3_N6thrust23THRUST_200600_302600_NS6detail15normal_iteratorINS9_10device_ptrIiEEEEPS5_jNS1_19radix_merge_compareILb1ELb1EiNS0_19identity_decomposerEEEEE10hipError_tT0_T1_T2_jT3_P12ihipStream_tbPNSt15iterator_traitsISK_E10value_typeEPNSQ_ISL_E10value_typeEPSM_NS1_7vsmem_tEENKUlT_SK_SL_SM_E_clISE_PiSF_SF_EESJ_SZ_SK_SL_SM_EUlSZ_E0_NS1_11comp_targetILNS1_3genE2ELNS1_11target_archE906ELNS1_3gpuE6ELNS1_3repE0EEENS1_38merge_mergepath_config_static_selectorELNS0_4arch9wavefront6targetE0EEEvSL_.num_agpr, 0
	.set _ZN7rocprim17ROCPRIM_400000_NS6detail17trampoline_kernelINS0_14default_configENS1_38merge_sort_block_merge_config_selectorIiNS0_10empty_typeEEEZZNS1_27merge_sort_block_merge_implIS3_N6thrust23THRUST_200600_302600_NS6detail15normal_iteratorINS9_10device_ptrIiEEEEPS5_jNS1_19radix_merge_compareILb1ELb1EiNS0_19identity_decomposerEEEEE10hipError_tT0_T1_T2_jT3_P12ihipStream_tbPNSt15iterator_traitsISK_E10value_typeEPNSQ_ISL_E10value_typeEPSM_NS1_7vsmem_tEENKUlT_SK_SL_SM_E_clISE_PiSF_SF_EESJ_SZ_SK_SL_SM_EUlSZ_E0_NS1_11comp_targetILNS1_3genE2ELNS1_11target_archE906ELNS1_3gpuE6ELNS1_3repE0EEENS1_38merge_mergepath_config_static_selectorELNS0_4arch9wavefront6targetE0EEEvSL_.numbered_sgpr, 0
	.set _ZN7rocprim17ROCPRIM_400000_NS6detail17trampoline_kernelINS0_14default_configENS1_38merge_sort_block_merge_config_selectorIiNS0_10empty_typeEEEZZNS1_27merge_sort_block_merge_implIS3_N6thrust23THRUST_200600_302600_NS6detail15normal_iteratorINS9_10device_ptrIiEEEEPS5_jNS1_19radix_merge_compareILb1ELb1EiNS0_19identity_decomposerEEEEE10hipError_tT0_T1_T2_jT3_P12ihipStream_tbPNSt15iterator_traitsISK_E10value_typeEPNSQ_ISL_E10value_typeEPSM_NS1_7vsmem_tEENKUlT_SK_SL_SM_E_clISE_PiSF_SF_EESJ_SZ_SK_SL_SM_EUlSZ_E0_NS1_11comp_targetILNS1_3genE2ELNS1_11target_archE906ELNS1_3gpuE6ELNS1_3repE0EEENS1_38merge_mergepath_config_static_selectorELNS0_4arch9wavefront6targetE0EEEvSL_.num_named_barrier, 0
	.set _ZN7rocprim17ROCPRIM_400000_NS6detail17trampoline_kernelINS0_14default_configENS1_38merge_sort_block_merge_config_selectorIiNS0_10empty_typeEEEZZNS1_27merge_sort_block_merge_implIS3_N6thrust23THRUST_200600_302600_NS6detail15normal_iteratorINS9_10device_ptrIiEEEEPS5_jNS1_19radix_merge_compareILb1ELb1EiNS0_19identity_decomposerEEEEE10hipError_tT0_T1_T2_jT3_P12ihipStream_tbPNSt15iterator_traitsISK_E10value_typeEPNSQ_ISL_E10value_typeEPSM_NS1_7vsmem_tEENKUlT_SK_SL_SM_E_clISE_PiSF_SF_EESJ_SZ_SK_SL_SM_EUlSZ_E0_NS1_11comp_targetILNS1_3genE2ELNS1_11target_archE906ELNS1_3gpuE6ELNS1_3repE0EEENS1_38merge_mergepath_config_static_selectorELNS0_4arch9wavefront6targetE0EEEvSL_.private_seg_size, 0
	.set _ZN7rocprim17ROCPRIM_400000_NS6detail17trampoline_kernelINS0_14default_configENS1_38merge_sort_block_merge_config_selectorIiNS0_10empty_typeEEEZZNS1_27merge_sort_block_merge_implIS3_N6thrust23THRUST_200600_302600_NS6detail15normal_iteratorINS9_10device_ptrIiEEEEPS5_jNS1_19radix_merge_compareILb1ELb1EiNS0_19identity_decomposerEEEEE10hipError_tT0_T1_T2_jT3_P12ihipStream_tbPNSt15iterator_traitsISK_E10value_typeEPNSQ_ISL_E10value_typeEPSM_NS1_7vsmem_tEENKUlT_SK_SL_SM_E_clISE_PiSF_SF_EESJ_SZ_SK_SL_SM_EUlSZ_E0_NS1_11comp_targetILNS1_3genE2ELNS1_11target_archE906ELNS1_3gpuE6ELNS1_3repE0EEENS1_38merge_mergepath_config_static_selectorELNS0_4arch9wavefront6targetE0EEEvSL_.uses_vcc, 0
	.set _ZN7rocprim17ROCPRIM_400000_NS6detail17trampoline_kernelINS0_14default_configENS1_38merge_sort_block_merge_config_selectorIiNS0_10empty_typeEEEZZNS1_27merge_sort_block_merge_implIS3_N6thrust23THRUST_200600_302600_NS6detail15normal_iteratorINS9_10device_ptrIiEEEEPS5_jNS1_19radix_merge_compareILb1ELb1EiNS0_19identity_decomposerEEEEE10hipError_tT0_T1_T2_jT3_P12ihipStream_tbPNSt15iterator_traitsISK_E10value_typeEPNSQ_ISL_E10value_typeEPSM_NS1_7vsmem_tEENKUlT_SK_SL_SM_E_clISE_PiSF_SF_EESJ_SZ_SK_SL_SM_EUlSZ_E0_NS1_11comp_targetILNS1_3genE2ELNS1_11target_archE906ELNS1_3gpuE6ELNS1_3repE0EEENS1_38merge_mergepath_config_static_selectorELNS0_4arch9wavefront6targetE0EEEvSL_.uses_flat_scratch, 0
	.set _ZN7rocprim17ROCPRIM_400000_NS6detail17trampoline_kernelINS0_14default_configENS1_38merge_sort_block_merge_config_selectorIiNS0_10empty_typeEEEZZNS1_27merge_sort_block_merge_implIS3_N6thrust23THRUST_200600_302600_NS6detail15normal_iteratorINS9_10device_ptrIiEEEEPS5_jNS1_19radix_merge_compareILb1ELb1EiNS0_19identity_decomposerEEEEE10hipError_tT0_T1_T2_jT3_P12ihipStream_tbPNSt15iterator_traitsISK_E10value_typeEPNSQ_ISL_E10value_typeEPSM_NS1_7vsmem_tEENKUlT_SK_SL_SM_E_clISE_PiSF_SF_EESJ_SZ_SK_SL_SM_EUlSZ_E0_NS1_11comp_targetILNS1_3genE2ELNS1_11target_archE906ELNS1_3gpuE6ELNS1_3repE0EEENS1_38merge_mergepath_config_static_selectorELNS0_4arch9wavefront6targetE0EEEvSL_.has_dyn_sized_stack, 0
	.set _ZN7rocprim17ROCPRIM_400000_NS6detail17trampoline_kernelINS0_14default_configENS1_38merge_sort_block_merge_config_selectorIiNS0_10empty_typeEEEZZNS1_27merge_sort_block_merge_implIS3_N6thrust23THRUST_200600_302600_NS6detail15normal_iteratorINS9_10device_ptrIiEEEEPS5_jNS1_19radix_merge_compareILb1ELb1EiNS0_19identity_decomposerEEEEE10hipError_tT0_T1_T2_jT3_P12ihipStream_tbPNSt15iterator_traitsISK_E10value_typeEPNSQ_ISL_E10value_typeEPSM_NS1_7vsmem_tEENKUlT_SK_SL_SM_E_clISE_PiSF_SF_EESJ_SZ_SK_SL_SM_EUlSZ_E0_NS1_11comp_targetILNS1_3genE2ELNS1_11target_archE906ELNS1_3gpuE6ELNS1_3repE0EEENS1_38merge_mergepath_config_static_selectorELNS0_4arch9wavefront6targetE0EEEvSL_.has_recursion, 0
	.set _ZN7rocprim17ROCPRIM_400000_NS6detail17trampoline_kernelINS0_14default_configENS1_38merge_sort_block_merge_config_selectorIiNS0_10empty_typeEEEZZNS1_27merge_sort_block_merge_implIS3_N6thrust23THRUST_200600_302600_NS6detail15normal_iteratorINS9_10device_ptrIiEEEEPS5_jNS1_19radix_merge_compareILb1ELb1EiNS0_19identity_decomposerEEEEE10hipError_tT0_T1_T2_jT3_P12ihipStream_tbPNSt15iterator_traitsISK_E10value_typeEPNSQ_ISL_E10value_typeEPSM_NS1_7vsmem_tEENKUlT_SK_SL_SM_E_clISE_PiSF_SF_EESJ_SZ_SK_SL_SM_EUlSZ_E0_NS1_11comp_targetILNS1_3genE2ELNS1_11target_archE906ELNS1_3gpuE6ELNS1_3repE0EEENS1_38merge_mergepath_config_static_selectorELNS0_4arch9wavefront6targetE0EEEvSL_.has_indirect_call, 0
	.section	.AMDGPU.csdata,"",@progbits
; Kernel info:
; codeLenInByte = 0
; TotalNumSgprs: 0
; NumVgprs: 0
; ScratchSize: 0
; MemoryBound: 0
; FloatMode: 240
; IeeeMode: 1
; LDSByteSize: 0 bytes/workgroup (compile time only)
; SGPRBlocks: 0
; VGPRBlocks: 0
; NumSGPRsForWavesPerEU: 1
; NumVGPRsForWavesPerEU: 1
; Occupancy: 16
; WaveLimiterHint : 0
; COMPUTE_PGM_RSRC2:SCRATCH_EN: 0
; COMPUTE_PGM_RSRC2:USER_SGPR: 6
; COMPUTE_PGM_RSRC2:TRAP_HANDLER: 0
; COMPUTE_PGM_RSRC2:TGID_X_EN: 1
; COMPUTE_PGM_RSRC2:TGID_Y_EN: 0
; COMPUTE_PGM_RSRC2:TGID_Z_EN: 0
; COMPUTE_PGM_RSRC2:TIDIG_COMP_CNT: 0
	.section	.text._ZN7rocprim17ROCPRIM_400000_NS6detail17trampoline_kernelINS0_14default_configENS1_38merge_sort_block_merge_config_selectorIiNS0_10empty_typeEEEZZNS1_27merge_sort_block_merge_implIS3_N6thrust23THRUST_200600_302600_NS6detail15normal_iteratorINS9_10device_ptrIiEEEEPS5_jNS1_19radix_merge_compareILb1ELb1EiNS0_19identity_decomposerEEEEE10hipError_tT0_T1_T2_jT3_P12ihipStream_tbPNSt15iterator_traitsISK_E10value_typeEPNSQ_ISL_E10value_typeEPSM_NS1_7vsmem_tEENKUlT_SK_SL_SM_E_clISE_PiSF_SF_EESJ_SZ_SK_SL_SM_EUlSZ_E0_NS1_11comp_targetILNS1_3genE9ELNS1_11target_archE1100ELNS1_3gpuE3ELNS1_3repE0EEENS1_38merge_mergepath_config_static_selectorELNS0_4arch9wavefront6targetE0EEEvSL_,"axG",@progbits,_ZN7rocprim17ROCPRIM_400000_NS6detail17trampoline_kernelINS0_14default_configENS1_38merge_sort_block_merge_config_selectorIiNS0_10empty_typeEEEZZNS1_27merge_sort_block_merge_implIS3_N6thrust23THRUST_200600_302600_NS6detail15normal_iteratorINS9_10device_ptrIiEEEEPS5_jNS1_19radix_merge_compareILb1ELb1EiNS0_19identity_decomposerEEEEE10hipError_tT0_T1_T2_jT3_P12ihipStream_tbPNSt15iterator_traitsISK_E10value_typeEPNSQ_ISL_E10value_typeEPSM_NS1_7vsmem_tEENKUlT_SK_SL_SM_E_clISE_PiSF_SF_EESJ_SZ_SK_SL_SM_EUlSZ_E0_NS1_11comp_targetILNS1_3genE9ELNS1_11target_archE1100ELNS1_3gpuE3ELNS1_3repE0EEENS1_38merge_mergepath_config_static_selectorELNS0_4arch9wavefront6targetE0EEEvSL_,comdat
	.protected	_ZN7rocprim17ROCPRIM_400000_NS6detail17trampoline_kernelINS0_14default_configENS1_38merge_sort_block_merge_config_selectorIiNS0_10empty_typeEEEZZNS1_27merge_sort_block_merge_implIS3_N6thrust23THRUST_200600_302600_NS6detail15normal_iteratorINS9_10device_ptrIiEEEEPS5_jNS1_19radix_merge_compareILb1ELb1EiNS0_19identity_decomposerEEEEE10hipError_tT0_T1_T2_jT3_P12ihipStream_tbPNSt15iterator_traitsISK_E10value_typeEPNSQ_ISL_E10value_typeEPSM_NS1_7vsmem_tEENKUlT_SK_SL_SM_E_clISE_PiSF_SF_EESJ_SZ_SK_SL_SM_EUlSZ_E0_NS1_11comp_targetILNS1_3genE9ELNS1_11target_archE1100ELNS1_3gpuE3ELNS1_3repE0EEENS1_38merge_mergepath_config_static_selectorELNS0_4arch9wavefront6targetE0EEEvSL_ ; -- Begin function _ZN7rocprim17ROCPRIM_400000_NS6detail17trampoline_kernelINS0_14default_configENS1_38merge_sort_block_merge_config_selectorIiNS0_10empty_typeEEEZZNS1_27merge_sort_block_merge_implIS3_N6thrust23THRUST_200600_302600_NS6detail15normal_iteratorINS9_10device_ptrIiEEEEPS5_jNS1_19radix_merge_compareILb1ELb1EiNS0_19identity_decomposerEEEEE10hipError_tT0_T1_T2_jT3_P12ihipStream_tbPNSt15iterator_traitsISK_E10value_typeEPNSQ_ISL_E10value_typeEPSM_NS1_7vsmem_tEENKUlT_SK_SL_SM_E_clISE_PiSF_SF_EESJ_SZ_SK_SL_SM_EUlSZ_E0_NS1_11comp_targetILNS1_3genE9ELNS1_11target_archE1100ELNS1_3gpuE3ELNS1_3repE0EEENS1_38merge_mergepath_config_static_selectorELNS0_4arch9wavefront6targetE0EEEvSL_
	.globl	_ZN7rocprim17ROCPRIM_400000_NS6detail17trampoline_kernelINS0_14default_configENS1_38merge_sort_block_merge_config_selectorIiNS0_10empty_typeEEEZZNS1_27merge_sort_block_merge_implIS3_N6thrust23THRUST_200600_302600_NS6detail15normal_iteratorINS9_10device_ptrIiEEEEPS5_jNS1_19radix_merge_compareILb1ELb1EiNS0_19identity_decomposerEEEEE10hipError_tT0_T1_T2_jT3_P12ihipStream_tbPNSt15iterator_traitsISK_E10value_typeEPNSQ_ISL_E10value_typeEPSM_NS1_7vsmem_tEENKUlT_SK_SL_SM_E_clISE_PiSF_SF_EESJ_SZ_SK_SL_SM_EUlSZ_E0_NS1_11comp_targetILNS1_3genE9ELNS1_11target_archE1100ELNS1_3gpuE3ELNS1_3repE0EEENS1_38merge_mergepath_config_static_selectorELNS0_4arch9wavefront6targetE0EEEvSL_
	.p2align	8
	.type	_ZN7rocprim17ROCPRIM_400000_NS6detail17trampoline_kernelINS0_14default_configENS1_38merge_sort_block_merge_config_selectorIiNS0_10empty_typeEEEZZNS1_27merge_sort_block_merge_implIS3_N6thrust23THRUST_200600_302600_NS6detail15normal_iteratorINS9_10device_ptrIiEEEEPS5_jNS1_19radix_merge_compareILb1ELb1EiNS0_19identity_decomposerEEEEE10hipError_tT0_T1_T2_jT3_P12ihipStream_tbPNSt15iterator_traitsISK_E10value_typeEPNSQ_ISL_E10value_typeEPSM_NS1_7vsmem_tEENKUlT_SK_SL_SM_E_clISE_PiSF_SF_EESJ_SZ_SK_SL_SM_EUlSZ_E0_NS1_11comp_targetILNS1_3genE9ELNS1_11target_archE1100ELNS1_3gpuE3ELNS1_3repE0EEENS1_38merge_mergepath_config_static_selectorELNS0_4arch9wavefront6targetE0EEEvSL_,@function
_ZN7rocprim17ROCPRIM_400000_NS6detail17trampoline_kernelINS0_14default_configENS1_38merge_sort_block_merge_config_selectorIiNS0_10empty_typeEEEZZNS1_27merge_sort_block_merge_implIS3_N6thrust23THRUST_200600_302600_NS6detail15normal_iteratorINS9_10device_ptrIiEEEEPS5_jNS1_19radix_merge_compareILb1ELb1EiNS0_19identity_decomposerEEEEE10hipError_tT0_T1_T2_jT3_P12ihipStream_tbPNSt15iterator_traitsISK_E10value_typeEPNSQ_ISL_E10value_typeEPSM_NS1_7vsmem_tEENKUlT_SK_SL_SM_E_clISE_PiSF_SF_EESJ_SZ_SK_SL_SM_EUlSZ_E0_NS1_11comp_targetILNS1_3genE9ELNS1_11target_archE1100ELNS1_3gpuE3ELNS1_3repE0EEENS1_38merge_mergepath_config_static_selectorELNS0_4arch9wavefront6targetE0EEEvSL_: ; @_ZN7rocprim17ROCPRIM_400000_NS6detail17trampoline_kernelINS0_14default_configENS1_38merge_sort_block_merge_config_selectorIiNS0_10empty_typeEEEZZNS1_27merge_sort_block_merge_implIS3_N6thrust23THRUST_200600_302600_NS6detail15normal_iteratorINS9_10device_ptrIiEEEEPS5_jNS1_19radix_merge_compareILb1ELb1EiNS0_19identity_decomposerEEEEE10hipError_tT0_T1_T2_jT3_P12ihipStream_tbPNSt15iterator_traitsISK_E10value_typeEPNSQ_ISL_E10value_typeEPSM_NS1_7vsmem_tEENKUlT_SK_SL_SM_E_clISE_PiSF_SF_EESJ_SZ_SK_SL_SM_EUlSZ_E0_NS1_11comp_targetILNS1_3genE9ELNS1_11target_archE1100ELNS1_3gpuE3ELNS1_3repE0EEENS1_38merge_mergepath_config_static_selectorELNS0_4arch9wavefront6targetE0EEEvSL_
; %bb.0:
	.section	.rodata,"a",@progbits
	.p2align	6, 0x0
	.amdhsa_kernel _ZN7rocprim17ROCPRIM_400000_NS6detail17trampoline_kernelINS0_14default_configENS1_38merge_sort_block_merge_config_selectorIiNS0_10empty_typeEEEZZNS1_27merge_sort_block_merge_implIS3_N6thrust23THRUST_200600_302600_NS6detail15normal_iteratorINS9_10device_ptrIiEEEEPS5_jNS1_19radix_merge_compareILb1ELb1EiNS0_19identity_decomposerEEEEE10hipError_tT0_T1_T2_jT3_P12ihipStream_tbPNSt15iterator_traitsISK_E10value_typeEPNSQ_ISL_E10value_typeEPSM_NS1_7vsmem_tEENKUlT_SK_SL_SM_E_clISE_PiSF_SF_EESJ_SZ_SK_SL_SM_EUlSZ_E0_NS1_11comp_targetILNS1_3genE9ELNS1_11target_archE1100ELNS1_3gpuE3ELNS1_3repE0EEENS1_38merge_mergepath_config_static_selectorELNS0_4arch9wavefront6targetE0EEEvSL_
		.amdhsa_group_segment_fixed_size 0
		.amdhsa_private_segment_fixed_size 0
		.amdhsa_kernarg_size 64
		.amdhsa_user_sgpr_count 6
		.amdhsa_user_sgpr_private_segment_buffer 1
		.amdhsa_user_sgpr_dispatch_ptr 0
		.amdhsa_user_sgpr_queue_ptr 0
		.amdhsa_user_sgpr_kernarg_segment_ptr 1
		.amdhsa_user_sgpr_dispatch_id 0
		.amdhsa_user_sgpr_flat_scratch_init 0
		.amdhsa_user_sgpr_private_segment_size 0
		.amdhsa_wavefront_size32 1
		.amdhsa_uses_dynamic_stack 0
		.amdhsa_system_sgpr_private_segment_wavefront_offset 0
		.amdhsa_system_sgpr_workgroup_id_x 1
		.amdhsa_system_sgpr_workgroup_id_y 0
		.amdhsa_system_sgpr_workgroup_id_z 0
		.amdhsa_system_sgpr_workgroup_info 0
		.amdhsa_system_vgpr_workitem_id 0
		.amdhsa_next_free_vgpr 1
		.amdhsa_next_free_sgpr 1
		.amdhsa_reserve_vcc 0
		.amdhsa_reserve_flat_scratch 0
		.amdhsa_float_round_mode_32 0
		.amdhsa_float_round_mode_16_64 0
		.amdhsa_float_denorm_mode_32 3
		.amdhsa_float_denorm_mode_16_64 3
		.amdhsa_dx10_clamp 1
		.amdhsa_ieee_mode 1
		.amdhsa_fp16_overflow 0
		.amdhsa_workgroup_processor_mode 1
		.amdhsa_memory_ordered 1
		.amdhsa_forward_progress 1
		.amdhsa_shared_vgpr_count 0
		.amdhsa_exception_fp_ieee_invalid_op 0
		.amdhsa_exception_fp_denorm_src 0
		.amdhsa_exception_fp_ieee_div_zero 0
		.amdhsa_exception_fp_ieee_overflow 0
		.amdhsa_exception_fp_ieee_underflow 0
		.amdhsa_exception_fp_ieee_inexact 0
		.amdhsa_exception_int_div_zero 0
	.end_amdhsa_kernel
	.section	.text._ZN7rocprim17ROCPRIM_400000_NS6detail17trampoline_kernelINS0_14default_configENS1_38merge_sort_block_merge_config_selectorIiNS0_10empty_typeEEEZZNS1_27merge_sort_block_merge_implIS3_N6thrust23THRUST_200600_302600_NS6detail15normal_iteratorINS9_10device_ptrIiEEEEPS5_jNS1_19radix_merge_compareILb1ELb1EiNS0_19identity_decomposerEEEEE10hipError_tT0_T1_T2_jT3_P12ihipStream_tbPNSt15iterator_traitsISK_E10value_typeEPNSQ_ISL_E10value_typeEPSM_NS1_7vsmem_tEENKUlT_SK_SL_SM_E_clISE_PiSF_SF_EESJ_SZ_SK_SL_SM_EUlSZ_E0_NS1_11comp_targetILNS1_3genE9ELNS1_11target_archE1100ELNS1_3gpuE3ELNS1_3repE0EEENS1_38merge_mergepath_config_static_selectorELNS0_4arch9wavefront6targetE0EEEvSL_,"axG",@progbits,_ZN7rocprim17ROCPRIM_400000_NS6detail17trampoline_kernelINS0_14default_configENS1_38merge_sort_block_merge_config_selectorIiNS0_10empty_typeEEEZZNS1_27merge_sort_block_merge_implIS3_N6thrust23THRUST_200600_302600_NS6detail15normal_iteratorINS9_10device_ptrIiEEEEPS5_jNS1_19radix_merge_compareILb1ELb1EiNS0_19identity_decomposerEEEEE10hipError_tT0_T1_T2_jT3_P12ihipStream_tbPNSt15iterator_traitsISK_E10value_typeEPNSQ_ISL_E10value_typeEPSM_NS1_7vsmem_tEENKUlT_SK_SL_SM_E_clISE_PiSF_SF_EESJ_SZ_SK_SL_SM_EUlSZ_E0_NS1_11comp_targetILNS1_3genE9ELNS1_11target_archE1100ELNS1_3gpuE3ELNS1_3repE0EEENS1_38merge_mergepath_config_static_selectorELNS0_4arch9wavefront6targetE0EEEvSL_,comdat
.Lfunc_end308:
	.size	_ZN7rocprim17ROCPRIM_400000_NS6detail17trampoline_kernelINS0_14default_configENS1_38merge_sort_block_merge_config_selectorIiNS0_10empty_typeEEEZZNS1_27merge_sort_block_merge_implIS3_N6thrust23THRUST_200600_302600_NS6detail15normal_iteratorINS9_10device_ptrIiEEEEPS5_jNS1_19radix_merge_compareILb1ELb1EiNS0_19identity_decomposerEEEEE10hipError_tT0_T1_T2_jT3_P12ihipStream_tbPNSt15iterator_traitsISK_E10value_typeEPNSQ_ISL_E10value_typeEPSM_NS1_7vsmem_tEENKUlT_SK_SL_SM_E_clISE_PiSF_SF_EESJ_SZ_SK_SL_SM_EUlSZ_E0_NS1_11comp_targetILNS1_3genE9ELNS1_11target_archE1100ELNS1_3gpuE3ELNS1_3repE0EEENS1_38merge_mergepath_config_static_selectorELNS0_4arch9wavefront6targetE0EEEvSL_, .Lfunc_end308-_ZN7rocprim17ROCPRIM_400000_NS6detail17trampoline_kernelINS0_14default_configENS1_38merge_sort_block_merge_config_selectorIiNS0_10empty_typeEEEZZNS1_27merge_sort_block_merge_implIS3_N6thrust23THRUST_200600_302600_NS6detail15normal_iteratorINS9_10device_ptrIiEEEEPS5_jNS1_19radix_merge_compareILb1ELb1EiNS0_19identity_decomposerEEEEE10hipError_tT0_T1_T2_jT3_P12ihipStream_tbPNSt15iterator_traitsISK_E10value_typeEPNSQ_ISL_E10value_typeEPSM_NS1_7vsmem_tEENKUlT_SK_SL_SM_E_clISE_PiSF_SF_EESJ_SZ_SK_SL_SM_EUlSZ_E0_NS1_11comp_targetILNS1_3genE9ELNS1_11target_archE1100ELNS1_3gpuE3ELNS1_3repE0EEENS1_38merge_mergepath_config_static_selectorELNS0_4arch9wavefront6targetE0EEEvSL_
                                        ; -- End function
	.set _ZN7rocprim17ROCPRIM_400000_NS6detail17trampoline_kernelINS0_14default_configENS1_38merge_sort_block_merge_config_selectorIiNS0_10empty_typeEEEZZNS1_27merge_sort_block_merge_implIS3_N6thrust23THRUST_200600_302600_NS6detail15normal_iteratorINS9_10device_ptrIiEEEEPS5_jNS1_19radix_merge_compareILb1ELb1EiNS0_19identity_decomposerEEEEE10hipError_tT0_T1_T2_jT3_P12ihipStream_tbPNSt15iterator_traitsISK_E10value_typeEPNSQ_ISL_E10value_typeEPSM_NS1_7vsmem_tEENKUlT_SK_SL_SM_E_clISE_PiSF_SF_EESJ_SZ_SK_SL_SM_EUlSZ_E0_NS1_11comp_targetILNS1_3genE9ELNS1_11target_archE1100ELNS1_3gpuE3ELNS1_3repE0EEENS1_38merge_mergepath_config_static_selectorELNS0_4arch9wavefront6targetE0EEEvSL_.num_vgpr, 0
	.set _ZN7rocprim17ROCPRIM_400000_NS6detail17trampoline_kernelINS0_14default_configENS1_38merge_sort_block_merge_config_selectorIiNS0_10empty_typeEEEZZNS1_27merge_sort_block_merge_implIS3_N6thrust23THRUST_200600_302600_NS6detail15normal_iteratorINS9_10device_ptrIiEEEEPS5_jNS1_19radix_merge_compareILb1ELb1EiNS0_19identity_decomposerEEEEE10hipError_tT0_T1_T2_jT3_P12ihipStream_tbPNSt15iterator_traitsISK_E10value_typeEPNSQ_ISL_E10value_typeEPSM_NS1_7vsmem_tEENKUlT_SK_SL_SM_E_clISE_PiSF_SF_EESJ_SZ_SK_SL_SM_EUlSZ_E0_NS1_11comp_targetILNS1_3genE9ELNS1_11target_archE1100ELNS1_3gpuE3ELNS1_3repE0EEENS1_38merge_mergepath_config_static_selectorELNS0_4arch9wavefront6targetE0EEEvSL_.num_agpr, 0
	.set _ZN7rocprim17ROCPRIM_400000_NS6detail17trampoline_kernelINS0_14default_configENS1_38merge_sort_block_merge_config_selectorIiNS0_10empty_typeEEEZZNS1_27merge_sort_block_merge_implIS3_N6thrust23THRUST_200600_302600_NS6detail15normal_iteratorINS9_10device_ptrIiEEEEPS5_jNS1_19radix_merge_compareILb1ELb1EiNS0_19identity_decomposerEEEEE10hipError_tT0_T1_T2_jT3_P12ihipStream_tbPNSt15iterator_traitsISK_E10value_typeEPNSQ_ISL_E10value_typeEPSM_NS1_7vsmem_tEENKUlT_SK_SL_SM_E_clISE_PiSF_SF_EESJ_SZ_SK_SL_SM_EUlSZ_E0_NS1_11comp_targetILNS1_3genE9ELNS1_11target_archE1100ELNS1_3gpuE3ELNS1_3repE0EEENS1_38merge_mergepath_config_static_selectorELNS0_4arch9wavefront6targetE0EEEvSL_.numbered_sgpr, 0
	.set _ZN7rocprim17ROCPRIM_400000_NS6detail17trampoline_kernelINS0_14default_configENS1_38merge_sort_block_merge_config_selectorIiNS0_10empty_typeEEEZZNS1_27merge_sort_block_merge_implIS3_N6thrust23THRUST_200600_302600_NS6detail15normal_iteratorINS9_10device_ptrIiEEEEPS5_jNS1_19radix_merge_compareILb1ELb1EiNS0_19identity_decomposerEEEEE10hipError_tT0_T1_T2_jT3_P12ihipStream_tbPNSt15iterator_traitsISK_E10value_typeEPNSQ_ISL_E10value_typeEPSM_NS1_7vsmem_tEENKUlT_SK_SL_SM_E_clISE_PiSF_SF_EESJ_SZ_SK_SL_SM_EUlSZ_E0_NS1_11comp_targetILNS1_3genE9ELNS1_11target_archE1100ELNS1_3gpuE3ELNS1_3repE0EEENS1_38merge_mergepath_config_static_selectorELNS0_4arch9wavefront6targetE0EEEvSL_.num_named_barrier, 0
	.set _ZN7rocprim17ROCPRIM_400000_NS6detail17trampoline_kernelINS0_14default_configENS1_38merge_sort_block_merge_config_selectorIiNS0_10empty_typeEEEZZNS1_27merge_sort_block_merge_implIS3_N6thrust23THRUST_200600_302600_NS6detail15normal_iteratorINS9_10device_ptrIiEEEEPS5_jNS1_19radix_merge_compareILb1ELb1EiNS0_19identity_decomposerEEEEE10hipError_tT0_T1_T2_jT3_P12ihipStream_tbPNSt15iterator_traitsISK_E10value_typeEPNSQ_ISL_E10value_typeEPSM_NS1_7vsmem_tEENKUlT_SK_SL_SM_E_clISE_PiSF_SF_EESJ_SZ_SK_SL_SM_EUlSZ_E0_NS1_11comp_targetILNS1_3genE9ELNS1_11target_archE1100ELNS1_3gpuE3ELNS1_3repE0EEENS1_38merge_mergepath_config_static_selectorELNS0_4arch9wavefront6targetE0EEEvSL_.private_seg_size, 0
	.set _ZN7rocprim17ROCPRIM_400000_NS6detail17trampoline_kernelINS0_14default_configENS1_38merge_sort_block_merge_config_selectorIiNS0_10empty_typeEEEZZNS1_27merge_sort_block_merge_implIS3_N6thrust23THRUST_200600_302600_NS6detail15normal_iteratorINS9_10device_ptrIiEEEEPS5_jNS1_19radix_merge_compareILb1ELb1EiNS0_19identity_decomposerEEEEE10hipError_tT0_T1_T2_jT3_P12ihipStream_tbPNSt15iterator_traitsISK_E10value_typeEPNSQ_ISL_E10value_typeEPSM_NS1_7vsmem_tEENKUlT_SK_SL_SM_E_clISE_PiSF_SF_EESJ_SZ_SK_SL_SM_EUlSZ_E0_NS1_11comp_targetILNS1_3genE9ELNS1_11target_archE1100ELNS1_3gpuE3ELNS1_3repE0EEENS1_38merge_mergepath_config_static_selectorELNS0_4arch9wavefront6targetE0EEEvSL_.uses_vcc, 0
	.set _ZN7rocprim17ROCPRIM_400000_NS6detail17trampoline_kernelINS0_14default_configENS1_38merge_sort_block_merge_config_selectorIiNS0_10empty_typeEEEZZNS1_27merge_sort_block_merge_implIS3_N6thrust23THRUST_200600_302600_NS6detail15normal_iteratorINS9_10device_ptrIiEEEEPS5_jNS1_19radix_merge_compareILb1ELb1EiNS0_19identity_decomposerEEEEE10hipError_tT0_T1_T2_jT3_P12ihipStream_tbPNSt15iterator_traitsISK_E10value_typeEPNSQ_ISL_E10value_typeEPSM_NS1_7vsmem_tEENKUlT_SK_SL_SM_E_clISE_PiSF_SF_EESJ_SZ_SK_SL_SM_EUlSZ_E0_NS1_11comp_targetILNS1_3genE9ELNS1_11target_archE1100ELNS1_3gpuE3ELNS1_3repE0EEENS1_38merge_mergepath_config_static_selectorELNS0_4arch9wavefront6targetE0EEEvSL_.uses_flat_scratch, 0
	.set _ZN7rocprim17ROCPRIM_400000_NS6detail17trampoline_kernelINS0_14default_configENS1_38merge_sort_block_merge_config_selectorIiNS0_10empty_typeEEEZZNS1_27merge_sort_block_merge_implIS3_N6thrust23THRUST_200600_302600_NS6detail15normal_iteratorINS9_10device_ptrIiEEEEPS5_jNS1_19radix_merge_compareILb1ELb1EiNS0_19identity_decomposerEEEEE10hipError_tT0_T1_T2_jT3_P12ihipStream_tbPNSt15iterator_traitsISK_E10value_typeEPNSQ_ISL_E10value_typeEPSM_NS1_7vsmem_tEENKUlT_SK_SL_SM_E_clISE_PiSF_SF_EESJ_SZ_SK_SL_SM_EUlSZ_E0_NS1_11comp_targetILNS1_3genE9ELNS1_11target_archE1100ELNS1_3gpuE3ELNS1_3repE0EEENS1_38merge_mergepath_config_static_selectorELNS0_4arch9wavefront6targetE0EEEvSL_.has_dyn_sized_stack, 0
	.set _ZN7rocprim17ROCPRIM_400000_NS6detail17trampoline_kernelINS0_14default_configENS1_38merge_sort_block_merge_config_selectorIiNS0_10empty_typeEEEZZNS1_27merge_sort_block_merge_implIS3_N6thrust23THRUST_200600_302600_NS6detail15normal_iteratorINS9_10device_ptrIiEEEEPS5_jNS1_19radix_merge_compareILb1ELb1EiNS0_19identity_decomposerEEEEE10hipError_tT0_T1_T2_jT3_P12ihipStream_tbPNSt15iterator_traitsISK_E10value_typeEPNSQ_ISL_E10value_typeEPSM_NS1_7vsmem_tEENKUlT_SK_SL_SM_E_clISE_PiSF_SF_EESJ_SZ_SK_SL_SM_EUlSZ_E0_NS1_11comp_targetILNS1_3genE9ELNS1_11target_archE1100ELNS1_3gpuE3ELNS1_3repE0EEENS1_38merge_mergepath_config_static_selectorELNS0_4arch9wavefront6targetE0EEEvSL_.has_recursion, 0
	.set _ZN7rocprim17ROCPRIM_400000_NS6detail17trampoline_kernelINS0_14default_configENS1_38merge_sort_block_merge_config_selectorIiNS0_10empty_typeEEEZZNS1_27merge_sort_block_merge_implIS3_N6thrust23THRUST_200600_302600_NS6detail15normal_iteratorINS9_10device_ptrIiEEEEPS5_jNS1_19radix_merge_compareILb1ELb1EiNS0_19identity_decomposerEEEEE10hipError_tT0_T1_T2_jT3_P12ihipStream_tbPNSt15iterator_traitsISK_E10value_typeEPNSQ_ISL_E10value_typeEPSM_NS1_7vsmem_tEENKUlT_SK_SL_SM_E_clISE_PiSF_SF_EESJ_SZ_SK_SL_SM_EUlSZ_E0_NS1_11comp_targetILNS1_3genE9ELNS1_11target_archE1100ELNS1_3gpuE3ELNS1_3repE0EEENS1_38merge_mergepath_config_static_selectorELNS0_4arch9wavefront6targetE0EEEvSL_.has_indirect_call, 0
	.section	.AMDGPU.csdata,"",@progbits
; Kernel info:
; codeLenInByte = 0
; TotalNumSgprs: 0
; NumVgprs: 0
; ScratchSize: 0
; MemoryBound: 0
; FloatMode: 240
; IeeeMode: 1
; LDSByteSize: 0 bytes/workgroup (compile time only)
; SGPRBlocks: 0
; VGPRBlocks: 0
; NumSGPRsForWavesPerEU: 1
; NumVGPRsForWavesPerEU: 1
; Occupancy: 16
; WaveLimiterHint : 0
; COMPUTE_PGM_RSRC2:SCRATCH_EN: 0
; COMPUTE_PGM_RSRC2:USER_SGPR: 6
; COMPUTE_PGM_RSRC2:TRAP_HANDLER: 0
; COMPUTE_PGM_RSRC2:TGID_X_EN: 1
; COMPUTE_PGM_RSRC2:TGID_Y_EN: 0
; COMPUTE_PGM_RSRC2:TGID_Z_EN: 0
; COMPUTE_PGM_RSRC2:TIDIG_COMP_CNT: 0
	.section	.text._ZN7rocprim17ROCPRIM_400000_NS6detail17trampoline_kernelINS0_14default_configENS1_38merge_sort_block_merge_config_selectorIiNS0_10empty_typeEEEZZNS1_27merge_sort_block_merge_implIS3_N6thrust23THRUST_200600_302600_NS6detail15normal_iteratorINS9_10device_ptrIiEEEEPS5_jNS1_19radix_merge_compareILb1ELb1EiNS0_19identity_decomposerEEEEE10hipError_tT0_T1_T2_jT3_P12ihipStream_tbPNSt15iterator_traitsISK_E10value_typeEPNSQ_ISL_E10value_typeEPSM_NS1_7vsmem_tEENKUlT_SK_SL_SM_E_clISE_PiSF_SF_EESJ_SZ_SK_SL_SM_EUlSZ_E0_NS1_11comp_targetILNS1_3genE8ELNS1_11target_archE1030ELNS1_3gpuE2ELNS1_3repE0EEENS1_38merge_mergepath_config_static_selectorELNS0_4arch9wavefront6targetE0EEEvSL_,"axG",@progbits,_ZN7rocprim17ROCPRIM_400000_NS6detail17trampoline_kernelINS0_14default_configENS1_38merge_sort_block_merge_config_selectorIiNS0_10empty_typeEEEZZNS1_27merge_sort_block_merge_implIS3_N6thrust23THRUST_200600_302600_NS6detail15normal_iteratorINS9_10device_ptrIiEEEEPS5_jNS1_19radix_merge_compareILb1ELb1EiNS0_19identity_decomposerEEEEE10hipError_tT0_T1_T2_jT3_P12ihipStream_tbPNSt15iterator_traitsISK_E10value_typeEPNSQ_ISL_E10value_typeEPSM_NS1_7vsmem_tEENKUlT_SK_SL_SM_E_clISE_PiSF_SF_EESJ_SZ_SK_SL_SM_EUlSZ_E0_NS1_11comp_targetILNS1_3genE8ELNS1_11target_archE1030ELNS1_3gpuE2ELNS1_3repE0EEENS1_38merge_mergepath_config_static_selectorELNS0_4arch9wavefront6targetE0EEEvSL_,comdat
	.protected	_ZN7rocprim17ROCPRIM_400000_NS6detail17trampoline_kernelINS0_14default_configENS1_38merge_sort_block_merge_config_selectorIiNS0_10empty_typeEEEZZNS1_27merge_sort_block_merge_implIS3_N6thrust23THRUST_200600_302600_NS6detail15normal_iteratorINS9_10device_ptrIiEEEEPS5_jNS1_19radix_merge_compareILb1ELb1EiNS0_19identity_decomposerEEEEE10hipError_tT0_T1_T2_jT3_P12ihipStream_tbPNSt15iterator_traitsISK_E10value_typeEPNSQ_ISL_E10value_typeEPSM_NS1_7vsmem_tEENKUlT_SK_SL_SM_E_clISE_PiSF_SF_EESJ_SZ_SK_SL_SM_EUlSZ_E0_NS1_11comp_targetILNS1_3genE8ELNS1_11target_archE1030ELNS1_3gpuE2ELNS1_3repE0EEENS1_38merge_mergepath_config_static_selectorELNS0_4arch9wavefront6targetE0EEEvSL_ ; -- Begin function _ZN7rocprim17ROCPRIM_400000_NS6detail17trampoline_kernelINS0_14default_configENS1_38merge_sort_block_merge_config_selectorIiNS0_10empty_typeEEEZZNS1_27merge_sort_block_merge_implIS3_N6thrust23THRUST_200600_302600_NS6detail15normal_iteratorINS9_10device_ptrIiEEEEPS5_jNS1_19radix_merge_compareILb1ELb1EiNS0_19identity_decomposerEEEEE10hipError_tT0_T1_T2_jT3_P12ihipStream_tbPNSt15iterator_traitsISK_E10value_typeEPNSQ_ISL_E10value_typeEPSM_NS1_7vsmem_tEENKUlT_SK_SL_SM_E_clISE_PiSF_SF_EESJ_SZ_SK_SL_SM_EUlSZ_E0_NS1_11comp_targetILNS1_3genE8ELNS1_11target_archE1030ELNS1_3gpuE2ELNS1_3repE0EEENS1_38merge_mergepath_config_static_selectorELNS0_4arch9wavefront6targetE0EEEvSL_
	.globl	_ZN7rocprim17ROCPRIM_400000_NS6detail17trampoline_kernelINS0_14default_configENS1_38merge_sort_block_merge_config_selectorIiNS0_10empty_typeEEEZZNS1_27merge_sort_block_merge_implIS3_N6thrust23THRUST_200600_302600_NS6detail15normal_iteratorINS9_10device_ptrIiEEEEPS5_jNS1_19radix_merge_compareILb1ELb1EiNS0_19identity_decomposerEEEEE10hipError_tT0_T1_T2_jT3_P12ihipStream_tbPNSt15iterator_traitsISK_E10value_typeEPNSQ_ISL_E10value_typeEPSM_NS1_7vsmem_tEENKUlT_SK_SL_SM_E_clISE_PiSF_SF_EESJ_SZ_SK_SL_SM_EUlSZ_E0_NS1_11comp_targetILNS1_3genE8ELNS1_11target_archE1030ELNS1_3gpuE2ELNS1_3repE0EEENS1_38merge_mergepath_config_static_selectorELNS0_4arch9wavefront6targetE0EEEvSL_
	.p2align	8
	.type	_ZN7rocprim17ROCPRIM_400000_NS6detail17trampoline_kernelINS0_14default_configENS1_38merge_sort_block_merge_config_selectorIiNS0_10empty_typeEEEZZNS1_27merge_sort_block_merge_implIS3_N6thrust23THRUST_200600_302600_NS6detail15normal_iteratorINS9_10device_ptrIiEEEEPS5_jNS1_19radix_merge_compareILb1ELb1EiNS0_19identity_decomposerEEEEE10hipError_tT0_T1_T2_jT3_P12ihipStream_tbPNSt15iterator_traitsISK_E10value_typeEPNSQ_ISL_E10value_typeEPSM_NS1_7vsmem_tEENKUlT_SK_SL_SM_E_clISE_PiSF_SF_EESJ_SZ_SK_SL_SM_EUlSZ_E0_NS1_11comp_targetILNS1_3genE8ELNS1_11target_archE1030ELNS1_3gpuE2ELNS1_3repE0EEENS1_38merge_mergepath_config_static_selectorELNS0_4arch9wavefront6targetE0EEEvSL_,@function
_ZN7rocprim17ROCPRIM_400000_NS6detail17trampoline_kernelINS0_14default_configENS1_38merge_sort_block_merge_config_selectorIiNS0_10empty_typeEEEZZNS1_27merge_sort_block_merge_implIS3_N6thrust23THRUST_200600_302600_NS6detail15normal_iteratorINS9_10device_ptrIiEEEEPS5_jNS1_19radix_merge_compareILb1ELb1EiNS0_19identity_decomposerEEEEE10hipError_tT0_T1_T2_jT3_P12ihipStream_tbPNSt15iterator_traitsISK_E10value_typeEPNSQ_ISL_E10value_typeEPSM_NS1_7vsmem_tEENKUlT_SK_SL_SM_E_clISE_PiSF_SF_EESJ_SZ_SK_SL_SM_EUlSZ_E0_NS1_11comp_targetILNS1_3genE8ELNS1_11target_archE1030ELNS1_3gpuE2ELNS1_3repE0EEENS1_38merge_mergepath_config_static_selectorELNS0_4arch9wavefront6targetE0EEEvSL_: ; @_ZN7rocprim17ROCPRIM_400000_NS6detail17trampoline_kernelINS0_14default_configENS1_38merge_sort_block_merge_config_selectorIiNS0_10empty_typeEEEZZNS1_27merge_sort_block_merge_implIS3_N6thrust23THRUST_200600_302600_NS6detail15normal_iteratorINS9_10device_ptrIiEEEEPS5_jNS1_19radix_merge_compareILb1ELb1EiNS0_19identity_decomposerEEEEE10hipError_tT0_T1_T2_jT3_P12ihipStream_tbPNSt15iterator_traitsISK_E10value_typeEPNSQ_ISL_E10value_typeEPSM_NS1_7vsmem_tEENKUlT_SK_SL_SM_E_clISE_PiSF_SF_EESJ_SZ_SK_SL_SM_EUlSZ_E0_NS1_11comp_targetILNS1_3genE8ELNS1_11target_archE1030ELNS1_3gpuE2ELNS1_3repE0EEENS1_38merge_mergepath_config_static_selectorELNS0_4arch9wavefront6targetE0EEEvSL_
; %bb.0:
	s_clause 0x1
	s_load_dwordx2 s[14:15], s[4:5], 0x40
	s_load_dwordx2 s[2:3], s[4:5], 0x30
	s_add_u32 s12, s4, 64
	s_addc_u32 s13, s5, 0
	s_waitcnt lgkmcnt(0)
	s_mul_i32 s0, s15, s8
	s_add_i32 s0, s0, s7
	s_mul_i32 s0, s0, s14
	s_add_i32 s0, s0, s6
	s_cmp_ge_u32 s0, s2
	s_cbranch_scc1 .LBB309_27
; %bb.1:
	s_clause 0x2
	s_load_dwordx2 s[8:9], s[4:5], 0x28
	s_load_dwordx2 s[10:11], s[4:5], 0x38
	;; [unrolled: 1-line block ×3, first 2 shown]
	s_mov_b32 s1, 0
	v_mov_b32_e32 v2, 0
	s_mov_b32 s21, s1
                                        ; implicit-def: $vgpr5
	global_load_dword v1, v2, s[12:13] offset:14
	s_waitcnt lgkmcnt(0)
	s_lshr_b32 s22, s8, 10
	s_cmp_lg_u32 s0, s22
	s_cselect_b32 s7, -1, 0
	s_lshl_b64 s[16:17], s[0:1], 2
	s_add_u32 s10, s10, s16
	s_addc_u32 s11, s11, s17
	s_lshr_b32 s2, s9, 9
	s_load_dwordx2 s[16:17], s[10:11], 0x0
	s_and_b32 s2, s2, 0x7ffffe
	s_lshl_b32 s10, s0, 10
	s_sub_i32 s2, 0, s2
	s_and_b32 s11, s0, s2
	s_or_b32 s2, s0, s2
	s_lshl_b32 s15, s11, 11
	s_lshl_b32 s11, s11, 10
	s_add_i32 s15, s15, s9
	s_sub_i32 s20, s10, s11
	s_sub_i32 s11, s15, s11
	s_add_i32 s15, s15, s20
	s_min_u32 s23, s8, s11
	s_add_i32 s11, s11, s9
	s_waitcnt lgkmcnt(0)
	s_sub_i32 s9, s15, s16
	s_sub_i32 s15, s15, s17
	s_min_u32 s20, s8, s9
	s_addk_i32 s15, 0x400
	s_cmp_eq_u32 s2, -1
	s_cselect_b32 s2, s11, s15
	s_cselect_b32 s9, s23, s17
	s_mov_b32 s17, s1
	s_min_u32 s11, s2, s8
	s_sub_i32 s2, s9, s16
	s_lshl_b64 s[16:17], s[16:17], 2
	s_sub_i32 s9, s11, s20
	s_add_u32 s16, s18, s16
	s_addc_u32 s17, s19, s17
	s_lshl_b64 s[20:21], s[20:21], 2
	s_add_u32 s11, s18, s20
	s_addc_u32 s15, s19, s21
	s_cmp_lt_u32 s6, s14
	s_cselect_b32 s6, 12, 18
	s_add_u32 s12, s12, s6
	s_addc_u32 s13, s13, 0
	s_cmp_eq_u32 s0, s22
	global_load_ushort v3, v2, s[12:13]
	s_mov_b32 s0, -1
	s_waitcnt vmcnt(1)
	v_lshrrev_b32_e32 v4, 16, v1
	v_and_b32_e32 v1, 0xffff, v1
	v_mul_lo_u32 v1, v1, v4
                                        ; implicit-def: $vgpr4
	s_waitcnt vmcnt(0)
	v_mul_lo_u32 v7, v1, v3
	v_lshlrev_b32_e32 v3, 2, v0
                                        ; implicit-def: $vgpr1
	v_add_nc_u32_e32 v6, v7, v0
	s_cbranch_scc0 .LBB309_17
; %bb.2:
	s_andn2_b32 vcc_lo, exec_lo, s0
	s_cbranch_vccz .LBB309_18
.LBB309_3:
	v_mov_b32_e32 v2, 0
	s_and_saveexec_b32 s6, s1
	s_cbranch_execz .LBB309_5
.LBB309_4:
	v_mov_b32_e32 v7, 0
	v_mov_b32_e32 v2, v7
	v_lshlrev_b64 v[8:9], 2, v[1:2]
	v_add_co_u32 v8, vcc_lo, s16, v8
	v_add_co_ci_u32_e64 v9, null, s17, v9, vcc_lo
	v_sub_co_u32 v6, vcc_lo, v1, s2
	v_lshlrev_b64 v[1:2], 2, v[6:7]
	v_add_co_u32 v1, s0, s11, v1
	v_add_co_ci_u32_e64 v2, null, s15, v2, s0
	v_cndmask_b32_e32 v1, v1, v8, vcc_lo
	v_cndmask_b32_e32 v2, v2, v9, vcc_lo
	global_load_dword v2, v[1:2], off
.LBB309_5:
	s_or_b32 exec_lo, exec_lo, s6
	s_load_dwordx2 s[4:5], s[4:5], 0x10
	v_lshlrev_b32_e32 v1, 1, v0
	s_mov_b32 s0, exec_lo
	s_waitcnt vmcnt(0)
	ds_write2st64_b32 v3, v4, v2 offset1:8
	s_waitcnt lgkmcnt(0)
	s_barrier
	v_min_u32_e32 v7, v5, v1
	buffer_gl0_inv
	v_sub_nc_u32_e64 v6, v7, s9 clamp
	v_min_u32_e32 v8, s2, v7
	v_cmpx_lt_u32_e64 v6, v8
	s_cbranch_execz .LBB309_9
; %bb.6:
	v_lshlrev_b32_e32 v9, 2, v7
	s_mov_b32 s1, 0
	v_lshl_add_u32 v9, s2, 2, v9
	.p2align	6
.LBB309_7:                              ; =>This Inner Loop Header: Depth=1
	v_add_nc_u32_e32 v10, v8, v6
	v_lshrrev_b32_e32 v10, 1, v10
	v_not_b32_e32 v11, v10
	v_lshlrev_b32_e32 v12, 2, v10
	v_add_nc_u32_e32 v13, 1, v10
	v_lshl_add_u32 v11, v11, 2, v9
	ds_read_b32 v12, v12
	ds_read_b32 v11, v11
	s_waitcnt lgkmcnt(1)
	v_and_b32_e32 v12, s3, v12
	s_waitcnt lgkmcnt(0)
	v_and_b32_e32 v11, s3, v11
	v_cmp_gt_i32_e32 vcc_lo, v11, v12
	v_cndmask_b32_e32 v8, v8, v10, vcc_lo
	v_cndmask_b32_e32 v6, v13, v6, vcc_lo
	v_cmp_ge_u32_e32 vcc_lo, v6, v8
	s_or_b32 s1, vcc_lo, s1
	s_andn2_b32 exec_lo, exec_lo, s1
	s_cbranch_execnz .LBB309_7
; %bb.8:
	s_or_b32 exec_lo, exec_lo, s1
.LBB309_9:
	s_or_b32 exec_lo, exec_lo, s0
	v_sub_nc_u32_e32 v7, v7, v6
	v_cmp_ge_u32_e32 vcc_lo, s2, v6
	v_add_nc_u32_e32 v7, s2, v7
	v_cmp_le_u32_e64 s0, v7, v5
	s_or_b32 s0, vcc_lo, s0
	s_and_saveexec_b32 s6, s0
	s_cbranch_execz .LBB309_15
; %bb.10:
	v_cmp_gt_u32_e32 vcc_lo, s2, v6
                                        ; implicit-def: $vgpr2
	s_and_saveexec_b32 s0, vcc_lo
; %bb.11:
	v_lshlrev_b32_e32 v2, 2, v6
	ds_read_b32 v2, v2
; %bb.12:
	s_or_b32 exec_lo, exec_lo, s0
	v_cmp_ge_u32_e64 s0, v7, v5
	s_mov_b32 s9, exec_lo
                                        ; implicit-def: $vgpr4
	v_cmpx_lt_u32_e64 v7, v5
; %bb.13:
	v_lshlrev_b32_e32 v4, 2, v7
	ds_read_b32 v4, v4
; %bb.14:
	s_or_b32 exec_lo, exec_lo, s9
	s_waitcnt lgkmcnt(0)
	v_and_b32_e32 v8, s3, v4
	v_and_b32_e32 v9, s3, v2
	v_cmp_le_i32_e64 s1, v8, v9
	s_and_b32 s1, vcc_lo, s1
	s_or_b32 vcc_lo, s0, s1
	v_cndmask_b32_e32 v8, v7, v6, vcc_lo
	v_cndmask_b32_e64 v9, v5, s2, vcc_lo
	v_add_nc_u32_e32 v8, 1, v8
	v_add_nc_u32_e32 v9, -1, v9
	v_cndmask_b32_e32 v6, v6, v8, vcc_lo
	v_min_u32_e32 v9, v8, v9
	v_cndmask_b32_e32 v7, v8, v7, vcc_lo
	v_cmp_gt_u32_e64 s0, s2, v6
	v_lshlrev_b32_e32 v9, 2, v9
	v_cmp_ge_u32_e64 s2, v7, v5
	ds_read_b32 v9, v9
	s_waitcnt lgkmcnt(0)
	v_cndmask_b32_e32 v10, v9, v4, vcc_lo
	v_cndmask_b32_e32 v9, v2, v9, vcc_lo
	;; [unrolled: 1-line block ×3, first 2 shown]
	v_and_b32_e32 v11, s3, v10
	v_and_b32_e32 v12, s3, v9
	v_cmp_le_i32_e64 s1, v11, v12
	s_and_b32 s0, s0, s1
	s_or_b32 vcc_lo, s2, s0
	v_cndmask_b32_e32 v2, v10, v9, vcc_lo
.LBB309_15:
	s_or_b32 exec_lo, exec_lo, s6
	v_lshrrev_b32_e32 v6, 2, v0
	v_or_b32_e32 v5, 0x200, v0
	v_lshrrev_b32_e32 v7, 3, v0
	s_mov_b32 s11, 0
	v_and_b32_e32 v6, 0x7c, v6
	v_lshrrev_b32_e32 v8, 3, v5
	s_lshl_b64 s[0:1], s[10:11], 2
	s_barrier
	s_add_u32 s0, s4, s0
	v_lshl_add_u32 v1, v1, 2, v6
	v_and_b32_e32 v6, 60, v7
	v_and_b32_e32 v7, 0x7c, v8
	buffer_gl0_inv
	s_barrier
	buffer_gl0_inv
	s_addc_u32 s1, s5, s1
	ds_write2_b32 v1, v4, v2 offset1:1
	v_add_co_u32 v1, s0, s0, v3
	v_add_nc_u32_e32 v4, v6, v3
	v_add_nc_u32_e32 v6, v7, v3
	v_add_co_ci_u32_e64 v2, null, s1, 0, s0
	s_and_b32 vcc_lo, exec_lo, s7
	s_waitcnt lgkmcnt(0)
	s_cbranch_vccz .LBB309_21
; %bb.16:
	s_barrier
	buffer_gl0_inv
	ds_read_b32 v7, v4
	ds_read_b32 v3, v6 offset:2048
	s_mov_b32 s11, -1
	s_waitcnt lgkmcnt(1)
	global_store_dword v[1:2], v7, off
	s_cbranch_execz .LBB309_22
	s_branch .LBB309_25
.LBB309_17:
	v_sub_co_u32 v1, vcc_lo, v0, s2
	v_add_co_u32 v4, s0, s16, v3
	v_add_co_ci_u32_e64 v5, null, s17, 0, s0
	v_lshlrev_b64 v[1:2], 2, v[1:2]
	s_mov_b32 s1, -1
	v_add_co_u32 v1, s0, s11, v1
	v_add_co_ci_u32_e64 v2, null, s15, v2, s0
	s_add_i32 s0, s9, s2
	v_cndmask_b32_e32 v1, v1, v4, vcc_lo
	v_cndmask_b32_e32 v2, v2, v5, vcc_lo
	v_mov_b32_e32 v5, s0
	global_load_dword v4, v[1:2], off
	v_add_nc_u32_e32 v1, v7, v0
	s_cbranch_execnz .LBB309_3
.LBB309_18:
	s_waitcnt vmcnt(0)
	v_mov_b32_e32 v4, 0
	s_add_i32 s6, s9, s2
	s_mov_b32 s1, exec_lo
	v_cmpx_gt_u32_e64 s6, v0
	s_cbranch_execz .LBB309_20
; %bb.19:
	v_sub_co_u32 v1, vcc_lo, v0, s2
	v_mov_b32_e32 v2, 0
	v_add_co_u32 v4, s0, s16, v3
	v_add_co_ci_u32_e64 v5, null, s17, 0, s0
	v_lshlrev_b64 v[1:2], 2, v[1:2]
	v_add_co_u32 v1, s0, s11, v1
	v_add_co_ci_u32_e64 v2, null, s15, v2, s0
	v_cndmask_b32_e32 v1, v1, v4, vcc_lo
	v_cndmask_b32_e32 v2, v2, v5, vcc_lo
	global_load_dword v4, v[1:2], off
.LBB309_20:
	s_or_b32 exec_lo, exec_lo, s1
	v_cmp_gt_u32_e64 s1, s6, v6
	v_mov_b32_e32 v5, s6
	v_mov_b32_e32 v1, v6
	;; [unrolled: 1-line block ×3, first 2 shown]
	s_and_saveexec_b32 s6, s1
	s_cbranch_execnz .LBB309_4
	s_branch .LBB309_5
.LBB309_21:
                                        ; implicit-def: $vgpr3
.LBB309_22:
	s_barrier
	s_waitcnt lgkmcnt(0)
	s_waitcnt_vscnt null, 0x0
	buffer_gl0_inv
	ds_read_b32 v3, v6 offset:2048
	s_sub_i32 s0, s8, s10
	s_mov_b32 s1, exec_lo
	v_cmpx_gt_u32_e64 s0, v0
	s_cbranch_execz .LBB309_24
; %bb.23:
	ds_read_b32 v0, v4
	s_waitcnt lgkmcnt(0)
	global_store_dword v[1:2], v0, off
.LBB309_24:
	s_or_b32 exec_lo, exec_lo, s1
	v_cmp_gt_u32_e64 s11, s0, v5
.LBB309_25:
	s_and_saveexec_b32 s0, s11
	s_cbranch_execz .LBB309_27
; %bb.26:
	v_add_co_u32 v0, vcc_lo, 0x800, v1
	v_add_co_ci_u32_e64 v1, null, 0, v2, vcc_lo
	s_waitcnt lgkmcnt(0)
	global_store_dword v[0:1], v3, off
.LBB309_27:
	s_endpgm
	.section	.rodata,"a",@progbits
	.p2align	6, 0x0
	.amdhsa_kernel _ZN7rocprim17ROCPRIM_400000_NS6detail17trampoline_kernelINS0_14default_configENS1_38merge_sort_block_merge_config_selectorIiNS0_10empty_typeEEEZZNS1_27merge_sort_block_merge_implIS3_N6thrust23THRUST_200600_302600_NS6detail15normal_iteratorINS9_10device_ptrIiEEEEPS5_jNS1_19radix_merge_compareILb1ELb1EiNS0_19identity_decomposerEEEEE10hipError_tT0_T1_T2_jT3_P12ihipStream_tbPNSt15iterator_traitsISK_E10value_typeEPNSQ_ISL_E10value_typeEPSM_NS1_7vsmem_tEENKUlT_SK_SL_SM_E_clISE_PiSF_SF_EESJ_SZ_SK_SL_SM_EUlSZ_E0_NS1_11comp_targetILNS1_3genE8ELNS1_11target_archE1030ELNS1_3gpuE2ELNS1_3repE0EEENS1_38merge_mergepath_config_static_selectorELNS0_4arch9wavefront6targetE0EEEvSL_
		.amdhsa_group_segment_fixed_size 4224
		.amdhsa_private_segment_fixed_size 0
		.amdhsa_kernarg_size 320
		.amdhsa_user_sgpr_count 6
		.amdhsa_user_sgpr_private_segment_buffer 1
		.amdhsa_user_sgpr_dispatch_ptr 0
		.amdhsa_user_sgpr_queue_ptr 0
		.amdhsa_user_sgpr_kernarg_segment_ptr 1
		.amdhsa_user_sgpr_dispatch_id 0
		.amdhsa_user_sgpr_flat_scratch_init 0
		.amdhsa_user_sgpr_private_segment_size 0
		.amdhsa_wavefront_size32 1
		.amdhsa_uses_dynamic_stack 0
		.amdhsa_system_sgpr_private_segment_wavefront_offset 0
		.amdhsa_system_sgpr_workgroup_id_x 1
		.amdhsa_system_sgpr_workgroup_id_y 1
		.amdhsa_system_sgpr_workgroup_id_z 1
		.amdhsa_system_sgpr_workgroup_info 0
		.amdhsa_system_vgpr_workitem_id 0
		.amdhsa_next_free_vgpr 14
		.amdhsa_next_free_sgpr 24
		.amdhsa_reserve_vcc 1
		.amdhsa_reserve_flat_scratch 0
		.amdhsa_float_round_mode_32 0
		.amdhsa_float_round_mode_16_64 0
		.amdhsa_float_denorm_mode_32 3
		.amdhsa_float_denorm_mode_16_64 3
		.amdhsa_dx10_clamp 1
		.amdhsa_ieee_mode 1
		.amdhsa_fp16_overflow 0
		.amdhsa_workgroup_processor_mode 1
		.amdhsa_memory_ordered 1
		.amdhsa_forward_progress 1
		.amdhsa_shared_vgpr_count 0
		.amdhsa_exception_fp_ieee_invalid_op 0
		.amdhsa_exception_fp_denorm_src 0
		.amdhsa_exception_fp_ieee_div_zero 0
		.amdhsa_exception_fp_ieee_overflow 0
		.amdhsa_exception_fp_ieee_underflow 0
		.amdhsa_exception_fp_ieee_inexact 0
		.amdhsa_exception_int_div_zero 0
	.end_amdhsa_kernel
	.section	.text._ZN7rocprim17ROCPRIM_400000_NS6detail17trampoline_kernelINS0_14default_configENS1_38merge_sort_block_merge_config_selectorIiNS0_10empty_typeEEEZZNS1_27merge_sort_block_merge_implIS3_N6thrust23THRUST_200600_302600_NS6detail15normal_iteratorINS9_10device_ptrIiEEEEPS5_jNS1_19radix_merge_compareILb1ELb1EiNS0_19identity_decomposerEEEEE10hipError_tT0_T1_T2_jT3_P12ihipStream_tbPNSt15iterator_traitsISK_E10value_typeEPNSQ_ISL_E10value_typeEPSM_NS1_7vsmem_tEENKUlT_SK_SL_SM_E_clISE_PiSF_SF_EESJ_SZ_SK_SL_SM_EUlSZ_E0_NS1_11comp_targetILNS1_3genE8ELNS1_11target_archE1030ELNS1_3gpuE2ELNS1_3repE0EEENS1_38merge_mergepath_config_static_selectorELNS0_4arch9wavefront6targetE0EEEvSL_,"axG",@progbits,_ZN7rocprim17ROCPRIM_400000_NS6detail17trampoline_kernelINS0_14default_configENS1_38merge_sort_block_merge_config_selectorIiNS0_10empty_typeEEEZZNS1_27merge_sort_block_merge_implIS3_N6thrust23THRUST_200600_302600_NS6detail15normal_iteratorINS9_10device_ptrIiEEEEPS5_jNS1_19radix_merge_compareILb1ELb1EiNS0_19identity_decomposerEEEEE10hipError_tT0_T1_T2_jT3_P12ihipStream_tbPNSt15iterator_traitsISK_E10value_typeEPNSQ_ISL_E10value_typeEPSM_NS1_7vsmem_tEENKUlT_SK_SL_SM_E_clISE_PiSF_SF_EESJ_SZ_SK_SL_SM_EUlSZ_E0_NS1_11comp_targetILNS1_3genE8ELNS1_11target_archE1030ELNS1_3gpuE2ELNS1_3repE0EEENS1_38merge_mergepath_config_static_selectorELNS0_4arch9wavefront6targetE0EEEvSL_,comdat
.Lfunc_end309:
	.size	_ZN7rocprim17ROCPRIM_400000_NS6detail17trampoline_kernelINS0_14default_configENS1_38merge_sort_block_merge_config_selectorIiNS0_10empty_typeEEEZZNS1_27merge_sort_block_merge_implIS3_N6thrust23THRUST_200600_302600_NS6detail15normal_iteratorINS9_10device_ptrIiEEEEPS5_jNS1_19radix_merge_compareILb1ELb1EiNS0_19identity_decomposerEEEEE10hipError_tT0_T1_T2_jT3_P12ihipStream_tbPNSt15iterator_traitsISK_E10value_typeEPNSQ_ISL_E10value_typeEPSM_NS1_7vsmem_tEENKUlT_SK_SL_SM_E_clISE_PiSF_SF_EESJ_SZ_SK_SL_SM_EUlSZ_E0_NS1_11comp_targetILNS1_3genE8ELNS1_11target_archE1030ELNS1_3gpuE2ELNS1_3repE0EEENS1_38merge_mergepath_config_static_selectorELNS0_4arch9wavefront6targetE0EEEvSL_, .Lfunc_end309-_ZN7rocprim17ROCPRIM_400000_NS6detail17trampoline_kernelINS0_14default_configENS1_38merge_sort_block_merge_config_selectorIiNS0_10empty_typeEEEZZNS1_27merge_sort_block_merge_implIS3_N6thrust23THRUST_200600_302600_NS6detail15normal_iteratorINS9_10device_ptrIiEEEEPS5_jNS1_19radix_merge_compareILb1ELb1EiNS0_19identity_decomposerEEEEE10hipError_tT0_T1_T2_jT3_P12ihipStream_tbPNSt15iterator_traitsISK_E10value_typeEPNSQ_ISL_E10value_typeEPSM_NS1_7vsmem_tEENKUlT_SK_SL_SM_E_clISE_PiSF_SF_EESJ_SZ_SK_SL_SM_EUlSZ_E0_NS1_11comp_targetILNS1_3genE8ELNS1_11target_archE1030ELNS1_3gpuE2ELNS1_3repE0EEENS1_38merge_mergepath_config_static_selectorELNS0_4arch9wavefront6targetE0EEEvSL_
                                        ; -- End function
	.set _ZN7rocprim17ROCPRIM_400000_NS6detail17trampoline_kernelINS0_14default_configENS1_38merge_sort_block_merge_config_selectorIiNS0_10empty_typeEEEZZNS1_27merge_sort_block_merge_implIS3_N6thrust23THRUST_200600_302600_NS6detail15normal_iteratorINS9_10device_ptrIiEEEEPS5_jNS1_19radix_merge_compareILb1ELb1EiNS0_19identity_decomposerEEEEE10hipError_tT0_T1_T2_jT3_P12ihipStream_tbPNSt15iterator_traitsISK_E10value_typeEPNSQ_ISL_E10value_typeEPSM_NS1_7vsmem_tEENKUlT_SK_SL_SM_E_clISE_PiSF_SF_EESJ_SZ_SK_SL_SM_EUlSZ_E0_NS1_11comp_targetILNS1_3genE8ELNS1_11target_archE1030ELNS1_3gpuE2ELNS1_3repE0EEENS1_38merge_mergepath_config_static_selectorELNS0_4arch9wavefront6targetE0EEEvSL_.num_vgpr, 14
	.set _ZN7rocprim17ROCPRIM_400000_NS6detail17trampoline_kernelINS0_14default_configENS1_38merge_sort_block_merge_config_selectorIiNS0_10empty_typeEEEZZNS1_27merge_sort_block_merge_implIS3_N6thrust23THRUST_200600_302600_NS6detail15normal_iteratorINS9_10device_ptrIiEEEEPS5_jNS1_19radix_merge_compareILb1ELb1EiNS0_19identity_decomposerEEEEE10hipError_tT0_T1_T2_jT3_P12ihipStream_tbPNSt15iterator_traitsISK_E10value_typeEPNSQ_ISL_E10value_typeEPSM_NS1_7vsmem_tEENKUlT_SK_SL_SM_E_clISE_PiSF_SF_EESJ_SZ_SK_SL_SM_EUlSZ_E0_NS1_11comp_targetILNS1_3genE8ELNS1_11target_archE1030ELNS1_3gpuE2ELNS1_3repE0EEENS1_38merge_mergepath_config_static_selectorELNS0_4arch9wavefront6targetE0EEEvSL_.num_agpr, 0
	.set _ZN7rocprim17ROCPRIM_400000_NS6detail17trampoline_kernelINS0_14default_configENS1_38merge_sort_block_merge_config_selectorIiNS0_10empty_typeEEEZZNS1_27merge_sort_block_merge_implIS3_N6thrust23THRUST_200600_302600_NS6detail15normal_iteratorINS9_10device_ptrIiEEEEPS5_jNS1_19radix_merge_compareILb1ELb1EiNS0_19identity_decomposerEEEEE10hipError_tT0_T1_T2_jT3_P12ihipStream_tbPNSt15iterator_traitsISK_E10value_typeEPNSQ_ISL_E10value_typeEPSM_NS1_7vsmem_tEENKUlT_SK_SL_SM_E_clISE_PiSF_SF_EESJ_SZ_SK_SL_SM_EUlSZ_E0_NS1_11comp_targetILNS1_3genE8ELNS1_11target_archE1030ELNS1_3gpuE2ELNS1_3repE0EEENS1_38merge_mergepath_config_static_selectorELNS0_4arch9wavefront6targetE0EEEvSL_.numbered_sgpr, 24
	.set _ZN7rocprim17ROCPRIM_400000_NS6detail17trampoline_kernelINS0_14default_configENS1_38merge_sort_block_merge_config_selectorIiNS0_10empty_typeEEEZZNS1_27merge_sort_block_merge_implIS3_N6thrust23THRUST_200600_302600_NS6detail15normal_iteratorINS9_10device_ptrIiEEEEPS5_jNS1_19radix_merge_compareILb1ELb1EiNS0_19identity_decomposerEEEEE10hipError_tT0_T1_T2_jT3_P12ihipStream_tbPNSt15iterator_traitsISK_E10value_typeEPNSQ_ISL_E10value_typeEPSM_NS1_7vsmem_tEENKUlT_SK_SL_SM_E_clISE_PiSF_SF_EESJ_SZ_SK_SL_SM_EUlSZ_E0_NS1_11comp_targetILNS1_3genE8ELNS1_11target_archE1030ELNS1_3gpuE2ELNS1_3repE0EEENS1_38merge_mergepath_config_static_selectorELNS0_4arch9wavefront6targetE0EEEvSL_.num_named_barrier, 0
	.set _ZN7rocprim17ROCPRIM_400000_NS6detail17trampoline_kernelINS0_14default_configENS1_38merge_sort_block_merge_config_selectorIiNS0_10empty_typeEEEZZNS1_27merge_sort_block_merge_implIS3_N6thrust23THRUST_200600_302600_NS6detail15normal_iteratorINS9_10device_ptrIiEEEEPS5_jNS1_19radix_merge_compareILb1ELb1EiNS0_19identity_decomposerEEEEE10hipError_tT0_T1_T2_jT3_P12ihipStream_tbPNSt15iterator_traitsISK_E10value_typeEPNSQ_ISL_E10value_typeEPSM_NS1_7vsmem_tEENKUlT_SK_SL_SM_E_clISE_PiSF_SF_EESJ_SZ_SK_SL_SM_EUlSZ_E0_NS1_11comp_targetILNS1_3genE8ELNS1_11target_archE1030ELNS1_3gpuE2ELNS1_3repE0EEENS1_38merge_mergepath_config_static_selectorELNS0_4arch9wavefront6targetE0EEEvSL_.private_seg_size, 0
	.set _ZN7rocprim17ROCPRIM_400000_NS6detail17trampoline_kernelINS0_14default_configENS1_38merge_sort_block_merge_config_selectorIiNS0_10empty_typeEEEZZNS1_27merge_sort_block_merge_implIS3_N6thrust23THRUST_200600_302600_NS6detail15normal_iteratorINS9_10device_ptrIiEEEEPS5_jNS1_19radix_merge_compareILb1ELb1EiNS0_19identity_decomposerEEEEE10hipError_tT0_T1_T2_jT3_P12ihipStream_tbPNSt15iterator_traitsISK_E10value_typeEPNSQ_ISL_E10value_typeEPSM_NS1_7vsmem_tEENKUlT_SK_SL_SM_E_clISE_PiSF_SF_EESJ_SZ_SK_SL_SM_EUlSZ_E0_NS1_11comp_targetILNS1_3genE8ELNS1_11target_archE1030ELNS1_3gpuE2ELNS1_3repE0EEENS1_38merge_mergepath_config_static_selectorELNS0_4arch9wavefront6targetE0EEEvSL_.uses_vcc, 1
	.set _ZN7rocprim17ROCPRIM_400000_NS6detail17trampoline_kernelINS0_14default_configENS1_38merge_sort_block_merge_config_selectorIiNS0_10empty_typeEEEZZNS1_27merge_sort_block_merge_implIS3_N6thrust23THRUST_200600_302600_NS6detail15normal_iteratorINS9_10device_ptrIiEEEEPS5_jNS1_19radix_merge_compareILb1ELb1EiNS0_19identity_decomposerEEEEE10hipError_tT0_T1_T2_jT3_P12ihipStream_tbPNSt15iterator_traitsISK_E10value_typeEPNSQ_ISL_E10value_typeEPSM_NS1_7vsmem_tEENKUlT_SK_SL_SM_E_clISE_PiSF_SF_EESJ_SZ_SK_SL_SM_EUlSZ_E0_NS1_11comp_targetILNS1_3genE8ELNS1_11target_archE1030ELNS1_3gpuE2ELNS1_3repE0EEENS1_38merge_mergepath_config_static_selectorELNS0_4arch9wavefront6targetE0EEEvSL_.uses_flat_scratch, 0
	.set _ZN7rocprim17ROCPRIM_400000_NS6detail17trampoline_kernelINS0_14default_configENS1_38merge_sort_block_merge_config_selectorIiNS0_10empty_typeEEEZZNS1_27merge_sort_block_merge_implIS3_N6thrust23THRUST_200600_302600_NS6detail15normal_iteratorINS9_10device_ptrIiEEEEPS5_jNS1_19radix_merge_compareILb1ELb1EiNS0_19identity_decomposerEEEEE10hipError_tT0_T1_T2_jT3_P12ihipStream_tbPNSt15iterator_traitsISK_E10value_typeEPNSQ_ISL_E10value_typeEPSM_NS1_7vsmem_tEENKUlT_SK_SL_SM_E_clISE_PiSF_SF_EESJ_SZ_SK_SL_SM_EUlSZ_E0_NS1_11comp_targetILNS1_3genE8ELNS1_11target_archE1030ELNS1_3gpuE2ELNS1_3repE0EEENS1_38merge_mergepath_config_static_selectorELNS0_4arch9wavefront6targetE0EEEvSL_.has_dyn_sized_stack, 0
	.set _ZN7rocprim17ROCPRIM_400000_NS6detail17trampoline_kernelINS0_14default_configENS1_38merge_sort_block_merge_config_selectorIiNS0_10empty_typeEEEZZNS1_27merge_sort_block_merge_implIS3_N6thrust23THRUST_200600_302600_NS6detail15normal_iteratorINS9_10device_ptrIiEEEEPS5_jNS1_19radix_merge_compareILb1ELb1EiNS0_19identity_decomposerEEEEE10hipError_tT0_T1_T2_jT3_P12ihipStream_tbPNSt15iterator_traitsISK_E10value_typeEPNSQ_ISL_E10value_typeEPSM_NS1_7vsmem_tEENKUlT_SK_SL_SM_E_clISE_PiSF_SF_EESJ_SZ_SK_SL_SM_EUlSZ_E0_NS1_11comp_targetILNS1_3genE8ELNS1_11target_archE1030ELNS1_3gpuE2ELNS1_3repE0EEENS1_38merge_mergepath_config_static_selectorELNS0_4arch9wavefront6targetE0EEEvSL_.has_recursion, 0
	.set _ZN7rocprim17ROCPRIM_400000_NS6detail17trampoline_kernelINS0_14default_configENS1_38merge_sort_block_merge_config_selectorIiNS0_10empty_typeEEEZZNS1_27merge_sort_block_merge_implIS3_N6thrust23THRUST_200600_302600_NS6detail15normal_iteratorINS9_10device_ptrIiEEEEPS5_jNS1_19radix_merge_compareILb1ELb1EiNS0_19identity_decomposerEEEEE10hipError_tT0_T1_T2_jT3_P12ihipStream_tbPNSt15iterator_traitsISK_E10value_typeEPNSQ_ISL_E10value_typeEPSM_NS1_7vsmem_tEENKUlT_SK_SL_SM_E_clISE_PiSF_SF_EESJ_SZ_SK_SL_SM_EUlSZ_E0_NS1_11comp_targetILNS1_3genE8ELNS1_11target_archE1030ELNS1_3gpuE2ELNS1_3repE0EEENS1_38merge_mergepath_config_static_selectorELNS0_4arch9wavefront6targetE0EEEvSL_.has_indirect_call, 0
	.section	.AMDGPU.csdata,"",@progbits
; Kernel info:
; codeLenInByte = 1424
; TotalNumSgprs: 26
; NumVgprs: 14
; ScratchSize: 0
; MemoryBound: 0
; FloatMode: 240
; IeeeMode: 1
; LDSByteSize: 4224 bytes/workgroup (compile time only)
; SGPRBlocks: 0
; VGPRBlocks: 1
; NumSGPRsForWavesPerEU: 26
; NumVGPRsForWavesPerEU: 14
; Occupancy: 16
; WaveLimiterHint : 1
; COMPUTE_PGM_RSRC2:SCRATCH_EN: 0
; COMPUTE_PGM_RSRC2:USER_SGPR: 6
; COMPUTE_PGM_RSRC2:TRAP_HANDLER: 0
; COMPUTE_PGM_RSRC2:TGID_X_EN: 1
; COMPUTE_PGM_RSRC2:TGID_Y_EN: 1
; COMPUTE_PGM_RSRC2:TGID_Z_EN: 1
; COMPUTE_PGM_RSRC2:TIDIG_COMP_CNT: 0
	.section	.text._ZN7rocprim17ROCPRIM_400000_NS6detail17trampoline_kernelINS0_14default_configENS1_38merge_sort_block_merge_config_selectorIiNS0_10empty_typeEEEZZNS1_27merge_sort_block_merge_implIS3_N6thrust23THRUST_200600_302600_NS6detail15normal_iteratorINS9_10device_ptrIiEEEEPS5_jNS1_19radix_merge_compareILb1ELb1EiNS0_19identity_decomposerEEEEE10hipError_tT0_T1_T2_jT3_P12ihipStream_tbPNSt15iterator_traitsISK_E10value_typeEPNSQ_ISL_E10value_typeEPSM_NS1_7vsmem_tEENKUlT_SK_SL_SM_E_clISE_PiSF_SF_EESJ_SZ_SK_SL_SM_EUlSZ_E1_NS1_11comp_targetILNS1_3genE0ELNS1_11target_archE4294967295ELNS1_3gpuE0ELNS1_3repE0EEENS1_36merge_oddeven_config_static_selectorELNS0_4arch9wavefront6targetE0EEEvSL_,"axG",@progbits,_ZN7rocprim17ROCPRIM_400000_NS6detail17trampoline_kernelINS0_14default_configENS1_38merge_sort_block_merge_config_selectorIiNS0_10empty_typeEEEZZNS1_27merge_sort_block_merge_implIS3_N6thrust23THRUST_200600_302600_NS6detail15normal_iteratorINS9_10device_ptrIiEEEEPS5_jNS1_19radix_merge_compareILb1ELb1EiNS0_19identity_decomposerEEEEE10hipError_tT0_T1_T2_jT3_P12ihipStream_tbPNSt15iterator_traitsISK_E10value_typeEPNSQ_ISL_E10value_typeEPSM_NS1_7vsmem_tEENKUlT_SK_SL_SM_E_clISE_PiSF_SF_EESJ_SZ_SK_SL_SM_EUlSZ_E1_NS1_11comp_targetILNS1_3genE0ELNS1_11target_archE4294967295ELNS1_3gpuE0ELNS1_3repE0EEENS1_36merge_oddeven_config_static_selectorELNS0_4arch9wavefront6targetE0EEEvSL_,comdat
	.protected	_ZN7rocprim17ROCPRIM_400000_NS6detail17trampoline_kernelINS0_14default_configENS1_38merge_sort_block_merge_config_selectorIiNS0_10empty_typeEEEZZNS1_27merge_sort_block_merge_implIS3_N6thrust23THRUST_200600_302600_NS6detail15normal_iteratorINS9_10device_ptrIiEEEEPS5_jNS1_19radix_merge_compareILb1ELb1EiNS0_19identity_decomposerEEEEE10hipError_tT0_T1_T2_jT3_P12ihipStream_tbPNSt15iterator_traitsISK_E10value_typeEPNSQ_ISL_E10value_typeEPSM_NS1_7vsmem_tEENKUlT_SK_SL_SM_E_clISE_PiSF_SF_EESJ_SZ_SK_SL_SM_EUlSZ_E1_NS1_11comp_targetILNS1_3genE0ELNS1_11target_archE4294967295ELNS1_3gpuE0ELNS1_3repE0EEENS1_36merge_oddeven_config_static_selectorELNS0_4arch9wavefront6targetE0EEEvSL_ ; -- Begin function _ZN7rocprim17ROCPRIM_400000_NS6detail17trampoline_kernelINS0_14default_configENS1_38merge_sort_block_merge_config_selectorIiNS0_10empty_typeEEEZZNS1_27merge_sort_block_merge_implIS3_N6thrust23THRUST_200600_302600_NS6detail15normal_iteratorINS9_10device_ptrIiEEEEPS5_jNS1_19radix_merge_compareILb1ELb1EiNS0_19identity_decomposerEEEEE10hipError_tT0_T1_T2_jT3_P12ihipStream_tbPNSt15iterator_traitsISK_E10value_typeEPNSQ_ISL_E10value_typeEPSM_NS1_7vsmem_tEENKUlT_SK_SL_SM_E_clISE_PiSF_SF_EESJ_SZ_SK_SL_SM_EUlSZ_E1_NS1_11comp_targetILNS1_3genE0ELNS1_11target_archE4294967295ELNS1_3gpuE0ELNS1_3repE0EEENS1_36merge_oddeven_config_static_selectorELNS0_4arch9wavefront6targetE0EEEvSL_
	.globl	_ZN7rocprim17ROCPRIM_400000_NS6detail17trampoline_kernelINS0_14default_configENS1_38merge_sort_block_merge_config_selectorIiNS0_10empty_typeEEEZZNS1_27merge_sort_block_merge_implIS3_N6thrust23THRUST_200600_302600_NS6detail15normal_iteratorINS9_10device_ptrIiEEEEPS5_jNS1_19radix_merge_compareILb1ELb1EiNS0_19identity_decomposerEEEEE10hipError_tT0_T1_T2_jT3_P12ihipStream_tbPNSt15iterator_traitsISK_E10value_typeEPNSQ_ISL_E10value_typeEPSM_NS1_7vsmem_tEENKUlT_SK_SL_SM_E_clISE_PiSF_SF_EESJ_SZ_SK_SL_SM_EUlSZ_E1_NS1_11comp_targetILNS1_3genE0ELNS1_11target_archE4294967295ELNS1_3gpuE0ELNS1_3repE0EEENS1_36merge_oddeven_config_static_selectorELNS0_4arch9wavefront6targetE0EEEvSL_
	.p2align	8
	.type	_ZN7rocprim17ROCPRIM_400000_NS6detail17trampoline_kernelINS0_14default_configENS1_38merge_sort_block_merge_config_selectorIiNS0_10empty_typeEEEZZNS1_27merge_sort_block_merge_implIS3_N6thrust23THRUST_200600_302600_NS6detail15normal_iteratorINS9_10device_ptrIiEEEEPS5_jNS1_19radix_merge_compareILb1ELb1EiNS0_19identity_decomposerEEEEE10hipError_tT0_T1_T2_jT3_P12ihipStream_tbPNSt15iterator_traitsISK_E10value_typeEPNSQ_ISL_E10value_typeEPSM_NS1_7vsmem_tEENKUlT_SK_SL_SM_E_clISE_PiSF_SF_EESJ_SZ_SK_SL_SM_EUlSZ_E1_NS1_11comp_targetILNS1_3genE0ELNS1_11target_archE4294967295ELNS1_3gpuE0ELNS1_3repE0EEENS1_36merge_oddeven_config_static_selectorELNS0_4arch9wavefront6targetE0EEEvSL_,@function
_ZN7rocprim17ROCPRIM_400000_NS6detail17trampoline_kernelINS0_14default_configENS1_38merge_sort_block_merge_config_selectorIiNS0_10empty_typeEEEZZNS1_27merge_sort_block_merge_implIS3_N6thrust23THRUST_200600_302600_NS6detail15normal_iteratorINS9_10device_ptrIiEEEEPS5_jNS1_19radix_merge_compareILb1ELb1EiNS0_19identity_decomposerEEEEE10hipError_tT0_T1_T2_jT3_P12ihipStream_tbPNSt15iterator_traitsISK_E10value_typeEPNSQ_ISL_E10value_typeEPSM_NS1_7vsmem_tEENKUlT_SK_SL_SM_E_clISE_PiSF_SF_EESJ_SZ_SK_SL_SM_EUlSZ_E1_NS1_11comp_targetILNS1_3genE0ELNS1_11target_archE4294967295ELNS1_3gpuE0ELNS1_3repE0EEENS1_36merge_oddeven_config_static_selectorELNS0_4arch9wavefront6targetE0EEEvSL_: ; @_ZN7rocprim17ROCPRIM_400000_NS6detail17trampoline_kernelINS0_14default_configENS1_38merge_sort_block_merge_config_selectorIiNS0_10empty_typeEEEZZNS1_27merge_sort_block_merge_implIS3_N6thrust23THRUST_200600_302600_NS6detail15normal_iteratorINS9_10device_ptrIiEEEEPS5_jNS1_19radix_merge_compareILb1ELb1EiNS0_19identity_decomposerEEEEE10hipError_tT0_T1_T2_jT3_P12ihipStream_tbPNSt15iterator_traitsISK_E10value_typeEPNSQ_ISL_E10value_typeEPSM_NS1_7vsmem_tEENKUlT_SK_SL_SM_E_clISE_PiSF_SF_EESJ_SZ_SK_SL_SM_EUlSZ_E1_NS1_11comp_targetILNS1_3genE0ELNS1_11target_archE4294967295ELNS1_3gpuE0ELNS1_3repE0EEENS1_36merge_oddeven_config_static_selectorELNS0_4arch9wavefront6targetE0EEEvSL_
; %bb.0:
	.section	.rodata,"a",@progbits
	.p2align	6, 0x0
	.amdhsa_kernel _ZN7rocprim17ROCPRIM_400000_NS6detail17trampoline_kernelINS0_14default_configENS1_38merge_sort_block_merge_config_selectorIiNS0_10empty_typeEEEZZNS1_27merge_sort_block_merge_implIS3_N6thrust23THRUST_200600_302600_NS6detail15normal_iteratorINS9_10device_ptrIiEEEEPS5_jNS1_19radix_merge_compareILb1ELb1EiNS0_19identity_decomposerEEEEE10hipError_tT0_T1_T2_jT3_P12ihipStream_tbPNSt15iterator_traitsISK_E10value_typeEPNSQ_ISL_E10value_typeEPSM_NS1_7vsmem_tEENKUlT_SK_SL_SM_E_clISE_PiSF_SF_EESJ_SZ_SK_SL_SM_EUlSZ_E1_NS1_11comp_targetILNS1_3genE0ELNS1_11target_archE4294967295ELNS1_3gpuE0ELNS1_3repE0EEENS1_36merge_oddeven_config_static_selectorELNS0_4arch9wavefront6targetE0EEEvSL_
		.amdhsa_group_segment_fixed_size 0
		.amdhsa_private_segment_fixed_size 0
		.amdhsa_kernarg_size 48
		.amdhsa_user_sgpr_count 6
		.amdhsa_user_sgpr_private_segment_buffer 1
		.amdhsa_user_sgpr_dispatch_ptr 0
		.amdhsa_user_sgpr_queue_ptr 0
		.amdhsa_user_sgpr_kernarg_segment_ptr 1
		.amdhsa_user_sgpr_dispatch_id 0
		.amdhsa_user_sgpr_flat_scratch_init 0
		.amdhsa_user_sgpr_private_segment_size 0
		.amdhsa_wavefront_size32 1
		.amdhsa_uses_dynamic_stack 0
		.amdhsa_system_sgpr_private_segment_wavefront_offset 0
		.amdhsa_system_sgpr_workgroup_id_x 1
		.amdhsa_system_sgpr_workgroup_id_y 0
		.amdhsa_system_sgpr_workgroup_id_z 0
		.amdhsa_system_sgpr_workgroup_info 0
		.amdhsa_system_vgpr_workitem_id 0
		.amdhsa_next_free_vgpr 1
		.amdhsa_next_free_sgpr 1
		.amdhsa_reserve_vcc 0
		.amdhsa_reserve_flat_scratch 0
		.amdhsa_float_round_mode_32 0
		.amdhsa_float_round_mode_16_64 0
		.amdhsa_float_denorm_mode_32 3
		.amdhsa_float_denorm_mode_16_64 3
		.amdhsa_dx10_clamp 1
		.amdhsa_ieee_mode 1
		.amdhsa_fp16_overflow 0
		.amdhsa_workgroup_processor_mode 1
		.amdhsa_memory_ordered 1
		.amdhsa_forward_progress 1
		.amdhsa_shared_vgpr_count 0
		.amdhsa_exception_fp_ieee_invalid_op 0
		.amdhsa_exception_fp_denorm_src 0
		.amdhsa_exception_fp_ieee_div_zero 0
		.amdhsa_exception_fp_ieee_overflow 0
		.amdhsa_exception_fp_ieee_underflow 0
		.amdhsa_exception_fp_ieee_inexact 0
		.amdhsa_exception_int_div_zero 0
	.end_amdhsa_kernel
	.section	.text._ZN7rocprim17ROCPRIM_400000_NS6detail17trampoline_kernelINS0_14default_configENS1_38merge_sort_block_merge_config_selectorIiNS0_10empty_typeEEEZZNS1_27merge_sort_block_merge_implIS3_N6thrust23THRUST_200600_302600_NS6detail15normal_iteratorINS9_10device_ptrIiEEEEPS5_jNS1_19radix_merge_compareILb1ELb1EiNS0_19identity_decomposerEEEEE10hipError_tT0_T1_T2_jT3_P12ihipStream_tbPNSt15iterator_traitsISK_E10value_typeEPNSQ_ISL_E10value_typeEPSM_NS1_7vsmem_tEENKUlT_SK_SL_SM_E_clISE_PiSF_SF_EESJ_SZ_SK_SL_SM_EUlSZ_E1_NS1_11comp_targetILNS1_3genE0ELNS1_11target_archE4294967295ELNS1_3gpuE0ELNS1_3repE0EEENS1_36merge_oddeven_config_static_selectorELNS0_4arch9wavefront6targetE0EEEvSL_,"axG",@progbits,_ZN7rocprim17ROCPRIM_400000_NS6detail17trampoline_kernelINS0_14default_configENS1_38merge_sort_block_merge_config_selectorIiNS0_10empty_typeEEEZZNS1_27merge_sort_block_merge_implIS3_N6thrust23THRUST_200600_302600_NS6detail15normal_iteratorINS9_10device_ptrIiEEEEPS5_jNS1_19radix_merge_compareILb1ELb1EiNS0_19identity_decomposerEEEEE10hipError_tT0_T1_T2_jT3_P12ihipStream_tbPNSt15iterator_traitsISK_E10value_typeEPNSQ_ISL_E10value_typeEPSM_NS1_7vsmem_tEENKUlT_SK_SL_SM_E_clISE_PiSF_SF_EESJ_SZ_SK_SL_SM_EUlSZ_E1_NS1_11comp_targetILNS1_3genE0ELNS1_11target_archE4294967295ELNS1_3gpuE0ELNS1_3repE0EEENS1_36merge_oddeven_config_static_selectorELNS0_4arch9wavefront6targetE0EEEvSL_,comdat
.Lfunc_end310:
	.size	_ZN7rocprim17ROCPRIM_400000_NS6detail17trampoline_kernelINS0_14default_configENS1_38merge_sort_block_merge_config_selectorIiNS0_10empty_typeEEEZZNS1_27merge_sort_block_merge_implIS3_N6thrust23THRUST_200600_302600_NS6detail15normal_iteratorINS9_10device_ptrIiEEEEPS5_jNS1_19radix_merge_compareILb1ELb1EiNS0_19identity_decomposerEEEEE10hipError_tT0_T1_T2_jT3_P12ihipStream_tbPNSt15iterator_traitsISK_E10value_typeEPNSQ_ISL_E10value_typeEPSM_NS1_7vsmem_tEENKUlT_SK_SL_SM_E_clISE_PiSF_SF_EESJ_SZ_SK_SL_SM_EUlSZ_E1_NS1_11comp_targetILNS1_3genE0ELNS1_11target_archE4294967295ELNS1_3gpuE0ELNS1_3repE0EEENS1_36merge_oddeven_config_static_selectorELNS0_4arch9wavefront6targetE0EEEvSL_, .Lfunc_end310-_ZN7rocprim17ROCPRIM_400000_NS6detail17trampoline_kernelINS0_14default_configENS1_38merge_sort_block_merge_config_selectorIiNS0_10empty_typeEEEZZNS1_27merge_sort_block_merge_implIS3_N6thrust23THRUST_200600_302600_NS6detail15normal_iteratorINS9_10device_ptrIiEEEEPS5_jNS1_19radix_merge_compareILb1ELb1EiNS0_19identity_decomposerEEEEE10hipError_tT0_T1_T2_jT3_P12ihipStream_tbPNSt15iterator_traitsISK_E10value_typeEPNSQ_ISL_E10value_typeEPSM_NS1_7vsmem_tEENKUlT_SK_SL_SM_E_clISE_PiSF_SF_EESJ_SZ_SK_SL_SM_EUlSZ_E1_NS1_11comp_targetILNS1_3genE0ELNS1_11target_archE4294967295ELNS1_3gpuE0ELNS1_3repE0EEENS1_36merge_oddeven_config_static_selectorELNS0_4arch9wavefront6targetE0EEEvSL_
                                        ; -- End function
	.set _ZN7rocprim17ROCPRIM_400000_NS6detail17trampoline_kernelINS0_14default_configENS1_38merge_sort_block_merge_config_selectorIiNS0_10empty_typeEEEZZNS1_27merge_sort_block_merge_implIS3_N6thrust23THRUST_200600_302600_NS6detail15normal_iteratorINS9_10device_ptrIiEEEEPS5_jNS1_19radix_merge_compareILb1ELb1EiNS0_19identity_decomposerEEEEE10hipError_tT0_T1_T2_jT3_P12ihipStream_tbPNSt15iterator_traitsISK_E10value_typeEPNSQ_ISL_E10value_typeEPSM_NS1_7vsmem_tEENKUlT_SK_SL_SM_E_clISE_PiSF_SF_EESJ_SZ_SK_SL_SM_EUlSZ_E1_NS1_11comp_targetILNS1_3genE0ELNS1_11target_archE4294967295ELNS1_3gpuE0ELNS1_3repE0EEENS1_36merge_oddeven_config_static_selectorELNS0_4arch9wavefront6targetE0EEEvSL_.num_vgpr, 0
	.set _ZN7rocprim17ROCPRIM_400000_NS6detail17trampoline_kernelINS0_14default_configENS1_38merge_sort_block_merge_config_selectorIiNS0_10empty_typeEEEZZNS1_27merge_sort_block_merge_implIS3_N6thrust23THRUST_200600_302600_NS6detail15normal_iteratorINS9_10device_ptrIiEEEEPS5_jNS1_19radix_merge_compareILb1ELb1EiNS0_19identity_decomposerEEEEE10hipError_tT0_T1_T2_jT3_P12ihipStream_tbPNSt15iterator_traitsISK_E10value_typeEPNSQ_ISL_E10value_typeEPSM_NS1_7vsmem_tEENKUlT_SK_SL_SM_E_clISE_PiSF_SF_EESJ_SZ_SK_SL_SM_EUlSZ_E1_NS1_11comp_targetILNS1_3genE0ELNS1_11target_archE4294967295ELNS1_3gpuE0ELNS1_3repE0EEENS1_36merge_oddeven_config_static_selectorELNS0_4arch9wavefront6targetE0EEEvSL_.num_agpr, 0
	.set _ZN7rocprim17ROCPRIM_400000_NS6detail17trampoline_kernelINS0_14default_configENS1_38merge_sort_block_merge_config_selectorIiNS0_10empty_typeEEEZZNS1_27merge_sort_block_merge_implIS3_N6thrust23THRUST_200600_302600_NS6detail15normal_iteratorINS9_10device_ptrIiEEEEPS5_jNS1_19radix_merge_compareILb1ELb1EiNS0_19identity_decomposerEEEEE10hipError_tT0_T1_T2_jT3_P12ihipStream_tbPNSt15iterator_traitsISK_E10value_typeEPNSQ_ISL_E10value_typeEPSM_NS1_7vsmem_tEENKUlT_SK_SL_SM_E_clISE_PiSF_SF_EESJ_SZ_SK_SL_SM_EUlSZ_E1_NS1_11comp_targetILNS1_3genE0ELNS1_11target_archE4294967295ELNS1_3gpuE0ELNS1_3repE0EEENS1_36merge_oddeven_config_static_selectorELNS0_4arch9wavefront6targetE0EEEvSL_.numbered_sgpr, 0
	.set _ZN7rocprim17ROCPRIM_400000_NS6detail17trampoline_kernelINS0_14default_configENS1_38merge_sort_block_merge_config_selectorIiNS0_10empty_typeEEEZZNS1_27merge_sort_block_merge_implIS3_N6thrust23THRUST_200600_302600_NS6detail15normal_iteratorINS9_10device_ptrIiEEEEPS5_jNS1_19radix_merge_compareILb1ELb1EiNS0_19identity_decomposerEEEEE10hipError_tT0_T1_T2_jT3_P12ihipStream_tbPNSt15iterator_traitsISK_E10value_typeEPNSQ_ISL_E10value_typeEPSM_NS1_7vsmem_tEENKUlT_SK_SL_SM_E_clISE_PiSF_SF_EESJ_SZ_SK_SL_SM_EUlSZ_E1_NS1_11comp_targetILNS1_3genE0ELNS1_11target_archE4294967295ELNS1_3gpuE0ELNS1_3repE0EEENS1_36merge_oddeven_config_static_selectorELNS0_4arch9wavefront6targetE0EEEvSL_.num_named_barrier, 0
	.set _ZN7rocprim17ROCPRIM_400000_NS6detail17trampoline_kernelINS0_14default_configENS1_38merge_sort_block_merge_config_selectorIiNS0_10empty_typeEEEZZNS1_27merge_sort_block_merge_implIS3_N6thrust23THRUST_200600_302600_NS6detail15normal_iteratorINS9_10device_ptrIiEEEEPS5_jNS1_19radix_merge_compareILb1ELb1EiNS0_19identity_decomposerEEEEE10hipError_tT0_T1_T2_jT3_P12ihipStream_tbPNSt15iterator_traitsISK_E10value_typeEPNSQ_ISL_E10value_typeEPSM_NS1_7vsmem_tEENKUlT_SK_SL_SM_E_clISE_PiSF_SF_EESJ_SZ_SK_SL_SM_EUlSZ_E1_NS1_11comp_targetILNS1_3genE0ELNS1_11target_archE4294967295ELNS1_3gpuE0ELNS1_3repE0EEENS1_36merge_oddeven_config_static_selectorELNS0_4arch9wavefront6targetE0EEEvSL_.private_seg_size, 0
	.set _ZN7rocprim17ROCPRIM_400000_NS6detail17trampoline_kernelINS0_14default_configENS1_38merge_sort_block_merge_config_selectorIiNS0_10empty_typeEEEZZNS1_27merge_sort_block_merge_implIS3_N6thrust23THRUST_200600_302600_NS6detail15normal_iteratorINS9_10device_ptrIiEEEEPS5_jNS1_19radix_merge_compareILb1ELb1EiNS0_19identity_decomposerEEEEE10hipError_tT0_T1_T2_jT3_P12ihipStream_tbPNSt15iterator_traitsISK_E10value_typeEPNSQ_ISL_E10value_typeEPSM_NS1_7vsmem_tEENKUlT_SK_SL_SM_E_clISE_PiSF_SF_EESJ_SZ_SK_SL_SM_EUlSZ_E1_NS1_11comp_targetILNS1_3genE0ELNS1_11target_archE4294967295ELNS1_3gpuE0ELNS1_3repE0EEENS1_36merge_oddeven_config_static_selectorELNS0_4arch9wavefront6targetE0EEEvSL_.uses_vcc, 0
	.set _ZN7rocprim17ROCPRIM_400000_NS6detail17trampoline_kernelINS0_14default_configENS1_38merge_sort_block_merge_config_selectorIiNS0_10empty_typeEEEZZNS1_27merge_sort_block_merge_implIS3_N6thrust23THRUST_200600_302600_NS6detail15normal_iteratorINS9_10device_ptrIiEEEEPS5_jNS1_19radix_merge_compareILb1ELb1EiNS0_19identity_decomposerEEEEE10hipError_tT0_T1_T2_jT3_P12ihipStream_tbPNSt15iterator_traitsISK_E10value_typeEPNSQ_ISL_E10value_typeEPSM_NS1_7vsmem_tEENKUlT_SK_SL_SM_E_clISE_PiSF_SF_EESJ_SZ_SK_SL_SM_EUlSZ_E1_NS1_11comp_targetILNS1_3genE0ELNS1_11target_archE4294967295ELNS1_3gpuE0ELNS1_3repE0EEENS1_36merge_oddeven_config_static_selectorELNS0_4arch9wavefront6targetE0EEEvSL_.uses_flat_scratch, 0
	.set _ZN7rocprim17ROCPRIM_400000_NS6detail17trampoline_kernelINS0_14default_configENS1_38merge_sort_block_merge_config_selectorIiNS0_10empty_typeEEEZZNS1_27merge_sort_block_merge_implIS3_N6thrust23THRUST_200600_302600_NS6detail15normal_iteratorINS9_10device_ptrIiEEEEPS5_jNS1_19radix_merge_compareILb1ELb1EiNS0_19identity_decomposerEEEEE10hipError_tT0_T1_T2_jT3_P12ihipStream_tbPNSt15iterator_traitsISK_E10value_typeEPNSQ_ISL_E10value_typeEPSM_NS1_7vsmem_tEENKUlT_SK_SL_SM_E_clISE_PiSF_SF_EESJ_SZ_SK_SL_SM_EUlSZ_E1_NS1_11comp_targetILNS1_3genE0ELNS1_11target_archE4294967295ELNS1_3gpuE0ELNS1_3repE0EEENS1_36merge_oddeven_config_static_selectorELNS0_4arch9wavefront6targetE0EEEvSL_.has_dyn_sized_stack, 0
	.set _ZN7rocprim17ROCPRIM_400000_NS6detail17trampoline_kernelINS0_14default_configENS1_38merge_sort_block_merge_config_selectorIiNS0_10empty_typeEEEZZNS1_27merge_sort_block_merge_implIS3_N6thrust23THRUST_200600_302600_NS6detail15normal_iteratorINS9_10device_ptrIiEEEEPS5_jNS1_19radix_merge_compareILb1ELb1EiNS0_19identity_decomposerEEEEE10hipError_tT0_T1_T2_jT3_P12ihipStream_tbPNSt15iterator_traitsISK_E10value_typeEPNSQ_ISL_E10value_typeEPSM_NS1_7vsmem_tEENKUlT_SK_SL_SM_E_clISE_PiSF_SF_EESJ_SZ_SK_SL_SM_EUlSZ_E1_NS1_11comp_targetILNS1_3genE0ELNS1_11target_archE4294967295ELNS1_3gpuE0ELNS1_3repE0EEENS1_36merge_oddeven_config_static_selectorELNS0_4arch9wavefront6targetE0EEEvSL_.has_recursion, 0
	.set _ZN7rocprim17ROCPRIM_400000_NS6detail17trampoline_kernelINS0_14default_configENS1_38merge_sort_block_merge_config_selectorIiNS0_10empty_typeEEEZZNS1_27merge_sort_block_merge_implIS3_N6thrust23THRUST_200600_302600_NS6detail15normal_iteratorINS9_10device_ptrIiEEEEPS5_jNS1_19radix_merge_compareILb1ELb1EiNS0_19identity_decomposerEEEEE10hipError_tT0_T1_T2_jT3_P12ihipStream_tbPNSt15iterator_traitsISK_E10value_typeEPNSQ_ISL_E10value_typeEPSM_NS1_7vsmem_tEENKUlT_SK_SL_SM_E_clISE_PiSF_SF_EESJ_SZ_SK_SL_SM_EUlSZ_E1_NS1_11comp_targetILNS1_3genE0ELNS1_11target_archE4294967295ELNS1_3gpuE0ELNS1_3repE0EEENS1_36merge_oddeven_config_static_selectorELNS0_4arch9wavefront6targetE0EEEvSL_.has_indirect_call, 0
	.section	.AMDGPU.csdata,"",@progbits
; Kernel info:
; codeLenInByte = 0
; TotalNumSgprs: 0
; NumVgprs: 0
; ScratchSize: 0
; MemoryBound: 0
; FloatMode: 240
; IeeeMode: 1
; LDSByteSize: 0 bytes/workgroup (compile time only)
; SGPRBlocks: 0
; VGPRBlocks: 0
; NumSGPRsForWavesPerEU: 1
; NumVGPRsForWavesPerEU: 1
; Occupancy: 16
; WaveLimiterHint : 0
; COMPUTE_PGM_RSRC2:SCRATCH_EN: 0
; COMPUTE_PGM_RSRC2:USER_SGPR: 6
; COMPUTE_PGM_RSRC2:TRAP_HANDLER: 0
; COMPUTE_PGM_RSRC2:TGID_X_EN: 1
; COMPUTE_PGM_RSRC2:TGID_Y_EN: 0
; COMPUTE_PGM_RSRC2:TGID_Z_EN: 0
; COMPUTE_PGM_RSRC2:TIDIG_COMP_CNT: 0
	.section	.text._ZN7rocprim17ROCPRIM_400000_NS6detail17trampoline_kernelINS0_14default_configENS1_38merge_sort_block_merge_config_selectorIiNS0_10empty_typeEEEZZNS1_27merge_sort_block_merge_implIS3_N6thrust23THRUST_200600_302600_NS6detail15normal_iteratorINS9_10device_ptrIiEEEEPS5_jNS1_19radix_merge_compareILb1ELb1EiNS0_19identity_decomposerEEEEE10hipError_tT0_T1_T2_jT3_P12ihipStream_tbPNSt15iterator_traitsISK_E10value_typeEPNSQ_ISL_E10value_typeEPSM_NS1_7vsmem_tEENKUlT_SK_SL_SM_E_clISE_PiSF_SF_EESJ_SZ_SK_SL_SM_EUlSZ_E1_NS1_11comp_targetILNS1_3genE10ELNS1_11target_archE1201ELNS1_3gpuE5ELNS1_3repE0EEENS1_36merge_oddeven_config_static_selectorELNS0_4arch9wavefront6targetE0EEEvSL_,"axG",@progbits,_ZN7rocprim17ROCPRIM_400000_NS6detail17trampoline_kernelINS0_14default_configENS1_38merge_sort_block_merge_config_selectorIiNS0_10empty_typeEEEZZNS1_27merge_sort_block_merge_implIS3_N6thrust23THRUST_200600_302600_NS6detail15normal_iteratorINS9_10device_ptrIiEEEEPS5_jNS1_19radix_merge_compareILb1ELb1EiNS0_19identity_decomposerEEEEE10hipError_tT0_T1_T2_jT3_P12ihipStream_tbPNSt15iterator_traitsISK_E10value_typeEPNSQ_ISL_E10value_typeEPSM_NS1_7vsmem_tEENKUlT_SK_SL_SM_E_clISE_PiSF_SF_EESJ_SZ_SK_SL_SM_EUlSZ_E1_NS1_11comp_targetILNS1_3genE10ELNS1_11target_archE1201ELNS1_3gpuE5ELNS1_3repE0EEENS1_36merge_oddeven_config_static_selectorELNS0_4arch9wavefront6targetE0EEEvSL_,comdat
	.protected	_ZN7rocprim17ROCPRIM_400000_NS6detail17trampoline_kernelINS0_14default_configENS1_38merge_sort_block_merge_config_selectorIiNS0_10empty_typeEEEZZNS1_27merge_sort_block_merge_implIS3_N6thrust23THRUST_200600_302600_NS6detail15normal_iteratorINS9_10device_ptrIiEEEEPS5_jNS1_19radix_merge_compareILb1ELb1EiNS0_19identity_decomposerEEEEE10hipError_tT0_T1_T2_jT3_P12ihipStream_tbPNSt15iterator_traitsISK_E10value_typeEPNSQ_ISL_E10value_typeEPSM_NS1_7vsmem_tEENKUlT_SK_SL_SM_E_clISE_PiSF_SF_EESJ_SZ_SK_SL_SM_EUlSZ_E1_NS1_11comp_targetILNS1_3genE10ELNS1_11target_archE1201ELNS1_3gpuE5ELNS1_3repE0EEENS1_36merge_oddeven_config_static_selectorELNS0_4arch9wavefront6targetE0EEEvSL_ ; -- Begin function _ZN7rocprim17ROCPRIM_400000_NS6detail17trampoline_kernelINS0_14default_configENS1_38merge_sort_block_merge_config_selectorIiNS0_10empty_typeEEEZZNS1_27merge_sort_block_merge_implIS3_N6thrust23THRUST_200600_302600_NS6detail15normal_iteratorINS9_10device_ptrIiEEEEPS5_jNS1_19radix_merge_compareILb1ELb1EiNS0_19identity_decomposerEEEEE10hipError_tT0_T1_T2_jT3_P12ihipStream_tbPNSt15iterator_traitsISK_E10value_typeEPNSQ_ISL_E10value_typeEPSM_NS1_7vsmem_tEENKUlT_SK_SL_SM_E_clISE_PiSF_SF_EESJ_SZ_SK_SL_SM_EUlSZ_E1_NS1_11comp_targetILNS1_3genE10ELNS1_11target_archE1201ELNS1_3gpuE5ELNS1_3repE0EEENS1_36merge_oddeven_config_static_selectorELNS0_4arch9wavefront6targetE0EEEvSL_
	.globl	_ZN7rocprim17ROCPRIM_400000_NS6detail17trampoline_kernelINS0_14default_configENS1_38merge_sort_block_merge_config_selectorIiNS0_10empty_typeEEEZZNS1_27merge_sort_block_merge_implIS3_N6thrust23THRUST_200600_302600_NS6detail15normal_iteratorINS9_10device_ptrIiEEEEPS5_jNS1_19radix_merge_compareILb1ELb1EiNS0_19identity_decomposerEEEEE10hipError_tT0_T1_T2_jT3_P12ihipStream_tbPNSt15iterator_traitsISK_E10value_typeEPNSQ_ISL_E10value_typeEPSM_NS1_7vsmem_tEENKUlT_SK_SL_SM_E_clISE_PiSF_SF_EESJ_SZ_SK_SL_SM_EUlSZ_E1_NS1_11comp_targetILNS1_3genE10ELNS1_11target_archE1201ELNS1_3gpuE5ELNS1_3repE0EEENS1_36merge_oddeven_config_static_selectorELNS0_4arch9wavefront6targetE0EEEvSL_
	.p2align	8
	.type	_ZN7rocprim17ROCPRIM_400000_NS6detail17trampoline_kernelINS0_14default_configENS1_38merge_sort_block_merge_config_selectorIiNS0_10empty_typeEEEZZNS1_27merge_sort_block_merge_implIS3_N6thrust23THRUST_200600_302600_NS6detail15normal_iteratorINS9_10device_ptrIiEEEEPS5_jNS1_19radix_merge_compareILb1ELb1EiNS0_19identity_decomposerEEEEE10hipError_tT0_T1_T2_jT3_P12ihipStream_tbPNSt15iterator_traitsISK_E10value_typeEPNSQ_ISL_E10value_typeEPSM_NS1_7vsmem_tEENKUlT_SK_SL_SM_E_clISE_PiSF_SF_EESJ_SZ_SK_SL_SM_EUlSZ_E1_NS1_11comp_targetILNS1_3genE10ELNS1_11target_archE1201ELNS1_3gpuE5ELNS1_3repE0EEENS1_36merge_oddeven_config_static_selectorELNS0_4arch9wavefront6targetE0EEEvSL_,@function
_ZN7rocprim17ROCPRIM_400000_NS6detail17trampoline_kernelINS0_14default_configENS1_38merge_sort_block_merge_config_selectorIiNS0_10empty_typeEEEZZNS1_27merge_sort_block_merge_implIS3_N6thrust23THRUST_200600_302600_NS6detail15normal_iteratorINS9_10device_ptrIiEEEEPS5_jNS1_19radix_merge_compareILb1ELb1EiNS0_19identity_decomposerEEEEE10hipError_tT0_T1_T2_jT3_P12ihipStream_tbPNSt15iterator_traitsISK_E10value_typeEPNSQ_ISL_E10value_typeEPSM_NS1_7vsmem_tEENKUlT_SK_SL_SM_E_clISE_PiSF_SF_EESJ_SZ_SK_SL_SM_EUlSZ_E1_NS1_11comp_targetILNS1_3genE10ELNS1_11target_archE1201ELNS1_3gpuE5ELNS1_3repE0EEENS1_36merge_oddeven_config_static_selectorELNS0_4arch9wavefront6targetE0EEEvSL_: ; @_ZN7rocprim17ROCPRIM_400000_NS6detail17trampoline_kernelINS0_14default_configENS1_38merge_sort_block_merge_config_selectorIiNS0_10empty_typeEEEZZNS1_27merge_sort_block_merge_implIS3_N6thrust23THRUST_200600_302600_NS6detail15normal_iteratorINS9_10device_ptrIiEEEEPS5_jNS1_19radix_merge_compareILb1ELb1EiNS0_19identity_decomposerEEEEE10hipError_tT0_T1_T2_jT3_P12ihipStream_tbPNSt15iterator_traitsISK_E10value_typeEPNSQ_ISL_E10value_typeEPSM_NS1_7vsmem_tEENKUlT_SK_SL_SM_E_clISE_PiSF_SF_EESJ_SZ_SK_SL_SM_EUlSZ_E1_NS1_11comp_targetILNS1_3genE10ELNS1_11target_archE1201ELNS1_3gpuE5ELNS1_3repE0EEENS1_36merge_oddeven_config_static_selectorELNS0_4arch9wavefront6targetE0EEEvSL_
; %bb.0:
	.section	.rodata,"a",@progbits
	.p2align	6, 0x0
	.amdhsa_kernel _ZN7rocprim17ROCPRIM_400000_NS6detail17trampoline_kernelINS0_14default_configENS1_38merge_sort_block_merge_config_selectorIiNS0_10empty_typeEEEZZNS1_27merge_sort_block_merge_implIS3_N6thrust23THRUST_200600_302600_NS6detail15normal_iteratorINS9_10device_ptrIiEEEEPS5_jNS1_19radix_merge_compareILb1ELb1EiNS0_19identity_decomposerEEEEE10hipError_tT0_T1_T2_jT3_P12ihipStream_tbPNSt15iterator_traitsISK_E10value_typeEPNSQ_ISL_E10value_typeEPSM_NS1_7vsmem_tEENKUlT_SK_SL_SM_E_clISE_PiSF_SF_EESJ_SZ_SK_SL_SM_EUlSZ_E1_NS1_11comp_targetILNS1_3genE10ELNS1_11target_archE1201ELNS1_3gpuE5ELNS1_3repE0EEENS1_36merge_oddeven_config_static_selectorELNS0_4arch9wavefront6targetE0EEEvSL_
		.amdhsa_group_segment_fixed_size 0
		.amdhsa_private_segment_fixed_size 0
		.amdhsa_kernarg_size 48
		.amdhsa_user_sgpr_count 6
		.amdhsa_user_sgpr_private_segment_buffer 1
		.amdhsa_user_sgpr_dispatch_ptr 0
		.amdhsa_user_sgpr_queue_ptr 0
		.amdhsa_user_sgpr_kernarg_segment_ptr 1
		.amdhsa_user_sgpr_dispatch_id 0
		.amdhsa_user_sgpr_flat_scratch_init 0
		.amdhsa_user_sgpr_private_segment_size 0
		.amdhsa_wavefront_size32 1
		.amdhsa_uses_dynamic_stack 0
		.amdhsa_system_sgpr_private_segment_wavefront_offset 0
		.amdhsa_system_sgpr_workgroup_id_x 1
		.amdhsa_system_sgpr_workgroup_id_y 0
		.amdhsa_system_sgpr_workgroup_id_z 0
		.amdhsa_system_sgpr_workgroup_info 0
		.amdhsa_system_vgpr_workitem_id 0
		.amdhsa_next_free_vgpr 1
		.amdhsa_next_free_sgpr 1
		.amdhsa_reserve_vcc 0
		.amdhsa_reserve_flat_scratch 0
		.amdhsa_float_round_mode_32 0
		.amdhsa_float_round_mode_16_64 0
		.amdhsa_float_denorm_mode_32 3
		.amdhsa_float_denorm_mode_16_64 3
		.amdhsa_dx10_clamp 1
		.amdhsa_ieee_mode 1
		.amdhsa_fp16_overflow 0
		.amdhsa_workgroup_processor_mode 1
		.amdhsa_memory_ordered 1
		.amdhsa_forward_progress 1
		.amdhsa_shared_vgpr_count 0
		.amdhsa_exception_fp_ieee_invalid_op 0
		.amdhsa_exception_fp_denorm_src 0
		.amdhsa_exception_fp_ieee_div_zero 0
		.amdhsa_exception_fp_ieee_overflow 0
		.amdhsa_exception_fp_ieee_underflow 0
		.amdhsa_exception_fp_ieee_inexact 0
		.amdhsa_exception_int_div_zero 0
	.end_amdhsa_kernel
	.section	.text._ZN7rocprim17ROCPRIM_400000_NS6detail17trampoline_kernelINS0_14default_configENS1_38merge_sort_block_merge_config_selectorIiNS0_10empty_typeEEEZZNS1_27merge_sort_block_merge_implIS3_N6thrust23THRUST_200600_302600_NS6detail15normal_iteratorINS9_10device_ptrIiEEEEPS5_jNS1_19radix_merge_compareILb1ELb1EiNS0_19identity_decomposerEEEEE10hipError_tT0_T1_T2_jT3_P12ihipStream_tbPNSt15iterator_traitsISK_E10value_typeEPNSQ_ISL_E10value_typeEPSM_NS1_7vsmem_tEENKUlT_SK_SL_SM_E_clISE_PiSF_SF_EESJ_SZ_SK_SL_SM_EUlSZ_E1_NS1_11comp_targetILNS1_3genE10ELNS1_11target_archE1201ELNS1_3gpuE5ELNS1_3repE0EEENS1_36merge_oddeven_config_static_selectorELNS0_4arch9wavefront6targetE0EEEvSL_,"axG",@progbits,_ZN7rocprim17ROCPRIM_400000_NS6detail17trampoline_kernelINS0_14default_configENS1_38merge_sort_block_merge_config_selectorIiNS0_10empty_typeEEEZZNS1_27merge_sort_block_merge_implIS3_N6thrust23THRUST_200600_302600_NS6detail15normal_iteratorINS9_10device_ptrIiEEEEPS5_jNS1_19radix_merge_compareILb1ELb1EiNS0_19identity_decomposerEEEEE10hipError_tT0_T1_T2_jT3_P12ihipStream_tbPNSt15iterator_traitsISK_E10value_typeEPNSQ_ISL_E10value_typeEPSM_NS1_7vsmem_tEENKUlT_SK_SL_SM_E_clISE_PiSF_SF_EESJ_SZ_SK_SL_SM_EUlSZ_E1_NS1_11comp_targetILNS1_3genE10ELNS1_11target_archE1201ELNS1_3gpuE5ELNS1_3repE0EEENS1_36merge_oddeven_config_static_selectorELNS0_4arch9wavefront6targetE0EEEvSL_,comdat
.Lfunc_end311:
	.size	_ZN7rocprim17ROCPRIM_400000_NS6detail17trampoline_kernelINS0_14default_configENS1_38merge_sort_block_merge_config_selectorIiNS0_10empty_typeEEEZZNS1_27merge_sort_block_merge_implIS3_N6thrust23THRUST_200600_302600_NS6detail15normal_iteratorINS9_10device_ptrIiEEEEPS5_jNS1_19radix_merge_compareILb1ELb1EiNS0_19identity_decomposerEEEEE10hipError_tT0_T1_T2_jT3_P12ihipStream_tbPNSt15iterator_traitsISK_E10value_typeEPNSQ_ISL_E10value_typeEPSM_NS1_7vsmem_tEENKUlT_SK_SL_SM_E_clISE_PiSF_SF_EESJ_SZ_SK_SL_SM_EUlSZ_E1_NS1_11comp_targetILNS1_3genE10ELNS1_11target_archE1201ELNS1_3gpuE5ELNS1_3repE0EEENS1_36merge_oddeven_config_static_selectorELNS0_4arch9wavefront6targetE0EEEvSL_, .Lfunc_end311-_ZN7rocprim17ROCPRIM_400000_NS6detail17trampoline_kernelINS0_14default_configENS1_38merge_sort_block_merge_config_selectorIiNS0_10empty_typeEEEZZNS1_27merge_sort_block_merge_implIS3_N6thrust23THRUST_200600_302600_NS6detail15normal_iteratorINS9_10device_ptrIiEEEEPS5_jNS1_19radix_merge_compareILb1ELb1EiNS0_19identity_decomposerEEEEE10hipError_tT0_T1_T2_jT3_P12ihipStream_tbPNSt15iterator_traitsISK_E10value_typeEPNSQ_ISL_E10value_typeEPSM_NS1_7vsmem_tEENKUlT_SK_SL_SM_E_clISE_PiSF_SF_EESJ_SZ_SK_SL_SM_EUlSZ_E1_NS1_11comp_targetILNS1_3genE10ELNS1_11target_archE1201ELNS1_3gpuE5ELNS1_3repE0EEENS1_36merge_oddeven_config_static_selectorELNS0_4arch9wavefront6targetE0EEEvSL_
                                        ; -- End function
	.set _ZN7rocprim17ROCPRIM_400000_NS6detail17trampoline_kernelINS0_14default_configENS1_38merge_sort_block_merge_config_selectorIiNS0_10empty_typeEEEZZNS1_27merge_sort_block_merge_implIS3_N6thrust23THRUST_200600_302600_NS6detail15normal_iteratorINS9_10device_ptrIiEEEEPS5_jNS1_19radix_merge_compareILb1ELb1EiNS0_19identity_decomposerEEEEE10hipError_tT0_T1_T2_jT3_P12ihipStream_tbPNSt15iterator_traitsISK_E10value_typeEPNSQ_ISL_E10value_typeEPSM_NS1_7vsmem_tEENKUlT_SK_SL_SM_E_clISE_PiSF_SF_EESJ_SZ_SK_SL_SM_EUlSZ_E1_NS1_11comp_targetILNS1_3genE10ELNS1_11target_archE1201ELNS1_3gpuE5ELNS1_3repE0EEENS1_36merge_oddeven_config_static_selectorELNS0_4arch9wavefront6targetE0EEEvSL_.num_vgpr, 0
	.set _ZN7rocprim17ROCPRIM_400000_NS6detail17trampoline_kernelINS0_14default_configENS1_38merge_sort_block_merge_config_selectorIiNS0_10empty_typeEEEZZNS1_27merge_sort_block_merge_implIS3_N6thrust23THRUST_200600_302600_NS6detail15normal_iteratorINS9_10device_ptrIiEEEEPS5_jNS1_19radix_merge_compareILb1ELb1EiNS0_19identity_decomposerEEEEE10hipError_tT0_T1_T2_jT3_P12ihipStream_tbPNSt15iterator_traitsISK_E10value_typeEPNSQ_ISL_E10value_typeEPSM_NS1_7vsmem_tEENKUlT_SK_SL_SM_E_clISE_PiSF_SF_EESJ_SZ_SK_SL_SM_EUlSZ_E1_NS1_11comp_targetILNS1_3genE10ELNS1_11target_archE1201ELNS1_3gpuE5ELNS1_3repE0EEENS1_36merge_oddeven_config_static_selectorELNS0_4arch9wavefront6targetE0EEEvSL_.num_agpr, 0
	.set _ZN7rocprim17ROCPRIM_400000_NS6detail17trampoline_kernelINS0_14default_configENS1_38merge_sort_block_merge_config_selectorIiNS0_10empty_typeEEEZZNS1_27merge_sort_block_merge_implIS3_N6thrust23THRUST_200600_302600_NS6detail15normal_iteratorINS9_10device_ptrIiEEEEPS5_jNS1_19radix_merge_compareILb1ELb1EiNS0_19identity_decomposerEEEEE10hipError_tT0_T1_T2_jT3_P12ihipStream_tbPNSt15iterator_traitsISK_E10value_typeEPNSQ_ISL_E10value_typeEPSM_NS1_7vsmem_tEENKUlT_SK_SL_SM_E_clISE_PiSF_SF_EESJ_SZ_SK_SL_SM_EUlSZ_E1_NS1_11comp_targetILNS1_3genE10ELNS1_11target_archE1201ELNS1_3gpuE5ELNS1_3repE0EEENS1_36merge_oddeven_config_static_selectorELNS0_4arch9wavefront6targetE0EEEvSL_.numbered_sgpr, 0
	.set _ZN7rocprim17ROCPRIM_400000_NS6detail17trampoline_kernelINS0_14default_configENS1_38merge_sort_block_merge_config_selectorIiNS0_10empty_typeEEEZZNS1_27merge_sort_block_merge_implIS3_N6thrust23THRUST_200600_302600_NS6detail15normal_iteratorINS9_10device_ptrIiEEEEPS5_jNS1_19radix_merge_compareILb1ELb1EiNS0_19identity_decomposerEEEEE10hipError_tT0_T1_T2_jT3_P12ihipStream_tbPNSt15iterator_traitsISK_E10value_typeEPNSQ_ISL_E10value_typeEPSM_NS1_7vsmem_tEENKUlT_SK_SL_SM_E_clISE_PiSF_SF_EESJ_SZ_SK_SL_SM_EUlSZ_E1_NS1_11comp_targetILNS1_3genE10ELNS1_11target_archE1201ELNS1_3gpuE5ELNS1_3repE0EEENS1_36merge_oddeven_config_static_selectorELNS0_4arch9wavefront6targetE0EEEvSL_.num_named_barrier, 0
	.set _ZN7rocprim17ROCPRIM_400000_NS6detail17trampoline_kernelINS0_14default_configENS1_38merge_sort_block_merge_config_selectorIiNS0_10empty_typeEEEZZNS1_27merge_sort_block_merge_implIS3_N6thrust23THRUST_200600_302600_NS6detail15normal_iteratorINS9_10device_ptrIiEEEEPS5_jNS1_19radix_merge_compareILb1ELb1EiNS0_19identity_decomposerEEEEE10hipError_tT0_T1_T2_jT3_P12ihipStream_tbPNSt15iterator_traitsISK_E10value_typeEPNSQ_ISL_E10value_typeEPSM_NS1_7vsmem_tEENKUlT_SK_SL_SM_E_clISE_PiSF_SF_EESJ_SZ_SK_SL_SM_EUlSZ_E1_NS1_11comp_targetILNS1_3genE10ELNS1_11target_archE1201ELNS1_3gpuE5ELNS1_3repE0EEENS1_36merge_oddeven_config_static_selectorELNS0_4arch9wavefront6targetE0EEEvSL_.private_seg_size, 0
	.set _ZN7rocprim17ROCPRIM_400000_NS6detail17trampoline_kernelINS0_14default_configENS1_38merge_sort_block_merge_config_selectorIiNS0_10empty_typeEEEZZNS1_27merge_sort_block_merge_implIS3_N6thrust23THRUST_200600_302600_NS6detail15normal_iteratorINS9_10device_ptrIiEEEEPS5_jNS1_19radix_merge_compareILb1ELb1EiNS0_19identity_decomposerEEEEE10hipError_tT0_T1_T2_jT3_P12ihipStream_tbPNSt15iterator_traitsISK_E10value_typeEPNSQ_ISL_E10value_typeEPSM_NS1_7vsmem_tEENKUlT_SK_SL_SM_E_clISE_PiSF_SF_EESJ_SZ_SK_SL_SM_EUlSZ_E1_NS1_11comp_targetILNS1_3genE10ELNS1_11target_archE1201ELNS1_3gpuE5ELNS1_3repE0EEENS1_36merge_oddeven_config_static_selectorELNS0_4arch9wavefront6targetE0EEEvSL_.uses_vcc, 0
	.set _ZN7rocprim17ROCPRIM_400000_NS6detail17trampoline_kernelINS0_14default_configENS1_38merge_sort_block_merge_config_selectorIiNS0_10empty_typeEEEZZNS1_27merge_sort_block_merge_implIS3_N6thrust23THRUST_200600_302600_NS6detail15normal_iteratorINS9_10device_ptrIiEEEEPS5_jNS1_19radix_merge_compareILb1ELb1EiNS0_19identity_decomposerEEEEE10hipError_tT0_T1_T2_jT3_P12ihipStream_tbPNSt15iterator_traitsISK_E10value_typeEPNSQ_ISL_E10value_typeEPSM_NS1_7vsmem_tEENKUlT_SK_SL_SM_E_clISE_PiSF_SF_EESJ_SZ_SK_SL_SM_EUlSZ_E1_NS1_11comp_targetILNS1_3genE10ELNS1_11target_archE1201ELNS1_3gpuE5ELNS1_3repE0EEENS1_36merge_oddeven_config_static_selectorELNS0_4arch9wavefront6targetE0EEEvSL_.uses_flat_scratch, 0
	.set _ZN7rocprim17ROCPRIM_400000_NS6detail17trampoline_kernelINS0_14default_configENS1_38merge_sort_block_merge_config_selectorIiNS0_10empty_typeEEEZZNS1_27merge_sort_block_merge_implIS3_N6thrust23THRUST_200600_302600_NS6detail15normal_iteratorINS9_10device_ptrIiEEEEPS5_jNS1_19radix_merge_compareILb1ELb1EiNS0_19identity_decomposerEEEEE10hipError_tT0_T1_T2_jT3_P12ihipStream_tbPNSt15iterator_traitsISK_E10value_typeEPNSQ_ISL_E10value_typeEPSM_NS1_7vsmem_tEENKUlT_SK_SL_SM_E_clISE_PiSF_SF_EESJ_SZ_SK_SL_SM_EUlSZ_E1_NS1_11comp_targetILNS1_3genE10ELNS1_11target_archE1201ELNS1_3gpuE5ELNS1_3repE0EEENS1_36merge_oddeven_config_static_selectorELNS0_4arch9wavefront6targetE0EEEvSL_.has_dyn_sized_stack, 0
	.set _ZN7rocprim17ROCPRIM_400000_NS6detail17trampoline_kernelINS0_14default_configENS1_38merge_sort_block_merge_config_selectorIiNS0_10empty_typeEEEZZNS1_27merge_sort_block_merge_implIS3_N6thrust23THRUST_200600_302600_NS6detail15normal_iteratorINS9_10device_ptrIiEEEEPS5_jNS1_19radix_merge_compareILb1ELb1EiNS0_19identity_decomposerEEEEE10hipError_tT0_T1_T2_jT3_P12ihipStream_tbPNSt15iterator_traitsISK_E10value_typeEPNSQ_ISL_E10value_typeEPSM_NS1_7vsmem_tEENKUlT_SK_SL_SM_E_clISE_PiSF_SF_EESJ_SZ_SK_SL_SM_EUlSZ_E1_NS1_11comp_targetILNS1_3genE10ELNS1_11target_archE1201ELNS1_3gpuE5ELNS1_3repE0EEENS1_36merge_oddeven_config_static_selectorELNS0_4arch9wavefront6targetE0EEEvSL_.has_recursion, 0
	.set _ZN7rocprim17ROCPRIM_400000_NS6detail17trampoline_kernelINS0_14default_configENS1_38merge_sort_block_merge_config_selectorIiNS0_10empty_typeEEEZZNS1_27merge_sort_block_merge_implIS3_N6thrust23THRUST_200600_302600_NS6detail15normal_iteratorINS9_10device_ptrIiEEEEPS5_jNS1_19radix_merge_compareILb1ELb1EiNS0_19identity_decomposerEEEEE10hipError_tT0_T1_T2_jT3_P12ihipStream_tbPNSt15iterator_traitsISK_E10value_typeEPNSQ_ISL_E10value_typeEPSM_NS1_7vsmem_tEENKUlT_SK_SL_SM_E_clISE_PiSF_SF_EESJ_SZ_SK_SL_SM_EUlSZ_E1_NS1_11comp_targetILNS1_3genE10ELNS1_11target_archE1201ELNS1_3gpuE5ELNS1_3repE0EEENS1_36merge_oddeven_config_static_selectorELNS0_4arch9wavefront6targetE0EEEvSL_.has_indirect_call, 0
	.section	.AMDGPU.csdata,"",@progbits
; Kernel info:
; codeLenInByte = 0
; TotalNumSgprs: 0
; NumVgprs: 0
; ScratchSize: 0
; MemoryBound: 0
; FloatMode: 240
; IeeeMode: 1
; LDSByteSize: 0 bytes/workgroup (compile time only)
; SGPRBlocks: 0
; VGPRBlocks: 0
; NumSGPRsForWavesPerEU: 1
; NumVGPRsForWavesPerEU: 1
; Occupancy: 16
; WaveLimiterHint : 0
; COMPUTE_PGM_RSRC2:SCRATCH_EN: 0
; COMPUTE_PGM_RSRC2:USER_SGPR: 6
; COMPUTE_PGM_RSRC2:TRAP_HANDLER: 0
; COMPUTE_PGM_RSRC2:TGID_X_EN: 1
; COMPUTE_PGM_RSRC2:TGID_Y_EN: 0
; COMPUTE_PGM_RSRC2:TGID_Z_EN: 0
; COMPUTE_PGM_RSRC2:TIDIG_COMP_CNT: 0
	.section	.text._ZN7rocprim17ROCPRIM_400000_NS6detail17trampoline_kernelINS0_14default_configENS1_38merge_sort_block_merge_config_selectorIiNS0_10empty_typeEEEZZNS1_27merge_sort_block_merge_implIS3_N6thrust23THRUST_200600_302600_NS6detail15normal_iteratorINS9_10device_ptrIiEEEEPS5_jNS1_19radix_merge_compareILb1ELb1EiNS0_19identity_decomposerEEEEE10hipError_tT0_T1_T2_jT3_P12ihipStream_tbPNSt15iterator_traitsISK_E10value_typeEPNSQ_ISL_E10value_typeEPSM_NS1_7vsmem_tEENKUlT_SK_SL_SM_E_clISE_PiSF_SF_EESJ_SZ_SK_SL_SM_EUlSZ_E1_NS1_11comp_targetILNS1_3genE5ELNS1_11target_archE942ELNS1_3gpuE9ELNS1_3repE0EEENS1_36merge_oddeven_config_static_selectorELNS0_4arch9wavefront6targetE0EEEvSL_,"axG",@progbits,_ZN7rocprim17ROCPRIM_400000_NS6detail17trampoline_kernelINS0_14default_configENS1_38merge_sort_block_merge_config_selectorIiNS0_10empty_typeEEEZZNS1_27merge_sort_block_merge_implIS3_N6thrust23THRUST_200600_302600_NS6detail15normal_iteratorINS9_10device_ptrIiEEEEPS5_jNS1_19radix_merge_compareILb1ELb1EiNS0_19identity_decomposerEEEEE10hipError_tT0_T1_T2_jT3_P12ihipStream_tbPNSt15iterator_traitsISK_E10value_typeEPNSQ_ISL_E10value_typeEPSM_NS1_7vsmem_tEENKUlT_SK_SL_SM_E_clISE_PiSF_SF_EESJ_SZ_SK_SL_SM_EUlSZ_E1_NS1_11comp_targetILNS1_3genE5ELNS1_11target_archE942ELNS1_3gpuE9ELNS1_3repE0EEENS1_36merge_oddeven_config_static_selectorELNS0_4arch9wavefront6targetE0EEEvSL_,comdat
	.protected	_ZN7rocprim17ROCPRIM_400000_NS6detail17trampoline_kernelINS0_14default_configENS1_38merge_sort_block_merge_config_selectorIiNS0_10empty_typeEEEZZNS1_27merge_sort_block_merge_implIS3_N6thrust23THRUST_200600_302600_NS6detail15normal_iteratorINS9_10device_ptrIiEEEEPS5_jNS1_19radix_merge_compareILb1ELb1EiNS0_19identity_decomposerEEEEE10hipError_tT0_T1_T2_jT3_P12ihipStream_tbPNSt15iterator_traitsISK_E10value_typeEPNSQ_ISL_E10value_typeEPSM_NS1_7vsmem_tEENKUlT_SK_SL_SM_E_clISE_PiSF_SF_EESJ_SZ_SK_SL_SM_EUlSZ_E1_NS1_11comp_targetILNS1_3genE5ELNS1_11target_archE942ELNS1_3gpuE9ELNS1_3repE0EEENS1_36merge_oddeven_config_static_selectorELNS0_4arch9wavefront6targetE0EEEvSL_ ; -- Begin function _ZN7rocprim17ROCPRIM_400000_NS6detail17trampoline_kernelINS0_14default_configENS1_38merge_sort_block_merge_config_selectorIiNS0_10empty_typeEEEZZNS1_27merge_sort_block_merge_implIS3_N6thrust23THRUST_200600_302600_NS6detail15normal_iteratorINS9_10device_ptrIiEEEEPS5_jNS1_19radix_merge_compareILb1ELb1EiNS0_19identity_decomposerEEEEE10hipError_tT0_T1_T2_jT3_P12ihipStream_tbPNSt15iterator_traitsISK_E10value_typeEPNSQ_ISL_E10value_typeEPSM_NS1_7vsmem_tEENKUlT_SK_SL_SM_E_clISE_PiSF_SF_EESJ_SZ_SK_SL_SM_EUlSZ_E1_NS1_11comp_targetILNS1_3genE5ELNS1_11target_archE942ELNS1_3gpuE9ELNS1_3repE0EEENS1_36merge_oddeven_config_static_selectorELNS0_4arch9wavefront6targetE0EEEvSL_
	.globl	_ZN7rocprim17ROCPRIM_400000_NS6detail17trampoline_kernelINS0_14default_configENS1_38merge_sort_block_merge_config_selectorIiNS0_10empty_typeEEEZZNS1_27merge_sort_block_merge_implIS3_N6thrust23THRUST_200600_302600_NS6detail15normal_iteratorINS9_10device_ptrIiEEEEPS5_jNS1_19radix_merge_compareILb1ELb1EiNS0_19identity_decomposerEEEEE10hipError_tT0_T1_T2_jT3_P12ihipStream_tbPNSt15iterator_traitsISK_E10value_typeEPNSQ_ISL_E10value_typeEPSM_NS1_7vsmem_tEENKUlT_SK_SL_SM_E_clISE_PiSF_SF_EESJ_SZ_SK_SL_SM_EUlSZ_E1_NS1_11comp_targetILNS1_3genE5ELNS1_11target_archE942ELNS1_3gpuE9ELNS1_3repE0EEENS1_36merge_oddeven_config_static_selectorELNS0_4arch9wavefront6targetE0EEEvSL_
	.p2align	8
	.type	_ZN7rocprim17ROCPRIM_400000_NS6detail17trampoline_kernelINS0_14default_configENS1_38merge_sort_block_merge_config_selectorIiNS0_10empty_typeEEEZZNS1_27merge_sort_block_merge_implIS3_N6thrust23THRUST_200600_302600_NS6detail15normal_iteratorINS9_10device_ptrIiEEEEPS5_jNS1_19radix_merge_compareILb1ELb1EiNS0_19identity_decomposerEEEEE10hipError_tT0_T1_T2_jT3_P12ihipStream_tbPNSt15iterator_traitsISK_E10value_typeEPNSQ_ISL_E10value_typeEPSM_NS1_7vsmem_tEENKUlT_SK_SL_SM_E_clISE_PiSF_SF_EESJ_SZ_SK_SL_SM_EUlSZ_E1_NS1_11comp_targetILNS1_3genE5ELNS1_11target_archE942ELNS1_3gpuE9ELNS1_3repE0EEENS1_36merge_oddeven_config_static_selectorELNS0_4arch9wavefront6targetE0EEEvSL_,@function
_ZN7rocprim17ROCPRIM_400000_NS6detail17trampoline_kernelINS0_14default_configENS1_38merge_sort_block_merge_config_selectorIiNS0_10empty_typeEEEZZNS1_27merge_sort_block_merge_implIS3_N6thrust23THRUST_200600_302600_NS6detail15normal_iteratorINS9_10device_ptrIiEEEEPS5_jNS1_19radix_merge_compareILb1ELb1EiNS0_19identity_decomposerEEEEE10hipError_tT0_T1_T2_jT3_P12ihipStream_tbPNSt15iterator_traitsISK_E10value_typeEPNSQ_ISL_E10value_typeEPSM_NS1_7vsmem_tEENKUlT_SK_SL_SM_E_clISE_PiSF_SF_EESJ_SZ_SK_SL_SM_EUlSZ_E1_NS1_11comp_targetILNS1_3genE5ELNS1_11target_archE942ELNS1_3gpuE9ELNS1_3repE0EEENS1_36merge_oddeven_config_static_selectorELNS0_4arch9wavefront6targetE0EEEvSL_: ; @_ZN7rocprim17ROCPRIM_400000_NS6detail17trampoline_kernelINS0_14default_configENS1_38merge_sort_block_merge_config_selectorIiNS0_10empty_typeEEEZZNS1_27merge_sort_block_merge_implIS3_N6thrust23THRUST_200600_302600_NS6detail15normal_iteratorINS9_10device_ptrIiEEEEPS5_jNS1_19radix_merge_compareILb1ELb1EiNS0_19identity_decomposerEEEEE10hipError_tT0_T1_T2_jT3_P12ihipStream_tbPNSt15iterator_traitsISK_E10value_typeEPNSQ_ISL_E10value_typeEPSM_NS1_7vsmem_tEENKUlT_SK_SL_SM_E_clISE_PiSF_SF_EESJ_SZ_SK_SL_SM_EUlSZ_E1_NS1_11comp_targetILNS1_3genE5ELNS1_11target_archE942ELNS1_3gpuE9ELNS1_3repE0EEENS1_36merge_oddeven_config_static_selectorELNS0_4arch9wavefront6targetE0EEEvSL_
; %bb.0:
	.section	.rodata,"a",@progbits
	.p2align	6, 0x0
	.amdhsa_kernel _ZN7rocprim17ROCPRIM_400000_NS6detail17trampoline_kernelINS0_14default_configENS1_38merge_sort_block_merge_config_selectorIiNS0_10empty_typeEEEZZNS1_27merge_sort_block_merge_implIS3_N6thrust23THRUST_200600_302600_NS6detail15normal_iteratorINS9_10device_ptrIiEEEEPS5_jNS1_19radix_merge_compareILb1ELb1EiNS0_19identity_decomposerEEEEE10hipError_tT0_T1_T2_jT3_P12ihipStream_tbPNSt15iterator_traitsISK_E10value_typeEPNSQ_ISL_E10value_typeEPSM_NS1_7vsmem_tEENKUlT_SK_SL_SM_E_clISE_PiSF_SF_EESJ_SZ_SK_SL_SM_EUlSZ_E1_NS1_11comp_targetILNS1_3genE5ELNS1_11target_archE942ELNS1_3gpuE9ELNS1_3repE0EEENS1_36merge_oddeven_config_static_selectorELNS0_4arch9wavefront6targetE0EEEvSL_
		.amdhsa_group_segment_fixed_size 0
		.amdhsa_private_segment_fixed_size 0
		.amdhsa_kernarg_size 48
		.amdhsa_user_sgpr_count 6
		.amdhsa_user_sgpr_private_segment_buffer 1
		.amdhsa_user_sgpr_dispatch_ptr 0
		.amdhsa_user_sgpr_queue_ptr 0
		.amdhsa_user_sgpr_kernarg_segment_ptr 1
		.amdhsa_user_sgpr_dispatch_id 0
		.amdhsa_user_sgpr_flat_scratch_init 0
		.amdhsa_user_sgpr_private_segment_size 0
		.amdhsa_wavefront_size32 1
		.amdhsa_uses_dynamic_stack 0
		.amdhsa_system_sgpr_private_segment_wavefront_offset 0
		.amdhsa_system_sgpr_workgroup_id_x 1
		.amdhsa_system_sgpr_workgroup_id_y 0
		.amdhsa_system_sgpr_workgroup_id_z 0
		.amdhsa_system_sgpr_workgroup_info 0
		.amdhsa_system_vgpr_workitem_id 0
		.amdhsa_next_free_vgpr 1
		.amdhsa_next_free_sgpr 1
		.amdhsa_reserve_vcc 0
		.amdhsa_reserve_flat_scratch 0
		.amdhsa_float_round_mode_32 0
		.amdhsa_float_round_mode_16_64 0
		.amdhsa_float_denorm_mode_32 3
		.amdhsa_float_denorm_mode_16_64 3
		.amdhsa_dx10_clamp 1
		.amdhsa_ieee_mode 1
		.amdhsa_fp16_overflow 0
		.amdhsa_workgroup_processor_mode 1
		.amdhsa_memory_ordered 1
		.amdhsa_forward_progress 1
		.amdhsa_shared_vgpr_count 0
		.amdhsa_exception_fp_ieee_invalid_op 0
		.amdhsa_exception_fp_denorm_src 0
		.amdhsa_exception_fp_ieee_div_zero 0
		.amdhsa_exception_fp_ieee_overflow 0
		.amdhsa_exception_fp_ieee_underflow 0
		.amdhsa_exception_fp_ieee_inexact 0
		.amdhsa_exception_int_div_zero 0
	.end_amdhsa_kernel
	.section	.text._ZN7rocprim17ROCPRIM_400000_NS6detail17trampoline_kernelINS0_14default_configENS1_38merge_sort_block_merge_config_selectorIiNS0_10empty_typeEEEZZNS1_27merge_sort_block_merge_implIS3_N6thrust23THRUST_200600_302600_NS6detail15normal_iteratorINS9_10device_ptrIiEEEEPS5_jNS1_19radix_merge_compareILb1ELb1EiNS0_19identity_decomposerEEEEE10hipError_tT0_T1_T2_jT3_P12ihipStream_tbPNSt15iterator_traitsISK_E10value_typeEPNSQ_ISL_E10value_typeEPSM_NS1_7vsmem_tEENKUlT_SK_SL_SM_E_clISE_PiSF_SF_EESJ_SZ_SK_SL_SM_EUlSZ_E1_NS1_11comp_targetILNS1_3genE5ELNS1_11target_archE942ELNS1_3gpuE9ELNS1_3repE0EEENS1_36merge_oddeven_config_static_selectorELNS0_4arch9wavefront6targetE0EEEvSL_,"axG",@progbits,_ZN7rocprim17ROCPRIM_400000_NS6detail17trampoline_kernelINS0_14default_configENS1_38merge_sort_block_merge_config_selectorIiNS0_10empty_typeEEEZZNS1_27merge_sort_block_merge_implIS3_N6thrust23THRUST_200600_302600_NS6detail15normal_iteratorINS9_10device_ptrIiEEEEPS5_jNS1_19radix_merge_compareILb1ELb1EiNS0_19identity_decomposerEEEEE10hipError_tT0_T1_T2_jT3_P12ihipStream_tbPNSt15iterator_traitsISK_E10value_typeEPNSQ_ISL_E10value_typeEPSM_NS1_7vsmem_tEENKUlT_SK_SL_SM_E_clISE_PiSF_SF_EESJ_SZ_SK_SL_SM_EUlSZ_E1_NS1_11comp_targetILNS1_3genE5ELNS1_11target_archE942ELNS1_3gpuE9ELNS1_3repE0EEENS1_36merge_oddeven_config_static_selectorELNS0_4arch9wavefront6targetE0EEEvSL_,comdat
.Lfunc_end312:
	.size	_ZN7rocprim17ROCPRIM_400000_NS6detail17trampoline_kernelINS0_14default_configENS1_38merge_sort_block_merge_config_selectorIiNS0_10empty_typeEEEZZNS1_27merge_sort_block_merge_implIS3_N6thrust23THRUST_200600_302600_NS6detail15normal_iteratorINS9_10device_ptrIiEEEEPS5_jNS1_19radix_merge_compareILb1ELb1EiNS0_19identity_decomposerEEEEE10hipError_tT0_T1_T2_jT3_P12ihipStream_tbPNSt15iterator_traitsISK_E10value_typeEPNSQ_ISL_E10value_typeEPSM_NS1_7vsmem_tEENKUlT_SK_SL_SM_E_clISE_PiSF_SF_EESJ_SZ_SK_SL_SM_EUlSZ_E1_NS1_11comp_targetILNS1_3genE5ELNS1_11target_archE942ELNS1_3gpuE9ELNS1_3repE0EEENS1_36merge_oddeven_config_static_selectorELNS0_4arch9wavefront6targetE0EEEvSL_, .Lfunc_end312-_ZN7rocprim17ROCPRIM_400000_NS6detail17trampoline_kernelINS0_14default_configENS1_38merge_sort_block_merge_config_selectorIiNS0_10empty_typeEEEZZNS1_27merge_sort_block_merge_implIS3_N6thrust23THRUST_200600_302600_NS6detail15normal_iteratorINS9_10device_ptrIiEEEEPS5_jNS1_19radix_merge_compareILb1ELb1EiNS0_19identity_decomposerEEEEE10hipError_tT0_T1_T2_jT3_P12ihipStream_tbPNSt15iterator_traitsISK_E10value_typeEPNSQ_ISL_E10value_typeEPSM_NS1_7vsmem_tEENKUlT_SK_SL_SM_E_clISE_PiSF_SF_EESJ_SZ_SK_SL_SM_EUlSZ_E1_NS1_11comp_targetILNS1_3genE5ELNS1_11target_archE942ELNS1_3gpuE9ELNS1_3repE0EEENS1_36merge_oddeven_config_static_selectorELNS0_4arch9wavefront6targetE0EEEvSL_
                                        ; -- End function
	.set _ZN7rocprim17ROCPRIM_400000_NS6detail17trampoline_kernelINS0_14default_configENS1_38merge_sort_block_merge_config_selectorIiNS0_10empty_typeEEEZZNS1_27merge_sort_block_merge_implIS3_N6thrust23THRUST_200600_302600_NS6detail15normal_iteratorINS9_10device_ptrIiEEEEPS5_jNS1_19radix_merge_compareILb1ELb1EiNS0_19identity_decomposerEEEEE10hipError_tT0_T1_T2_jT3_P12ihipStream_tbPNSt15iterator_traitsISK_E10value_typeEPNSQ_ISL_E10value_typeEPSM_NS1_7vsmem_tEENKUlT_SK_SL_SM_E_clISE_PiSF_SF_EESJ_SZ_SK_SL_SM_EUlSZ_E1_NS1_11comp_targetILNS1_3genE5ELNS1_11target_archE942ELNS1_3gpuE9ELNS1_3repE0EEENS1_36merge_oddeven_config_static_selectorELNS0_4arch9wavefront6targetE0EEEvSL_.num_vgpr, 0
	.set _ZN7rocprim17ROCPRIM_400000_NS6detail17trampoline_kernelINS0_14default_configENS1_38merge_sort_block_merge_config_selectorIiNS0_10empty_typeEEEZZNS1_27merge_sort_block_merge_implIS3_N6thrust23THRUST_200600_302600_NS6detail15normal_iteratorINS9_10device_ptrIiEEEEPS5_jNS1_19radix_merge_compareILb1ELb1EiNS0_19identity_decomposerEEEEE10hipError_tT0_T1_T2_jT3_P12ihipStream_tbPNSt15iterator_traitsISK_E10value_typeEPNSQ_ISL_E10value_typeEPSM_NS1_7vsmem_tEENKUlT_SK_SL_SM_E_clISE_PiSF_SF_EESJ_SZ_SK_SL_SM_EUlSZ_E1_NS1_11comp_targetILNS1_3genE5ELNS1_11target_archE942ELNS1_3gpuE9ELNS1_3repE0EEENS1_36merge_oddeven_config_static_selectorELNS0_4arch9wavefront6targetE0EEEvSL_.num_agpr, 0
	.set _ZN7rocprim17ROCPRIM_400000_NS6detail17trampoline_kernelINS0_14default_configENS1_38merge_sort_block_merge_config_selectorIiNS0_10empty_typeEEEZZNS1_27merge_sort_block_merge_implIS3_N6thrust23THRUST_200600_302600_NS6detail15normal_iteratorINS9_10device_ptrIiEEEEPS5_jNS1_19radix_merge_compareILb1ELb1EiNS0_19identity_decomposerEEEEE10hipError_tT0_T1_T2_jT3_P12ihipStream_tbPNSt15iterator_traitsISK_E10value_typeEPNSQ_ISL_E10value_typeEPSM_NS1_7vsmem_tEENKUlT_SK_SL_SM_E_clISE_PiSF_SF_EESJ_SZ_SK_SL_SM_EUlSZ_E1_NS1_11comp_targetILNS1_3genE5ELNS1_11target_archE942ELNS1_3gpuE9ELNS1_3repE0EEENS1_36merge_oddeven_config_static_selectorELNS0_4arch9wavefront6targetE0EEEvSL_.numbered_sgpr, 0
	.set _ZN7rocprim17ROCPRIM_400000_NS6detail17trampoline_kernelINS0_14default_configENS1_38merge_sort_block_merge_config_selectorIiNS0_10empty_typeEEEZZNS1_27merge_sort_block_merge_implIS3_N6thrust23THRUST_200600_302600_NS6detail15normal_iteratorINS9_10device_ptrIiEEEEPS5_jNS1_19radix_merge_compareILb1ELb1EiNS0_19identity_decomposerEEEEE10hipError_tT0_T1_T2_jT3_P12ihipStream_tbPNSt15iterator_traitsISK_E10value_typeEPNSQ_ISL_E10value_typeEPSM_NS1_7vsmem_tEENKUlT_SK_SL_SM_E_clISE_PiSF_SF_EESJ_SZ_SK_SL_SM_EUlSZ_E1_NS1_11comp_targetILNS1_3genE5ELNS1_11target_archE942ELNS1_3gpuE9ELNS1_3repE0EEENS1_36merge_oddeven_config_static_selectorELNS0_4arch9wavefront6targetE0EEEvSL_.num_named_barrier, 0
	.set _ZN7rocprim17ROCPRIM_400000_NS6detail17trampoline_kernelINS0_14default_configENS1_38merge_sort_block_merge_config_selectorIiNS0_10empty_typeEEEZZNS1_27merge_sort_block_merge_implIS3_N6thrust23THRUST_200600_302600_NS6detail15normal_iteratorINS9_10device_ptrIiEEEEPS5_jNS1_19radix_merge_compareILb1ELb1EiNS0_19identity_decomposerEEEEE10hipError_tT0_T1_T2_jT3_P12ihipStream_tbPNSt15iterator_traitsISK_E10value_typeEPNSQ_ISL_E10value_typeEPSM_NS1_7vsmem_tEENKUlT_SK_SL_SM_E_clISE_PiSF_SF_EESJ_SZ_SK_SL_SM_EUlSZ_E1_NS1_11comp_targetILNS1_3genE5ELNS1_11target_archE942ELNS1_3gpuE9ELNS1_3repE0EEENS1_36merge_oddeven_config_static_selectorELNS0_4arch9wavefront6targetE0EEEvSL_.private_seg_size, 0
	.set _ZN7rocprim17ROCPRIM_400000_NS6detail17trampoline_kernelINS0_14default_configENS1_38merge_sort_block_merge_config_selectorIiNS0_10empty_typeEEEZZNS1_27merge_sort_block_merge_implIS3_N6thrust23THRUST_200600_302600_NS6detail15normal_iteratorINS9_10device_ptrIiEEEEPS5_jNS1_19radix_merge_compareILb1ELb1EiNS0_19identity_decomposerEEEEE10hipError_tT0_T1_T2_jT3_P12ihipStream_tbPNSt15iterator_traitsISK_E10value_typeEPNSQ_ISL_E10value_typeEPSM_NS1_7vsmem_tEENKUlT_SK_SL_SM_E_clISE_PiSF_SF_EESJ_SZ_SK_SL_SM_EUlSZ_E1_NS1_11comp_targetILNS1_3genE5ELNS1_11target_archE942ELNS1_3gpuE9ELNS1_3repE0EEENS1_36merge_oddeven_config_static_selectorELNS0_4arch9wavefront6targetE0EEEvSL_.uses_vcc, 0
	.set _ZN7rocprim17ROCPRIM_400000_NS6detail17trampoline_kernelINS0_14default_configENS1_38merge_sort_block_merge_config_selectorIiNS0_10empty_typeEEEZZNS1_27merge_sort_block_merge_implIS3_N6thrust23THRUST_200600_302600_NS6detail15normal_iteratorINS9_10device_ptrIiEEEEPS5_jNS1_19radix_merge_compareILb1ELb1EiNS0_19identity_decomposerEEEEE10hipError_tT0_T1_T2_jT3_P12ihipStream_tbPNSt15iterator_traitsISK_E10value_typeEPNSQ_ISL_E10value_typeEPSM_NS1_7vsmem_tEENKUlT_SK_SL_SM_E_clISE_PiSF_SF_EESJ_SZ_SK_SL_SM_EUlSZ_E1_NS1_11comp_targetILNS1_3genE5ELNS1_11target_archE942ELNS1_3gpuE9ELNS1_3repE0EEENS1_36merge_oddeven_config_static_selectorELNS0_4arch9wavefront6targetE0EEEvSL_.uses_flat_scratch, 0
	.set _ZN7rocprim17ROCPRIM_400000_NS6detail17trampoline_kernelINS0_14default_configENS1_38merge_sort_block_merge_config_selectorIiNS0_10empty_typeEEEZZNS1_27merge_sort_block_merge_implIS3_N6thrust23THRUST_200600_302600_NS6detail15normal_iteratorINS9_10device_ptrIiEEEEPS5_jNS1_19radix_merge_compareILb1ELb1EiNS0_19identity_decomposerEEEEE10hipError_tT0_T1_T2_jT3_P12ihipStream_tbPNSt15iterator_traitsISK_E10value_typeEPNSQ_ISL_E10value_typeEPSM_NS1_7vsmem_tEENKUlT_SK_SL_SM_E_clISE_PiSF_SF_EESJ_SZ_SK_SL_SM_EUlSZ_E1_NS1_11comp_targetILNS1_3genE5ELNS1_11target_archE942ELNS1_3gpuE9ELNS1_3repE0EEENS1_36merge_oddeven_config_static_selectorELNS0_4arch9wavefront6targetE0EEEvSL_.has_dyn_sized_stack, 0
	.set _ZN7rocprim17ROCPRIM_400000_NS6detail17trampoline_kernelINS0_14default_configENS1_38merge_sort_block_merge_config_selectorIiNS0_10empty_typeEEEZZNS1_27merge_sort_block_merge_implIS3_N6thrust23THRUST_200600_302600_NS6detail15normal_iteratorINS9_10device_ptrIiEEEEPS5_jNS1_19radix_merge_compareILb1ELb1EiNS0_19identity_decomposerEEEEE10hipError_tT0_T1_T2_jT3_P12ihipStream_tbPNSt15iterator_traitsISK_E10value_typeEPNSQ_ISL_E10value_typeEPSM_NS1_7vsmem_tEENKUlT_SK_SL_SM_E_clISE_PiSF_SF_EESJ_SZ_SK_SL_SM_EUlSZ_E1_NS1_11comp_targetILNS1_3genE5ELNS1_11target_archE942ELNS1_3gpuE9ELNS1_3repE0EEENS1_36merge_oddeven_config_static_selectorELNS0_4arch9wavefront6targetE0EEEvSL_.has_recursion, 0
	.set _ZN7rocprim17ROCPRIM_400000_NS6detail17trampoline_kernelINS0_14default_configENS1_38merge_sort_block_merge_config_selectorIiNS0_10empty_typeEEEZZNS1_27merge_sort_block_merge_implIS3_N6thrust23THRUST_200600_302600_NS6detail15normal_iteratorINS9_10device_ptrIiEEEEPS5_jNS1_19radix_merge_compareILb1ELb1EiNS0_19identity_decomposerEEEEE10hipError_tT0_T1_T2_jT3_P12ihipStream_tbPNSt15iterator_traitsISK_E10value_typeEPNSQ_ISL_E10value_typeEPSM_NS1_7vsmem_tEENKUlT_SK_SL_SM_E_clISE_PiSF_SF_EESJ_SZ_SK_SL_SM_EUlSZ_E1_NS1_11comp_targetILNS1_3genE5ELNS1_11target_archE942ELNS1_3gpuE9ELNS1_3repE0EEENS1_36merge_oddeven_config_static_selectorELNS0_4arch9wavefront6targetE0EEEvSL_.has_indirect_call, 0
	.section	.AMDGPU.csdata,"",@progbits
; Kernel info:
; codeLenInByte = 0
; TotalNumSgprs: 0
; NumVgprs: 0
; ScratchSize: 0
; MemoryBound: 0
; FloatMode: 240
; IeeeMode: 1
; LDSByteSize: 0 bytes/workgroup (compile time only)
; SGPRBlocks: 0
; VGPRBlocks: 0
; NumSGPRsForWavesPerEU: 1
; NumVGPRsForWavesPerEU: 1
; Occupancy: 16
; WaveLimiterHint : 0
; COMPUTE_PGM_RSRC2:SCRATCH_EN: 0
; COMPUTE_PGM_RSRC2:USER_SGPR: 6
; COMPUTE_PGM_RSRC2:TRAP_HANDLER: 0
; COMPUTE_PGM_RSRC2:TGID_X_EN: 1
; COMPUTE_PGM_RSRC2:TGID_Y_EN: 0
; COMPUTE_PGM_RSRC2:TGID_Z_EN: 0
; COMPUTE_PGM_RSRC2:TIDIG_COMP_CNT: 0
	.section	.text._ZN7rocprim17ROCPRIM_400000_NS6detail17trampoline_kernelINS0_14default_configENS1_38merge_sort_block_merge_config_selectorIiNS0_10empty_typeEEEZZNS1_27merge_sort_block_merge_implIS3_N6thrust23THRUST_200600_302600_NS6detail15normal_iteratorINS9_10device_ptrIiEEEEPS5_jNS1_19radix_merge_compareILb1ELb1EiNS0_19identity_decomposerEEEEE10hipError_tT0_T1_T2_jT3_P12ihipStream_tbPNSt15iterator_traitsISK_E10value_typeEPNSQ_ISL_E10value_typeEPSM_NS1_7vsmem_tEENKUlT_SK_SL_SM_E_clISE_PiSF_SF_EESJ_SZ_SK_SL_SM_EUlSZ_E1_NS1_11comp_targetILNS1_3genE4ELNS1_11target_archE910ELNS1_3gpuE8ELNS1_3repE0EEENS1_36merge_oddeven_config_static_selectorELNS0_4arch9wavefront6targetE0EEEvSL_,"axG",@progbits,_ZN7rocprim17ROCPRIM_400000_NS6detail17trampoline_kernelINS0_14default_configENS1_38merge_sort_block_merge_config_selectorIiNS0_10empty_typeEEEZZNS1_27merge_sort_block_merge_implIS3_N6thrust23THRUST_200600_302600_NS6detail15normal_iteratorINS9_10device_ptrIiEEEEPS5_jNS1_19radix_merge_compareILb1ELb1EiNS0_19identity_decomposerEEEEE10hipError_tT0_T1_T2_jT3_P12ihipStream_tbPNSt15iterator_traitsISK_E10value_typeEPNSQ_ISL_E10value_typeEPSM_NS1_7vsmem_tEENKUlT_SK_SL_SM_E_clISE_PiSF_SF_EESJ_SZ_SK_SL_SM_EUlSZ_E1_NS1_11comp_targetILNS1_3genE4ELNS1_11target_archE910ELNS1_3gpuE8ELNS1_3repE0EEENS1_36merge_oddeven_config_static_selectorELNS0_4arch9wavefront6targetE0EEEvSL_,comdat
	.protected	_ZN7rocprim17ROCPRIM_400000_NS6detail17trampoline_kernelINS0_14default_configENS1_38merge_sort_block_merge_config_selectorIiNS0_10empty_typeEEEZZNS1_27merge_sort_block_merge_implIS3_N6thrust23THRUST_200600_302600_NS6detail15normal_iteratorINS9_10device_ptrIiEEEEPS5_jNS1_19radix_merge_compareILb1ELb1EiNS0_19identity_decomposerEEEEE10hipError_tT0_T1_T2_jT3_P12ihipStream_tbPNSt15iterator_traitsISK_E10value_typeEPNSQ_ISL_E10value_typeEPSM_NS1_7vsmem_tEENKUlT_SK_SL_SM_E_clISE_PiSF_SF_EESJ_SZ_SK_SL_SM_EUlSZ_E1_NS1_11comp_targetILNS1_3genE4ELNS1_11target_archE910ELNS1_3gpuE8ELNS1_3repE0EEENS1_36merge_oddeven_config_static_selectorELNS0_4arch9wavefront6targetE0EEEvSL_ ; -- Begin function _ZN7rocprim17ROCPRIM_400000_NS6detail17trampoline_kernelINS0_14default_configENS1_38merge_sort_block_merge_config_selectorIiNS0_10empty_typeEEEZZNS1_27merge_sort_block_merge_implIS3_N6thrust23THRUST_200600_302600_NS6detail15normal_iteratorINS9_10device_ptrIiEEEEPS5_jNS1_19radix_merge_compareILb1ELb1EiNS0_19identity_decomposerEEEEE10hipError_tT0_T1_T2_jT3_P12ihipStream_tbPNSt15iterator_traitsISK_E10value_typeEPNSQ_ISL_E10value_typeEPSM_NS1_7vsmem_tEENKUlT_SK_SL_SM_E_clISE_PiSF_SF_EESJ_SZ_SK_SL_SM_EUlSZ_E1_NS1_11comp_targetILNS1_3genE4ELNS1_11target_archE910ELNS1_3gpuE8ELNS1_3repE0EEENS1_36merge_oddeven_config_static_selectorELNS0_4arch9wavefront6targetE0EEEvSL_
	.globl	_ZN7rocprim17ROCPRIM_400000_NS6detail17trampoline_kernelINS0_14default_configENS1_38merge_sort_block_merge_config_selectorIiNS0_10empty_typeEEEZZNS1_27merge_sort_block_merge_implIS3_N6thrust23THRUST_200600_302600_NS6detail15normal_iteratorINS9_10device_ptrIiEEEEPS5_jNS1_19radix_merge_compareILb1ELb1EiNS0_19identity_decomposerEEEEE10hipError_tT0_T1_T2_jT3_P12ihipStream_tbPNSt15iterator_traitsISK_E10value_typeEPNSQ_ISL_E10value_typeEPSM_NS1_7vsmem_tEENKUlT_SK_SL_SM_E_clISE_PiSF_SF_EESJ_SZ_SK_SL_SM_EUlSZ_E1_NS1_11comp_targetILNS1_3genE4ELNS1_11target_archE910ELNS1_3gpuE8ELNS1_3repE0EEENS1_36merge_oddeven_config_static_selectorELNS0_4arch9wavefront6targetE0EEEvSL_
	.p2align	8
	.type	_ZN7rocprim17ROCPRIM_400000_NS6detail17trampoline_kernelINS0_14default_configENS1_38merge_sort_block_merge_config_selectorIiNS0_10empty_typeEEEZZNS1_27merge_sort_block_merge_implIS3_N6thrust23THRUST_200600_302600_NS6detail15normal_iteratorINS9_10device_ptrIiEEEEPS5_jNS1_19radix_merge_compareILb1ELb1EiNS0_19identity_decomposerEEEEE10hipError_tT0_T1_T2_jT3_P12ihipStream_tbPNSt15iterator_traitsISK_E10value_typeEPNSQ_ISL_E10value_typeEPSM_NS1_7vsmem_tEENKUlT_SK_SL_SM_E_clISE_PiSF_SF_EESJ_SZ_SK_SL_SM_EUlSZ_E1_NS1_11comp_targetILNS1_3genE4ELNS1_11target_archE910ELNS1_3gpuE8ELNS1_3repE0EEENS1_36merge_oddeven_config_static_selectorELNS0_4arch9wavefront6targetE0EEEvSL_,@function
_ZN7rocprim17ROCPRIM_400000_NS6detail17trampoline_kernelINS0_14default_configENS1_38merge_sort_block_merge_config_selectorIiNS0_10empty_typeEEEZZNS1_27merge_sort_block_merge_implIS3_N6thrust23THRUST_200600_302600_NS6detail15normal_iteratorINS9_10device_ptrIiEEEEPS5_jNS1_19radix_merge_compareILb1ELb1EiNS0_19identity_decomposerEEEEE10hipError_tT0_T1_T2_jT3_P12ihipStream_tbPNSt15iterator_traitsISK_E10value_typeEPNSQ_ISL_E10value_typeEPSM_NS1_7vsmem_tEENKUlT_SK_SL_SM_E_clISE_PiSF_SF_EESJ_SZ_SK_SL_SM_EUlSZ_E1_NS1_11comp_targetILNS1_3genE4ELNS1_11target_archE910ELNS1_3gpuE8ELNS1_3repE0EEENS1_36merge_oddeven_config_static_selectorELNS0_4arch9wavefront6targetE0EEEvSL_: ; @_ZN7rocprim17ROCPRIM_400000_NS6detail17trampoline_kernelINS0_14default_configENS1_38merge_sort_block_merge_config_selectorIiNS0_10empty_typeEEEZZNS1_27merge_sort_block_merge_implIS3_N6thrust23THRUST_200600_302600_NS6detail15normal_iteratorINS9_10device_ptrIiEEEEPS5_jNS1_19radix_merge_compareILb1ELb1EiNS0_19identity_decomposerEEEEE10hipError_tT0_T1_T2_jT3_P12ihipStream_tbPNSt15iterator_traitsISK_E10value_typeEPNSQ_ISL_E10value_typeEPSM_NS1_7vsmem_tEENKUlT_SK_SL_SM_E_clISE_PiSF_SF_EESJ_SZ_SK_SL_SM_EUlSZ_E1_NS1_11comp_targetILNS1_3genE4ELNS1_11target_archE910ELNS1_3gpuE8ELNS1_3repE0EEENS1_36merge_oddeven_config_static_selectorELNS0_4arch9wavefront6targetE0EEEvSL_
; %bb.0:
	.section	.rodata,"a",@progbits
	.p2align	6, 0x0
	.amdhsa_kernel _ZN7rocprim17ROCPRIM_400000_NS6detail17trampoline_kernelINS0_14default_configENS1_38merge_sort_block_merge_config_selectorIiNS0_10empty_typeEEEZZNS1_27merge_sort_block_merge_implIS3_N6thrust23THRUST_200600_302600_NS6detail15normal_iteratorINS9_10device_ptrIiEEEEPS5_jNS1_19radix_merge_compareILb1ELb1EiNS0_19identity_decomposerEEEEE10hipError_tT0_T1_T2_jT3_P12ihipStream_tbPNSt15iterator_traitsISK_E10value_typeEPNSQ_ISL_E10value_typeEPSM_NS1_7vsmem_tEENKUlT_SK_SL_SM_E_clISE_PiSF_SF_EESJ_SZ_SK_SL_SM_EUlSZ_E1_NS1_11comp_targetILNS1_3genE4ELNS1_11target_archE910ELNS1_3gpuE8ELNS1_3repE0EEENS1_36merge_oddeven_config_static_selectorELNS0_4arch9wavefront6targetE0EEEvSL_
		.amdhsa_group_segment_fixed_size 0
		.amdhsa_private_segment_fixed_size 0
		.amdhsa_kernarg_size 48
		.amdhsa_user_sgpr_count 6
		.amdhsa_user_sgpr_private_segment_buffer 1
		.amdhsa_user_sgpr_dispatch_ptr 0
		.amdhsa_user_sgpr_queue_ptr 0
		.amdhsa_user_sgpr_kernarg_segment_ptr 1
		.amdhsa_user_sgpr_dispatch_id 0
		.amdhsa_user_sgpr_flat_scratch_init 0
		.amdhsa_user_sgpr_private_segment_size 0
		.amdhsa_wavefront_size32 1
		.amdhsa_uses_dynamic_stack 0
		.amdhsa_system_sgpr_private_segment_wavefront_offset 0
		.amdhsa_system_sgpr_workgroup_id_x 1
		.amdhsa_system_sgpr_workgroup_id_y 0
		.amdhsa_system_sgpr_workgroup_id_z 0
		.amdhsa_system_sgpr_workgroup_info 0
		.amdhsa_system_vgpr_workitem_id 0
		.amdhsa_next_free_vgpr 1
		.amdhsa_next_free_sgpr 1
		.amdhsa_reserve_vcc 0
		.amdhsa_reserve_flat_scratch 0
		.amdhsa_float_round_mode_32 0
		.amdhsa_float_round_mode_16_64 0
		.amdhsa_float_denorm_mode_32 3
		.amdhsa_float_denorm_mode_16_64 3
		.amdhsa_dx10_clamp 1
		.amdhsa_ieee_mode 1
		.amdhsa_fp16_overflow 0
		.amdhsa_workgroup_processor_mode 1
		.amdhsa_memory_ordered 1
		.amdhsa_forward_progress 1
		.amdhsa_shared_vgpr_count 0
		.amdhsa_exception_fp_ieee_invalid_op 0
		.amdhsa_exception_fp_denorm_src 0
		.amdhsa_exception_fp_ieee_div_zero 0
		.amdhsa_exception_fp_ieee_overflow 0
		.amdhsa_exception_fp_ieee_underflow 0
		.amdhsa_exception_fp_ieee_inexact 0
		.amdhsa_exception_int_div_zero 0
	.end_amdhsa_kernel
	.section	.text._ZN7rocprim17ROCPRIM_400000_NS6detail17trampoline_kernelINS0_14default_configENS1_38merge_sort_block_merge_config_selectorIiNS0_10empty_typeEEEZZNS1_27merge_sort_block_merge_implIS3_N6thrust23THRUST_200600_302600_NS6detail15normal_iteratorINS9_10device_ptrIiEEEEPS5_jNS1_19radix_merge_compareILb1ELb1EiNS0_19identity_decomposerEEEEE10hipError_tT0_T1_T2_jT3_P12ihipStream_tbPNSt15iterator_traitsISK_E10value_typeEPNSQ_ISL_E10value_typeEPSM_NS1_7vsmem_tEENKUlT_SK_SL_SM_E_clISE_PiSF_SF_EESJ_SZ_SK_SL_SM_EUlSZ_E1_NS1_11comp_targetILNS1_3genE4ELNS1_11target_archE910ELNS1_3gpuE8ELNS1_3repE0EEENS1_36merge_oddeven_config_static_selectorELNS0_4arch9wavefront6targetE0EEEvSL_,"axG",@progbits,_ZN7rocprim17ROCPRIM_400000_NS6detail17trampoline_kernelINS0_14default_configENS1_38merge_sort_block_merge_config_selectorIiNS0_10empty_typeEEEZZNS1_27merge_sort_block_merge_implIS3_N6thrust23THRUST_200600_302600_NS6detail15normal_iteratorINS9_10device_ptrIiEEEEPS5_jNS1_19radix_merge_compareILb1ELb1EiNS0_19identity_decomposerEEEEE10hipError_tT0_T1_T2_jT3_P12ihipStream_tbPNSt15iterator_traitsISK_E10value_typeEPNSQ_ISL_E10value_typeEPSM_NS1_7vsmem_tEENKUlT_SK_SL_SM_E_clISE_PiSF_SF_EESJ_SZ_SK_SL_SM_EUlSZ_E1_NS1_11comp_targetILNS1_3genE4ELNS1_11target_archE910ELNS1_3gpuE8ELNS1_3repE0EEENS1_36merge_oddeven_config_static_selectorELNS0_4arch9wavefront6targetE0EEEvSL_,comdat
.Lfunc_end313:
	.size	_ZN7rocprim17ROCPRIM_400000_NS6detail17trampoline_kernelINS0_14default_configENS1_38merge_sort_block_merge_config_selectorIiNS0_10empty_typeEEEZZNS1_27merge_sort_block_merge_implIS3_N6thrust23THRUST_200600_302600_NS6detail15normal_iteratorINS9_10device_ptrIiEEEEPS5_jNS1_19radix_merge_compareILb1ELb1EiNS0_19identity_decomposerEEEEE10hipError_tT0_T1_T2_jT3_P12ihipStream_tbPNSt15iterator_traitsISK_E10value_typeEPNSQ_ISL_E10value_typeEPSM_NS1_7vsmem_tEENKUlT_SK_SL_SM_E_clISE_PiSF_SF_EESJ_SZ_SK_SL_SM_EUlSZ_E1_NS1_11comp_targetILNS1_3genE4ELNS1_11target_archE910ELNS1_3gpuE8ELNS1_3repE0EEENS1_36merge_oddeven_config_static_selectorELNS0_4arch9wavefront6targetE0EEEvSL_, .Lfunc_end313-_ZN7rocprim17ROCPRIM_400000_NS6detail17trampoline_kernelINS0_14default_configENS1_38merge_sort_block_merge_config_selectorIiNS0_10empty_typeEEEZZNS1_27merge_sort_block_merge_implIS3_N6thrust23THRUST_200600_302600_NS6detail15normal_iteratorINS9_10device_ptrIiEEEEPS5_jNS1_19radix_merge_compareILb1ELb1EiNS0_19identity_decomposerEEEEE10hipError_tT0_T1_T2_jT3_P12ihipStream_tbPNSt15iterator_traitsISK_E10value_typeEPNSQ_ISL_E10value_typeEPSM_NS1_7vsmem_tEENKUlT_SK_SL_SM_E_clISE_PiSF_SF_EESJ_SZ_SK_SL_SM_EUlSZ_E1_NS1_11comp_targetILNS1_3genE4ELNS1_11target_archE910ELNS1_3gpuE8ELNS1_3repE0EEENS1_36merge_oddeven_config_static_selectorELNS0_4arch9wavefront6targetE0EEEvSL_
                                        ; -- End function
	.set _ZN7rocprim17ROCPRIM_400000_NS6detail17trampoline_kernelINS0_14default_configENS1_38merge_sort_block_merge_config_selectorIiNS0_10empty_typeEEEZZNS1_27merge_sort_block_merge_implIS3_N6thrust23THRUST_200600_302600_NS6detail15normal_iteratorINS9_10device_ptrIiEEEEPS5_jNS1_19radix_merge_compareILb1ELb1EiNS0_19identity_decomposerEEEEE10hipError_tT0_T1_T2_jT3_P12ihipStream_tbPNSt15iterator_traitsISK_E10value_typeEPNSQ_ISL_E10value_typeEPSM_NS1_7vsmem_tEENKUlT_SK_SL_SM_E_clISE_PiSF_SF_EESJ_SZ_SK_SL_SM_EUlSZ_E1_NS1_11comp_targetILNS1_3genE4ELNS1_11target_archE910ELNS1_3gpuE8ELNS1_3repE0EEENS1_36merge_oddeven_config_static_selectorELNS0_4arch9wavefront6targetE0EEEvSL_.num_vgpr, 0
	.set _ZN7rocprim17ROCPRIM_400000_NS6detail17trampoline_kernelINS0_14default_configENS1_38merge_sort_block_merge_config_selectorIiNS0_10empty_typeEEEZZNS1_27merge_sort_block_merge_implIS3_N6thrust23THRUST_200600_302600_NS6detail15normal_iteratorINS9_10device_ptrIiEEEEPS5_jNS1_19radix_merge_compareILb1ELb1EiNS0_19identity_decomposerEEEEE10hipError_tT0_T1_T2_jT3_P12ihipStream_tbPNSt15iterator_traitsISK_E10value_typeEPNSQ_ISL_E10value_typeEPSM_NS1_7vsmem_tEENKUlT_SK_SL_SM_E_clISE_PiSF_SF_EESJ_SZ_SK_SL_SM_EUlSZ_E1_NS1_11comp_targetILNS1_3genE4ELNS1_11target_archE910ELNS1_3gpuE8ELNS1_3repE0EEENS1_36merge_oddeven_config_static_selectorELNS0_4arch9wavefront6targetE0EEEvSL_.num_agpr, 0
	.set _ZN7rocprim17ROCPRIM_400000_NS6detail17trampoline_kernelINS0_14default_configENS1_38merge_sort_block_merge_config_selectorIiNS0_10empty_typeEEEZZNS1_27merge_sort_block_merge_implIS3_N6thrust23THRUST_200600_302600_NS6detail15normal_iteratorINS9_10device_ptrIiEEEEPS5_jNS1_19radix_merge_compareILb1ELb1EiNS0_19identity_decomposerEEEEE10hipError_tT0_T1_T2_jT3_P12ihipStream_tbPNSt15iterator_traitsISK_E10value_typeEPNSQ_ISL_E10value_typeEPSM_NS1_7vsmem_tEENKUlT_SK_SL_SM_E_clISE_PiSF_SF_EESJ_SZ_SK_SL_SM_EUlSZ_E1_NS1_11comp_targetILNS1_3genE4ELNS1_11target_archE910ELNS1_3gpuE8ELNS1_3repE0EEENS1_36merge_oddeven_config_static_selectorELNS0_4arch9wavefront6targetE0EEEvSL_.numbered_sgpr, 0
	.set _ZN7rocprim17ROCPRIM_400000_NS6detail17trampoline_kernelINS0_14default_configENS1_38merge_sort_block_merge_config_selectorIiNS0_10empty_typeEEEZZNS1_27merge_sort_block_merge_implIS3_N6thrust23THRUST_200600_302600_NS6detail15normal_iteratorINS9_10device_ptrIiEEEEPS5_jNS1_19radix_merge_compareILb1ELb1EiNS0_19identity_decomposerEEEEE10hipError_tT0_T1_T2_jT3_P12ihipStream_tbPNSt15iterator_traitsISK_E10value_typeEPNSQ_ISL_E10value_typeEPSM_NS1_7vsmem_tEENKUlT_SK_SL_SM_E_clISE_PiSF_SF_EESJ_SZ_SK_SL_SM_EUlSZ_E1_NS1_11comp_targetILNS1_3genE4ELNS1_11target_archE910ELNS1_3gpuE8ELNS1_3repE0EEENS1_36merge_oddeven_config_static_selectorELNS0_4arch9wavefront6targetE0EEEvSL_.num_named_barrier, 0
	.set _ZN7rocprim17ROCPRIM_400000_NS6detail17trampoline_kernelINS0_14default_configENS1_38merge_sort_block_merge_config_selectorIiNS0_10empty_typeEEEZZNS1_27merge_sort_block_merge_implIS3_N6thrust23THRUST_200600_302600_NS6detail15normal_iteratorINS9_10device_ptrIiEEEEPS5_jNS1_19radix_merge_compareILb1ELb1EiNS0_19identity_decomposerEEEEE10hipError_tT0_T1_T2_jT3_P12ihipStream_tbPNSt15iterator_traitsISK_E10value_typeEPNSQ_ISL_E10value_typeEPSM_NS1_7vsmem_tEENKUlT_SK_SL_SM_E_clISE_PiSF_SF_EESJ_SZ_SK_SL_SM_EUlSZ_E1_NS1_11comp_targetILNS1_3genE4ELNS1_11target_archE910ELNS1_3gpuE8ELNS1_3repE0EEENS1_36merge_oddeven_config_static_selectorELNS0_4arch9wavefront6targetE0EEEvSL_.private_seg_size, 0
	.set _ZN7rocprim17ROCPRIM_400000_NS6detail17trampoline_kernelINS0_14default_configENS1_38merge_sort_block_merge_config_selectorIiNS0_10empty_typeEEEZZNS1_27merge_sort_block_merge_implIS3_N6thrust23THRUST_200600_302600_NS6detail15normal_iteratorINS9_10device_ptrIiEEEEPS5_jNS1_19radix_merge_compareILb1ELb1EiNS0_19identity_decomposerEEEEE10hipError_tT0_T1_T2_jT3_P12ihipStream_tbPNSt15iterator_traitsISK_E10value_typeEPNSQ_ISL_E10value_typeEPSM_NS1_7vsmem_tEENKUlT_SK_SL_SM_E_clISE_PiSF_SF_EESJ_SZ_SK_SL_SM_EUlSZ_E1_NS1_11comp_targetILNS1_3genE4ELNS1_11target_archE910ELNS1_3gpuE8ELNS1_3repE0EEENS1_36merge_oddeven_config_static_selectorELNS0_4arch9wavefront6targetE0EEEvSL_.uses_vcc, 0
	.set _ZN7rocprim17ROCPRIM_400000_NS6detail17trampoline_kernelINS0_14default_configENS1_38merge_sort_block_merge_config_selectorIiNS0_10empty_typeEEEZZNS1_27merge_sort_block_merge_implIS3_N6thrust23THRUST_200600_302600_NS6detail15normal_iteratorINS9_10device_ptrIiEEEEPS5_jNS1_19radix_merge_compareILb1ELb1EiNS0_19identity_decomposerEEEEE10hipError_tT0_T1_T2_jT3_P12ihipStream_tbPNSt15iterator_traitsISK_E10value_typeEPNSQ_ISL_E10value_typeEPSM_NS1_7vsmem_tEENKUlT_SK_SL_SM_E_clISE_PiSF_SF_EESJ_SZ_SK_SL_SM_EUlSZ_E1_NS1_11comp_targetILNS1_3genE4ELNS1_11target_archE910ELNS1_3gpuE8ELNS1_3repE0EEENS1_36merge_oddeven_config_static_selectorELNS0_4arch9wavefront6targetE0EEEvSL_.uses_flat_scratch, 0
	.set _ZN7rocprim17ROCPRIM_400000_NS6detail17trampoline_kernelINS0_14default_configENS1_38merge_sort_block_merge_config_selectorIiNS0_10empty_typeEEEZZNS1_27merge_sort_block_merge_implIS3_N6thrust23THRUST_200600_302600_NS6detail15normal_iteratorINS9_10device_ptrIiEEEEPS5_jNS1_19radix_merge_compareILb1ELb1EiNS0_19identity_decomposerEEEEE10hipError_tT0_T1_T2_jT3_P12ihipStream_tbPNSt15iterator_traitsISK_E10value_typeEPNSQ_ISL_E10value_typeEPSM_NS1_7vsmem_tEENKUlT_SK_SL_SM_E_clISE_PiSF_SF_EESJ_SZ_SK_SL_SM_EUlSZ_E1_NS1_11comp_targetILNS1_3genE4ELNS1_11target_archE910ELNS1_3gpuE8ELNS1_3repE0EEENS1_36merge_oddeven_config_static_selectorELNS0_4arch9wavefront6targetE0EEEvSL_.has_dyn_sized_stack, 0
	.set _ZN7rocprim17ROCPRIM_400000_NS6detail17trampoline_kernelINS0_14default_configENS1_38merge_sort_block_merge_config_selectorIiNS0_10empty_typeEEEZZNS1_27merge_sort_block_merge_implIS3_N6thrust23THRUST_200600_302600_NS6detail15normal_iteratorINS9_10device_ptrIiEEEEPS5_jNS1_19radix_merge_compareILb1ELb1EiNS0_19identity_decomposerEEEEE10hipError_tT0_T1_T2_jT3_P12ihipStream_tbPNSt15iterator_traitsISK_E10value_typeEPNSQ_ISL_E10value_typeEPSM_NS1_7vsmem_tEENKUlT_SK_SL_SM_E_clISE_PiSF_SF_EESJ_SZ_SK_SL_SM_EUlSZ_E1_NS1_11comp_targetILNS1_3genE4ELNS1_11target_archE910ELNS1_3gpuE8ELNS1_3repE0EEENS1_36merge_oddeven_config_static_selectorELNS0_4arch9wavefront6targetE0EEEvSL_.has_recursion, 0
	.set _ZN7rocprim17ROCPRIM_400000_NS6detail17trampoline_kernelINS0_14default_configENS1_38merge_sort_block_merge_config_selectorIiNS0_10empty_typeEEEZZNS1_27merge_sort_block_merge_implIS3_N6thrust23THRUST_200600_302600_NS6detail15normal_iteratorINS9_10device_ptrIiEEEEPS5_jNS1_19radix_merge_compareILb1ELb1EiNS0_19identity_decomposerEEEEE10hipError_tT0_T1_T2_jT3_P12ihipStream_tbPNSt15iterator_traitsISK_E10value_typeEPNSQ_ISL_E10value_typeEPSM_NS1_7vsmem_tEENKUlT_SK_SL_SM_E_clISE_PiSF_SF_EESJ_SZ_SK_SL_SM_EUlSZ_E1_NS1_11comp_targetILNS1_3genE4ELNS1_11target_archE910ELNS1_3gpuE8ELNS1_3repE0EEENS1_36merge_oddeven_config_static_selectorELNS0_4arch9wavefront6targetE0EEEvSL_.has_indirect_call, 0
	.section	.AMDGPU.csdata,"",@progbits
; Kernel info:
; codeLenInByte = 0
; TotalNumSgprs: 0
; NumVgprs: 0
; ScratchSize: 0
; MemoryBound: 0
; FloatMode: 240
; IeeeMode: 1
; LDSByteSize: 0 bytes/workgroup (compile time only)
; SGPRBlocks: 0
; VGPRBlocks: 0
; NumSGPRsForWavesPerEU: 1
; NumVGPRsForWavesPerEU: 1
; Occupancy: 16
; WaveLimiterHint : 0
; COMPUTE_PGM_RSRC2:SCRATCH_EN: 0
; COMPUTE_PGM_RSRC2:USER_SGPR: 6
; COMPUTE_PGM_RSRC2:TRAP_HANDLER: 0
; COMPUTE_PGM_RSRC2:TGID_X_EN: 1
; COMPUTE_PGM_RSRC2:TGID_Y_EN: 0
; COMPUTE_PGM_RSRC2:TGID_Z_EN: 0
; COMPUTE_PGM_RSRC2:TIDIG_COMP_CNT: 0
	.section	.text._ZN7rocprim17ROCPRIM_400000_NS6detail17trampoline_kernelINS0_14default_configENS1_38merge_sort_block_merge_config_selectorIiNS0_10empty_typeEEEZZNS1_27merge_sort_block_merge_implIS3_N6thrust23THRUST_200600_302600_NS6detail15normal_iteratorINS9_10device_ptrIiEEEEPS5_jNS1_19radix_merge_compareILb1ELb1EiNS0_19identity_decomposerEEEEE10hipError_tT0_T1_T2_jT3_P12ihipStream_tbPNSt15iterator_traitsISK_E10value_typeEPNSQ_ISL_E10value_typeEPSM_NS1_7vsmem_tEENKUlT_SK_SL_SM_E_clISE_PiSF_SF_EESJ_SZ_SK_SL_SM_EUlSZ_E1_NS1_11comp_targetILNS1_3genE3ELNS1_11target_archE908ELNS1_3gpuE7ELNS1_3repE0EEENS1_36merge_oddeven_config_static_selectorELNS0_4arch9wavefront6targetE0EEEvSL_,"axG",@progbits,_ZN7rocprim17ROCPRIM_400000_NS6detail17trampoline_kernelINS0_14default_configENS1_38merge_sort_block_merge_config_selectorIiNS0_10empty_typeEEEZZNS1_27merge_sort_block_merge_implIS3_N6thrust23THRUST_200600_302600_NS6detail15normal_iteratorINS9_10device_ptrIiEEEEPS5_jNS1_19radix_merge_compareILb1ELb1EiNS0_19identity_decomposerEEEEE10hipError_tT0_T1_T2_jT3_P12ihipStream_tbPNSt15iterator_traitsISK_E10value_typeEPNSQ_ISL_E10value_typeEPSM_NS1_7vsmem_tEENKUlT_SK_SL_SM_E_clISE_PiSF_SF_EESJ_SZ_SK_SL_SM_EUlSZ_E1_NS1_11comp_targetILNS1_3genE3ELNS1_11target_archE908ELNS1_3gpuE7ELNS1_3repE0EEENS1_36merge_oddeven_config_static_selectorELNS0_4arch9wavefront6targetE0EEEvSL_,comdat
	.protected	_ZN7rocprim17ROCPRIM_400000_NS6detail17trampoline_kernelINS0_14default_configENS1_38merge_sort_block_merge_config_selectorIiNS0_10empty_typeEEEZZNS1_27merge_sort_block_merge_implIS3_N6thrust23THRUST_200600_302600_NS6detail15normal_iteratorINS9_10device_ptrIiEEEEPS5_jNS1_19radix_merge_compareILb1ELb1EiNS0_19identity_decomposerEEEEE10hipError_tT0_T1_T2_jT3_P12ihipStream_tbPNSt15iterator_traitsISK_E10value_typeEPNSQ_ISL_E10value_typeEPSM_NS1_7vsmem_tEENKUlT_SK_SL_SM_E_clISE_PiSF_SF_EESJ_SZ_SK_SL_SM_EUlSZ_E1_NS1_11comp_targetILNS1_3genE3ELNS1_11target_archE908ELNS1_3gpuE7ELNS1_3repE0EEENS1_36merge_oddeven_config_static_selectorELNS0_4arch9wavefront6targetE0EEEvSL_ ; -- Begin function _ZN7rocprim17ROCPRIM_400000_NS6detail17trampoline_kernelINS0_14default_configENS1_38merge_sort_block_merge_config_selectorIiNS0_10empty_typeEEEZZNS1_27merge_sort_block_merge_implIS3_N6thrust23THRUST_200600_302600_NS6detail15normal_iteratorINS9_10device_ptrIiEEEEPS5_jNS1_19radix_merge_compareILb1ELb1EiNS0_19identity_decomposerEEEEE10hipError_tT0_T1_T2_jT3_P12ihipStream_tbPNSt15iterator_traitsISK_E10value_typeEPNSQ_ISL_E10value_typeEPSM_NS1_7vsmem_tEENKUlT_SK_SL_SM_E_clISE_PiSF_SF_EESJ_SZ_SK_SL_SM_EUlSZ_E1_NS1_11comp_targetILNS1_3genE3ELNS1_11target_archE908ELNS1_3gpuE7ELNS1_3repE0EEENS1_36merge_oddeven_config_static_selectorELNS0_4arch9wavefront6targetE0EEEvSL_
	.globl	_ZN7rocprim17ROCPRIM_400000_NS6detail17trampoline_kernelINS0_14default_configENS1_38merge_sort_block_merge_config_selectorIiNS0_10empty_typeEEEZZNS1_27merge_sort_block_merge_implIS3_N6thrust23THRUST_200600_302600_NS6detail15normal_iteratorINS9_10device_ptrIiEEEEPS5_jNS1_19radix_merge_compareILb1ELb1EiNS0_19identity_decomposerEEEEE10hipError_tT0_T1_T2_jT3_P12ihipStream_tbPNSt15iterator_traitsISK_E10value_typeEPNSQ_ISL_E10value_typeEPSM_NS1_7vsmem_tEENKUlT_SK_SL_SM_E_clISE_PiSF_SF_EESJ_SZ_SK_SL_SM_EUlSZ_E1_NS1_11comp_targetILNS1_3genE3ELNS1_11target_archE908ELNS1_3gpuE7ELNS1_3repE0EEENS1_36merge_oddeven_config_static_selectorELNS0_4arch9wavefront6targetE0EEEvSL_
	.p2align	8
	.type	_ZN7rocprim17ROCPRIM_400000_NS6detail17trampoline_kernelINS0_14default_configENS1_38merge_sort_block_merge_config_selectorIiNS0_10empty_typeEEEZZNS1_27merge_sort_block_merge_implIS3_N6thrust23THRUST_200600_302600_NS6detail15normal_iteratorINS9_10device_ptrIiEEEEPS5_jNS1_19radix_merge_compareILb1ELb1EiNS0_19identity_decomposerEEEEE10hipError_tT0_T1_T2_jT3_P12ihipStream_tbPNSt15iterator_traitsISK_E10value_typeEPNSQ_ISL_E10value_typeEPSM_NS1_7vsmem_tEENKUlT_SK_SL_SM_E_clISE_PiSF_SF_EESJ_SZ_SK_SL_SM_EUlSZ_E1_NS1_11comp_targetILNS1_3genE3ELNS1_11target_archE908ELNS1_3gpuE7ELNS1_3repE0EEENS1_36merge_oddeven_config_static_selectorELNS0_4arch9wavefront6targetE0EEEvSL_,@function
_ZN7rocprim17ROCPRIM_400000_NS6detail17trampoline_kernelINS0_14default_configENS1_38merge_sort_block_merge_config_selectorIiNS0_10empty_typeEEEZZNS1_27merge_sort_block_merge_implIS3_N6thrust23THRUST_200600_302600_NS6detail15normal_iteratorINS9_10device_ptrIiEEEEPS5_jNS1_19radix_merge_compareILb1ELb1EiNS0_19identity_decomposerEEEEE10hipError_tT0_T1_T2_jT3_P12ihipStream_tbPNSt15iterator_traitsISK_E10value_typeEPNSQ_ISL_E10value_typeEPSM_NS1_7vsmem_tEENKUlT_SK_SL_SM_E_clISE_PiSF_SF_EESJ_SZ_SK_SL_SM_EUlSZ_E1_NS1_11comp_targetILNS1_3genE3ELNS1_11target_archE908ELNS1_3gpuE7ELNS1_3repE0EEENS1_36merge_oddeven_config_static_selectorELNS0_4arch9wavefront6targetE0EEEvSL_: ; @_ZN7rocprim17ROCPRIM_400000_NS6detail17trampoline_kernelINS0_14default_configENS1_38merge_sort_block_merge_config_selectorIiNS0_10empty_typeEEEZZNS1_27merge_sort_block_merge_implIS3_N6thrust23THRUST_200600_302600_NS6detail15normal_iteratorINS9_10device_ptrIiEEEEPS5_jNS1_19radix_merge_compareILb1ELb1EiNS0_19identity_decomposerEEEEE10hipError_tT0_T1_T2_jT3_P12ihipStream_tbPNSt15iterator_traitsISK_E10value_typeEPNSQ_ISL_E10value_typeEPSM_NS1_7vsmem_tEENKUlT_SK_SL_SM_E_clISE_PiSF_SF_EESJ_SZ_SK_SL_SM_EUlSZ_E1_NS1_11comp_targetILNS1_3genE3ELNS1_11target_archE908ELNS1_3gpuE7ELNS1_3repE0EEENS1_36merge_oddeven_config_static_selectorELNS0_4arch9wavefront6targetE0EEEvSL_
; %bb.0:
	.section	.rodata,"a",@progbits
	.p2align	6, 0x0
	.amdhsa_kernel _ZN7rocprim17ROCPRIM_400000_NS6detail17trampoline_kernelINS0_14default_configENS1_38merge_sort_block_merge_config_selectorIiNS0_10empty_typeEEEZZNS1_27merge_sort_block_merge_implIS3_N6thrust23THRUST_200600_302600_NS6detail15normal_iteratorINS9_10device_ptrIiEEEEPS5_jNS1_19radix_merge_compareILb1ELb1EiNS0_19identity_decomposerEEEEE10hipError_tT0_T1_T2_jT3_P12ihipStream_tbPNSt15iterator_traitsISK_E10value_typeEPNSQ_ISL_E10value_typeEPSM_NS1_7vsmem_tEENKUlT_SK_SL_SM_E_clISE_PiSF_SF_EESJ_SZ_SK_SL_SM_EUlSZ_E1_NS1_11comp_targetILNS1_3genE3ELNS1_11target_archE908ELNS1_3gpuE7ELNS1_3repE0EEENS1_36merge_oddeven_config_static_selectorELNS0_4arch9wavefront6targetE0EEEvSL_
		.amdhsa_group_segment_fixed_size 0
		.amdhsa_private_segment_fixed_size 0
		.amdhsa_kernarg_size 48
		.amdhsa_user_sgpr_count 6
		.amdhsa_user_sgpr_private_segment_buffer 1
		.amdhsa_user_sgpr_dispatch_ptr 0
		.amdhsa_user_sgpr_queue_ptr 0
		.amdhsa_user_sgpr_kernarg_segment_ptr 1
		.amdhsa_user_sgpr_dispatch_id 0
		.amdhsa_user_sgpr_flat_scratch_init 0
		.amdhsa_user_sgpr_private_segment_size 0
		.amdhsa_wavefront_size32 1
		.amdhsa_uses_dynamic_stack 0
		.amdhsa_system_sgpr_private_segment_wavefront_offset 0
		.amdhsa_system_sgpr_workgroup_id_x 1
		.amdhsa_system_sgpr_workgroup_id_y 0
		.amdhsa_system_sgpr_workgroup_id_z 0
		.amdhsa_system_sgpr_workgroup_info 0
		.amdhsa_system_vgpr_workitem_id 0
		.amdhsa_next_free_vgpr 1
		.amdhsa_next_free_sgpr 1
		.amdhsa_reserve_vcc 0
		.amdhsa_reserve_flat_scratch 0
		.amdhsa_float_round_mode_32 0
		.amdhsa_float_round_mode_16_64 0
		.amdhsa_float_denorm_mode_32 3
		.amdhsa_float_denorm_mode_16_64 3
		.amdhsa_dx10_clamp 1
		.amdhsa_ieee_mode 1
		.amdhsa_fp16_overflow 0
		.amdhsa_workgroup_processor_mode 1
		.amdhsa_memory_ordered 1
		.amdhsa_forward_progress 1
		.amdhsa_shared_vgpr_count 0
		.amdhsa_exception_fp_ieee_invalid_op 0
		.amdhsa_exception_fp_denorm_src 0
		.amdhsa_exception_fp_ieee_div_zero 0
		.amdhsa_exception_fp_ieee_overflow 0
		.amdhsa_exception_fp_ieee_underflow 0
		.amdhsa_exception_fp_ieee_inexact 0
		.amdhsa_exception_int_div_zero 0
	.end_amdhsa_kernel
	.section	.text._ZN7rocprim17ROCPRIM_400000_NS6detail17trampoline_kernelINS0_14default_configENS1_38merge_sort_block_merge_config_selectorIiNS0_10empty_typeEEEZZNS1_27merge_sort_block_merge_implIS3_N6thrust23THRUST_200600_302600_NS6detail15normal_iteratorINS9_10device_ptrIiEEEEPS5_jNS1_19radix_merge_compareILb1ELb1EiNS0_19identity_decomposerEEEEE10hipError_tT0_T1_T2_jT3_P12ihipStream_tbPNSt15iterator_traitsISK_E10value_typeEPNSQ_ISL_E10value_typeEPSM_NS1_7vsmem_tEENKUlT_SK_SL_SM_E_clISE_PiSF_SF_EESJ_SZ_SK_SL_SM_EUlSZ_E1_NS1_11comp_targetILNS1_3genE3ELNS1_11target_archE908ELNS1_3gpuE7ELNS1_3repE0EEENS1_36merge_oddeven_config_static_selectorELNS0_4arch9wavefront6targetE0EEEvSL_,"axG",@progbits,_ZN7rocprim17ROCPRIM_400000_NS6detail17trampoline_kernelINS0_14default_configENS1_38merge_sort_block_merge_config_selectorIiNS0_10empty_typeEEEZZNS1_27merge_sort_block_merge_implIS3_N6thrust23THRUST_200600_302600_NS6detail15normal_iteratorINS9_10device_ptrIiEEEEPS5_jNS1_19radix_merge_compareILb1ELb1EiNS0_19identity_decomposerEEEEE10hipError_tT0_T1_T2_jT3_P12ihipStream_tbPNSt15iterator_traitsISK_E10value_typeEPNSQ_ISL_E10value_typeEPSM_NS1_7vsmem_tEENKUlT_SK_SL_SM_E_clISE_PiSF_SF_EESJ_SZ_SK_SL_SM_EUlSZ_E1_NS1_11comp_targetILNS1_3genE3ELNS1_11target_archE908ELNS1_3gpuE7ELNS1_3repE0EEENS1_36merge_oddeven_config_static_selectorELNS0_4arch9wavefront6targetE0EEEvSL_,comdat
.Lfunc_end314:
	.size	_ZN7rocprim17ROCPRIM_400000_NS6detail17trampoline_kernelINS0_14default_configENS1_38merge_sort_block_merge_config_selectorIiNS0_10empty_typeEEEZZNS1_27merge_sort_block_merge_implIS3_N6thrust23THRUST_200600_302600_NS6detail15normal_iteratorINS9_10device_ptrIiEEEEPS5_jNS1_19radix_merge_compareILb1ELb1EiNS0_19identity_decomposerEEEEE10hipError_tT0_T1_T2_jT3_P12ihipStream_tbPNSt15iterator_traitsISK_E10value_typeEPNSQ_ISL_E10value_typeEPSM_NS1_7vsmem_tEENKUlT_SK_SL_SM_E_clISE_PiSF_SF_EESJ_SZ_SK_SL_SM_EUlSZ_E1_NS1_11comp_targetILNS1_3genE3ELNS1_11target_archE908ELNS1_3gpuE7ELNS1_3repE0EEENS1_36merge_oddeven_config_static_selectorELNS0_4arch9wavefront6targetE0EEEvSL_, .Lfunc_end314-_ZN7rocprim17ROCPRIM_400000_NS6detail17trampoline_kernelINS0_14default_configENS1_38merge_sort_block_merge_config_selectorIiNS0_10empty_typeEEEZZNS1_27merge_sort_block_merge_implIS3_N6thrust23THRUST_200600_302600_NS6detail15normal_iteratorINS9_10device_ptrIiEEEEPS5_jNS1_19radix_merge_compareILb1ELb1EiNS0_19identity_decomposerEEEEE10hipError_tT0_T1_T2_jT3_P12ihipStream_tbPNSt15iterator_traitsISK_E10value_typeEPNSQ_ISL_E10value_typeEPSM_NS1_7vsmem_tEENKUlT_SK_SL_SM_E_clISE_PiSF_SF_EESJ_SZ_SK_SL_SM_EUlSZ_E1_NS1_11comp_targetILNS1_3genE3ELNS1_11target_archE908ELNS1_3gpuE7ELNS1_3repE0EEENS1_36merge_oddeven_config_static_selectorELNS0_4arch9wavefront6targetE0EEEvSL_
                                        ; -- End function
	.set _ZN7rocprim17ROCPRIM_400000_NS6detail17trampoline_kernelINS0_14default_configENS1_38merge_sort_block_merge_config_selectorIiNS0_10empty_typeEEEZZNS1_27merge_sort_block_merge_implIS3_N6thrust23THRUST_200600_302600_NS6detail15normal_iteratorINS9_10device_ptrIiEEEEPS5_jNS1_19radix_merge_compareILb1ELb1EiNS0_19identity_decomposerEEEEE10hipError_tT0_T1_T2_jT3_P12ihipStream_tbPNSt15iterator_traitsISK_E10value_typeEPNSQ_ISL_E10value_typeEPSM_NS1_7vsmem_tEENKUlT_SK_SL_SM_E_clISE_PiSF_SF_EESJ_SZ_SK_SL_SM_EUlSZ_E1_NS1_11comp_targetILNS1_3genE3ELNS1_11target_archE908ELNS1_3gpuE7ELNS1_3repE0EEENS1_36merge_oddeven_config_static_selectorELNS0_4arch9wavefront6targetE0EEEvSL_.num_vgpr, 0
	.set _ZN7rocprim17ROCPRIM_400000_NS6detail17trampoline_kernelINS0_14default_configENS1_38merge_sort_block_merge_config_selectorIiNS0_10empty_typeEEEZZNS1_27merge_sort_block_merge_implIS3_N6thrust23THRUST_200600_302600_NS6detail15normal_iteratorINS9_10device_ptrIiEEEEPS5_jNS1_19radix_merge_compareILb1ELb1EiNS0_19identity_decomposerEEEEE10hipError_tT0_T1_T2_jT3_P12ihipStream_tbPNSt15iterator_traitsISK_E10value_typeEPNSQ_ISL_E10value_typeEPSM_NS1_7vsmem_tEENKUlT_SK_SL_SM_E_clISE_PiSF_SF_EESJ_SZ_SK_SL_SM_EUlSZ_E1_NS1_11comp_targetILNS1_3genE3ELNS1_11target_archE908ELNS1_3gpuE7ELNS1_3repE0EEENS1_36merge_oddeven_config_static_selectorELNS0_4arch9wavefront6targetE0EEEvSL_.num_agpr, 0
	.set _ZN7rocprim17ROCPRIM_400000_NS6detail17trampoline_kernelINS0_14default_configENS1_38merge_sort_block_merge_config_selectorIiNS0_10empty_typeEEEZZNS1_27merge_sort_block_merge_implIS3_N6thrust23THRUST_200600_302600_NS6detail15normal_iteratorINS9_10device_ptrIiEEEEPS5_jNS1_19radix_merge_compareILb1ELb1EiNS0_19identity_decomposerEEEEE10hipError_tT0_T1_T2_jT3_P12ihipStream_tbPNSt15iterator_traitsISK_E10value_typeEPNSQ_ISL_E10value_typeEPSM_NS1_7vsmem_tEENKUlT_SK_SL_SM_E_clISE_PiSF_SF_EESJ_SZ_SK_SL_SM_EUlSZ_E1_NS1_11comp_targetILNS1_3genE3ELNS1_11target_archE908ELNS1_3gpuE7ELNS1_3repE0EEENS1_36merge_oddeven_config_static_selectorELNS0_4arch9wavefront6targetE0EEEvSL_.numbered_sgpr, 0
	.set _ZN7rocprim17ROCPRIM_400000_NS6detail17trampoline_kernelINS0_14default_configENS1_38merge_sort_block_merge_config_selectorIiNS0_10empty_typeEEEZZNS1_27merge_sort_block_merge_implIS3_N6thrust23THRUST_200600_302600_NS6detail15normal_iteratorINS9_10device_ptrIiEEEEPS5_jNS1_19radix_merge_compareILb1ELb1EiNS0_19identity_decomposerEEEEE10hipError_tT0_T1_T2_jT3_P12ihipStream_tbPNSt15iterator_traitsISK_E10value_typeEPNSQ_ISL_E10value_typeEPSM_NS1_7vsmem_tEENKUlT_SK_SL_SM_E_clISE_PiSF_SF_EESJ_SZ_SK_SL_SM_EUlSZ_E1_NS1_11comp_targetILNS1_3genE3ELNS1_11target_archE908ELNS1_3gpuE7ELNS1_3repE0EEENS1_36merge_oddeven_config_static_selectorELNS0_4arch9wavefront6targetE0EEEvSL_.num_named_barrier, 0
	.set _ZN7rocprim17ROCPRIM_400000_NS6detail17trampoline_kernelINS0_14default_configENS1_38merge_sort_block_merge_config_selectorIiNS0_10empty_typeEEEZZNS1_27merge_sort_block_merge_implIS3_N6thrust23THRUST_200600_302600_NS6detail15normal_iteratorINS9_10device_ptrIiEEEEPS5_jNS1_19radix_merge_compareILb1ELb1EiNS0_19identity_decomposerEEEEE10hipError_tT0_T1_T2_jT3_P12ihipStream_tbPNSt15iterator_traitsISK_E10value_typeEPNSQ_ISL_E10value_typeEPSM_NS1_7vsmem_tEENKUlT_SK_SL_SM_E_clISE_PiSF_SF_EESJ_SZ_SK_SL_SM_EUlSZ_E1_NS1_11comp_targetILNS1_3genE3ELNS1_11target_archE908ELNS1_3gpuE7ELNS1_3repE0EEENS1_36merge_oddeven_config_static_selectorELNS0_4arch9wavefront6targetE0EEEvSL_.private_seg_size, 0
	.set _ZN7rocprim17ROCPRIM_400000_NS6detail17trampoline_kernelINS0_14default_configENS1_38merge_sort_block_merge_config_selectorIiNS0_10empty_typeEEEZZNS1_27merge_sort_block_merge_implIS3_N6thrust23THRUST_200600_302600_NS6detail15normal_iteratorINS9_10device_ptrIiEEEEPS5_jNS1_19radix_merge_compareILb1ELb1EiNS0_19identity_decomposerEEEEE10hipError_tT0_T1_T2_jT3_P12ihipStream_tbPNSt15iterator_traitsISK_E10value_typeEPNSQ_ISL_E10value_typeEPSM_NS1_7vsmem_tEENKUlT_SK_SL_SM_E_clISE_PiSF_SF_EESJ_SZ_SK_SL_SM_EUlSZ_E1_NS1_11comp_targetILNS1_3genE3ELNS1_11target_archE908ELNS1_3gpuE7ELNS1_3repE0EEENS1_36merge_oddeven_config_static_selectorELNS0_4arch9wavefront6targetE0EEEvSL_.uses_vcc, 0
	.set _ZN7rocprim17ROCPRIM_400000_NS6detail17trampoline_kernelINS0_14default_configENS1_38merge_sort_block_merge_config_selectorIiNS0_10empty_typeEEEZZNS1_27merge_sort_block_merge_implIS3_N6thrust23THRUST_200600_302600_NS6detail15normal_iteratorINS9_10device_ptrIiEEEEPS5_jNS1_19radix_merge_compareILb1ELb1EiNS0_19identity_decomposerEEEEE10hipError_tT0_T1_T2_jT3_P12ihipStream_tbPNSt15iterator_traitsISK_E10value_typeEPNSQ_ISL_E10value_typeEPSM_NS1_7vsmem_tEENKUlT_SK_SL_SM_E_clISE_PiSF_SF_EESJ_SZ_SK_SL_SM_EUlSZ_E1_NS1_11comp_targetILNS1_3genE3ELNS1_11target_archE908ELNS1_3gpuE7ELNS1_3repE0EEENS1_36merge_oddeven_config_static_selectorELNS0_4arch9wavefront6targetE0EEEvSL_.uses_flat_scratch, 0
	.set _ZN7rocprim17ROCPRIM_400000_NS6detail17trampoline_kernelINS0_14default_configENS1_38merge_sort_block_merge_config_selectorIiNS0_10empty_typeEEEZZNS1_27merge_sort_block_merge_implIS3_N6thrust23THRUST_200600_302600_NS6detail15normal_iteratorINS9_10device_ptrIiEEEEPS5_jNS1_19radix_merge_compareILb1ELb1EiNS0_19identity_decomposerEEEEE10hipError_tT0_T1_T2_jT3_P12ihipStream_tbPNSt15iterator_traitsISK_E10value_typeEPNSQ_ISL_E10value_typeEPSM_NS1_7vsmem_tEENKUlT_SK_SL_SM_E_clISE_PiSF_SF_EESJ_SZ_SK_SL_SM_EUlSZ_E1_NS1_11comp_targetILNS1_3genE3ELNS1_11target_archE908ELNS1_3gpuE7ELNS1_3repE0EEENS1_36merge_oddeven_config_static_selectorELNS0_4arch9wavefront6targetE0EEEvSL_.has_dyn_sized_stack, 0
	.set _ZN7rocprim17ROCPRIM_400000_NS6detail17trampoline_kernelINS0_14default_configENS1_38merge_sort_block_merge_config_selectorIiNS0_10empty_typeEEEZZNS1_27merge_sort_block_merge_implIS3_N6thrust23THRUST_200600_302600_NS6detail15normal_iteratorINS9_10device_ptrIiEEEEPS5_jNS1_19radix_merge_compareILb1ELb1EiNS0_19identity_decomposerEEEEE10hipError_tT0_T1_T2_jT3_P12ihipStream_tbPNSt15iterator_traitsISK_E10value_typeEPNSQ_ISL_E10value_typeEPSM_NS1_7vsmem_tEENKUlT_SK_SL_SM_E_clISE_PiSF_SF_EESJ_SZ_SK_SL_SM_EUlSZ_E1_NS1_11comp_targetILNS1_3genE3ELNS1_11target_archE908ELNS1_3gpuE7ELNS1_3repE0EEENS1_36merge_oddeven_config_static_selectorELNS0_4arch9wavefront6targetE0EEEvSL_.has_recursion, 0
	.set _ZN7rocprim17ROCPRIM_400000_NS6detail17trampoline_kernelINS0_14default_configENS1_38merge_sort_block_merge_config_selectorIiNS0_10empty_typeEEEZZNS1_27merge_sort_block_merge_implIS3_N6thrust23THRUST_200600_302600_NS6detail15normal_iteratorINS9_10device_ptrIiEEEEPS5_jNS1_19radix_merge_compareILb1ELb1EiNS0_19identity_decomposerEEEEE10hipError_tT0_T1_T2_jT3_P12ihipStream_tbPNSt15iterator_traitsISK_E10value_typeEPNSQ_ISL_E10value_typeEPSM_NS1_7vsmem_tEENKUlT_SK_SL_SM_E_clISE_PiSF_SF_EESJ_SZ_SK_SL_SM_EUlSZ_E1_NS1_11comp_targetILNS1_3genE3ELNS1_11target_archE908ELNS1_3gpuE7ELNS1_3repE0EEENS1_36merge_oddeven_config_static_selectorELNS0_4arch9wavefront6targetE0EEEvSL_.has_indirect_call, 0
	.section	.AMDGPU.csdata,"",@progbits
; Kernel info:
; codeLenInByte = 0
; TotalNumSgprs: 0
; NumVgprs: 0
; ScratchSize: 0
; MemoryBound: 0
; FloatMode: 240
; IeeeMode: 1
; LDSByteSize: 0 bytes/workgroup (compile time only)
; SGPRBlocks: 0
; VGPRBlocks: 0
; NumSGPRsForWavesPerEU: 1
; NumVGPRsForWavesPerEU: 1
; Occupancy: 16
; WaveLimiterHint : 0
; COMPUTE_PGM_RSRC2:SCRATCH_EN: 0
; COMPUTE_PGM_RSRC2:USER_SGPR: 6
; COMPUTE_PGM_RSRC2:TRAP_HANDLER: 0
; COMPUTE_PGM_RSRC2:TGID_X_EN: 1
; COMPUTE_PGM_RSRC2:TGID_Y_EN: 0
; COMPUTE_PGM_RSRC2:TGID_Z_EN: 0
; COMPUTE_PGM_RSRC2:TIDIG_COMP_CNT: 0
	.section	.text._ZN7rocprim17ROCPRIM_400000_NS6detail17trampoline_kernelINS0_14default_configENS1_38merge_sort_block_merge_config_selectorIiNS0_10empty_typeEEEZZNS1_27merge_sort_block_merge_implIS3_N6thrust23THRUST_200600_302600_NS6detail15normal_iteratorINS9_10device_ptrIiEEEEPS5_jNS1_19radix_merge_compareILb1ELb1EiNS0_19identity_decomposerEEEEE10hipError_tT0_T1_T2_jT3_P12ihipStream_tbPNSt15iterator_traitsISK_E10value_typeEPNSQ_ISL_E10value_typeEPSM_NS1_7vsmem_tEENKUlT_SK_SL_SM_E_clISE_PiSF_SF_EESJ_SZ_SK_SL_SM_EUlSZ_E1_NS1_11comp_targetILNS1_3genE2ELNS1_11target_archE906ELNS1_3gpuE6ELNS1_3repE0EEENS1_36merge_oddeven_config_static_selectorELNS0_4arch9wavefront6targetE0EEEvSL_,"axG",@progbits,_ZN7rocprim17ROCPRIM_400000_NS6detail17trampoline_kernelINS0_14default_configENS1_38merge_sort_block_merge_config_selectorIiNS0_10empty_typeEEEZZNS1_27merge_sort_block_merge_implIS3_N6thrust23THRUST_200600_302600_NS6detail15normal_iteratorINS9_10device_ptrIiEEEEPS5_jNS1_19radix_merge_compareILb1ELb1EiNS0_19identity_decomposerEEEEE10hipError_tT0_T1_T2_jT3_P12ihipStream_tbPNSt15iterator_traitsISK_E10value_typeEPNSQ_ISL_E10value_typeEPSM_NS1_7vsmem_tEENKUlT_SK_SL_SM_E_clISE_PiSF_SF_EESJ_SZ_SK_SL_SM_EUlSZ_E1_NS1_11comp_targetILNS1_3genE2ELNS1_11target_archE906ELNS1_3gpuE6ELNS1_3repE0EEENS1_36merge_oddeven_config_static_selectorELNS0_4arch9wavefront6targetE0EEEvSL_,comdat
	.protected	_ZN7rocprim17ROCPRIM_400000_NS6detail17trampoline_kernelINS0_14default_configENS1_38merge_sort_block_merge_config_selectorIiNS0_10empty_typeEEEZZNS1_27merge_sort_block_merge_implIS3_N6thrust23THRUST_200600_302600_NS6detail15normal_iteratorINS9_10device_ptrIiEEEEPS5_jNS1_19radix_merge_compareILb1ELb1EiNS0_19identity_decomposerEEEEE10hipError_tT0_T1_T2_jT3_P12ihipStream_tbPNSt15iterator_traitsISK_E10value_typeEPNSQ_ISL_E10value_typeEPSM_NS1_7vsmem_tEENKUlT_SK_SL_SM_E_clISE_PiSF_SF_EESJ_SZ_SK_SL_SM_EUlSZ_E1_NS1_11comp_targetILNS1_3genE2ELNS1_11target_archE906ELNS1_3gpuE6ELNS1_3repE0EEENS1_36merge_oddeven_config_static_selectorELNS0_4arch9wavefront6targetE0EEEvSL_ ; -- Begin function _ZN7rocprim17ROCPRIM_400000_NS6detail17trampoline_kernelINS0_14default_configENS1_38merge_sort_block_merge_config_selectorIiNS0_10empty_typeEEEZZNS1_27merge_sort_block_merge_implIS3_N6thrust23THRUST_200600_302600_NS6detail15normal_iteratorINS9_10device_ptrIiEEEEPS5_jNS1_19radix_merge_compareILb1ELb1EiNS0_19identity_decomposerEEEEE10hipError_tT0_T1_T2_jT3_P12ihipStream_tbPNSt15iterator_traitsISK_E10value_typeEPNSQ_ISL_E10value_typeEPSM_NS1_7vsmem_tEENKUlT_SK_SL_SM_E_clISE_PiSF_SF_EESJ_SZ_SK_SL_SM_EUlSZ_E1_NS1_11comp_targetILNS1_3genE2ELNS1_11target_archE906ELNS1_3gpuE6ELNS1_3repE0EEENS1_36merge_oddeven_config_static_selectorELNS0_4arch9wavefront6targetE0EEEvSL_
	.globl	_ZN7rocprim17ROCPRIM_400000_NS6detail17trampoline_kernelINS0_14default_configENS1_38merge_sort_block_merge_config_selectorIiNS0_10empty_typeEEEZZNS1_27merge_sort_block_merge_implIS3_N6thrust23THRUST_200600_302600_NS6detail15normal_iteratorINS9_10device_ptrIiEEEEPS5_jNS1_19radix_merge_compareILb1ELb1EiNS0_19identity_decomposerEEEEE10hipError_tT0_T1_T2_jT3_P12ihipStream_tbPNSt15iterator_traitsISK_E10value_typeEPNSQ_ISL_E10value_typeEPSM_NS1_7vsmem_tEENKUlT_SK_SL_SM_E_clISE_PiSF_SF_EESJ_SZ_SK_SL_SM_EUlSZ_E1_NS1_11comp_targetILNS1_3genE2ELNS1_11target_archE906ELNS1_3gpuE6ELNS1_3repE0EEENS1_36merge_oddeven_config_static_selectorELNS0_4arch9wavefront6targetE0EEEvSL_
	.p2align	8
	.type	_ZN7rocprim17ROCPRIM_400000_NS6detail17trampoline_kernelINS0_14default_configENS1_38merge_sort_block_merge_config_selectorIiNS0_10empty_typeEEEZZNS1_27merge_sort_block_merge_implIS3_N6thrust23THRUST_200600_302600_NS6detail15normal_iteratorINS9_10device_ptrIiEEEEPS5_jNS1_19radix_merge_compareILb1ELb1EiNS0_19identity_decomposerEEEEE10hipError_tT0_T1_T2_jT3_P12ihipStream_tbPNSt15iterator_traitsISK_E10value_typeEPNSQ_ISL_E10value_typeEPSM_NS1_7vsmem_tEENKUlT_SK_SL_SM_E_clISE_PiSF_SF_EESJ_SZ_SK_SL_SM_EUlSZ_E1_NS1_11comp_targetILNS1_3genE2ELNS1_11target_archE906ELNS1_3gpuE6ELNS1_3repE0EEENS1_36merge_oddeven_config_static_selectorELNS0_4arch9wavefront6targetE0EEEvSL_,@function
_ZN7rocprim17ROCPRIM_400000_NS6detail17trampoline_kernelINS0_14default_configENS1_38merge_sort_block_merge_config_selectorIiNS0_10empty_typeEEEZZNS1_27merge_sort_block_merge_implIS3_N6thrust23THRUST_200600_302600_NS6detail15normal_iteratorINS9_10device_ptrIiEEEEPS5_jNS1_19radix_merge_compareILb1ELb1EiNS0_19identity_decomposerEEEEE10hipError_tT0_T1_T2_jT3_P12ihipStream_tbPNSt15iterator_traitsISK_E10value_typeEPNSQ_ISL_E10value_typeEPSM_NS1_7vsmem_tEENKUlT_SK_SL_SM_E_clISE_PiSF_SF_EESJ_SZ_SK_SL_SM_EUlSZ_E1_NS1_11comp_targetILNS1_3genE2ELNS1_11target_archE906ELNS1_3gpuE6ELNS1_3repE0EEENS1_36merge_oddeven_config_static_selectorELNS0_4arch9wavefront6targetE0EEEvSL_: ; @_ZN7rocprim17ROCPRIM_400000_NS6detail17trampoline_kernelINS0_14default_configENS1_38merge_sort_block_merge_config_selectorIiNS0_10empty_typeEEEZZNS1_27merge_sort_block_merge_implIS3_N6thrust23THRUST_200600_302600_NS6detail15normal_iteratorINS9_10device_ptrIiEEEEPS5_jNS1_19radix_merge_compareILb1ELb1EiNS0_19identity_decomposerEEEEE10hipError_tT0_T1_T2_jT3_P12ihipStream_tbPNSt15iterator_traitsISK_E10value_typeEPNSQ_ISL_E10value_typeEPSM_NS1_7vsmem_tEENKUlT_SK_SL_SM_E_clISE_PiSF_SF_EESJ_SZ_SK_SL_SM_EUlSZ_E1_NS1_11comp_targetILNS1_3genE2ELNS1_11target_archE906ELNS1_3gpuE6ELNS1_3repE0EEENS1_36merge_oddeven_config_static_selectorELNS0_4arch9wavefront6targetE0EEEvSL_
; %bb.0:
	.section	.rodata,"a",@progbits
	.p2align	6, 0x0
	.amdhsa_kernel _ZN7rocprim17ROCPRIM_400000_NS6detail17trampoline_kernelINS0_14default_configENS1_38merge_sort_block_merge_config_selectorIiNS0_10empty_typeEEEZZNS1_27merge_sort_block_merge_implIS3_N6thrust23THRUST_200600_302600_NS6detail15normal_iteratorINS9_10device_ptrIiEEEEPS5_jNS1_19radix_merge_compareILb1ELb1EiNS0_19identity_decomposerEEEEE10hipError_tT0_T1_T2_jT3_P12ihipStream_tbPNSt15iterator_traitsISK_E10value_typeEPNSQ_ISL_E10value_typeEPSM_NS1_7vsmem_tEENKUlT_SK_SL_SM_E_clISE_PiSF_SF_EESJ_SZ_SK_SL_SM_EUlSZ_E1_NS1_11comp_targetILNS1_3genE2ELNS1_11target_archE906ELNS1_3gpuE6ELNS1_3repE0EEENS1_36merge_oddeven_config_static_selectorELNS0_4arch9wavefront6targetE0EEEvSL_
		.amdhsa_group_segment_fixed_size 0
		.amdhsa_private_segment_fixed_size 0
		.amdhsa_kernarg_size 48
		.amdhsa_user_sgpr_count 6
		.amdhsa_user_sgpr_private_segment_buffer 1
		.amdhsa_user_sgpr_dispatch_ptr 0
		.amdhsa_user_sgpr_queue_ptr 0
		.amdhsa_user_sgpr_kernarg_segment_ptr 1
		.amdhsa_user_sgpr_dispatch_id 0
		.amdhsa_user_sgpr_flat_scratch_init 0
		.amdhsa_user_sgpr_private_segment_size 0
		.amdhsa_wavefront_size32 1
		.amdhsa_uses_dynamic_stack 0
		.amdhsa_system_sgpr_private_segment_wavefront_offset 0
		.amdhsa_system_sgpr_workgroup_id_x 1
		.amdhsa_system_sgpr_workgroup_id_y 0
		.amdhsa_system_sgpr_workgroup_id_z 0
		.amdhsa_system_sgpr_workgroup_info 0
		.amdhsa_system_vgpr_workitem_id 0
		.amdhsa_next_free_vgpr 1
		.amdhsa_next_free_sgpr 1
		.amdhsa_reserve_vcc 0
		.amdhsa_reserve_flat_scratch 0
		.amdhsa_float_round_mode_32 0
		.amdhsa_float_round_mode_16_64 0
		.amdhsa_float_denorm_mode_32 3
		.amdhsa_float_denorm_mode_16_64 3
		.amdhsa_dx10_clamp 1
		.amdhsa_ieee_mode 1
		.amdhsa_fp16_overflow 0
		.amdhsa_workgroup_processor_mode 1
		.amdhsa_memory_ordered 1
		.amdhsa_forward_progress 1
		.amdhsa_shared_vgpr_count 0
		.amdhsa_exception_fp_ieee_invalid_op 0
		.amdhsa_exception_fp_denorm_src 0
		.amdhsa_exception_fp_ieee_div_zero 0
		.amdhsa_exception_fp_ieee_overflow 0
		.amdhsa_exception_fp_ieee_underflow 0
		.amdhsa_exception_fp_ieee_inexact 0
		.amdhsa_exception_int_div_zero 0
	.end_amdhsa_kernel
	.section	.text._ZN7rocprim17ROCPRIM_400000_NS6detail17trampoline_kernelINS0_14default_configENS1_38merge_sort_block_merge_config_selectorIiNS0_10empty_typeEEEZZNS1_27merge_sort_block_merge_implIS3_N6thrust23THRUST_200600_302600_NS6detail15normal_iteratorINS9_10device_ptrIiEEEEPS5_jNS1_19radix_merge_compareILb1ELb1EiNS0_19identity_decomposerEEEEE10hipError_tT0_T1_T2_jT3_P12ihipStream_tbPNSt15iterator_traitsISK_E10value_typeEPNSQ_ISL_E10value_typeEPSM_NS1_7vsmem_tEENKUlT_SK_SL_SM_E_clISE_PiSF_SF_EESJ_SZ_SK_SL_SM_EUlSZ_E1_NS1_11comp_targetILNS1_3genE2ELNS1_11target_archE906ELNS1_3gpuE6ELNS1_3repE0EEENS1_36merge_oddeven_config_static_selectorELNS0_4arch9wavefront6targetE0EEEvSL_,"axG",@progbits,_ZN7rocprim17ROCPRIM_400000_NS6detail17trampoline_kernelINS0_14default_configENS1_38merge_sort_block_merge_config_selectorIiNS0_10empty_typeEEEZZNS1_27merge_sort_block_merge_implIS3_N6thrust23THRUST_200600_302600_NS6detail15normal_iteratorINS9_10device_ptrIiEEEEPS5_jNS1_19radix_merge_compareILb1ELb1EiNS0_19identity_decomposerEEEEE10hipError_tT0_T1_T2_jT3_P12ihipStream_tbPNSt15iterator_traitsISK_E10value_typeEPNSQ_ISL_E10value_typeEPSM_NS1_7vsmem_tEENKUlT_SK_SL_SM_E_clISE_PiSF_SF_EESJ_SZ_SK_SL_SM_EUlSZ_E1_NS1_11comp_targetILNS1_3genE2ELNS1_11target_archE906ELNS1_3gpuE6ELNS1_3repE0EEENS1_36merge_oddeven_config_static_selectorELNS0_4arch9wavefront6targetE0EEEvSL_,comdat
.Lfunc_end315:
	.size	_ZN7rocprim17ROCPRIM_400000_NS6detail17trampoline_kernelINS0_14default_configENS1_38merge_sort_block_merge_config_selectorIiNS0_10empty_typeEEEZZNS1_27merge_sort_block_merge_implIS3_N6thrust23THRUST_200600_302600_NS6detail15normal_iteratorINS9_10device_ptrIiEEEEPS5_jNS1_19radix_merge_compareILb1ELb1EiNS0_19identity_decomposerEEEEE10hipError_tT0_T1_T2_jT3_P12ihipStream_tbPNSt15iterator_traitsISK_E10value_typeEPNSQ_ISL_E10value_typeEPSM_NS1_7vsmem_tEENKUlT_SK_SL_SM_E_clISE_PiSF_SF_EESJ_SZ_SK_SL_SM_EUlSZ_E1_NS1_11comp_targetILNS1_3genE2ELNS1_11target_archE906ELNS1_3gpuE6ELNS1_3repE0EEENS1_36merge_oddeven_config_static_selectorELNS0_4arch9wavefront6targetE0EEEvSL_, .Lfunc_end315-_ZN7rocprim17ROCPRIM_400000_NS6detail17trampoline_kernelINS0_14default_configENS1_38merge_sort_block_merge_config_selectorIiNS0_10empty_typeEEEZZNS1_27merge_sort_block_merge_implIS3_N6thrust23THRUST_200600_302600_NS6detail15normal_iteratorINS9_10device_ptrIiEEEEPS5_jNS1_19radix_merge_compareILb1ELb1EiNS0_19identity_decomposerEEEEE10hipError_tT0_T1_T2_jT3_P12ihipStream_tbPNSt15iterator_traitsISK_E10value_typeEPNSQ_ISL_E10value_typeEPSM_NS1_7vsmem_tEENKUlT_SK_SL_SM_E_clISE_PiSF_SF_EESJ_SZ_SK_SL_SM_EUlSZ_E1_NS1_11comp_targetILNS1_3genE2ELNS1_11target_archE906ELNS1_3gpuE6ELNS1_3repE0EEENS1_36merge_oddeven_config_static_selectorELNS0_4arch9wavefront6targetE0EEEvSL_
                                        ; -- End function
	.set _ZN7rocprim17ROCPRIM_400000_NS6detail17trampoline_kernelINS0_14default_configENS1_38merge_sort_block_merge_config_selectorIiNS0_10empty_typeEEEZZNS1_27merge_sort_block_merge_implIS3_N6thrust23THRUST_200600_302600_NS6detail15normal_iteratorINS9_10device_ptrIiEEEEPS5_jNS1_19radix_merge_compareILb1ELb1EiNS0_19identity_decomposerEEEEE10hipError_tT0_T1_T2_jT3_P12ihipStream_tbPNSt15iterator_traitsISK_E10value_typeEPNSQ_ISL_E10value_typeEPSM_NS1_7vsmem_tEENKUlT_SK_SL_SM_E_clISE_PiSF_SF_EESJ_SZ_SK_SL_SM_EUlSZ_E1_NS1_11comp_targetILNS1_3genE2ELNS1_11target_archE906ELNS1_3gpuE6ELNS1_3repE0EEENS1_36merge_oddeven_config_static_selectorELNS0_4arch9wavefront6targetE0EEEvSL_.num_vgpr, 0
	.set _ZN7rocprim17ROCPRIM_400000_NS6detail17trampoline_kernelINS0_14default_configENS1_38merge_sort_block_merge_config_selectorIiNS0_10empty_typeEEEZZNS1_27merge_sort_block_merge_implIS3_N6thrust23THRUST_200600_302600_NS6detail15normal_iteratorINS9_10device_ptrIiEEEEPS5_jNS1_19radix_merge_compareILb1ELb1EiNS0_19identity_decomposerEEEEE10hipError_tT0_T1_T2_jT3_P12ihipStream_tbPNSt15iterator_traitsISK_E10value_typeEPNSQ_ISL_E10value_typeEPSM_NS1_7vsmem_tEENKUlT_SK_SL_SM_E_clISE_PiSF_SF_EESJ_SZ_SK_SL_SM_EUlSZ_E1_NS1_11comp_targetILNS1_3genE2ELNS1_11target_archE906ELNS1_3gpuE6ELNS1_3repE0EEENS1_36merge_oddeven_config_static_selectorELNS0_4arch9wavefront6targetE0EEEvSL_.num_agpr, 0
	.set _ZN7rocprim17ROCPRIM_400000_NS6detail17trampoline_kernelINS0_14default_configENS1_38merge_sort_block_merge_config_selectorIiNS0_10empty_typeEEEZZNS1_27merge_sort_block_merge_implIS3_N6thrust23THRUST_200600_302600_NS6detail15normal_iteratorINS9_10device_ptrIiEEEEPS5_jNS1_19radix_merge_compareILb1ELb1EiNS0_19identity_decomposerEEEEE10hipError_tT0_T1_T2_jT3_P12ihipStream_tbPNSt15iterator_traitsISK_E10value_typeEPNSQ_ISL_E10value_typeEPSM_NS1_7vsmem_tEENKUlT_SK_SL_SM_E_clISE_PiSF_SF_EESJ_SZ_SK_SL_SM_EUlSZ_E1_NS1_11comp_targetILNS1_3genE2ELNS1_11target_archE906ELNS1_3gpuE6ELNS1_3repE0EEENS1_36merge_oddeven_config_static_selectorELNS0_4arch9wavefront6targetE0EEEvSL_.numbered_sgpr, 0
	.set _ZN7rocprim17ROCPRIM_400000_NS6detail17trampoline_kernelINS0_14default_configENS1_38merge_sort_block_merge_config_selectorIiNS0_10empty_typeEEEZZNS1_27merge_sort_block_merge_implIS3_N6thrust23THRUST_200600_302600_NS6detail15normal_iteratorINS9_10device_ptrIiEEEEPS5_jNS1_19radix_merge_compareILb1ELb1EiNS0_19identity_decomposerEEEEE10hipError_tT0_T1_T2_jT3_P12ihipStream_tbPNSt15iterator_traitsISK_E10value_typeEPNSQ_ISL_E10value_typeEPSM_NS1_7vsmem_tEENKUlT_SK_SL_SM_E_clISE_PiSF_SF_EESJ_SZ_SK_SL_SM_EUlSZ_E1_NS1_11comp_targetILNS1_3genE2ELNS1_11target_archE906ELNS1_3gpuE6ELNS1_3repE0EEENS1_36merge_oddeven_config_static_selectorELNS0_4arch9wavefront6targetE0EEEvSL_.num_named_barrier, 0
	.set _ZN7rocprim17ROCPRIM_400000_NS6detail17trampoline_kernelINS0_14default_configENS1_38merge_sort_block_merge_config_selectorIiNS0_10empty_typeEEEZZNS1_27merge_sort_block_merge_implIS3_N6thrust23THRUST_200600_302600_NS6detail15normal_iteratorINS9_10device_ptrIiEEEEPS5_jNS1_19radix_merge_compareILb1ELb1EiNS0_19identity_decomposerEEEEE10hipError_tT0_T1_T2_jT3_P12ihipStream_tbPNSt15iterator_traitsISK_E10value_typeEPNSQ_ISL_E10value_typeEPSM_NS1_7vsmem_tEENKUlT_SK_SL_SM_E_clISE_PiSF_SF_EESJ_SZ_SK_SL_SM_EUlSZ_E1_NS1_11comp_targetILNS1_3genE2ELNS1_11target_archE906ELNS1_3gpuE6ELNS1_3repE0EEENS1_36merge_oddeven_config_static_selectorELNS0_4arch9wavefront6targetE0EEEvSL_.private_seg_size, 0
	.set _ZN7rocprim17ROCPRIM_400000_NS6detail17trampoline_kernelINS0_14default_configENS1_38merge_sort_block_merge_config_selectorIiNS0_10empty_typeEEEZZNS1_27merge_sort_block_merge_implIS3_N6thrust23THRUST_200600_302600_NS6detail15normal_iteratorINS9_10device_ptrIiEEEEPS5_jNS1_19radix_merge_compareILb1ELb1EiNS0_19identity_decomposerEEEEE10hipError_tT0_T1_T2_jT3_P12ihipStream_tbPNSt15iterator_traitsISK_E10value_typeEPNSQ_ISL_E10value_typeEPSM_NS1_7vsmem_tEENKUlT_SK_SL_SM_E_clISE_PiSF_SF_EESJ_SZ_SK_SL_SM_EUlSZ_E1_NS1_11comp_targetILNS1_3genE2ELNS1_11target_archE906ELNS1_3gpuE6ELNS1_3repE0EEENS1_36merge_oddeven_config_static_selectorELNS0_4arch9wavefront6targetE0EEEvSL_.uses_vcc, 0
	.set _ZN7rocprim17ROCPRIM_400000_NS6detail17trampoline_kernelINS0_14default_configENS1_38merge_sort_block_merge_config_selectorIiNS0_10empty_typeEEEZZNS1_27merge_sort_block_merge_implIS3_N6thrust23THRUST_200600_302600_NS6detail15normal_iteratorINS9_10device_ptrIiEEEEPS5_jNS1_19radix_merge_compareILb1ELb1EiNS0_19identity_decomposerEEEEE10hipError_tT0_T1_T2_jT3_P12ihipStream_tbPNSt15iterator_traitsISK_E10value_typeEPNSQ_ISL_E10value_typeEPSM_NS1_7vsmem_tEENKUlT_SK_SL_SM_E_clISE_PiSF_SF_EESJ_SZ_SK_SL_SM_EUlSZ_E1_NS1_11comp_targetILNS1_3genE2ELNS1_11target_archE906ELNS1_3gpuE6ELNS1_3repE0EEENS1_36merge_oddeven_config_static_selectorELNS0_4arch9wavefront6targetE0EEEvSL_.uses_flat_scratch, 0
	.set _ZN7rocprim17ROCPRIM_400000_NS6detail17trampoline_kernelINS0_14default_configENS1_38merge_sort_block_merge_config_selectorIiNS0_10empty_typeEEEZZNS1_27merge_sort_block_merge_implIS3_N6thrust23THRUST_200600_302600_NS6detail15normal_iteratorINS9_10device_ptrIiEEEEPS5_jNS1_19radix_merge_compareILb1ELb1EiNS0_19identity_decomposerEEEEE10hipError_tT0_T1_T2_jT3_P12ihipStream_tbPNSt15iterator_traitsISK_E10value_typeEPNSQ_ISL_E10value_typeEPSM_NS1_7vsmem_tEENKUlT_SK_SL_SM_E_clISE_PiSF_SF_EESJ_SZ_SK_SL_SM_EUlSZ_E1_NS1_11comp_targetILNS1_3genE2ELNS1_11target_archE906ELNS1_3gpuE6ELNS1_3repE0EEENS1_36merge_oddeven_config_static_selectorELNS0_4arch9wavefront6targetE0EEEvSL_.has_dyn_sized_stack, 0
	.set _ZN7rocprim17ROCPRIM_400000_NS6detail17trampoline_kernelINS0_14default_configENS1_38merge_sort_block_merge_config_selectorIiNS0_10empty_typeEEEZZNS1_27merge_sort_block_merge_implIS3_N6thrust23THRUST_200600_302600_NS6detail15normal_iteratorINS9_10device_ptrIiEEEEPS5_jNS1_19radix_merge_compareILb1ELb1EiNS0_19identity_decomposerEEEEE10hipError_tT0_T1_T2_jT3_P12ihipStream_tbPNSt15iterator_traitsISK_E10value_typeEPNSQ_ISL_E10value_typeEPSM_NS1_7vsmem_tEENKUlT_SK_SL_SM_E_clISE_PiSF_SF_EESJ_SZ_SK_SL_SM_EUlSZ_E1_NS1_11comp_targetILNS1_3genE2ELNS1_11target_archE906ELNS1_3gpuE6ELNS1_3repE0EEENS1_36merge_oddeven_config_static_selectorELNS0_4arch9wavefront6targetE0EEEvSL_.has_recursion, 0
	.set _ZN7rocprim17ROCPRIM_400000_NS6detail17trampoline_kernelINS0_14default_configENS1_38merge_sort_block_merge_config_selectorIiNS0_10empty_typeEEEZZNS1_27merge_sort_block_merge_implIS3_N6thrust23THRUST_200600_302600_NS6detail15normal_iteratorINS9_10device_ptrIiEEEEPS5_jNS1_19radix_merge_compareILb1ELb1EiNS0_19identity_decomposerEEEEE10hipError_tT0_T1_T2_jT3_P12ihipStream_tbPNSt15iterator_traitsISK_E10value_typeEPNSQ_ISL_E10value_typeEPSM_NS1_7vsmem_tEENKUlT_SK_SL_SM_E_clISE_PiSF_SF_EESJ_SZ_SK_SL_SM_EUlSZ_E1_NS1_11comp_targetILNS1_3genE2ELNS1_11target_archE906ELNS1_3gpuE6ELNS1_3repE0EEENS1_36merge_oddeven_config_static_selectorELNS0_4arch9wavefront6targetE0EEEvSL_.has_indirect_call, 0
	.section	.AMDGPU.csdata,"",@progbits
; Kernel info:
; codeLenInByte = 0
; TotalNumSgprs: 0
; NumVgprs: 0
; ScratchSize: 0
; MemoryBound: 0
; FloatMode: 240
; IeeeMode: 1
; LDSByteSize: 0 bytes/workgroup (compile time only)
; SGPRBlocks: 0
; VGPRBlocks: 0
; NumSGPRsForWavesPerEU: 1
; NumVGPRsForWavesPerEU: 1
; Occupancy: 16
; WaveLimiterHint : 0
; COMPUTE_PGM_RSRC2:SCRATCH_EN: 0
; COMPUTE_PGM_RSRC2:USER_SGPR: 6
; COMPUTE_PGM_RSRC2:TRAP_HANDLER: 0
; COMPUTE_PGM_RSRC2:TGID_X_EN: 1
; COMPUTE_PGM_RSRC2:TGID_Y_EN: 0
; COMPUTE_PGM_RSRC2:TGID_Z_EN: 0
; COMPUTE_PGM_RSRC2:TIDIG_COMP_CNT: 0
	.section	.text._ZN7rocprim17ROCPRIM_400000_NS6detail17trampoline_kernelINS0_14default_configENS1_38merge_sort_block_merge_config_selectorIiNS0_10empty_typeEEEZZNS1_27merge_sort_block_merge_implIS3_N6thrust23THRUST_200600_302600_NS6detail15normal_iteratorINS9_10device_ptrIiEEEEPS5_jNS1_19radix_merge_compareILb1ELb1EiNS0_19identity_decomposerEEEEE10hipError_tT0_T1_T2_jT3_P12ihipStream_tbPNSt15iterator_traitsISK_E10value_typeEPNSQ_ISL_E10value_typeEPSM_NS1_7vsmem_tEENKUlT_SK_SL_SM_E_clISE_PiSF_SF_EESJ_SZ_SK_SL_SM_EUlSZ_E1_NS1_11comp_targetILNS1_3genE9ELNS1_11target_archE1100ELNS1_3gpuE3ELNS1_3repE0EEENS1_36merge_oddeven_config_static_selectorELNS0_4arch9wavefront6targetE0EEEvSL_,"axG",@progbits,_ZN7rocprim17ROCPRIM_400000_NS6detail17trampoline_kernelINS0_14default_configENS1_38merge_sort_block_merge_config_selectorIiNS0_10empty_typeEEEZZNS1_27merge_sort_block_merge_implIS3_N6thrust23THRUST_200600_302600_NS6detail15normal_iteratorINS9_10device_ptrIiEEEEPS5_jNS1_19radix_merge_compareILb1ELb1EiNS0_19identity_decomposerEEEEE10hipError_tT0_T1_T2_jT3_P12ihipStream_tbPNSt15iterator_traitsISK_E10value_typeEPNSQ_ISL_E10value_typeEPSM_NS1_7vsmem_tEENKUlT_SK_SL_SM_E_clISE_PiSF_SF_EESJ_SZ_SK_SL_SM_EUlSZ_E1_NS1_11comp_targetILNS1_3genE9ELNS1_11target_archE1100ELNS1_3gpuE3ELNS1_3repE0EEENS1_36merge_oddeven_config_static_selectorELNS0_4arch9wavefront6targetE0EEEvSL_,comdat
	.protected	_ZN7rocprim17ROCPRIM_400000_NS6detail17trampoline_kernelINS0_14default_configENS1_38merge_sort_block_merge_config_selectorIiNS0_10empty_typeEEEZZNS1_27merge_sort_block_merge_implIS3_N6thrust23THRUST_200600_302600_NS6detail15normal_iteratorINS9_10device_ptrIiEEEEPS5_jNS1_19radix_merge_compareILb1ELb1EiNS0_19identity_decomposerEEEEE10hipError_tT0_T1_T2_jT3_P12ihipStream_tbPNSt15iterator_traitsISK_E10value_typeEPNSQ_ISL_E10value_typeEPSM_NS1_7vsmem_tEENKUlT_SK_SL_SM_E_clISE_PiSF_SF_EESJ_SZ_SK_SL_SM_EUlSZ_E1_NS1_11comp_targetILNS1_3genE9ELNS1_11target_archE1100ELNS1_3gpuE3ELNS1_3repE0EEENS1_36merge_oddeven_config_static_selectorELNS0_4arch9wavefront6targetE0EEEvSL_ ; -- Begin function _ZN7rocprim17ROCPRIM_400000_NS6detail17trampoline_kernelINS0_14default_configENS1_38merge_sort_block_merge_config_selectorIiNS0_10empty_typeEEEZZNS1_27merge_sort_block_merge_implIS3_N6thrust23THRUST_200600_302600_NS6detail15normal_iteratorINS9_10device_ptrIiEEEEPS5_jNS1_19radix_merge_compareILb1ELb1EiNS0_19identity_decomposerEEEEE10hipError_tT0_T1_T2_jT3_P12ihipStream_tbPNSt15iterator_traitsISK_E10value_typeEPNSQ_ISL_E10value_typeEPSM_NS1_7vsmem_tEENKUlT_SK_SL_SM_E_clISE_PiSF_SF_EESJ_SZ_SK_SL_SM_EUlSZ_E1_NS1_11comp_targetILNS1_3genE9ELNS1_11target_archE1100ELNS1_3gpuE3ELNS1_3repE0EEENS1_36merge_oddeven_config_static_selectorELNS0_4arch9wavefront6targetE0EEEvSL_
	.globl	_ZN7rocprim17ROCPRIM_400000_NS6detail17trampoline_kernelINS0_14default_configENS1_38merge_sort_block_merge_config_selectorIiNS0_10empty_typeEEEZZNS1_27merge_sort_block_merge_implIS3_N6thrust23THRUST_200600_302600_NS6detail15normal_iteratorINS9_10device_ptrIiEEEEPS5_jNS1_19radix_merge_compareILb1ELb1EiNS0_19identity_decomposerEEEEE10hipError_tT0_T1_T2_jT3_P12ihipStream_tbPNSt15iterator_traitsISK_E10value_typeEPNSQ_ISL_E10value_typeEPSM_NS1_7vsmem_tEENKUlT_SK_SL_SM_E_clISE_PiSF_SF_EESJ_SZ_SK_SL_SM_EUlSZ_E1_NS1_11comp_targetILNS1_3genE9ELNS1_11target_archE1100ELNS1_3gpuE3ELNS1_3repE0EEENS1_36merge_oddeven_config_static_selectorELNS0_4arch9wavefront6targetE0EEEvSL_
	.p2align	8
	.type	_ZN7rocprim17ROCPRIM_400000_NS6detail17trampoline_kernelINS0_14default_configENS1_38merge_sort_block_merge_config_selectorIiNS0_10empty_typeEEEZZNS1_27merge_sort_block_merge_implIS3_N6thrust23THRUST_200600_302600_NS6detail15normal_iteratorINS9_10device_ptrIiEEEEPS5_jNS1_19radix_merge_compareILb1ELb1EiNS0_19identity_decomposerEEEEE10hipError_tT0_T1_T2_jT3_P12ihipStream_tbPNSt15iterator_traitsISK_E10value_typeEPNSQ_ISL_E10value_typeEPSM_NS1_7vsmem_tEENKUlT_SK_SL_SM_E_clISE_PiSF_SF_EESJ_SZ_SK_SL_SM_EUlSZ_E1_NS1_11comp_targetILNS1_3genE9ELNS1_11target_archE1100ELNS1_3gpuE3ELNS1_3repE0EEENS1_36merge_oddeven_config_static_selectorELNS0_4arch9wavefront6targetE0EEEvSL_,@function
_ZN7rocprim17ROCPRIM_400000_NS6detail17trampoline_kernelINS0_14default_configENS1_38merge_sort_block_merge_config_selectorIiNS0_10empty_typeEEEZZNS1_27merge_sort_block_merge_implIS3_N6thrust23THRUST_200600_302600_NS6detail15normal_iteratorINS9_10device_ptrIiEEEEPS5_jNS1_19radix_merge_compareILb1ELb1EiNS0_19identity_decomposerEEEEE10hipError_tT0_T1_T2_jT3_P12ihipStream_tbPNSt15iterator_traitsISK_E10value_typeEPNSQ_ISL_E10value_typeEPSM_NS1_7vsmem_tEENKUlT_SK_SL_SM_E_clISE_PiSF_SF_EESJ_SZ_SK_SL_SM_EUlSZ_E1_NS1_11comp_targetILNS1_3genE9ELNS1_11target_archE1100ELNS1_3gpuE3ELNS1_3repE0EEENS1_36merge_oddeven_config_static_selectorELNS0_4arch9wavefront6targetE0EEEvSL_: ; @_ZN7rocprim17ROCPRIM_400000_NS6detail17trampoline_kernelINS0_14default_configENS1_38merge_sort_block_merge_config_selectorIiNS0_10empty_typeEEEZZNS1_27merge_sort_block_merge_implIS3_N6thrust23THRUST_200600_302600_NS6detail15normal_iteratorINS9_10device_ptrIiEEEEPS5_jNS1_19radix_merge_compareILb1ELb1EiNS0_19identity_decomposerEEEEE10hipError_tT0_T1_T2_jT3_P12ihipStream_tbPNSt15iterator_traitsISK_E10value_typeEPNSQ_ISL_E10value_typeEPSM_NS1_7vsmem_tEENKUlT_SK_SL_SM_E_clISE_PiSF_SF_EESJ_SZ_SK_SL_SM_EUlSZ_E1_NS1_11comp_targetILNS1_3genE9ELNS1_11target_archE1100ELNS1_3gpuE3ELNS1_3repE0EEENS1_36merge_oddeven_config_static_selectorELNS0_4arch9wavefront6targetE0EEEvSL_
; %bb.0:
	.section	.rodata,"a",@progbits
	.p2align	6, 0x0
	.amdhsa_kernel _ZN7rocprim17ROCPRIM_400000_NS6detail17trampoline_kernelINS0_14default_configENS1_38merge_sort_block_merge_config_selectorIiNS0_10empty_typeEEEZZNS1_27merge_sort_block_merge_implIS3_N6thrust23THRUST_200600_302600_NS6detail15normal_iteratorINS9_10device_ptrIiEEEEPS5_jNS1_19radix_merge_compareILb1ELb1EiNS0_19identity_decomposerEEEEE10hipError_tT0_T1_T2_jT3_P12ihipStream_tbPNSt15iterator_traitsISK_E10value_typeEPNSQ_ISL_E10value_typeEPSM_NS1_7vsmem_tEENKUlT_SK_SL_SM_E_clISE_PiSF_SF_EESJ_SZ_SK_SL_SM_EUlSZ_E1_NS1_11comp_targetILNS1_3genE9ELNS1_11target_archE1100ELNS1_3gpuE3ELNS1_3repE0EEENS1_36merge_oddeven_config_static_selectorELNS0_4arch9wavefront6targetE0EEEvSL_
		.amdhsa_group_segment_fixed_size 0
		.amdhsa_private_segment_fixed_size 0
		.amdhsa_kernarg_size 48
		.amdhsa_user_sgpr_count 6
		.amdhsa_user_sgpr_private_segment_buffer 1
		.amdhsa_user_sgpr_dispatch_ptr 0
		.amdhsa_user_sgpr_queue_ptr 0
		.amdhsa_user_sgpr_kernarg_segment_ptr 1
		.amdhsa_user_sgpr_dispatch_id 0
		.amdhsa_user_sgpr_flat_scratch_init 0
		.amdhsa_user_sgpr_private_segment_size 0
		.amdhsa_wavefront_size32 1
		.amdhsa_uses_dynamic_stack 0
		.amdhsa_system_sgpr_private_segment_wavefront_offset 0
		.amdhsa_system_sgpr_workgroup_id_x 1
		.amdhsa_system_sgpr_workgroup_id_y 0
		.amdhsa_system_sgpr_workgroup_id_z 0
		.amdhsa_system_sgpr_workgroup_info 0
		.amdhsa_system_vgpr_workitem_id 0
		.amdhsa_next_free_vgpr 1
		.amdhsa_next_free_sgpr 1
		.amdhsa_reserve_vcc 0
		.amdhsa_reserve_flat_scratch 0
		.amdhsa_float_round_mode_32 0
		.amdhsa_float_round_mode_16_64 0
		.amdhsa_float_denorm_mode_32 3
		.amdhsa_float_denorm_mode_16_64 3
		.amdhsa_dx10_clamp 1
		.amdhsa_ieee_mode 1
		.amdhsa_fp16_overflow 0
		.amdhsa_workgroup_processor_mode 1
		.amdhsa_memory_ordered 1
		.amdhsa_forward_progress 1
		.amdhsa_shared_vgpr_count 0
		.amdhsa_exception_fp_ieee_invalid_op 0
		.amdhsa_exception_fp_denorm_src 0
		.amdhsa_exception_fp_ieee_div_zero 0
		.amdhsa_exception_fp_ieee_overflow 0
		.amdhsa_exception_fp_ieee_underflow 0
		.amdhsa_exception_fp_ieee_inexact 0
		.amdhsa_exception_int_div_zero 0
	.end_amdhsa_kernel
	.section	.text._ZN7rocprim17ROCPRIM_400000_NS6detail17trampoline_kernelINS0_14default_configENS1_38merge_sort_block_merge_config_selectorIiNS0_10empty_typeEEEZZNS1_27merge_sort_block_merge_implIS3_N6thrust23THRUST_200600_302600_NS6detail15normal_iteratorINS9_10device_ptrIiEEEEPS5_jNS1_19radix_merge_compareILb1ELb1EiNS0_19identity_decomposerEEEEE10hipError_tT0_T1_T2_jT3_P12ihipStream_tbPNSt15iterator_traitsISK_E10value_typeEPNSQ_ISL_E10value_typeEPSM_NS1_7vsmem_tEENKUlT_SK_SL_SM_E_clISE_PiSF_SF_EESJ_SZ_SK_SL_SM_EUlSZ_E1_NS1_11comp_targetILNS1_3genE9ELNS1_11target_archE1100ELNS1_3gpuE3ELNS1_3repE0EEENS1_36merge_oddeven_config_static_selectorELNS0_4arch9wavefront6targetE0EEEvSL_,"axG",@progbits,_ZN7rocprim17ROCPRIM_400000_NS6detail17trampoline_kernelINS0_14default_configENS1_38merge_sort_block_merge_config_selectorIiNS0_10empty_typeEEEZZNS1_27merge_sort_block_merge_implIS3_N6thrust23THRUST_200600_302600_NS6detail15normal_iteratorINS9_10device_ptrIiEEEEPS5_jNS1_19radix_merge_compareILb1ELb1EiNS0_19identity_decomposerEEEEE10hipError_tT0_T1_T2_jT3_P12ihipStream_tbPNSt15iterator_traitsISK_E10value_typeEPNSQ_ISL_E10value_typeEPSM_NS1_7vsmem_tEENKUlT_SK_SL_SM_E_clISE_PiSF_SF_EESJ_SZ_SK_SL_SM_EUlSZ_E1_NS1_11comp_targetILNS1_3genE9ELNS1_11target_archE1100ELNS1_3gpuE3ELNS1_3repE0EEENS1_36merge_oddeven_config_static_selectorELNS0_4arch9wavefront6targetE0EEEvSL_,comdat
.Lfunc_end316:
	.size	_ZN7rocprim17ROCPRIM_400000_NS6detail17trampoline_kernelINS0_14default_configENS1_38merge_sort_block_merge_config_selectorIiNS0_10empty_typeEEEZZNS1_27merge_sort_block_merge_implIS3_N6thrust23THRUST_200600_302600_NS6detail15normal_iteratorINS9_10device_ptrIiEEEEPS5_jNS1_19radix_merge_compareILb1ELb1EiNS0_19identity_decomposerEEEEE10hipError_tT0_T1_T2_jT3_P12ihipStream_tbPNSt15iterator_traitsISK_E10value_typeEPNSQ_ISL_E10value_typeEPSM_NS1_7vsmem_tEENKUlT_SK_SL_SM_E_clISE_PiSF_SF_EESJ_SZ_SK_SL_SM_EUlSZ_E1_NS1_11comp_targetILNS1_3genE9ELNS1_11target_archE1100ELNS1_3gpuE3ELNS1_3repE0EEENS1_36merge_oddeven_config_static_selectorELNS0_4arch9wavefront6targetE0EEEvSL_, .Lfunc_end316-_ZN7rocprim17ROCPRIM_400000_NS6detail17trampoline_kernelINS0_14default_configENS1_38merge_sort_block_merge_config_selectorIiNS0_10empty_typeEEEZZNS1_27merge_sort_block_merge_implIS3_N6thrust23THRUST_200600_302600_NS6detail15normal_iteratorINS9_10device_ptrIiEEEEPS5_jNS1_19radix_merge_compareILb1ELb1EiNS0_19identity_decomposerEEEEE10hipError_tT0_T1_T2_jT3_P12ihipStream_tbPNSt15iterator_traitsISK_E10value_typeEPNSQ_ISL_E10value_typeEPSM_NS1_7vsmem_tEENKUlT_SK_SL_SM_E_clISE_PiSF_SF_EESJ_SZ_SK_SL_SM_EUlSZ_E1_NS1_11comp_targetILNS1_3genE9ELNS1_11target_archE1100ELNS1_3gpuE3ELNS1_3repE0EEENS1_36merge_oddeven_config_static_selectorELNS0_4arch9wavefront6targetE0EEEvSL_
                                        ; -- End function
	.set _ZN7rocprim17ROCPRIM_400000_NS6detail17trampoline_kernelINS0_14default_configENS1_38merge_sort_block_merge_config_selectorIiNS0_10empty_typeEEEZZNS1_27merge_sort_block_merge_implIS3_N6thrust23THRUST_200600_302600_NS6detail15normal_iteratorINS9_10device_ptrIiEEEEPS5_jNS1_19radix_merge_compareILb1ELb1EiNS0_19identity_decomposerEEEEE10hipError_tT0_T1_T2_jT3_P12ihipStream_tbPNSt15iterator_traitsISK_E10value_typeEPNSQ_ISL_E10value_typeEPSM_NS1_7vsmem_tEENKUlT_SK_SL_SM_E_clISE_PiSF_SF_EESJ_SZ_SK_SL_SM_EUlSZ_E1_NS1_11comp_targetILNS1_3genE9ELNS1_11target_archE1100ELNS1_3gpuE3ELNS1_3repE0EEENS1_36merge_oddeven_config_static_selectorELNS0_4arch9wavefront6targetE0EEEvSL_.num_vgpr, 0
	.set _ZN7rocprim17ROCPRIM_400000_NS6detail17trampoline_kernelINS0_14default_configENS1_38merge_sort_block_merge_config_selectorIiNS0_10empty_typeEEEZZNS1_27merge_sort_block_merge_implIS3_N6thrust23THRUST_200600_302600_NS6detail15normal_iteratorINS9_10device_ptrIiEEEEPS5_jNS1_19radix_merge_compareILb1ELb1EiNS0_19identity_decomposerEEEEE10hipError_tT0_T1_T2_jT3_P12ihipStream_tbPNSt15iterator_traitsISK_E10value_typeEPNSQ_ISL_E10value_typeEPSM_NS1_7vsmem_tEENKUlT_SK_SL_SM_E_clISE_PiSF_SF_EESJ_SZ_SK_SL_SM_EUlSZ_E1_NS1_11comp_targetILNS1_3genE9ELNS1_11target_archE1100ELNS1_3gpuE3ELNS1_3repE0EEENS1_36merge_oddeven_config_static_selectorELNS0_4arch9wavefront6targetE0EEEvSL_.num_agpr, 0
	.set _ZN7rocprim17ROCPRIM_400000_NS6detail17trampoline_kernelINS0_14default_configENS1_38merge_sort_block_merge_config_selectorIiNS0_10empty_typeEEEZZNS1_27merge_sort_block_merge_implIS3_N6thrust23THRUST_200600_302600_NS6detail15normal_iteratorINS9_10device_ptrIiEEEEPS5_jNS1_19radix_merge_compareILb1ELb1EiNS0_19identity_decomposerEEEEE10hipError_tT0_T1_T2_jT3_P12ihipStream_tbPNSt15iterator_traitsISK_E10value_typeEPNSQ_ISL_E10value_typeEPSM_NS1_7vsmem_tEENKUlT_SK_SL_SM_E_clISE_PiSF_SF_EESJ_SZ_SK_SL_SM_EUlSZ_E1_NS1_11comp_targetILNS1_3genE9ELNS1_11target_archE1100ELNS1_3gpuE3ELNS1_3repE0EEENS1_36merge_oddeven_config_static_selectorELNS0_4arch9wavefront6targetE0EEEvSL_.numbered_sgpr, 0
	.set _ZN7rocprim17ROCPRIM_400000_NS6detail17trampoline_kernelINS0_14default_configENS1_38merge_sort_block_merge_config_selectorIiNS0_10empty_typeEEEZZNS1_27merge_sort_block_merge_implIS3_N6thrust23THRUST_200600_302600_NS6detail15normal_iteratorINS9_10device_ptrIiEEEEPS5_jNS1_19radix_merge_compareILb1ELb1EiNS0_19identity_decomposerEEEEE10hipError_tT0_T1_T2_jT3_P12ihipStream_tbPNSt15iterator_traitsISK_E10value_typeEPNSQ_ISL_E10value_typeEPSM_NS1_7vsmem_tEENKUlT_SK_SL_SM_E_clISE_PiSF_SF_EESJ_SZ_SK_SL_SM_EUlSZ_E1_NS1_11comp_targetILNS1_3genE9ELNS1_11target_archE1100ELNS1_3gpuE3ELNS1_3repE0EEENS1_36merge_oddeven_config_static_selectorELNS0_4arch9wavefront6targetE0EEEvSL_.num_named_barrier, 0
	.set _ZN7rocprim17ROCPRIM_400000_NS6detail17trampoline_kernelINS0_14default_configENS1_38merge_sort_block_merge_config_selectorIiNS0_10empty_typeEEEZZNS1_27merge_sort_block_merge_implIS3_N6thrust23THRUST_200600_302600_NS6detail15normal_iteratorINS9_10device_ptrIiEEEEPS5_jNS1_19radix_merge_compareILb1ELb1EiNS0_19identity_decomposerEEEEE10hipError_tT0_T1_T2_jT3_P12ihipStream_tbPNSt15iterator_traitsISK_E10value_typeEPNSQ_ISL_E10value_typeEPSM_NS1_7vsmem_tEENKUlT_SK_SL_SM_E_clISE_PiSF_SF_EESJ_SZ_SK_SL_SM_EUlSZ_E1_NS1_11comp_targetILNS1_3genE9ELNS1_11target_archE1100ELNS1_3gpuE3ELNS1_3repE0EEENS1_36merge_oddeven_config_static_selectorELNS0_4arch9wavefront6targetE0EEEvSL_.private_seg_size, 0
	.set _ZN7rocprim17ROCPRIM_400000_NS6detail17trampoline_kernelINS0_14default_configENS1_38merge_sort_block_merge_config_selectorIiNS0_10empty_typeEEEZZNS1_27merge_sort_block_merge_implIS3_N6thrust23THRUST_200600_302600_NS6detail15normal_iteratorINS9_10device_ptrIiEEEEPS5_jNS1_19radix_merge_compareILb1ELb1EiNS0_19identity_decomposerEEEEE10hipError_tT0_T1_T2_jT3_P12ihipStream_tbPNSt15iterator_traitsISK_E10value_typeEPNSQ_ISL_E10value_typeEPSM_NS1_7vsmem_tEENKUlT_SK_SL_SM_E_clISE_PiSF_SF_EESJ_SZ_SK_SL_SM_EUlSZ_E1_NS1_11comp_targetILNS1_3genE9ELNS1_11target_archE1100ELNS1_3gpuE3ELNS1_3repE0EEENS1_36merge_oddeven_config_static_selectorELNS0_4arch9wavefront6targetE0EEEvSL_.uses_vcc, 0
	.set _ZN7rocprim17ROCPRIM_400000_NS6detail17trampoline_kernelINS0_14default_configENS1_38merge_sort_block_merge_config_selectorIiNS0_10empty_typeEEEZZNS1_27merge_sort_block_merge_implIS3_N6thrust23THRUST_200600_302600_NS6detail15normal_iteratorINS9_10device_ptrIiEEEEPS5_jNS1_19radix_merge_compareILb1ELb1EiNS0_19identity_decomposerEEEEE10hipError_tT0_T1_T2_jT3_P12ihipStream_tbPNSt15iterator_traitsISK_E10value_typeEPNSQ_ISL_E10value_typeEPSM_NS1_7vsmem_tEENKUlT_SK_SL_SM_E_clISE_PiSF_SF_EESJ_SZ_SK_SL_SM_EUlSZ_E1_NS1_11comp_targetILNS1_3genE9ELNS1_11target_archE1100ELNS1_3gpuE3ELNS1_3repE0EEENS1_36merge_oddeven_config_static_selectorELNS0_4arch9wavefront6targetE0EEEvSL_.uses_flat_scratch, 0
	.set _ZN7rocprim17ROCPRIM_400000_NS6detail17trampoline_kernelINS0_14default_configENS1_38merge_sort_block_merge_config_selectorIiNS0_10empty_typeEEEZZNS1_27merge_sort_block_merge_implIS3_N6thrust23THRUST_200600_302600_NS6detail15normal_iteratorINS9_10device_ptrIiEEEEPS5_jNS1_19radix_merge_compareILb1ELb1EiNS0_19identity_decomposerEEEEE10hipError_tT0_T1_T2_jT3_P12ihipStream_tbPNSt15iterator_traitsISK_E10value_typeEPNSQ_ISL_E10value_typeEPSM_NS1_7vsmem_tEENKUlT_SK_SL_SM_E_clISE_PiSF_SF_EESJ_SZ_SK_SL_SM_EUlSZ_E1_NS1_11comp_targetILNS1_3genE9ELNS1_11target_archE1100ELNS1_3gpuE3ELNS1_3repE0EEENS1_36merge_oddeven_config_static_selectorELNS0_4arch9wavefront6targetE0EEEvSL_.has_dyn_sized_stack, 0
	.set _ZN7rocprim17ROCPRIM_400000_NS6detail17trampoline_kernelINS0_14default_configENS1_38merge_sort_block_merge_config_selectorIiNS0_10empty_typeEEEZZNS1_27merge_sort_block_merge_implIS3_N6thrust23THRUST_200600_302600_NS6detail15normal_iteratorINS9_10device_ptrIiEEEEPS5_jNS1_19radix_merge_compareILb1ELb1EiNS0_19identity_decomposerEEEEE10hipError_tT0_T1_T2_jT3_P12ihipStream_tbPNSt15iterator_traitsISK_E10value_typeEPNSQ_ISL_E10value_typeEPSM_NS1_7vsmem_tEENKUlT_SK_SL_SM_E_clISE_PiSF_SF_EESJ_SZ_SK_SL_SM_EUlSZ_E1_NS1_11comp_targetILNS1_3genE9ELNS1_11target_archE1100ELNS1_3gpuE3ELNS1_3repE0EEENS1_36merge_oddeven_config_static_selectorELNS0_4arch9wavefront6targetE0EEEvSL_.has_recursion, 0
	.set _ZN7rocprim17ROCPRIM_400000_NS6detail17trampoline_kernelINS0_14default_configENS1_38merge_sort_block_merge_config_selectorIiNS0_10empty_typeEEEZZNS1_27merge_sort_block_merge_implIS3_N6thrust23THRUST_200600_302600_NS6detail15normal_iteratorINS9_10device_ptrIiEEEEPS5_jNS1_19radix_merge_compareILb1ELb1EiNS0_19identity_decomposerEEEEE10hipError_tT0_T1_T2_jT3_P12ihipStream_tbPNSt15iterator_traitsISK_E10value_typeEPNSQ_ISL_E10value_typeEPSM_NS1_7vsmem_tEENKUlT_SK_SL_SM_E_clISE_PiSF_SF_EESJ_SZ_SK_SL_SM_EUlSZ_E1_NS1_11comp_targetILNS1_3genE9ELNS1_11target_archE1100ELNS1_3gpuE3ELNS1_3repE0EEENS1_36merge_oddeven_config_static_selectorELNS0_4arch9wavefront6targetE0EEEvSL_.has_indirect_call, 0
	.section	.AMDGPU.csdata,"",@progbits
; Kernel info:
; codeLenInByte = 0
; TotalNumSgprs: 0
; NumVgprs: 0
; ScratchSize: 0
; MemoryBound: 0
; FloatMode: 240
; IeeeMode: 1
; LDSByteSize: 0 bytes/workgroup (compile time only)
; SGPRBlocks: 0
; VGPRBlocks: 0
; NumSGPRsForWavesPerEU: 1
; NumVGPRsForWavesPerEU: 1
; Occupancy: 16
; WaveLimiterHint : 0
; COMPUTE_PGM_RSRC2:SCRATCH_EN: 0
; COMPUTE_PGM_RSRC2:USER_SGPR: 6
; COMPUTE_PGM_RSRC2:TRAP_HANDLER: 0
; COMPUTE_PGM_RSRC2:TGID_X_EN: 1
; COMPUTE_PGM_RSRC2:TGID_Y_EN: 0
; COMPUTE_PGM_RSRC2:TGID_Z_EN: 0
; COMPUTE_PGM_RSRC2:TIDIG_COMP_CNT: 0
	.section	.text._ZN7rocprim17ROCPRIM_400000_NS6detail17trampoline_kernelINS0_14default_configENS1_38merge_sort_block_merge_config_selectorIiNS0_10empty_typeEEEZZNS1_27merge_sort_block_merge_implIS3_N6thrust23THRUST_200600_302600_NS6detail15normal_iteratorINS9_10device_ptrIiEEEEPS5_jNS1_19radix_merge_compareILb1ELb1EiNS0_19identity_decomposerEEEEE10hipError_tT0_T1_T2_jT3_P12ihipStream_tbPNSt15iterator_traitsISK_E10value_typeEPNSQ_ISL_E10value_typeEPSM_NS1_7vsmem_tEENKUlT_SK_SL_SM_E_clISE_PiSF_SF_EESJ_SZ_SK_SL_SM_EUlSZ_E1_NS1_11comp_targetILNS1_3genE8ELNS1_11target_archE1030ELNS1_3gpuE2ELNS1_3repE0EEENS1_36merge_oddeven_config_static_selectorELNS0_4arch9wavefront6targetE0EEEvSL_,"axG",@progbits,_ZN7rocprim17ROCPRIM_400000_NS6detail17trampoline_kernelINS0_14default_configENS1_38merge_sort_block_merge_config_selectorIiNS0_10empty_typeEEEZZNS1_27merge_sort_block_merge_implIS3_N6thrust23THRUST_200600_302600_NS6detail15normal_iteratorINS9_10device_ptrIiEEEEPS5_jNS1_19radix_merge_compareILb1ELb1EiNS0_19identity_decomposerEEEEE10hipError_tT0_T1_T2_jT3_P12ihipStream_tbPNSt15iterator_traitsISK_E10value_typeEPNSQ_ISL_E10value_typeEPSM_NS1_7vsmem_tEENKUlT_SK_SL_SM_E_clISE_PiSF_SF_EESJ_SZ_SK_SL_SM_EUlSZ_E1_NS1_11comp_targetILNS1_3genE8ELNS1_11target_archE1030ELNS1_3gpuE2ELNS1_3repE0EEENS1_36merge_oddeven_config_static_selectorELNS0_4arch9wavefront6targetE0EEEvSL_,comdat
	.protected	_ZN7rocprim17ROCPRIM_400000_NS6detail17trampoline_kernelINS0_14default_configENS1_38merge_sort_block_merge_config_selectorIiNS0_10empty_typeEEEZZNS1_27merge_sort_block_merge_implIS3_N6thrust23THRUST_200600_302600_NS6detail15normal_iteratorINS9_10device_ptrIiEEEEPS5_jNS1_19radix_merge_compareILb1ELb1EiNS0_19identity_decomposerEEEEE10hipError_tT0_T1_T2_jT3_P12ihipStream_tbPNSt15iterator_traitsISK_E10value_typeEPNSQ_ISL_E10value_typeEPSM_NS1_7vsmem_tEENKUlT_SK_SL_SM_E_clISE_PiSF_SF_EESJ_SZ_SK_SL_SM_EUlSZ_E1_NS1_11comp_targetILNS1_3genE8ELNS1_11target_archE1030ELNS1_3gpuE2ELNS1_3repE0EEENS1_36merge_oddeven_config_static_selectorELNS0_4arch9wavefront6targetE0EEEvSL_ ; -- Begin function _ZN7rocprim17ROCPRIM_400000_NS6detail17trampoline_kernelINS0_14default_configENS1_38merge_sort_block_merge_config_selectorIiNS0_10empty_typeEEEZZNS1_27merge_sort_block_merge_implIS3_N6thrust23THRUST_200600_302600_NS6detail15normal_iteratorINS9_10device_ptrIiEEEEPS5_jNS1_19radix_merge_compareILb1ELb1EiNS0_19identity_decomposerEEEEE10hipError_tT0_T1_T2_jT3_P12ihipStream_tbPNSt15iterator_traitsISK_E10value_typeEPNSQ_ISL_E10value_typeEPSM_NS1_7vsmem_tEENKUlT_SK_SL_SM_E_clISE_PiSF_SF_EESJ_SZ_SK_SL_SM_EUlSZ_E1_NS1_11comp_targetILNS1_3genE8ELNS1_11target_archE1030ELNS1_3gpuE2ELNS1_3repE0EEENS1_36merge_oddeven_config_static_selectorELNS0_4arch9wavefront6targetE0EEEvSL_
	.globl	_ZN7rocprim17ROCPRIM_400000_NS6detail17trampoline_kernelINS0_14default_configENS1_38merge_sort_block_merge_config_selectorIiNS0_10empty_typeEEEZZNS1_27merge_sort_block_merge_implIS3_N6thrust23THRUST_200600_302600_NS6detail15normal_iteratorINS9_10device_ptrIiEEEEPS5_jNS1_19radix_merge_compareILb1ELb1EiNS0_19identity_decomposerEEEEE10hipError_tT0_T1_T2_jT3_P12ihipStream_tbPNSt15iterator_traitsISK_E10value_typeEPNSQ_ISL_E10value_typeEPSM_NS1_7vsmem_tEENKUlT_SK_SL_SM_E_clISE_PiSF_SF_EESJ_SZ_SK_SL_SM_EUlSZ_E1_NS1_11comp_targetILNS1_3genE8ELNS1_11target_archE1030ELNS1_3gpuE2ELNS1_3repE0EEENS1_36merge_oddeven_config_static_selectorELNS0_4arch9wavefront6targetE0EEEvSL_
	.p2align	8
	.type	_ZN7rocprim17ROCPRIM_400000_NS6detail17trampoline_kernelINS0_14default_configENS1_38merge_sort_block_merge_config_selectorIiNS0_10empty_typeEEEZZNS1_27merge_sort_block_merge_implIS3_N6thrust23THRUST_200600_302600_NS6detail15normal_iteratorINS9_10device_ptrIiEEEEPS5_jNS1_19radix_merge_compareILb1ELb1EiNS0_19identity_decomposerEEEEE10hipError_tT0_T1_T2_jT3_P12ihipStream_tbPNSt15iterator_traitsISK_E10value_typeEPNSQ_ISL_E10value_typeEPSM_NS1_7vsmem_tEENKUlT_SK_SL_SM_E_clISE_PiSF_SF_EESJ_SZ_SK_SL_SM_EUlSZ_E1_NS1_11comp_targetILNS1_3genE8ELNS1_11target_archE1030ELNS1_3gpuE2ELNS1_3repE0EEENS1_36merge_oddeven_config_static_selectorELNS0_4arch9wavefront6targetE0EEEvSL_,@function
_ZN7rocprim17ROCPRIM_400000_NS6detail17trampoline_kernelINS0_14default_configENS1_38merge_sort_block_merge_config_selectorIiNS0_10empty_typeEEEZZNS1_27merge_sort_block_merge_implIS3_N6thrust23THRUST_200600_302600_NS6detail15normal_iteratorINS9_10device_ptrIiEEEEPS5_jNS1_19radix_merge_compareILb1ELb1EiNS0_19identity_decomposerEEEEE10hipError_tT0_T1_T2_jT3_P12ihipStream_tbPNSt15iterator_traitsISK_E10value_typeEPNSQ_ISL_E10value_typeEPSM_NS1_7vsmem_tEENKUlT_SK_SL_SM_E_clISE_PiSF_SF_EESJ_SZ_SK_SL_SM_EUlSZ_E1_NS1_11comp_targetILNS1_3genE8ELNS1_11target_archE1030ELNS1_3gpuE2ELNS1_3repE0EEENS1_36merge_oddeven_config_static_selectorELNS0_4arch9wavefront6targetE0EEEvSL_: ; @_ZN7rocprim17ROCPRIM_400000_NS6detail17trampoline_kernelINS0_14default_configENS1_38merge_sort_block_merge_config_selectorIiNS0_10empty_typeEEEZZNS1_27merge_sort_block_merge_implIS3_N6thrust23THRUST_200600_302600_NS6detail15normal_iteratorINS9_10device_ptrIiEEEEPS5_jNS1_19radix_merge_compareILb1ELb1EiNS0_19identity_decomposerEEEEE10hipError_tT0_T1_T2_jT3_P12ihipStream_tbPNSt15iterator_traitsISK_E10value_typeEPNSQ_ISL_E10value_typeEPSM_NS1_7vsmem_tEENKUlT_SK_SL_SM_E_clISE_PiSF_SF_EESJ_SZ_SK_SL_SM_EUlSZ_E1_NS1_11comp_targetILNS1_3genE8ELNS1_11target_archE1030ELNS1_3gpuE2ELNS1_3repE0EEENS1_36merge_oddeven_config_static_selectorELNS0_4arch9wavefront6targetE0EEEvSL_
; %bb.0:
	s_load_dword s7, s[4:5], 0x20
	s_waitcnt lgkmcnt(0)
	s_lshr_b32 s0, s7, 8
	s_cmp_lg_u32 s6, s0
	s_cselect_b32 s14, -1, 0
	s_cmp_eq_u32 s6, s0
	s_cselect_b32 s12, -1, 0
	s_lshl_b32 s2, s6, 8
	s_sub_i32 s0, s7, s2
	v_cmp_gt_u32_e64 s1, s0, v0
	s_or_b32 s0, s14, s1
	s_and_saveexec_b32 s3, s0
	s_cbranch_execz .LBB317_20
; %bb.1:
	s_clause 0x1
	s_load_dwordx4 s[8:11], s[4:5], 0x0
	s_load_dword s13, s[4:5], 0x24
	s_mov_b32 s3, 0
	v_lshlrev_b32_e32 v1, 2, v0
	s_lshl_b64 s[16:17], s[2:3], 2
	v_add_nc_u32_e32 v0, s2, v0
	s_waitcnt lgkmcnt(0)
	s_add_u32 s16, s8, s16
	s_addc_u32 s17, s9, s17
	s_lshr_b32 s0, s13, 8
	global_load_dword v2, v1, s[16:17]
	s_sub_i32 s15, 0, s0
	s_and_b32 s6, s6, s15
	s_and_b32 s0, s6, s0
	s_lshl_b32 s15, s6, 8
	s_sub_i32 s6, 0, s13
	s_cmp_eq_u32 s0, 0
	s_cselect_b32 s0, -1, 0
	s_and_b32 s16, s0, exec_lo
	s_cselect_b32 s6, s13, s6
	s_add_i32 s6, s6, s15
	s_cmp_gt_u32 s7, s6
	s_cbranch_scc1 .LBB317_3
; %bb.2:
	v_cmp_gt_u32_e32 vcc_lo, s7, v0
	s_or_b32 s3, vcc_lo, s14
	s_and_b32 s3, s3, exec_lo
	s_cbranch_execz .LBB317_4
	s_branch .LBB317_18
.LBB317_3:
.LBB317_4:
	s_load_dword s2, s[4:5], 0x28
	s_min_u32 s4, s6, s7
	s_and_b32 vcc_lo, exec_lo, s12
	s_add_i32 s5, s15, s4
	s_add_i32 s13, s4, s13
	v_subrev_nc_u32_e32 v0, s5, v0
	s_min_u32 s5, s15, s4
	v_add_nc_u32_e32 v3, s5, v0
	s_min_u32 s5, s13, s7
	s_waitcnt vmcnt(0) lgkmcnt(0)
	v_and_b32_e32 v4, s2, v2
	s_cbranch_vccz .LBB317_12
; %bb.5:
                                        ; implicit-def: $vgpr0
	s_and_saveexec_b32 s7, s1
	s_cbranch_execz .LBB317_11
; %bb.6:
	v_mov_b32_e32 v5, s4
	s_cmp_ge_u32 s6, s5
	s_cbranch_scc1 .LBB317_10
; %bb.7:
	v_mov_b32_e32 v6, s5
	v_mov_b32_e32 v5, s4
	;; [unrolled: 1-line block ×3, first 2 shown]
	s_mov_b32 s1, 0
	.p2align	6
.LBB317_8:                              ; =>This Inner Loop Header: Depth=1
	v_add_nc_u32_e32 v0, v5, v6
	v_lshrrev_b32_e32 v0, 1, v0
	v_lshlrev_b64 v[7:8], 2, v[0:1]
	v_add_co_u32 v7, vcc_lo, s8, v7
	v_add_co_ci_u32_e64 v8, null, s9, v8, vcc_lo
	global_load_dword v7, v[7:8], off
	s_waitcnt vmcnt(0)
	v_and_b32_e32 v7, s2, v7
	v_cmp_gt_i32_e32 vcc_lo, v7, v4
	v_cndmask_b32_e64 v8, 0, 1, vcc_lo
	v_cmp_le_i32_e32 vcc_lo, v4, v7
	v_cndmask_b32_e64 v7, 0, 1, vcc_lo
	v_cndmask_b32_e64 v7, v7, v8, s0
	v_add_nc_u32_e32 v8, 1, v0
	v_and_b32_e32 v7, 1, v7
	v_cmp_eq_u32_e32 vcc_lo, 1, v7
	v_cndmask_b32_e32 v6, v0, v6, vcc_lo
	v_cndmask_b32_e32 v5, v5, v8, vcc_lo
	v_cmp_ge_u32_e32 vcc_lo, v5, v6
	s_or_b32 s1, vcc_lo, s1
	s_andn2_b32 exec_lo, exec_lo, s1
	s_cbranch_execnz .LBB317_8
; %bb.9:
	s_or_b32 exec_lo, exec_lo, s1
.LBB317_10:
	v_add_nc_u32_e32 v0, v5, v3
	s_or_b32 s3, s3, exec_lo
.LBB317_11:
	s_or_b32 exec_lo, exec_lo, s7
	s_branch .LBB317_18
.LBB317_12:
                                        ; implicit-def: $vgpr0
	s_cbranch_execz .LBB317_18
; %bb.13:
	v_mov_b32_e32 v5, s4
	s_cmp_ge_u32 s6, s5
	s_cbranch_scc1 .LBB317_17
; %bb.14:
	v_mov_b32_e32 v6, s5
	v_mov_b32_e32 v5, s4
	;; [unrolled: 1-line block ×3, first 2 shown]
	s_mov_b32 s1, 0
	.p2align	6
.LBB317_15:                             ; =>This Inner Loop Header: Depth=1
	v_add_nc_u32_e32 v0, v5, v6
	v_lshrrev_b32_e32 v0, 1, v0
	v_lshlrev_b64 v[7:8], 2, v[0:1]
	v_add_co_u32 v7, vcc_lo, s8, v7
	v_add_co_ci_u32_e64 v8, null, s9, v8, vcc_lo
	global_load_dword v7, v[7:8], off
	s_waitcnt vmcnt(0)
	v_and_b32_e32 v7, s2, v7
	v_cmp_gt_i32_e32 vcc_lo, v7, v4
	v_cndmask_b32_e64 v8, 0, 1, vcc_lo
	v_cmp_le_i32_e32 vcc_lo, v4, v7
	v_cndmask_b32_e64 v7, 0, 1, vcc_lo
	v_cndmask_b32_e64 v7, v7, v8, s0
	v_add_nc_u32_e32 v8, 1, v0
	v_and_b32_e32 v7, 1, v7
	v_cmp_eq_u32_e32 vcc_lo, 1, v7
	v_cndmask_b32_e32 v6, v0, v6, vcc_lo
	v_cndmask_b32_e32 v5, v5, v8, vcc_lo
	v_cmp_ge_u32_e32 vcc_lo, v5, v6
	s_or_b32 s1, vcc_lo, s1
	s_andn2_b32 exec_lo, exec_lo, s1
	s_cbranch_execnz .LBB317_15
; %bb.16:
	s_or_b32 exec_lo, exec_lo, s1
.LBB317_17:
	v_add_nc_u32_e32 v0, v5, v3
	s_mov_b32 s3, -1
.LBB317_18:
	s_and_b32 exec_lo, exec_lo, s3
	s_cbranch_execz .LBB317_20
; %bb.19:
	v_mov_b32_e32 v1, 0
	v_lshlrev_b64 v[0:1], 2, v[0:1]
	v_add_co_u32 v0, vcc_lo, s10, v0
	v_add_co_ci_u32_e64 v1, null, s11, v1, vcc_lo
	s_waitcnt vmcnt(0)
	global_store_dword v[0:1], v2, off
.LBB317_20:
	s_endpgm
	.section	.rodata,"a",@progbits
	.p2align	6, 0x0
	.amdhsa_kernel _ZN7rocprim17ROCPRIM_400000_NS6detail17trampoline_kernelINS0_14default_configENS1_38merge_sort_block_merge_config_selectorIiNS0_10empty_typeEEEZZNS1_27merge_sort_block_merge_implIS3_N6thrust23THRUST_200600_302600_NS6detail15normal_iteratorINS9_10device_ptrIiEEEEPS5_jNS1_19radix_merge_compareILb1ELb1EiNS0_19identity_decomposerEEEEE10hipError_tT0_T1_T2_jT3_P12ihipStream_tbPNSt15iterator_traitsISK_E10value_typeEPNSQ_ISL_E10value_typeEPSM_NS1_7vsmem_tEENKUlT_SK_SL_SM_E_clISE_PiSF_SF_EESJ_SZ_SK_SL_SM_EUlSZ_E1_NS1_11comp_targetILNS1_3genE8ELNS1_11target_archE1030ELNS1_3gpuE2ELNS1_3repE0EEENS1_36merge_oddeven_config_static_selectorELNS0_4arch9wavefront6targetE0EEEvSL_
		.amdhsa_group_segment_fixed_size 0
		.amdhsa_private_segment_fixed_size 0
		.amdhsa_kernarg_size 48
		.amdhsa_user_sgpr_count 6
		.amdhsa_user_sgpr_private_segment_buffer 1
		.amdhsa_user_sgpr_dispatch_ptr 0
		.amdhsa_user_sgpr_queue_ptr 0
		.amdhsa_user_sgpr_kernarg_segment_ptr 1
		.amdhsa_user_sgpr_dispatch_id 0
		.amdhsa_user_sgpr_flat_scratch_init 0
		.amdhsa_user_sgpr_private_segment_size 0
		.amdhsa_wavefront_size32 1
		.amdhsa_uses_dynamic_stack 0
		.amdhsa_system_sgpr_private_segment_wavefront_offset 0
		.amdhsa_system_sgpr_workgroup_id_x 1
		.amdhsa_system_sgpr_workgroup_id_y 0
		.amdhsa_system_sgpr_workgroup_id_z 0
		.amdhsa_system_sgpr_workgroup_info 0
		.amdhsa_system_vgpr_workitem_id 0
		.amdhsa_next_free_vgpr 9
		.amdhsa_next_free_sgpr 18
		.amdhsa_reserve_vcc 1
		.amdhsa_reserve_flat_scratch 0
		.amdhsa_float_round_mode_32 0
		.amdhsa_float_round_mode_16_64 0
		.amdhsa_float_denorm_mode_32 3
		.amdhsa_float_denorm_mode_16_64 3
		.amdhsa_dx10_clamp 1
		.amdhsa_ieee_mode 1
		.amdhsa_fp16_overflow 0
		.amdhsa_workgroup_processor_mode 1
		.amdhsa_memory_ordered 1
		.amdhsa_forward_progress 1
		.amdhsa_shared_vgpr_count 0
		.amdhsa_exception_fp_ieee_invalid_op 0
		.amdhsa_exception_fp_denorm_src 0
		.amdhsa_exception_fp_ieee_div_zero 0
		.amdhsa_exception_fp_ieee_overflow 0
		.amdhsa_exception_fp_ieee_underflow 0
		.amdhsa_exception_fp_ieee_inexact 0
		.amdhsa_exception_int_div_zero 0
	.end_amdhsa_kernel
	.section	.text._ZN7rocprim17ROCPRIM_400000_NS6detail17trampoline_kernelINS0_14default_configENS1_38merge_sort_block_merge_config_selectorIiNS0_10empty_typeEEEZZNS1_27merge_sort_block_merge_implIS3_N6thrust23THRUST_200600_302600_NS6detail15normal_iteratorINS9_10device_ptrIiEEEEPS5_jNS1_19radix_merge_compareILb1ELb1EiNS0_19identity_decomposerEEEEE10hipError_tT0_T1_T2_jT3_P12ihipStream_tbPNSt15iterator_traitsISK_E10value_typeEPNSQ_ISL_E10value_typeEPSM_NS1_7vsmem_tEENKUlT_SK_SL_SM_E_clISE_PiSF_SF_EESJ_SZ_SK_SL_SM_EUlSZ_E1_NS1_11comp_targetILNS1_3genE8ELNS1_11target_archE1030ELNS1_3gpuE2ELNS1_3repE0EEENS1_36merge_oddeven_config_static_selectorELNS0_4arch9wavefront6targetE0EEEvSL_,"axG",@progbits,_ZN7rocprim17ROCPRIM_400000_NS6detail17trampoline_kernelINS0_14default_configENS1_38merge_sort_block_merge_config_selectorIiNS0_10empty_typeEEEZZNS1_27merge_sort_block_merge_implIS3_N6thrust23THRUST_200600_302600_NS6detail15normal_iteratorINS9_10device_ptrIiEEEEPS5_jNS1_19radix_merge_compareILb1ELb1EiNS0_19identity_decomposerEEEEE10hipError_tT0_T1_T2_jT3_P12ihipStream_tbPNSt15iterator_traitsISK_E10value_typeEPNSQ_ISL_E10value_typeEPSM_NS1_7vsmem_tEENKUlT_SK_SL_SM_E_clISE_PiSF_SF_EESJ_SZ_SK_SL_SM_EUlSZ_E1_NS1_11comp_targetILNS1_3genE8ELNS1_11target_archE1030ELNS1_3gpuE2ELNS1_3repE0EEENS1_36merge_oddeven_config_static_selectorELNS0_4arch9wavefront6targetE0EEEvSL_,comdat
.Lfunc_end317:
	.size	_ZN7rocprim17ROCPRIM_400000_NS6detail17trampoline_kernelINS0_14default_configENS1_38merge_sort_block_merge_config_selectorIiNS0_10empty_typeEEEZZNS1_27merge_sort_block_merge_implIS3_N6thrust23THRUST_200600_302600_NS6detail15normal_iteratorINS9_10device_ptrIiEEEEPS5_jNS1_19radix_merge_compareILb1ELb1EiNS0_19identity_decomposerEEEEE10hipError_tT0_T1_T2_jT3_P12ihipStream_tbPNSt15iterator_traitsISK_E10value_typeEPNSQ_ISL_E10value_typeEPSM_NS1_7vsmem_tEENKUlT_SK_SL_SM_E_clISE_PiSF_SF_EESJ_SZ_SK_SL_SM_EUlSZ_E1_NS1_11comp_targetILNS1_3genE8ELNS1_11target_archE1030ELNS1_3gpuE2ELNS1_3repE0EEENS1_36merge_oddeven_config_static_selectorELNS0_4arch9wavefront6targetE0EEEvSL_, .Lfunc_end317-_ZN7rocprim17ROCPRIM_400000_NS6detail17trampoline_kernelINS0_14default_configENS1_38merge_sort_block_merge_config_selectorIiNS0_10empty_typeEEEZZNS1_27merge_sort_block_merge_implIS3_N6thrust23THRUST_200600_302600_NS6detail15normal_iteratorINS9_10device_ptrIiEEEEPS5_jNS1_19radix_merge_compareILb1ELb1EiNS0_19identity_decomposerEEEEE10hipError_tT0_T1_T2_jT3_P12ihipStream_tbPNSt15iterator_traitsISK_E10value_typeEPNSQ_ISL_E10value_typeEPSM_NS1_7vsmem_tEENKUlT_SK_SL_SM_E_clISE_PiSF_SF_EESJ_SZ_SK_SL_SM_EUlSZ_E1_NS1_11comp_targetILNS1_3genE8ELNS1_11target_archE1030ELNS1_3gpuE2ELNS1_3repE0EEENS1_36merge_oddeven_config_static_selectorELNS0_4arch9wavefront6targetE0EEEvSL_
                                        ; -- End function
	.set _ZN7rocprim17ROCPRIM_400000_NS6detail17trampoline_kernelINS0_14default_configENS1_38merge_sort_block_merge_config_selectorIiNS0_10empty_typeEEEZZNS1_27merge_sort_block_merge_implIS3_N6thrust23THRUST_200600_302600_NS6detail15normal_iteratorINS9_10device_ptrIiEEEEPS5_jNS1_19radix_merge_compareILb1ELb1EiNS0_19identity_decomposerEEEEE10hipError_tT0_T1_T2_jT3_P12ihipStream_tbPNSt15iterator_traitsISK_E10value_typeEPNSQ_ISL_E10value_typeEPSM_NS1_7vsmem_tEENKUlT_SK_SL_SM_E_clISE_PiSF_SF_EESJ_SZ_SK_SL_SM_EUlSZ_E1_NS1_11comp_targetILNS1_3genE8ELNS1_11target_archE1030ELNS1_3gpuE2ELNS1_3repE0EEENS1_36merge_oddeven_config_static_selectorELNS0_4arch9wavefront6targetE0EEEvSL_.num_vgpr, 9
	.set _ZN7rocprim17ROCPRIM_400000_NS6detail17trampoline_kernelINS0_14default_configENS1_38merge_sort_block_merge_config_selectorIiNS0_10empty_typeEEEZZNS1_27merge_sort_block_merge_implIS3_N6thrust23THRUST_200600_302600_NS6detail15normal_iteratorINS9_10device_ptrIiEEEEPS5_jNS1_19radix_merge_compareILb1ELb1EiNS0_19identity_decomposerEEEEE10hipError_tT0_T1_T2_jT3_P12ihipStream_tbPNSt15iterator_traitsISK_E10value_typeEPNSQ_ISL_E10value_typeEPSM_NS1_7vsmem_tEENKUlT_SK_SL_SM_E_clISE_PiSF_SF_EESJ_SZ_SK_SL_SM_EUlSZ_E1_NS1_11comp_targetILNS1_3genE8ELNS1_11target_archE1030ELNS1_3gpuE2ELNS1_3repE0EEENS1_36merge_oddeven_config_static_selectorELNS0_4arch9wavefront6targetE0EEEvSL_.num_agpr, 0
	.set _ZN7rocprim17ROCPRIM_400000_NS6detail17trampoline_kernelINS0_14default_configENS1_38merge_sort_block_merge_config_selectorIiNS0_10empty_typeEEEZZNS1_27merge_sort_block_merge_implIS3_N6thrust23THRUST_200600_302600_NS6detail15normal_iteratorINS9_10device_ptrIiEEEEPS5_jNS1_19radix_merge_compareILb1ELb1EiNS0_19identity_decomposerEEEEE10hipError_tT0_T1_T2_jT3_P12ihipStream_tbPNSt15iterator_traitsISK_E10value_typeEPNSQ_ISL_E10value_typeEPSM_NS1_7vsmem_tEENKUlT_SK_SL_SM_E_clISE_PiSF_SF_EESJ_SZ_SK_SL_SM_EUlSZ_E1_NS1_11comp_targetILNS1_3genE8ELNS1_11target_archE1030ELNS1_3gpuE2ELNS1_3repE0EEENS1_36merge_oddeven_config_static_selectorELNS0_4arch9wavefront6targetE0EEEvSL_.numbered_sgpr, 18
	.set _ZN7rocprim17ROCPRIM_400000_NS6detail17trampoline_kernelINS0_14default_configENS1_38merge_sort_block_merge_config_selectorIiNS0_10empty_typeEEEZZNS1_27merge_sort_block_merge_implIS3_N6thrust23THRUST_200600_302600_NS6detail15normal_iteratorINS9_10device_ptrIiEEEEPS5_jNS1_19radix_merge_compareILb1ELb1EiNS0_19identity_decomposerEEEEE10hipError_tT0_T1_T2_jT3_P12ihipStream_tbPNSt15iterator_traitsISK_E10value_typeEPNSQ_ISL_E10value_typeEPSM_NS1_7vsmem_tEENKUlT_SK_SL_SM_E_clISE_PiSF_SF_EESJ_SZ_SK_SL_SM_EUlSZ_E1_NS1_11comp_targetILNS1_3genE8ELNS1_11target_archE1030ELNS1_3gpuE2ELNS1_3repE0EEENS1_36merge_oddeven_config_static_selectorELNS0_4arch9wavefront6targetE0EEEvSL_.num_named_barrier, 0
	.set _ZN7rocprim17ROCPRIM_400000_NS6detail17trampoline_kernelINS0_14default_configENS1_38merge_sort_block_merge_config_selectorIiNS0_10empty_typeEEEZZNS1_27merge_sort_block_merge_implIS3_N6thrust23THRUST_200600_302600_NS6detail15normal_iteratorINS9_10device_ptrIiEEEEPS5_jNS1_19radix_merge_compareILb1ELb1EiNS0_19identity_decomposerEEEEE10hipError_tT0_T1_T2_jT3_P12ihipStream_tbPNSt15iterator_traitsISK_E10value_typeEPNSQ_ISL_E10value_typeEPSM_NS1_7vsmem_tEENKUlT_SK_SL_SM_E_clISE_PiSF_SF_EESJ_SZ_SK_SL_SM_EUlSZ_E1_NS1_11comp_targetILNS1_3genE8ELNS1_11target_archE1030ELNS1_3gpuE2ELNS1_3repE0EEENS1_36merge_oddeven_config_static_selectorELNS0_4arch9wavefront6targetE0EEEvSL_.private_seg_size, 0
	.set _ZN7rocprim17ROCPRIM_400000_NS6detail17trampoline_kernelINS0_14default_configENS1_38merge_sort_block_merge_config_selectorIiNS0_10empty_typeEEEZZNS1_27merge_sort_block_merge_implIS3_N6thrust23THRUST_200600_302600_NS6detail15normal_iteratorINS9_10device_ptrIiEEEEPS5_jNS1_19radix_merge_compareILb1ELb1EiNS0_19identity_decomposerEEEEE10hipError_tT0_T1_T2_jT3_P12ihipStream_tbPNSt15iterator_traitsISK_E10value_typeEPNSQ_ISL_E10value_typeEPSM_NS1_7vsmem_tEENKUlT_SK_SL_SM_E_clISE_PiSF_SF_EESJ_SZ_SK_SL_SM_EUlSZ_E1_NS1_11comp_targetILNS1_3genE8ELNS1_11target_archE1030ELNS1_3gpuE2ELNS1_3repE0EEENS1_36merge_oddeven_config_static_selectorELNS0_4arch9wavefront6targetE0EEEvSL_.uses_vcc, 1
	.set _ZN7rocprim17ROCPRIM_400000_NS6detail17trampoline_kernelINS0_14default_configENS1_38merge_sort_block_merge_config_selectorIiNS0_10empty_typeEEEZZNS1_27merge_sort_block_merge_implIS3_N6thrust23THRUST_200600_302600_NS6detail15normal_iteratorINS9_10device_ptrIiEEEEPS5_jNS1_19radix_merge_compareILb1ELb1EiNS0_19identity_decomposerEEEEE10hipError_tT0_T1_T2_jT3_P12ihipStream_tbPNSt15iterator_traitsISK_E10value_typeEPNSQ_ISL_E10value_typeEPSM_NS1_7vsmem_tEENKUlT_SK_SL_SM_E_clISE_PiSF_SF_EESJ_SZ_SK_SL_SM_EUlSZ_E1_NS1_11comp_targetILNS1_3genE8ELNS1_11target_archE1030ELNS1_3gpuE2ELNS1_3repE0EEENS1_36merge_oddeven_config_static_selectorELNS0_4arch9wavefront6targetE0EEEvSL_.uses_flat_scratch, 0
	.set _ZN7rocprim17ROCPRIM_400000_NS6detail17trampoline_kernelINS0_14default_configENS1_38merge_sort_block_merge_config_selectorIiNS0_10empty_typeEEEZZNS1_27merge_sort_block_merge_implIS3_N6thrust23THRUST_200600_302600_NS6detail15normal_iteratorINS9_10device_ptrIiEEEEPS5_jNS1_19radix_merge_compareILb1ELb1EiNS0_19identity_decomposerEEEEE10hipError_tT0_T1_T2_jT3_P12ihipStream_tbPNSt15iterator_traitsISK_E10value_typeEPNSQ_ISL_E10value_typeEPSM_NS1_7vsmem_tEENKUlT_SK_SL_SM_E_clISE_PiSF_SF_EESJ_SZ_SK_SL_SM_EUlSZ_E1_NS1_11comp_targetILNS1_3genE8ELNS1_11target_archE1030ELNS1_3gpuE2ELNS1_3repE0EEENS1_36merge_oddeven_config_static_selectorELNS0_4arch9wavefront6targetE0EEEvSL_.has_dyn_sized_stack, 0
	.set _ZN7rocprim17ROCPRIM_400000_NS6detail17trampoline_kernelINS0_14default_configENS1_38merge_sort_block_merge_config_selectorIiNS0_10empty_typeEEEZZNS1_27merge_sort_block_merge_implIS3_N6thrust23THRUST_200600_302600_NS6detail15normal_iteratorINS9_10device_ptrIiEEEEPS5_jNS1_19radix_merge_compareILb1ELb1EiNS0_19identity_decomposerEEEEE10hipError_tT0_T1_T2_jT3_P12ihipStream_tbPNSt15iterator_traitsISK_E10value_typeEPNSQ_ISL_E10value_typeEPSM_NS1_7vsmem_tEENKUlT_SK_SL_SM_E_clISE_PiSF_SF_EESJ_SZ_SK_SL_SM_EUlSZ_E1_NS1_11comp_targetILNS1_3genE8ELNS1_11target_archE1030ELNS1_3gpuE2ELNS1_3repE0EEENS1_36merge_oddeven_config_static_selectorELNS0_4arch9wavefront6targetE0EEEvSL_.has_recursion, 0
	.set _ZN7rocprim17ROCPRIM_400000_NS6detail17trampoline_kernelINS0_14default_configENS1_38merge_sort_block_merge_config_selectorIiNS0_10empty_typeEEEZZNS1_27merge_sort_block_merge_implIS3_N6thrust23THRUST_200600_302600_NS6detail15normal_iteratorINS9_10device_ptrIiEEEEPS5_jNS1_19radix_merge_compareILb1ELb1EiNS0_19identity_decomposerEEEEE10hipError_tT0_T1_T2_jT3_P12ihipStream_tbPNSt15iterator_traitsISK_E10value_typeEPNSQ_ISL_E10value_typeEPSM_NS1_7vsmem_tEENKUlT_SK_SL_SM_E_clISE_PiSF_SF_EESJ_SZ_SK_SL_SM_EUlSZ_E1_NS1_11comp_targetILNS1_3genE8ELNS1_11target_archE1030ELNS1_3gpuE2ELNS1_3repE0EEENS1_36merge_oddeven_config_static_selectorELNS0_4arch9wavefront6targetE0EEEvSL_.has_indirect_call, 0
	.section	.AMDGPU.csdata,"",@progbits
; Kernel info:
; codeLenInByte = 692
; TotalNumSgprs: 20
; NumVgprs: 9
; ScratchSize: 0
; MemoryBound: 0
; FloatMode: 240
; IeeeMode: 1
; LDSByteSize: 0 bytes/workgroup (compile time only)
; SGPRBlocks: 0
; VGPRBlocks: 1
; NumSGPRsForWavesPerEU: 20
; NumVGPRsForWavesPerEU: 9
; Occupancy: 16
; WaveLimiterHint : 0
; COMPUTE_PGM_RSRC2:SCRATCH_EN: 0
; COMPUTE_PGM_RSRC2:USER_SGPR: 6
; COMPUTE_PGM_RSRC2:TRAP_HANDLER: 0
; COMPUTE_PGM_RSRC2:TGID_X_EN: 1
; COMPUTE_PGM_RSRC2:TGID_Y_EN: 0
; COMPUTE_PGM_RSRC2:TGID_Z_EN: 0
; COMPUTE_PGM_RSRC2:TIDIG_COMP_CNT: 0
	.section	.text._ZN7rocprim17ROCPRIM_400000_NS6detail17trampoline_kernelINS0_14default_configENS1_35radix_sort_onesweep_config_selectorIiNS0_10empty_typeEEEZNS1_34radix_sort_onesweep_global_offsetsIS3_Lb1EN6thrust23THRUST_200600_302600_NS6detail15normal_iteratorINS9_10device_ptrIiEEEEPS5_jNS0_19identity_decomposerEEE10hipError_tT1_T2_PT3_SK_jT4_jjP12ihipStream_tbEUlT_E_NS1_11comp_targetILNS1_3genE0ELNS1_11target_archE4294967295ELNS1_3gpuE0ELNS1_3repE0EEENS1_52radix_sort_onesweep_histogram_config_static_selectorELNS0_4arch9wavefront6targetE0EEEvSI_,"axG",@progbits,_ZN7rocprim17ROCPRIM_400000_NS6detail17trampoline_kernelINS0_14default_configENS1_35radix_sort_onesweep_config_selectorIiNS0_10empty_typeEEEZNS1_34radix_sort_onesweep_global_offsetsIS3_Lb1EN6thrust23THRUST_200600_302600_NS6detail15normal_iteratorINS9_10device_ptrIiEEEEPS5_jNS0_19identity_decomposerEEE10hipError_tT1_T2_PT3_SK_jT4_jjP12ihipStream_tbEUlT_E_NS1_11comp_targetILNS1_3genE0ELNS1_11target_archE4294967295ELNS1_3gpuE0ELNS1_3repE0EEENS1_52radix_sort_onesweep_histogram_config_static_selectorELNS0_4arch9wavefront6targetE0EEEvSI_,comdat
	.protected	_ZN7rocprim17ROCPRIM_400000_NS6detail17trampoline_kernelINS0_14default_configENS1_35radix_sort_onesweep_config_selectorIiNS0_10empty_typeEEEZNS1_34radix_sort_onesweep_global_offsetsIS3_Lb1EN6thrust23THRUST_200600_302600_NS6detail15normal_iteratorINS9_10device_ptrIiEEEEPS5_jNS0_19identity_decomposerEEE10hipError_tT1_T2_PT3_SK_jT4_jjP12ihipStream_tbEUlT_E_NS1_11comp_targetILNS1_3genE0ELNS1_11target_archE4294967295ELNS1_3gpuE0ELNS1_3repE0EEENS1_52radix_sort_onesweep_histogram_config_static_selectorELNS0_4arch9wavefront6targetE0EEEvSI_ ; -- Begin function _ZN7rocprim17ROCPRIM_400000_NS6detail17trampoline_kernelINS0_14default_configENS1_35radix_sort_onesweep_config_selectorIiNS0_10empty_typeEEEZNS1_34radix_sort_onesweep_global_offsetsIS3_Lb1EN6thrust23THRUST_200600_302600_NS6detail15normal_iteratorINS9_10device_ptrIiEEEEPS5_jNS0_19identity_decomposerEEE10hipError_tT1_T2_PT3_SK_jT4_jjP12ihipStream_tbEUlT_E_NS1_11comp_targetILNS1_3genE0ELNS1_11target_archE4294967295ELNS1_3gpuE0ELNS1_3repE0EEENS1_52radix_sort_onesweep_histogram_config_static_selectorELNS0_4arch9wavefront6targetE0EEEvSI_
	.globl	_ZN7rocprim17ROCPRIM_400000_NS6detail17trampoline_kernelINS0_14default_configENS1_35radix_sort_onesweep_config_selectorIiNS0_10empty_typeEEEZNS1_34radix_sort_onesweep_global_offsetsIS3_Lb1EN6thrust23THRUST_200600_302600_NS6detail15normal_iteratorINS9_10device_ptrIiEEEEPS5_jNS0_19identity_decomposerEEE10hipError_tT1_T2_PT3_SK_jT4_jjP12ihipStream_tbEUlT_E_NS1_11comp_targetILNS1_3genE0ELNS1_11target_archE4294967295ELNS1_3gpuE0ELNS1_3repE0EEENS1_52radix_sort_onesweep_histogram_config_static_selectorELNS0_4arch9wavefront6targetE0EEEvSI_
	.p2align	8
	.type	_ZN7rocprim17ROCPRIM_400000_NS6detail17trampoline_kernelINS0_14default_configENS1_35radix_sort_onesweep_config_selectorIiNS0_10empty_typeEEEZNS1_34radix_sort_onesweep_global_offsetsIS3_Lb1EN6thrust23THRUST_200600_302600_NS6detail15normal_iteratorINS9_10device_ptrIiEEEEPS5_jNS0_19identity_decomposerEEE10hipError_tT1_T2_PT3_SK_jT4_jjP12ihipStream_tbEUlT_E_NS1_11comp_targetILNS1_3genE0ELNS1_11target_archE4294967295ELNS1_3gpuE0ELNS1_3repE0EEENS1_52radix_sort_onesweep_histogram_config_static_selectorELNS0_4arch9wavefront6targetE0EEEvSI_,@function
_ZN7rocprim17ROCPRIM_400000_NS6detail17trampoline_kernelINS0_14default_configENS1_35radix_sort_onesweep_config_selectorIiNS0_10empty_typeEEEZNS1_34radix_sort_onesweep_global_offsetsIS3_Lb1EN6thrust23THRUST_200600_302600_NS6detail15normal_iteratorINS9_10device_ptrIiEEEEPS5_jNS0_19identity_decomposerEEE10hipError_tT1_T2_PT3_SK_jT4_jjP12ihipStream_tbEUlT_E_NS1_11comp_targetILNS1_3genE0ELNS1_11target_archE4294967295ELNS1_3gpuE0ELNS1_3repE0EEENS1_52radix_sort_onesweep_histogram_config_static_selectorELNS0_4arch9wavefront6targetE0EEEvSI_: ; @_ZN7rocprim17ROCPRIM_400000_NS6detail17trampoline_kernelINS0_14default_configENS1_35radix_sort_onesweep_config_selectorIiNS0_10empty_typeEEEZNS1_34radix_sort_onesweep_global_offsetsIS3_Lb1EN6thrust23THRUST_200600_302600_NS6detail15normal_iteratorINS9_10device_ptrIiEEEEPS5_jNS0_19identity_decomposerEEE10hipError_tT1_T2_PT3_SK_jT4_jjP12ihipStream_tbEUlT_E_NS1_11comp_targetILNS1_3genE0ELNS1_11target_archE4294967295ELNS1_3gpuE0ELNS1_3repE0EEENS1_52radix_sort_onesweep_histogram_config_static_selectorELNS0_4arch9wavefront6targetE0EEEvSI_
; %bb.0:
	.section	.rodata,"a",@progbits
	.p2align	6, 0x0
	.amdhsa_kernel _ZN7rocprim17ROCPRIM_400000_NS6detail17trampoline_kernelINS0_14default_configENS1_35radix_sort_onesweep_config_selectorIiNS0_10empty_typeEEEZNS1_34radix_sort_onesweep_global_offsetsIS3_Lb1EN6thrust23THRUST_200600_302600_NS6detail15normal_iteratorINS9_10device_ptrIiEEEEPS5_jNS0_19identity_decomposerEEE10hipError_tT1_T2_PT3_SK_jT4_jjP12ihipStream_tbEUlT_E_NS1_11comp_targetILNS1_3genE0ELNS1_11target_archE4294967295ELNS1_3gpuE0ELNS1_3repE0EEENS1_52radix_sort_onesweep_histogram_config_static_selectorELNS0_4arch9wavefront6targetE0EEEvSI_
		.amdhsa_group_segment_fixed_size 0
		.amdhsa_private_segment_fixed_size 0
		.amdhsa_kernarg_size 40
		.amdhsa_user_sgpr_count 6
		.amdhsa_user_sgpr_private_segment_buffer 1
		.amdhsa_user_sgpr_dispatch_ptr 0
		.amdhsa_user_sgpr_queue_ptr 0
		.amdhsa_user_sgpr_kernarg_segment_ptr 1
		.amdhsa_user_sgpr_dispatch_id 0
		.amdhsa_user_sgpr_flat_scratch_init 0
		.amdhsa_user_sgpr_private_segment_size 0
		.amdhsa_wavefront_size32 1
		.amdhsa_uses_dynamic_stack 0
		.amdhsa_system_sgpr_private_segment_wavefront_offset 0
		.amdhsa_system_sgpr_workgroup_id_x 1
		.amdhsa_system_sgpr_workgroup_id_y 0
		.amdhsa_system_sgpr_workgroup_id_z 0
		.amdhsa_system_sgpr_workgroup_info 0
		.amdhsa_system_vgpr_workitem_id 0
		.amdhsa_next_free_vgpr 1
		.amdhsa_next_free_sgpr 1
		.amdhsa_reserve_vcc 0
		.amdhsa_reserve_flat_scratch 0
		.amdhsa_float_round_mode_32 0
		.amdhsa_float_round_mode_16_64 0
		.amdhsa_float_denorm_mode_32 3
		.amdhsa_float_denorm_mode_16_64 3
		.amdhsa_dx10_clamp 1
		.amdhsa_ieee_mode 1
		.amdhsa_fp16_overflow 0
		.amdhsa_workgroup_processor_mode 1
		.amdhsa_memory_ordered 1
		.amdhsa_forward_progress 1
		.amdhsa_shared_vgpr_count 0
		.amdhsa_exception_fp_ieee_invalid_op 0
		.amdhsa_exception_fp_denorm_src 0
		.amdhsa_exception_fp_ieee_div_zero 0
		.amdhsa_exception_fp_ieee_overflow 0
		.amdhsa_exception_fp_ieee_underflow 0
		.amdhsa_exception_fp_ieee_inexact 0
		.amdhsa_exception_int_div_zero 0
	.end_amdhsa_kernel
	.section	.text._ZN7rocprim17ROCPRIM_400000_NS6detail17trampoline_kernelINS0_14default_configENS1_35radix_sort_onesweep_config_selectorIiNS0_10empty_typeEEEZNS1_34radix_sort_onesweep_global_offsetsIS3_Lb1EN6thrust23THRUST_200600_302600_NS6detail15normal_iteratorINS9_10device_ptrIiEEEEPS5_jNS0_19identity_decomposerEEE10hipError_tT1_T2_PT3_SK_jT4_jjP12ihipStream_tbEUlT_E_NS1_11comp_targetILNS1_3genE0ELNS1_11target_archE4294967295ELNS1_3gpuE0ELNS1_3repE0EEENS1_52radix_sort_onesweep_histogram_config_static_selectorELNS0_4arch9wavefront6targetE0EEEvSI_,"axG",@progbits,_ZN7rocprim17ROCPRIM_400000_NS6detail17trampoline_kernelINS0_14default_configENS1_35radix_sort_onesweep_config_selectorIiNS0_10empty_typeEEEZNS1_34radix_sort_onesweep_global_offsetsIS3_Lb1EN6thrust23THRUST_200600_302600_NS6detail15normal_iteratorINS9_10device_ptrIiEEEEPS5_jNS0_19identity_decomposerEEE10hipError_tT1_T2_PT3_SK_jT4_jjP12ihipStream_tbEUlT_E_NS1_11comp_targetILNS1_3genE0ELNS1_11target_archE4294967295ELNS1_3gpuE0ELNS1_3repE0EEENS1_52radix_sort_onesweep_histogram_config_static_selectorELNS0_4arch9wavefront6targetE0EEEvSI_,comdat
.Lfunc_end318:
	.size	_ZN7rocprim17ROCPRIM_400000_NS6detail17trampoline_kernelINS0_14default_configENS1_35radix_sort_onesweep_config_selectorIiNS0_10empty_typeEEEZNS1_34radix_sort_onesweep_global_offsetsIS3_Lb1EN6thrust23THRUST_200600_302600_NS6detail15normal_iteratorINS9_10device_ptrIiEEEEPS5_jNS0_19identity_decomposerEEE10hipError_tT1_T2_PT3_SK_jT4_jjP12ihipStream_tbEUlT_E_NS1_11comp_targetILNS1_3genE0ELNS1_11target_archE4294967295ELNS1_3gpuE0ELNS1_3repE0EEENS1_52radix_sort_onesweep_histogram_config_static_selectorELNS0_4arch9wavefront6targetE0EEEvSI_, .Lfunc_end318-_ZN7rocprim17ROCPRIM_400000_NS6detail17trampoline_kernelINS0_14default_configENS1_35radix_sort_onesweep_config_selectorIiNS0_10empty_typeEEEZNS1_34radix_sort_onesweep_global_offsetsIS3_Lb1EN6thrust23THRUST_200600_302600_NS6detail15normal_iteratorINS9_10device_ptrIiEEEEPS5_jNS0_19identity_decomposerEEE10hipError_tT1_T2_PT3_SK_jT4_jjP12ihipStream_tbEUlT_E_NS1_11comp_targetILNS1_3genE0ELNS1_11target_archE4294967295ELNS1_3gpuE0ELNS1_3repE0EEENS1_52radix_sort_onesweep_histogram_config_static_selectorELNS0_4arch9wavefront6targetE0EEEvSI_
                                        ; -- End function
	.set _ZN7rocprim17ROCPRIM_400000_NS6detail17trampoline_kernelINS0_14default_configENS1_35radix_sort_onesweep_config_selectorIiNS0_10empty_typeEEEZNS1_34radix_sort_onesweep_global_offsetsIS3_Lb1EN6thrust23THRUST_200600_302600_NS6detail15normal_iteratorINS9_10device_ptrIiEEEEPS5_jNS0_19identity_decomposerEEE10hipError_tT1_T2_PT3_SK_jT4_jjP12ihipStream_tbEUlT_E_NS1_11comp_targetILNS1_3genE0ELNS1_11target_archE4294967295ELNS1_3gpuE0ELNS1_3repE0EEENS1_52radix_sort_onesweep_histogram_config_static_selectorELNS0_4arch9wavefront6targetE0EEEvSI_.num_vgpr, 0
	.set _ZN7rocprim17ROCPRIM_400000_NS6detail17trampoline_kernelINS0_14default_configENS1_35radix_sort_onesweep_config_selectorIiNS0_10empty_typeEEEZNS1_34radix_sort_onesweep_global_offsetsIS3_Lb1EN6thrust23THRUST_200600_302600_NS6detail15normal_iteratorINS9_10device_ptrIiEEEEPS5_jNS0_19identity_decomposerEEE10hipError_tT1_T2_PT3_SK_jT4_jjP12ihipStream_tbEUlT_E_NS1_11comp_targetILNS1_3genE0ELNS1_11target_archE4294967295ELNS1_3gpuE0ELNS1_3repE0EEENS1_52radix_sort_onesweep_histogram_config_static_selectorELNS0_4arch9wavefront6targetE0EEEvSI_.num_agpr, 0
	.set _ZN7rocprim17ROCPRIM_400000_NS6detail17trampoline_kernelINS0_14default_configENS1_35radix_sort_onesweep_config_selectorIiNS0_10empty_typeEEEZNS1_34radix_sort_onesweep_global_offsetsIS3_Lb1EN6thrust23THRUST_200600_302600_NS6detail15normal_iteratorINS9_10device_ptrIiEEEEPS5_jNS0_19identity_decomposerEEE10hipError_tT1_T2_PT3_SK_jT4_jjP12ihipStream_tbEUlT_E_NS1_11comp_targetILNS1_3genE0ELNS1_11target_archE4294967295ELNS1_3gpuE0ELNS1_3repE0EEENS1_52radix_sort_onesweep_histogram_config_static_selectorELNS0_4arch9wavefront6targetE0EEEvSI_.numbered_sgpr, 0
	.set _ZN7rocprim17ROCPRIM_400000_NS6detail17trampoline_kernelINS0_14default_configENS1_35radix_sort_onesweep_config_selectorIiNS0_10empty_typeEEEZNS1_34radix_sort_onesweep_global_offsetsIS3_Lb1EN6thrust23THRUST_200600_302600_NS6detail15normal_iteratorINS9_10device_ptrIiEEEEPS5_jNS0_19identity_decomposerEEE10hipError_tT1_T2_PT3_SK_jT4_jjP12ihipStream_tbEUlT_E_NS1_11comp_targetILNS1_3genE0ELNS1_11target_archE4294967295ELNS1_3gpuE0ELNS1_3repE0EEENS1_52radix_sort_onesweep_histogram_config_static_selectorELNS0_4arch9wavefront6targetE0EEEvSI_.num_named_barrier, 0
	.set _ZN7rocprim17ROCPRIM_400000_NS6detail17trampoline_kernelINS0_14default_configENS1_35radix_sort_onesweep_config_selectorIiNS0_10empty_typeEEEZNS1_34radix_sort_onesweep_global_offsetsIS3_Lb1EN6thrust23THRUST_200600_302600_NS6detail15normal_iteratorINS9_10device_ptrIiEEEEPS5_jNS0_19identity_decomposerEEE10hipError_tT1_T2_PT3_SK_jT4_jjP12ihipStream_tbEUlT_E_NS1_11comp_targetILNS1_3genE0ELNS1_11target_archE4294967295ELNS1_3gpuE0ELNS1_3repE0EEENS1_52radix_sort_onesweep_histogram_config_static_selectorELNS0_4arch9wavefront6targetE0EEEvSI_.private_seg_size, 0
	.set _ZN7rocprim17ROCPRIM_400000_NS6detail17trampoline_kernelINS0_14default_configENS1_35radix_sort_onesweep_config_selectorIiNS0_10empty_typeEEEZNS1_34radix_sort_onesweep_global_offsetsIS3_Lb1EN6thrust23THRUST_200600_302600_NS6detail15normal_iteratorINS9_10device_ptrIiEEEEPS5_jNS0_19identity_decomposerEEE10hipError_tT1_T2_PT3_SK_jT4_jjP12ihipStream_tbEUlT_E_NS1_11comp_targetILNS1_3genE0ELNS1_11target_archE4294967295ELNS1_3gpuE0ELNS1_3repE0EEENS1_52radix_sort_onesweep_histogram_config_static_selectorELNS0_4arch9wavefront6targetE0EEEvSI_.uses_vcc, 0
	.set _ZN7rocprim17ROCPRIM_400000_NS6detail17trampoline_kernelINS0_14default_configENS1_35radix_sort_onesweep_config_selectorIiNS0_10empty_typeEEEZNS1_34radix_sort_onesweep_global_offsetsIS3_Lb1EN6thrust23THRUST_200600_302600_NS6detail15normal_iteratorINS9_10device_ptrIiEEEEPS5_jNS0_19identity_decomposerEEE10hipError_tT1_T2_PT3_SK_jT4_jjP12ihipStream_tbEUlT_E_NS1_11comp_targetILNS1_3genE0ELNS1_11target_archE4294967295ELNS1_3gpuE0ELNS1_3repE0EEENS1_52radix_sort_onesweep_histogram_config_static_selectorELNS0_4arch9wavefront6targetE0EEEvSI_.uses_flat_scratch, 0
	.set _ZN7rocprim17ROCPRIM_400000_NS6detail17trampoline_kernelINS0_14default_configENS1_35radix_sort_onesweep_config_selectorIiNS0_10empty_typeEEEZNS1_34radix_sort_onesweep_global_offsetsIS3_Lb1EN6thrust23THRUST_200600_302600_NS6detail15normal_iteratorINS9_10device_ptrIiEEEEPS5_jNS0_19identity_decomposerEEE10hipError_tT1_T2_PT3_SK_jT4_jjP12ihipStream_tbEUlT_E_NS1_11comp_targetILNS1_3genE0ELNS1_11target_archE4294967295ELNS1_3gpuE0ELNS1_3repE0EEENS1_52radix_sort_onesweep_histogram_config_static_selectorELNS0_4arch9wavefront6targetE0EEEvSI_.has_dyn_sized_stack, 0
	.set _ZN7rocprim17ROCPRIM_400000_NS6detail17trampoline_kernelINS0_14default_configENS1_35radix_sort_onesweep_config_selectorIiNS0_10empty_typeEEEZNS1_34radix_sort_onesweep_global_offsetsIS3_Lb1EN6thrust23THRUST_200600_302600_NS6detail15normal_iteratorINS9_10device_ptrIiEEEEPS5_jNS0_19identity_decomposerEEE10hipError_tT1_T2_PT3_SK_jT4_jjP12ihipStream_tbEUlT_E_NS1_11comp_targetILNS1_3genE0ELNS1_11target_archE4294967295ELNS1_3gpuE0ELNS1_3repE0EEENS1_52radix_sort_onesweep_histogram_config_static_selectorELNS0_4arch9wavefront6targetE0EEEvSI_.has_recursion, 0
	.set _ZN7rocprim17ROCPRIM_400000_NS6detail17trampoline_kernelINS0_14default_configENS1_35radix_sort_onesweep_config_selectorIiNS0_10empty_typeEEEZNS1_34radix_sort_onesweep_global_offsetsIS3_Lb1EN6thrust23THRUST_200600_302600_NS6detail15normal_iteratorINS9_10device_ptrIiEEEEPS5_jNS0_19identity_decomposerEEE10hipError_tT1_T2_PT3_SK_jT4_jjP12ihipStream_tbEUlT_E_NS1_11comp_targetILNS1_3genE0ELNS1_11target_archE4294967295ELNS1_3gpuE0ELNS1_3repE0EEENS1_52radix_sort_onesweep_histogram_config_static_selectorELNS0_4arch9wavefront6targetE0EEEvSI_.has_indirect_call, 0
	.section	.AMDGPU.csdata,"",@progbits
; Kernel info:
; codeLenInByte = 0
; TotalNumSgprs: 0
; NumVgprs: 0
; ScratchSize: 0
; MemoryBound: 0
; FloatMode: 240
; IeeeMode: 1
; LDSByteSize: 0 bytes/workgroup (compile time only)
; SGPRBlocks: 0
; VGPRBlocks: 0
; NumSGPRsForWavesPerEU: 1
; NumVGPRsForWavesPerEU: 1
; Occupancy: 16
; WaveLimiterHint : 0
; COMPUTE_PGM_RSRC2:SCRATCH_EN: 0
; COMPUTE_PGM_RSRC2:USER_SGPR: 6
; COMPUTE_PGM_RSRC2:TRAP_HANDLER: 0
; COMPUTE_PGM_RSRC2:TGID_X_EN: 1
; COMPUTE_PGM_RSRC2:TGID_Y_EN: 0
; COMPUTE_PGM_RSRC2:TGID_Z_EN: 0
; COMPUTE_PGM_RSRC2:TIDIG_COMP_CNT: 0
	.section	.text._ZN7rocprim17ROCPRIM_400000_NS6detail17trampoline_kernelINS0_14default_configENS1_35radix_sort_onesweep_config_selectorIiNS0_10empty_typeEEEZNS1_34radix_sort_onesweep_global_offsetsIS3_Lb1EN6thrust23THRUST_200600_302600_NS6detail15normal_iteratorINS9_10device_ptrIiEEEEPS5_jNS0_19identity_decomposerEEE10hipError_tT1_T2_PT3_SK_jT4_jjP12ihipStream_tbEUlT_E_NS1_11comp_targetILNS1_3genE6ELNS1_11target_archE950ELNS1_3gpuE13ELNS1_3repE0EEENS1_52radix_sort_onesweep_histogram_config_static_selectorELNS0_4arch9wavefront6targetE0EEEvSI_,"axG",@progbits,_ZN7rocprim17ROCPRIM_400000_NS6detail17trampoline_kernelINS0_14default_configENS1_35radix_sort_onesweep_config_selectorIiNS0_10empty_typeEEEZNS1_34radix_sort_onesweep_global_offsetsIS3_Lb1EN6thrust23THRUST_200600_302600_NS6detail15normal_iteratorINS9_10device_ptrIiEEEEPS5_jNS0_19identity_decomposerEEE10hipError_tT1_T2_PT3_SK_jT4_jjP12ihipStream_tbEUlT_E_NS1_11comp_targetILNS1_3genE6ELNS1_11target_archE950ELNS1_3gpuE13ELNS1_3repE0EEENS1_52radix_sort_onesweep_histogram_config_static_selectorELNS0_4arch9wavefront6targetE0EEEvSI_,comdat
	.protected	_ZN7rocprim17ROCPRIM_400000_NS6detail17trampoline_kernelINS0_14default_configENS1_35radix_sort_onesweep_config_selectorIiNS0_10empty_typeEEEZNS1_34radix_sort_onesweep_global_offsetsIS3_Lb1EN6thrust23THRUST_200600_302600_NS6detail15normal_iteratorINS9_10device_ptrIiEEEEPS5_jNS0_19identity_decomposerEEE10hipError_tT1_T2_PT3_SK_jT4_jjP12ihipStream_tbEUlT_E_NS1_11comp_targetILNS1_3genE6ELNS1_11target_archE950ELNS1_3gpuE13ELNS1_3repE0EEENS1_52radix_sort_onesweep_histogram_config_static_selectorELNS0_4arch9wavefront6targetE0EEEvSI_ ; -- Begin function _ZN7rocprim17ROCPRIM_400000_NS6detail17trampoline_kernelINS0_14default_configENS1_35radix_sort_onesweep_config_selectorIiNS0_10empty_typeEEEZNS1_34radix_sort_onesweep_global_offsetsIS3_Lb1EN6thrust23THRUST_200600_302600_NS6detail15normal_iteratorINS9_10device_ptrIiEEEEPS5_jNS0_19identity_decomposerEEE10hipError_tT1_T2_PT3_SK_jT4_jjP12ihipStream_tbEUlT_E_NS1_11comp_targetILNS1_3genE6ELNS1_11target_archE950ELNS1_3gpuE13ELNS1_3repE0EEENS1_52radix_sort_onesweep_histogram_config_static_selectorELNS0_4arch9wavefront6targetE0EEEvSI_
	.globl	_ZN7rocprim17ROCPRIM_400000_NS6detail17trampoline_kernelINS0_14default_configENS1_35radix_sort_onesweep_config_selectorIiNS0_10empty_typeEEEZNS1_34radix_sort_onesweep_global_offsetsIS3_Lb1EN6thrust23THRUST_200600_302600_NS6detail15normal_iteratorINS9_10device_ptrIiEEEEPS5_jNS0_19identity_decomposerEEE10hipError_tT1_T2_PT3_SK_jT4_jjP12ihipStream_tbEUlT_E_NS1_11comp_targetILNS1_3genE6ELNS1_11target_archE950ELNS1_3gpuE13ELNS1_3repE0EEENS1_52radix_sort_onesweep_histogram_config_static_selectorELNS0_4arch9wavefront6targetE0EEEvSI_
	.p2align	8
	.type	_ZN7rocprim17ROCPRIM_400000_NS6detail17trampoline_kernelINS0_14default_configENS1_35radix_sort_onesweep_config_selectorIiNS0_10empty_typeEEEZNS1_34radix_sort_onesweep_global_offsetsIS3_Lb1EN6thrust23THRUST_200600_302600_NS6detail15normal_iteratorINS9_10device_ptrIiEEEEPS5_jNS0_19identity_decomposerEEE10hipError_tT1_T2_PT3_SK_jT4_jjP12ihipStream_tbEUlT_E_NS1_11comp_targetILNS1_3genE6ELNS1_11target_archE950ELNS1_3gpuE13ELNS1_3repE0EEENS1_52radix_sort_onesweep_histogram_config_static_selectorELNS0_4arch9wavefront6targetE0EEEvSI_,@function
_ZN7rocprim17ROCPRIM_400000_NS6detail17trampoline_kernelINS0_14default_configENS1_35radix_sort_onesweep_config_selectorIiNS0_10empty_typeEEEZNS1_34radix_sort_onesweep_global_offsetsIS3_Lb1EN6thrust23THRUST_200600_302600_NS6detail15normal_iteratorINS9_10device_ptrIiEEEEPS5_jNS0_19identity_decomposerEEE10hipError_tT1_T2_PT3_SK_jT4_jjP12ihipStream_tbEUlT_E_NS1_11comp_targetILNS1_3genE6ELNS1_11target_archE950ELNS1_3gpuE13ELNS1_3repE0EEENS1_52radix_sort_onesweep_histogram_config_static_selectorELNS0_4arch9wavefront6targetE0EEEvSI_: ; @_ZN7rocprim17ROCPRIM_400000_NS6detail17trampoline_kernelINS0_14default_configENS1_35radix_sort_onesweep_config_selectorIiNS0_10empty_typeEEEZNS1_34radix_sort_onesweep_global_offsetsIS3_Lb1EN6thrust23THRUST_200600_302600_NS6detail15normal_iteratorINS9_10device_ptrIiEEEEPS5_jNS0_19identity_decomposerEEE10hipError_tT1_T2_PT3_SK_jT4_jjP12ihipStream_tbEUlT_E_NS1_11comp_targetILNS1_3genE6ELNS1_11target_archE950ELNS1_3gpuE13ELNS1_3repE0EEENS1_52radix_sort_onesweep_histogram_config_static_selectorELNS0_4arch9wavefront6targetE0EEEvSI_
; %bb.0:
	.section	.rodata,"a",@progbits
	.p2align	6, 0x0
	.amdhsa_kernel _ZN7rocprim17ROCPRIM_400000_NS6detail17trampoline_kernelINS0_14default_configENS1_35radix_sort_onesweep_config_selectorIiNS0_10empty_typeEEEZNS1_34radix_sort_onesweep_global_offsetsIS3_Lb1EN6thrust23THRUST_200600_302600_NS6detail15normal_iteratorINS9_10device_ptrIiEEEEPS5_jNS0_19identity_decomposerEEE10hipError_tT1_T2_PT3_SK_jT4_jjP12ihipStream_tbEUlT_E_NS1_11comp_targetILNS1_3genE6ELNS1_11target_archE950ELNS1_3gpuE13ELNS1_3repE0EEENS1_52radix_sort_onesweep_histogram_config_static_selectorELNS0_4arch9wavefront6targetE0EEEvSI_
		.amdhsa_group_segment_fixed_size 0
		.amdhsa_private_segment_fixed_size 0
		.amdhsa_kernarg_size 40
		.amdhsa_user_sgpr_count 6
		.amdhsa_user_sgpr_private_segment_buffer 1
		.amdhsa_user_sgpr_dispatch_ptr 0
		.amdhsa_user_sgpr_queue_ptr 0
		.amdhsa_user_sgpr_kernarg_segment_ptr 1
		.amdhsa_user_sgpr_dispatch_id 0
		.amdhsa_user_sgpr_flat_scratch_init 0
		.amdhsa_user_sgpr_private_segment_size 0
		.amdhsa_wavefront_size32 1
		.amdhsa_uses_dynamic_stack 0
		.amdhsa_system_sgpr_private_segment_wavefront_offset 0
		.amdhsa_system_sgpr_workgroup_id_x 1
		.amdhsa_system_sgpr_workgroup_id_y 0
		.amdhsa_system_sgpr_workgroup_id_z 0
		.amdhsa_system_sgpr_workgroup_info 0
		.amdhsa_system_vgpr_workitem_id 0
		.amdhsa_next_free_vgpr 1
		.amdhsa_next_free_sgpr 1
		.amdhsa_reserve_vcc 0
		.amdhsa_reserve_flat_scratch 0
		.amdhsa_float_round_mode_32 0
		.amdhsa_float_round_mode_16_64 0
		.amdhsa_float_denorm_mode_32 3
		.amdhsa_float_denorm_mode_16_64 3
		.amdhsa_dx10_clamp 1
		.amdhsa_ieee_mode 1
		.amdhsa_fp16_overflow 0
		.amdhsa_workgroup_processor_mode 1
		.amdhsa_memory_ordered 1
		.amdhsa_forward_progress 1
		.amdhsa_shared_vgpr_count 0
		.amdhsa_exception_fp_ieee_invalid_op 0
		.amdhsa_exception_fp_denorm_src 0
		.amdhsa_exception_fp_ieee_div_zero 0
		.amdhsa_exception_fp_ieee_overflow 0
		.amdhsa_exception_fp_ieee_underflow 0
		.amdhsa_exception_fp_ieee_inexact 0
		.amdhsa_exception_int_div_zero 0
	.end_amdhsa_kernel
	.section	.text._ZN7rocprim17ROCPRIM_400000_NS6detail17trampoline_kernelINS0_14default_configENS1_35radix_sort_onesweep_config_selectorIiNS0_10empty_typeEEEZNS1_34radix_sort_onesweep_global_offsetsIS3_Lb1EN6thrust23THRUST_200600_302600_NS6detail15normal_iteratorINS9_10device_ptrIiEEEEPS5_jNS0_19identity_decomposerEEE10hipError_tT1_T2_PT3_SK_jT4_jjP12ihipStream_tbEUlT_E_NS1_11comp_targetILNS1_3genE6ELNS1_11target_archE950ELNS1_3gpuE13ELNS1_3repE0EEENS1_52radix_sort_onesweep_histogram_config_static_selectorELNS0_4arch9wavefront6targetE0EEEvSI_,"axG",@progbits,_ZN7rocprim17ROCPRIM_400000_NS6detail17trampoline_kernelINS0_14default_configENS1_35radix_sort_onesweep_config_selectorIiNS0_10empty_typeEEEZNS1_34radix_sort_onesweep_global_offsetsIS3_Lb1EN6thrust23THRUST_200600_302600_NS6detail15normal_iteratorINS9_10device_ptrIiEEEEPS5_jNS0_19identity_decomposerEEE10hipError_tT1_T2_PT3_SK_jT4_jjP12ihipStream_tbEUlT_E_NS1_11comp_targetILNS1_3genE6ELNS1_11target_archE950ELNS1_3gpuE13ELNS1_3repE0EEENS1_52radix_sort_onesweep_histogram_config_static_selectorELNS0_4arch9wavefront6targetE0EEEvSI_,comdat
.Lfunc_end319:
	.size	_ZN7rocprim17ROCPRIM_400000_NS6detail17trampoline_kernelINS0_14default_configENS1_35radix_sort_onesweep_config_selectorIiNS0_10empty_typeEEEZNS1_34radix_sort_onesweep_global_offsetsIS3_Lb1EN6thrust23THRUST_200600_302600_NS6detail15normal_iteratorINS9_10device_ptrIiEEEEPS5_jNS0_19identity_decomposerEEE10hipError_tT1_T2_PT3_SK_jT4_jjP12ihipStream_tbEUlT_E_NS1_11comp_targetILNS1_3genE6ELNS1_11target_archE950ELNS1_3gpuE13ELNS1_3repE0EEENS1_52radix_sort_onesweep_histogram_config_static_selectorELNS0_4arch9wavefront6targetE0EEEvSI_, .Lfunc_end319-_ZN7rocprim17ROCPRIM_400000_NS6detail17trampoline_kernelINS0_14default_configENS1_35radix_sort_onesweep_config_selectorIiNS0_10empty_typeEEEZNS1_34radix_sort_onesweep_global_offsetsIS3_Lb1EN6thrust23THRUST_200600_302600_NS6detail15normal_iteratorINS9_10device_ptrIiEEEEPS5_jNS0_19identity_decomposerEEE10hipError_tT1_T2_PT3_SK_jT4_jjP12ihipStream_tbEUlT_E_NS1_11comp_targetILNS1_3genE6ELNS1_11target_archE950ELNS1_3gpuE13ELNS1_3repE0EEENS1_52radix_sort_onesweep_histogram_config_static_selectorELNS0_4arch9wavefront6targetE0EEEvSI_
                                        ; -- End function
	.set _ZN7rocprim17ROCPRIM_400000_NS6detail17trampoline_kernelINS0_14default_configENS1_35radix_sort_onesweep_config_selectorIiNS0_10empty_typeEEEZNS1_34radix_sort_onesweep_global_offsetsIS3_Lb1EN6thrust23THRUST_200600_302600_NS6detail15normal_iteratorINS9_10device_ptrIiEEEEPS5_jNS0_19identity_decomposerEEE10hipError_tT1_T2_PT3_SK_jT4_jjP12ihipStream_tbEUlT_E_NS1_11comp_targetILNS1_3genE6ELNS1_11target_archE950ELNS1_3gpuE13ELNS1_3repE0EEENS1_52radix_sort_onesweep_histogram_config_static_selectorELNS0_4arch9wavefront6targetE0EEEvSI_.num_vgpr, 0
	.set _ZN7rocprim17ROCPRIM_400000_NS6detail17trampoline_kernelINS0_14default_configENS1_35radix_sort_onesweep_config_selectorIiNS0_10empty_typeEEEZNS1_34radix_sort_onesweep_global_offsetsIS3_Lb1EN6thrust23THRUST_200600_302600_NS6detail15normal_iteratorINS9_10device_ptrIiEEEEPS5_jNS0_19identity_decomposerEEE10hipError_tT1_T2_PT3_SK_jT4_jjP12ihipStream_tbEUlT_E_NS1_11comp_targetILNS1_3genE6ELNS1_11target_archE950ELNS1_3gpuE13ELNS1_3repE0EEENS1_52radix_sort_onesweep_histogram_config_static_selectorELNS0_4arch9wavefront6targetE0EEEvSI_.num_agpr, 0
	.set _ZN7rocprim17ROCPRIM_400000_NS6detail17trampoline_kernelINS0_14default_configENS1_35radix_sort_onesweep_config_selectorIiNS0_10empty_typeEEEZNS1_34radix_sort_onesweep_global_offsetsIS3_Lb1EN6thrust23THRUST_200600_302600_NS6detail15normal_iteratorINS9_10device_ptrIiEEEEPS5_jNS0_19identity_decomposerEEE10hipError_tT1_T2_PT3_SK_jT4_jjP12ihipStream_tbEUlT_E_NS1_11comp_targetILNS1_3genE6ELNS1_11target_archE950ELNS1_3gpuE13ELNS1_3repE0EEENS1_52radix_sort_onesweep_histogram_config_static_selectorELNS0_4arch9wavefront6targetE0EEEvSI_.numbered_sgpr, 0
	.set _ZN7rocprim17ROCPRIM_400000_NS6detail17trampoline_kernelINS0_14default_configENS1_35radix_sort_onesweep_config_selectorIiNS0_10empty_typeEEEZNS1_34radix_sort_onesweep_global_offsetsIS3_Lb1EN6thrust23THRUST_200600_302600_NS6detail15normal_iteratorINS9_10device_ptrIiEEEEPS5_jNS0_19identity_decomposerEEE10hipError_tT1_T2_PT3_SK_jT4_jjP12ihipStream_tbEUlT_E_NS1_11comp_targetILNS1_3genE6ELNS1_11target_archE950ELNS1_3gpuE13ELNS1_3repE0EEENS1_52radix_sort_onesweep_histogram_config_static_selectorELNS0_4arch9wavefront6targetE0EEEvSI_.num_named_barrier, 0
	.set _ZN7rocprim17ROCPRIM_400000_NS6detail17trampoline_kernelINS0_14default_configENS1_35radix_sort_onesweep_config_selectorIiNS0_10empty_typeEEEZNS1_34radix_sort_onesweep_global_offsetsIS3_Lb1EN6thrust23THRUST_200600_302600_NS6detail15normal_iteratorINS9_10device_ptrIiEEEEPS5_jNS0_19identity_decomposerEEE10hipError_tT1_T2_PT3_SK_jT4_jjP12ihipStream_tbEUlT_E_NS1_11comp_targetILNS1_3genE6ELNS1_11target_archE950ELNS1_3gpuE13ELNS1_3repE0EEENS1_52radix_sort_onesweep_histogram_config_static_selectorELNS0_4arch9wavefront6targetE0EEEvSI_.private_seg_size, 0
	.set _ZN7rocprim17ROCPRIM_400000_NS6detail17trampoline_kernelINS0_14default_configENS1_35radix_sort_onesweep_config_selectorIiNS0_10empty_typeEEEZNS1_34radix_sort_onesweep_global_offsetsIS3_Lb1EN6thrust23THRUST_200600_302600_NS6detail15normal_iteratorINS9_10device_ptrIiEEEEPS5_jNS0_19identity_decomposerEEE10hipError_tT1_T2_PT3_SK_jT4_jjP12ihipStream_tbEUlT_E_NS1_11comp_targetILNS1_3genE6ELNS1_11target_archE950ELNS1_3gpuE13ELNS1_3repE0EEENS1_52radix_sort_onesweep_histogram_config_static_selectorELNS0_4arch9wavefront6targetE0EEEvSI_.uses_vcc, 0
	.set _ZN7rocprim17ROCPRIM_400000_NS6detail17trampoline_kernelINS0_14default_configENS1_35radix_sort_onesweep_config_selectorIiNS0_10empty_typeEEEZNS1_34radix_sort_onesweep_global_offsetsIS3_Lb1EN6thrust23THRUST_200600_302600_NS6detail15normal_iteratorINS9_10device_ptrIiEEEEPS5_jNS0_19identity_decomposerEEE10hipError_tT1_T2_PT3_SK_jT4_jjP12ihipStream_tbEUlT_E_NS1_11comp_targetILNS1_3genE6ELNS1_11target_archE950ELNS1_3gpuE13ELNS1_3repE0EEENS1_52radix_sort_onesweep_histogram_config_static_selectorELNS0_4arch9wavefront6targetE0EEEvSI_.uses_flat_scratch, 0
	.set _ZN7rocprim17ROCPRIM_400000_NS6detail17trampoline_kernelINS0_14default_configENS1_35radix_sort_onesweep_config_selectorIiNS0_10empty_typeEEEZNS1_34radix_sort_onesweep_global_offsetsIS3_Lb1EN6thrust23THRUST_200600_302600_NS6detail15normal_iteratorINS9_10device_ptrIiEEEEPS5_jNS0_19identity_decomposerEEE10hipError_tT1_T2_PT3_SK_jT4_jjP12ihipStream_tbEUlT_E_NS1_11comp_targetILNS1_3genE6ELNS1_11target_archE950ELNS1_3gpuE13ELNS1_3repE0EEENS1_52radix_sort_onesweep_histogram_config_static_selectorELNS0_4arch9wavefront6targetE0EEEvSI_.has_dyn_sized_stack, 0
	.set _ZN7rocprim17ROCPRIM_400000_NS6detail17trampoline_kernelINS0_14default_configENS1_35radix_sort_onesweep_config_selectorIiNS0_10empty_typeEEEZNS1_34radix_sort_onesweep_global_offsetsIS3_Lb1EN6thrust23THRUST_200600_302600_NS6detail15normal_iteratorINS9_10device_ptrIiEEEEPS5_jNS0_19identity_decomposerEEE10hipError_tT1_T2_PT3_SK_jT4_jjP12ihipStream_tbEUlT_E_NS1_11comp_targetILNS1_3genE6ELNS1_11target_archE950ELNS1_3gpuE13ELNS1_3repE0EEENS1_52radix_sort_onesweep_histogram_config_static_selectorELNS0_4arch9wavefront6targetE0EEEvSI_.has_recursion, 0
	.set _ZN7rocprim17ROCPRIM_400000_NS6detail17trampoline_kernelINS0_14default_configENS1_35radix_sort_onesweep_config_selectorIiNS0_10empty_typeEEEZNS1_34radix_sort_onesweep_global_offsetsIS3_Lb1EN6thrust23THRUST_200600_302600_NS6detail15normal_iteratorINS9_10device_ptrIiEEEEPS5_jNS0_19identity_decomposerEEE10hipError_tT1_T2_PT3_SK_jT4_jjP12ihipStream_tbEUlT_E_NS1_11comp_targetILNS1_3genE6ELNS1_11target_archE950ELNS1_3gpuE13ELNS1_3repE0EEENS1_52radix_sort_onesweep_histogram_config_static_selectorELNS0_4arch9wavefront6targetE0EEEvSI_.has_indirect_call, 0
	.section	.AMDGPU.csdata,"",@progbits
; Kernel info:
; codeLenInByte = 0
; TotalNumSgprs: 0
; NumVgprs: 0
; ScratchSize: 0
; MemoryBound: 0
; FloatMode: 240
; IeeeMode: 1
; LDSByteSize: 0 bytes/workgroup (compile time only)
; SGPRBlocks: 0
; VGPRBlocks: 0
; NumSGPRsForWavesPerEU: 1
; NumVGPRsForWavesPerEU: 1
; Occupancy: 16
; WaveLimiterHint : 0
; COMPUTE_PGM_RSRC2:SCRATCH_EN: 0
; COMPUTE_PGM_RSRC2:USER_SGPR: 6
; COMPUTE_PGM_RSRC2:TRAP_HANDLER: 0
; COMPUTE_PGM_RSRC2:TGID_X_EN: 1
; COMPUTE_PGM_RSRC2:TGID_Y_EN: 0
; COMPUTE_PGM_RSRC2:TGID_Z_EN: 0
; COMPUTE_PGM_RSRC2:TIDIG_COMP_CNT: 0
	.section	.text._ZN7rocprim17ROCPRIM_400000_NS6detail17trampoline_kernelINS0_14default_configENS1_35radix_sort_onesweep_config_selectorIiNS0_10empty_typeEEEZNS1_34radix_sort_onesweep_global_offsetsIS3_Lb1EN6thrust23THRUST_200600_302600_NS6detail15normal_iteratorINS9_10device_ptrIiEEEEPS5_jNS0_19identity_decomposerEEE10hipError_tT1_T2_PT3_SK_jT4_jjP12ihipStream_tbEUlT_E_NS1_11comp_targetILNS1_3genE5ELNS1_11target_archE942ELNS1_3gpuE9ELNS1_3repE0EEENS1_52radix_sort_onesweep_histogram_config_static_selectorELNS0_4arch9wavefront6targetE0EEEvSI_,"axG",@progbits,_ZN7rocprim17ROCPRIM_400000_NS6detail17trampoline_kernelINS0_14default_configENS1_35radix_sort_onesweep_config_selectorIiNS0_10empty_typeEEEZNS1_34radix_sort_onesweep_global_offsetsIS3_Lb1EN6thrust23THRUST_200600_302600_NS6detail15normal_iteratorINS9_10device_ptrIiEEEEPS5_jNS0_19identity_decomposerEEE10hipError_tT1_T2_PT3_SK_jT4_jjP12ihipStream_tbEUlT_E_NS1_11comp_targetILNS1_3genE5ELNS1_11target_archE942ELNS1_3gpuE9ELNS1_3repE0EEENS1_52radix_sort_onesweep_histogram_config_static_selectorELNS0_4arch9wavefront6targetE0EEEvSI_,comdat
	.protected	_ZN7rocprim17ROCPRIM_400000_NS6detail17trampoline_kernelINS0_14default_configENS1_35radix_sort_onesweep_config_selectorIiNS0_10empty_typeEEEZNS1_34radix_sort_onesweep_global_offsetsIS3_Lb1EN6thrust23THRUST_200600_302600_NS6detail15normal_iteratorINS9_10device_ptrIiEEEEPS5_jNS0_19identity_decomposerEEE10hipError_tT1_T2_PT3_SK_jT4_jjP12ihipStream_tbEUlT_E_NS1_11comp_targetILNS1_3genE5ELNS1_11target_archE942ELNS1_3gpuE9ELNS1_3repE0EEENS1_52radix_sort_onesweep_histogram_config_static_selectorELNS0_4arch9wavefront6targetE0EEEvSI_ ; -- Begin function _ZN7rocprim17ROCPRIM_400000_NS6detail17trampoline_kernelINS0_14default_configENS1_35radix_sort_onesweep_config_selectorIiNS0_10empty_typeEEEZNS1_34radix_sort_onesweep_global_offsetsIS3_Lb1EN6thrust23THRUST_200600_302600_NS6detail15normal_iteratorINS9_10device_ptrIiEEEEPS5_jNS0_19identity_decomposerEEE10hipError_tT1_T2_PT3_SK_jT4_jjP12ihipStream_tbEUlT_E_NS1_11comp_targetILNS1_3genE5ELNS1_11target_archE942ELNS1_3gpuE9ELNS1_3repE0EEENS1_52radix_sort_onesweep_histogram_config_static_selectorELNS0_4arch9wavefront6targetE0EEEvSI_
	.globl	_ZN7rocprim17ROCPRIM_400000_NS6detail17trampoline_kernelINS0_14default_configENS1_35radix_sort_onesweep_config_selectorIiNS0_10empty_typeEEEZNS1_34radix_sort_onesweep_global_offsetsIS3_Lb1EN6thrust23THRUST_200600_302600_NS6detail15normal_iteratorINS9_10device_ptrIiEEEEPS5_jNS0_19identity_decomposerEEE10hipError_tT1_T2_PT3_SK_jT4_jjP12ihipStream_tbEUlT_E_NS1_11comp_targetILNS1_3genE5ELNS1_11target_archE942ELNS1_3gpuE9ELNS1_3repE0EEENS1_52radix_sort_onesweep_histogram_config_static_selectorELNS0_4arch9wavefront6targetE0EEEvSI_
	.p2align	8
	.type	_ZN7rocprim17ROCPRIM_400000_NS6detail17trampoline_kernelINS0_14default_configENS1_35radix_sort_onesweep_config_selectorIiNS0_10empty_typeEEEZNS1_34radix_sort_onesweep_global_offsetsIS3_Lb1EN6thrust23THRUST_200600_302600_NS6detail15normal_iteratorINS9_10device_ptrIiEEEEPS5_jNS0_19identity_decomposerEEE10hipError_tT1_T2_PT3_SK_jT4_jjP12ihipStream_tbEUlT_E_NS1_11comp_targetILNS1_3genE5ELNS1_11target_archE942ELNS1_3gpuE9ELNS1_3repE0EEENS1_52radix_sort_onesweep_histogram_config_static_selectorELNS0_4arch9wavefront6targetE0EEEvSI_,@function
_ZN7rocprim17ROCPRIM_400000_NS6detail17trampoline_kernelINS0_14default_configENS1_35radix_sort_onesweep_config_selectorIiNS0_10empty_typeEEEZNS1_34radix_sort_onesweep_global_offsetsIS3_Lb1EN6thrust23THRUST_200600_302600_NS6detail15normal_iteratorINS9_10device_ptrIiEEEEPS5_jNS0_19identity_decomposerEEE10hipError_tT1_T2_PT3_SK_jT4_jjP12ihipStream_tbEUlT_E_NS1_11comp_targetILNS1_3genE5ELNS1_11target_archE942ELNS1_3gpuE9ELNS1_3repE0EEENS1_52radix_sort_onesweep_histogram_config_static_selectorELNS0_4arch9wavefront6targetE0EEEvSI_: ; @_ZN7rocprim17ROCPRIM_400000_NS6detail17trampoline_kernelINS0_14default_configENS1_35radix_sort_onesweep_config_selectorIiNS0_10empty_typeEEEZNS1_34radix_sort_onesweep_global_offsetsIS3_Lb1EN6thrust23THRUST_200600_302600_NS6detail15normal_iteratorINS9_10device_ptrIiEEEEPS5_jNS0_19identity_decomposerEEE10hipError_tT1_T2_PT3_SK_jT4_jjP12ihipStream_tbEUlT_E_NS1_11comp_targetILNS1_3genE5ELNS1_11target_archE942ELNS1_3gpuE9ELNS1_3repE0EEENS1_52radix_sort_onesweep_histogram_config_static_selectorELNS0_4arch9wavefront6targetE0EEEvSI_
; %bb.0:
	.section	.rodata,"a",@progbits
	.p2align	6, 0x0
	.amdhsa_kernel _ZN7rocprim17ROCPRIM_400000_NS6detail17trampoline_kernelINS0_14default_configENS1_35radix_sort_onesweep_config_selectorIiNS0_10empty_typeEEEZNS1_34radix_sort_onesweep_global_offsetsIS3_Lb1EN6thrust23THRUST_200600_302600_NS6detail15normal_iteratorINS9_10device_ptrIiEEEEPS5_jNS0_19identity_decomposerEEE10hipError_tT1_T2_PT3_SK_jT4_jjP12ihipStream_tbEUlT_E_NS1_11comp_targetILNS1_3genE5ELNS1_11target_archE942ELNS1_3gpuE9ELNS1_3repE0EEENS1_52radix_sort_onesweep_histogram_config_static_selectorELNS0_4arch9wavefront6targetE0EEEvSI_
		.amdhsa_group_segment_fixed_size 0
		.amdhsa_private_segment_fixed_size 0
		.amdhsa_kernarg_size 40
		.amdhsa_user_sgpr_count 6
		.amdhsa_user_sgpr_private_segment_buffer 1
		.amdhsa_user_sgpr_dispatch_ptr 0
		.amdhsa_user_sgpr_queue_ptr 0
		.amdhsa_user_sgpr_kernarg_segment_ptr 1
		.amdhsa_user_sgpr_dispatch_id 0
		.amdhsa_user_sgpr_flat_scratch_init 0
		.amdhsa_user_sgpr_private_segment_size 0
		.amdhsa_wavefront_size32 1
		.amdhsa_uses_dynamic_stack 0
		.amdhsa_system_sgpr_private_segment_wavefront_offset 0
		.amdhsa_system_sgpr_workgroup_id_x 1
		.amdhsa_system_sgpr_workgroup_id_y 0
		.amdhsa_system_sgpr_workgroup_id_z 0
		.amdhsa_system_sgpr_workgroup_info 0
		.amdhsa_system_vgpr_workitem_id 0
		.amdhsa_next_free_vgpr 1
		.amdhsa_next_free_sgpr 1
		.amdhsa_reserve_vcc 0
		.amdhsa_reserve_flat_scratch 0
		.amdhsa_float_round_mode_32 0
		.amdhsa_float_round_mode_16_64 0
		.amdhsa_float_denorm_mode_32 3
		.amdhsa_float_denorm_mode_16_64 3
		.amdhsa_dx10_clamp 1
		.amdhsa_ieee_mode 1
		.amdhsa_fp16_overflow 0
		.amdhsa_workgroup_processor_mode 1
		.amdhsa_memory_ordered 1
		.amdhsa_forward_progress 1
		.amdhsa_shared_vgpr_count 0
		.amdhsa_exception_fp_ieee_invalid_op 0
		.amdhsa_exception_fp_denorm_src 0
		.amdhsa_exception_fp_ieee_div_zero 0
		.amdhsa_exception_fp_ieee_overflow 0
		.amdhsa_exception_fp_ieee_underflow 0
		.amdhsa_exception_fp_ieee_inexact 0
		.amdhsa_exception_int_div_zero 0
	.end_amdhsa_kernel
	.section	.text._ZN7rocprim17ROCPRIM_400000_NS6detail17trampoline_kernelINS0_14default_configENS1_35radix_sort_onesweep_config_selectorIiNS0_10empty_typeEEEZNS1_34radix_sort_onesweep_global_offsetsIS3_Lb1EN6thrust23THRUST_200600_302600_NS6detail15normal_iteratorINS9_10device_ptrIiEEEEPS5_jNS0_19identity_decomposerEEE10hipError_tT1_T2_PT3_SK_jT4_jjP12ihipStream_tbEUlT_E_NS1_11comp_targetILNS1_3genE5ELNS1_11target_archE942ELNS1_3gpuE9ELNS1_3repE0EEENS1_52radix_sort_onesweep_histogram_config_static_selectorELNS0_4arch9wavefront6targetE0EEEvSI_,"axG",@progbits,_ZN7rocprim17ROCPRIM_400000_NS6detail17trampoline_kernelINS0_14default_configENS1_35radix_sort_onesweep_config_selectorIiNS0_10empty_typeEEEZNS1_34radix_sort_onesweep_global_offsetsIS3_Lb1EN6thrust23THRUST_200600_302600_NS6detail15normal_iteratorINS9_10device_ptrIiEEEEPS5_jNS0_19identity_decomposerEEE10hipError_tT1_T2_PT3_SK_jT4_jjP12ihipStream_tbEUlT_E_NS1_11comp_targetILNS1_3genE5ELNS1_11target_archE942ELNS1_3gpuE9ELNS1_3repE0EEENS1_52radix_sort_onesweep_histogram_config_static_selectorELNS0_4arch9wavefront6targetE0EEEvSI_,comdat
.Lfunc_end320:
	.size	_ZN7rocprim17ROCPRIM_400000_NS6detail17trampoline_kernelINS0_14default_configENS1_35radix_sort_onesweep_config_selectorIiNS0_10empty_typeEEEZNS1_34radix_sort_onesweep_global_offsetsIS3_Lb1EN6thrust23THRUST_200600_302600_NS6detail15normal_iteratorINS9_10device_ptrIiEEEEPS5_jNS0_19identity_decomposerEEE10hipError_tT1_T2_PT3_SK_jT4_jjP12ihipStream_tbEUlT_E_NS1_11comp_targetILNS1_3genE5ELNS1_11target_archE942ELNS1_3gpuE9ELNS1_3repE0EEENS1_52radix_sort_onesweep_histogram_config_static_selectorELNS0_4arch9wavefront6targetE0EEEvSI_, .Lfunc_end320-_ZN7rocprim17ROCPRIM_400000_NS6detail17trampoline_kernelINS0_14default_configENS1_35radix_sort_onesweep_config_selectorIiNS0_10empty_typeEEEZNS1_34radix_sort_onesweep_global_offsetsIS3_Lb1EN6thrust23THRUST_200600_302600_NS6detail15normal_iteratorINS9_10device_ptrIiEEEEPS5_jNS0_19identity_decomposerEEE10hipError_tT1_T2_PT3_SK_jT4_jjP12ihipStream_tbEUlT_E_NS1_11comp_targetILNS1_3genE5ELNS1_11target_archE942ELNS1_3gpuE9ELNS1_3repE0EEENS1_52radix_sort_onesweep_histogram_config_static_selectorELNS0_4arch9wavefront6targetE0EEEvSI_
                                        ; -- End function
	.set _ZN7rocprim17ROCPRIM_400000_NS6detail17trampoline_kernelINS0_14default_configENS1_35radix_sort_onesweep_config_selectorIiNS0_10empty_typeEEEZNS1_34radix_sort_onesweep_global_offsetsIS3_Lb1EN6thrust23THRUST_200600_302600_NS6detail15normal_iteratorINS9_10device_ptrIiEEEEPS5_jNS0_19identity_decomposerEEE10hipError_tT1_T2_PT3_SK_jT4_jjP12ihipStream_tbEUlT_E_NS1_11comp_targetILNS1_3genE5ELNS1_11target_archE942ELNS1_3gpuE9ELNS1_3repE0EEENS1_52radix_sort_onesweep_histogram_config_static_selectorELNS0_4arch9wavefront6targetE0EEEvSI_.num_vgpr, 0
	.set _ZN7rocprim17ROCPRIM_400000_NS6detail17trampoline_kernelINS0_14default_configENS1_35radix_sort_onesweep_config_selectorIiNS0_10empty_typeEEEZNS1_34radix_sort_onesweep_global_offsetsIS3_Lb1EN6thrust23THRUST_200600_302600_NS6detail15normal_iteratorINS9_10device_ptrIiEEEEPS5_jNS0_19identity_decomposerEEE10hipError_tT1_T2_PT3_SK_jT4_jjP12ihipStream_tbEUlT_E_NS1_11comp_targetILNS1_3genE5ELNS1_11target_archE942ELNS1_3gpuE9ELNS1_3repE0EEENS1_52radix_sort_onesweep_histogram_config_static_selectorELNS0_4arch9wavefront6targetE0EEEvSI_.num_agpr, 0
	.set _ZN7rocprim17ROCPRIM_400000_NS6detail17trampoline_kernelINS0_14default_configENS1_35radix_sort_onesweep_config_selectorIiNS0_10empty_typeEEEZNS1_34radix_sort_onesweep_global_offsetsIS3_Lb1EN6thrust23THRUST_200600_302600_NS6detail15normal_iteratorINS9_10device_ptrIiEEEEPS5_jNS0_19identity_decomposerEEE10hipError_tT1_T2_PT3_SK_jT4_jjP12ihipStream_tbEUlT_E_NS1_11comp_targetILNS1_3genE5ELNS1_11target_archE942ELNS1_3gpuE9ELNS1_3repE0EEENS1_52radix_sort_onesweep_histogram_config_static_selectorELNS0_4arch9wavefront6targetE0EEEvSI_.numbered_sgpr, 0
	.set _ZN7rocprim17ROCPRIM_400000_NS6detail17trampoline_kernelINS0_14default_configENS1_35radix_sort_onesweep_config_selectorIiNS0_10empty_typeEEEZNS1_34radix_sort_onesweep_global_offsetsIS3_Lb1EN6thrust23THRUST_200600_302600_NS6detail15normal_iteratorINS9_10device_ptrIiEEEEPS5_jNS0_19identity_decomposerEEE10hipError_tT1_T2_PT3_SK_jT4_jjP12ihipStream_tbEUlT_E_NS1_11comp_targetILNS1_3genE5ELNS1_11target_archE942ELNS1_3gpuE9ELNS1_3repE0EEENS1_52radix_sort_onesweep_histogram_config_static_selectorELNS0_4arch9wavefront6targetE0EEEvSI_.num_named_barrier, 0
	.set _ZN7rocprim17ROCPRIM_400000_NS6detail17trampoline_kernelINS0_14default_configENS1_35radix_sort_onesweep_config_selectorIiNS0_10empty_typeEEEZNS1_34radix_sort_onesweep_global_offsetsIS3_Lb1EN6thrust23THRUST_200600_302600_NS6detail15normal_iteratorINS9_10device_ptrIiEEEEPS5_jNS0_19identity_decomposerEEE10hipError_tT1_T2_PT3_SK_jT4_jjP12ihipStream_tbEUlT_E_NS1_11comp_targetILNS1_3genE5ELNS1_11target_archE942ELNS1_3gpuE9ELNS1_3repE0EEENS1_52radix_sort_onesweep_histogram_config_static_selectorELNS0_4arch9wavefront6targetE0EEEvSI_.private_seg_size, 0
	.set _ZN7rocprim17ROCPRIM_400000_NS6detail17trampoline_kernelINS0_14default_configENS1_35radix_sort_onesweep_config_selectorIiNS0_10empty_typeEEEZNS1_34radix_sort_onesweep_global_offsetsIS3_Lb1EN6thrust23THRUST_200600_302600_NS6detail15normal_iteratorINS9_10device_ptrIiEEEEPS5_jNS0_19identity_decomposerEEE10hipError_tT1_T2_PT3_SK_jT4_jjP12ihipStream_tbEUlT_E_NS1_11comp_targetILNS1_3genE5ELNS1_11target_archE942ELNS1_3gpuE9ELNS1_3repE0EEENS1_52radix_sort_onesweep_histogram_config_static_selectorELNS0_4arch9wavefront6targetE0EEEvSI_.uses_vcc, 0
	.set _ZN7rocprim17ROCPRIM_400000_NS6detail17trampoline_kernelINS0_14default_configENS1_35radix_sort_onesweep_config_selectorIiNS0_10empty_typeEEEZNS1_34radix_sort_onesweep_global_offsetsIS3_Lb1EN6thrust23THRUST_200600_302600_NS6detail15normal_iteratorINS9_10device_ptrIiEEEEPS5_jNS0_19identity_decomposerEEE10hipError_tT1_T2_PT3_SK_jT4_jjP12ihipStream_tbEUlT_E_NS1_11comp_targetILNS1_3genE5ELNS1_11target_archE942ELNS1_3gpuE9ELNS1_3repE0EEENS1_52radix_sort_onesweep_histogram_config_static_selectorELNS0_4arch9wavefront6targetE0EEEvSI_.uses_flat_scratch, 0
	.set _ZN7rocprim17ROCPRIM_400000_NS6detail17trampoline_kernelINS0_14default_configENS1_35radix_sort_onesweep_config_selectorIiNS0_10empty_typeEEEZNS1_34radix_sort_onesweep_global_offsetsIS3_Lb1EN6thrust23THRUST_200600_302600_NS6detail15normal_iteratorINS9_10device_ptrIiEEEEPS5_jNS0_19identity_decomposerEEE10hipError_tT1_T2_PT3_SK_jT4_jjP12ihipStream_tbEUlT_E_NS1_11comp_targetILNS1_3genE5ELNS1_11target_archE942ELNS1_3gpuE9ELNS1_3repE0EEENS1_52radix_sort_onesweep_histogram_config_static_selectorELNS0_4arch9wavefront6targetE0EEEvSI_.has_dyn_sized_stack, 0
	.set _ZN7rocprim17ROCPRIM_400000_NS6detail17trampoline_kernelINS0_14default_configENS1_35radix_sort_onesweep_config_selectorIiNS0_10empty_typeEEEZNS1_34radix_sort_onesweep_global_offsetsIS3_Lb1EN6thrust23THRUST_200600_302600_NS6detail15normal_iteratorINS9_10device_ptrIiEEEEPS5_jNS0_19identity_decomposerEEE10hipError_tT1_T2_PT3_SK_jT4_jjP12ihipStream_tbEUlT_E_NS1_11comp_targetILNS1_3genE5ELNS1_11target_archE942ELNS1_3gpuE9ELNS1_3repE0EEENS1_52radix_sort_onesweep_histogram_config_static_selectorELNS0_4arch9wavefront6targetE0EEEvSI_.has_recursion, 0
	.set _ZN7rocprim17ROCPRIM_400000_NS6detail17trampoline_kernelINS0_14default_configENS1_35radix_sort_onesweep_config_selectorIiNS0_10empty_typeEEEZNS1_34radix_sort_onesweep_global_offsetsIS3_Lb1EN6thrust23THRUST_200600_302600_NS6detail15normal_iteratorINS9_10device_ptrIiEEEEPS5_jNS0_19identity_decomposerEEE10hipError_tT1_T2_PT3_SK_jT4_jjP12ihipStream_tbEUlT_E_NS1_11comp_targetILNS1_3genE5ELNS1_11target_archE942ELNS1_3gpuE9ELNS1_3repE0EEENS1_52radix_sort_onesweep_histogram_config_static_selectorELNS0_4arch9wavefront6targetE0EEEvSI_.has_indirect_call, 0
	.section	.AMDGPU.csdata,"",@progbits
; Kernel info:
; codeLenInByte = 0
; TotalNumSgprs: 0
; NumVgprs: 0
; ScratchSize: 0
; MemoryBound: 0
; FloatMode: 240
; IeeeMode: 1
; LDSByteSize: 0 bytes/workgroup (compile time only)
; SGPRBlocks: 0
; VGPRBlocks: 0
; NumSGPRsForWavesPerEU: 1
; NumVGPRsForWavesPerEU: 1
; Occupancy: 16
; WaveLimiterHint : 0
; COMPUTE_PGM_RSRC2:SCRATCH_EN: 0
; COMPUTE_PGM_RSRC2:USER_SGPR: 6
; COMPUTE_PGM_RSRC2:TRAP_HANDLER: 0
; COMPUTE_PGM_RSRC2:TGID_X_EN: 1
; COMPUTE_PGM_RSRC2:TGID_Y_EN: 0
; COMPUTE_PGM_RSRC2:TGID_Z_EN: 0
; COMPUTE_PGM_RSRC2:TIDIG_COMP_CNT: 0
	.section	.text._ZN7rocprim17ROCPRIM_400000_NS6detail17trampoline_kernelINS0_14default_configENS1_35radix_sort_onesweep_config_selectorIiNS0_10empty_typeEEEZNS1_34radix_sort_onesweep_global_offsetsIS3_Lb1EN6thrust23THRUST_200600_302600_NS6detail15normal_iteratorINS9_10device_ptrIiEEEEPS5_jNS0_19identity_decomposerEEE10hipError_tT1_T2_PT3_SK_jT4_jjP12ihipStream_tbEUlT_E_NS1_11comp_targetILNS1_3genE2ELNS1_11target_archE906ELNS1_3gpuE6ELNS1_3repE0EEENS1_52radix_sort_onesweep_histogram_config_static_selectorELNS0_4arch9wavefront6targetE0EEEvSI_,"axG",@progbits,_ZN7rocprim17ROCPRIM_400000_NS6detail17trampoline_kernelINS0_14default_configENS1_35radix_sort_onesweep_config_selectorIiNS0_10empty_typeEEEZNS1_34radix_sort_onesweep_global_offsetsIS3_Lb1EN6thrust23THRUST_200600_302600_NS6detail15normal_iteratorINS9_10device_ptrIiEEEEPS5_jNS0_19identity_decomposerEEE10hipError_tT1_T2_PT3_SK_jT4_jjP12ihipStream_tbEUlT_E_NS1_11comp_targetILNS1_3genE2ELNS1_11target_archE906ELNS1_3gpuE6ELNS1_3repE0EEENS1_52radix_sort_onesweep_histogram_config_static_selectorELNS0_4arch9wavefront6targetE0EEEvSI_,comdat
	.protected	_ZN7rocprim17ROCPRIM_400000_NS6detail17trampoline_kernelINS0_14default_configENS1_35radix_sort_onesweep_config_selectorIiNS0_10empty_typeEEEZNS1_34radix_sort_onesweep_global_offsetsIS3_Lb1EN6thrust23THRUST_200600_302600_NS6detail15normal_iteratorINS9_10device_ptrIiEEEEPS5_jNS0_19identity_decomposerEEE10hipError_tT1_T2_PT3_SK_jT4_jjP12ihipStream_tbEUlT_E_NS1_11comp_targetILNS1_3genE2ELNS1_11target_archE906ELNS1_3gpuE6ELNS1_3repE0EEENS1_52radix_sort_onesweep_histogram_config_static_selectorELNS0_4arch9wavefront6targetE0EEEvSI_ ; -- Begin function _ZN7rocprim17ROCPRIM_400000_NS6detail17trampoline_kernelINS0_14default_configENS1_35radix_sort_onesweep_config_selectorIiNS0_10empty_typeEEEZNS1_34radix_sort_onesweep_global_offsetsIS3_Lb1EN6thrust23THRUST_200600_302600_NS6detail15normal_iteratorINS9_10device_ptrIiEEEEPS5_jNS0_19identity_decomposerEEE10hipError_tT1_T2_PT3_SK_jT4_jjP12ihipStream_tbEUlT_E_NS1_11comp_targetILNS1_3genE2ELNS1_11target_archE906ELNS1_3gpuE6ELNS1_3repE0EEENS1_52radix_sort_onesweep_histogram_config_static_selectorELNS0_4arch9wavefront6targetE0EEEvSI_
	.globl	_ZN7rocprim17ROCPRIM_400000_NS6detail17trampoline_kernelINS0_14default_configENS1_35radix_sort_onesweep_config_selectorIiNS0_10empty_typeEEEZNS1_34radix_sort_onesweep_global_offsetsIS3_Lb1EN6thrust23THRUST_200600_302600_NS6detail15normal_iteratorINS9_10device_ptrIiEEEEPS5_jNS0_19identity_decomposerEEE10hipError_tT1_T2_PT3_SK_jT4_jjP12ihipStream_tbEUlT_E_NS1_11comp_targetILNS1_3genE2ELNS1_11target_archE906ELNS1_3gpuE6ELNS1_3repE0EEENS1_52radix_sort_onesweep_histogram_config_static_selectorELNS0_4arch9wavefront6targetE0EEEvSI_
	.p2align	8
	.type	_ZN7rocprim17ROCPRIM_400000_NS6detail17trampoline_kernelINS0_14default_configENS1_35radix_sort_onesweep_config_selectorIiNS0_10empty_typeEEEZNS1_34radix_sort_onesweep_global_offsetsIS3_Lb1EN6thrust23THRUST_200600_302600_NS6detail15normal_iteratorINS9_10device_ptrIiEEEEPS5_jNS0_19identity_decomposerEEE10hipError_tT1_T2_PT3_SK_jT4_jjP12ihipStream_tbEUlT_E_NS1_11comp_targetILNS1_3genE2ELNS1_11target_archE906ELNS1_3gpuE6ELNS1_3repE0EEENS1_52radix_sort_onesweep_histogram_config_static_selectorELNS0_4arch9wavefront6targetE0EEEvSI_,@function
_ZN7rocprim17ROCPRIM_400000_NS6detail17trampoline_kernelINS0_14default_configENS1_35radix_sort_onesweep_config_selectorIiNS0_10empty_typeEEEZNS1_34radix_sort_onesweep_global_offsetsIS3_Lb1EN6thrust23THRUST_200600_302600_NS6detail15normal_iteratorINS9_10device_ptrIiEEEEPS5_jNS0_19identity_decomposerEEE10hipError_tT1_T2_PT3_SK_jT4_jjP12ihipStream_tbEUlT_E_NS1_11comp_targetILNS1_3genE2ELNS1_11target_archE906ELNS1_3gpuE6ELNS1_3repE0EEENS1_52radix_sort_onesweep_histogram_config_static_selectorELNS0_4arch9wavefront6targetE0EEEvSI_: ; @_ZN7rocprim17ROCPRIM_400000_NS6detail17trampoline_kernelINS0_14default_configENS1_35radix_sort_onesweep_config_selectorIiNS0_10empty_typeEEEZNS1_34radix_sort_onesweep_global_offsetsIS3_Lb1EN6thrust23THRUST_200600_302600_NS6detail15normal_iteratorINS9_10device_ptrIiEEEEPS5_jNS0_19identity_decomposerEEE10hipError_tT1_T2_PT3_SK_jT4_jjP12ihipStream_tbEUlT_E_NS1_11comp_targetILNS1_3genE2ELNS1_11target_archE906ELNS1_3gpuE6ELNS1_3repE0EEENS1_52radix_sort_onesweep_histogram_config_static_selectorELNS0_4arch9wavefront6targetE0EEEvSI_
; %bb.0:
	.section	.rodata,"a",@progbits
	.p2align	6, 0x0
	.amdhsa_kernel _ZN7rocprim17ROCPRIM_400000_NS6detail17trampoline_kernelINS0_14default_configENS1_35radix_sort_onesweep_config_selectorIiNS0_10empty_typeEEEZNS1_34radix_sort_onesweep_global_offsetsIS3_Lb1EN6thrust23THRUST_200600_302600_NS6detail15normal_iteratorINS9_10device_ptrIiEEEEPS5_jNS0_19identity_decomposerEEE10hipError_tT1_T2_PT3_SK_jT4_jjP12ihipStream_tbEUlT_E_NS1_11comp_targetILNS1_3genE2ELNS1_11target_archE906ELNS1_3gpuE6ELNS1_3repE0EEENS1_52radix_sort_onesweep_histogram_config_static_selectorELNS0_4arch9wavefront6targetE0EEEvSI_
		.amdhsa_group_segment_fixed_size 0
		.amdhsa_private_segment_fixed_size 0
		.amdhsa_kernarg_size 40
		.amdhsa_user_sgpr_count 6
		.amdhsa_user_sgpr_private_segment_buffer 1
		.amdhsa_user_sgpr_dispatch_ptr 0
		.amdhsa_user_sgpr_queue_ptr 0
		.amdhsa_user_sgpr_kernarg_segment_ptr 1
		.amdhsa_user_sgpr_dispatch_id 0
		.amdhsa_user_sgpr_flat_scratch_init 0
		.amdhsa_user_sgpr_private_segment_size 0
		.amdhsa_wavefront_size32 1
		.amdhsa_uses_dynamic_stack 0
		.amdhsa_system_sgpr_private_segment_wavefront_offset 0
		.amdhsa_system_sgpr_workgroup_id_x 1
		.amdhsa_system_sgpr_workgroup_id_y 0
		.amdhsa_system_sgpr_workgroup_id_z 0
		.amdhsa_system_sgpr_workgroup_info 0
		.amdhsa_system_vgpr_workitem_id 0
		.amdhsa_next_free_vgpr 1
		.amdhsa_next_free_sgpr 1
		.amdhsa_reserve_vcc 0
		.amdhsa_reserve_flat_scratch 0
		.amdhsa_float_round_mode_32 0
		.amdhsa_float_round_mode_16_64 0
		.amdhsa_float_denorm_mode_32 3
		.amdhsa_float_denorm_mode_16_64 3
		.amdhsa_dx10_clamp 1
		.amdhsa_ieee_mode 1
		.amdhsa_fp16_overflow 0
		.amdhsa_workgroup_processor_mode 1
		.amdhsa_memory_ordered 1
		.amdhsa_forward_progress 1
		.amdhsa_shared_vgpr_count 0
		.amdhsa_exception_fp_ieee_invalid_op 0
		.amdhsa_exception_fp_denorm_src 0
		.amdhsa_exception_fp_ieee_div_zero 0
		.amdhsa_exception_fp_ieee_overflow 0
		.amdhsa_exception_fp_ieee_underflow 0
		.amdhsa_exception_fp_ieee_inexact 0
		.amdhsa_exception_int_div_zero 0
	.end_amdhsa_kernel
	.section	.text._ZN7rocprim17ROCPRIM_400000_NS6detail17trampoline_kernelINS0_14default_configENS1_35radix_sort_onesweep_config_selectorIiNS0_10empty_typeEEEZNS1_34radix_sort_onesweep_global_offsetsIS3_Lb1EN6thrust23THRUST_200600_302600_NS6detail15normal_iteratorINS9_10device_ptrIiEEEEPS5_jNS0_19identity_decomposerEEE10hipError_tT1_T2_PT3_SK_jT4_jjP12ihipStream_tbEUlT_E_NS1_11comp_targetILNS1_3genE2ELNS1_11target_archE906ELNS1_3gpuE6ELNS1_3repE0EEENS1_52radix_sort_onesweep_histogram_config_static_selectorELNS0_4arch9wavefront6targetE0EEEvSI_,"axG",@progbits,_ZN7rocprim17ROCPRIM_400000_NS6detail17trampoline_kernelINS0_14default_configENS1_35radix_sort_onesweep_config_selectorIiNS0_10empty_typeEEEZNS1_34radix_sort_onesweep_global_offsetsIS3_Lb1EN6thrust23THRUST_200600_302600_NS6detail15normal_iteratorINS9_10device_ptrIiEEEEPS5_jNS0_19identity_decomposerEEE10hipError_tT1_T2_PT3_SK_jT4_jjP12ihipStream_tbEUlT_E_NS1_11comp_targetILNS1_3genE2ELNS1_11target_archE906ELNS1_3gpuE6ELNS1_3repE0EEENS1_52radix_sort_onesweep_histogram_config_static_selectorELNS0_4arch9wavefront6targetE0EEEvSI_,comdat
.Lfunc_end321:
	.size	_ZN7rocprim17ROCPRIM_400000_NS6detail17trampoline_kernelINS0_14default_configENS1_35radix_sort_onesweep_config_selectorIiNS0_10empty_typeEEEZNS1_34radix_sort_onesweep_global_offsetsIS3_Lb1EN6thrust23THRUST_200600_302600_NS6detail15normal_iteratorINS9_10device_ptrIiEEEEPS5_jNS0_19identity_decomposerEEE10hipError_tT1_T2_PT3_SK_jT4_jjP12ihipStream_tbEUlT_E_NS1_11comp_targetILNS1_3genE2ELNS1_11target_archE906ELNS1_3gpuE6ELNS1_3repE0EEENS1_52radix_sort_onesweep_histogram_config_static_selectorELNS0_4arch9wavefront6targetE0EEEvSI_, .Lfunc_end321-_ZN7rocprim17ROCPRIM_400000_NS6detail17trampoline_kernelINS0_14default_configENS1_35radix_sort_onesweep_config_selectorIiNS0_10empty_typeEEEZNS1_34radix_sort_onesweep_global_offsetsIS3_Lb1EN6thrust23THRUST_200600_302600_NS6detail15normal_iteratorINS9_10device_ptrIiEEEEPS5_jNS0_19identity_decomposerEEE10hipError_tT1_T2_PT3_SK_jT4_jjP12ihipStream_tbEUlT_E_NS1_11comp_targetILNS1_3genE2ELNS1_11target_archE906ELNS1_3gpuE6ELNS1_3repE0EEENS1_52radix_sort_onesweep_histogram_config_static_selectorELNS0_4arch9wavefront6targetE0EEEvSI_
                                        ; -- End function
	.set _ZN7rocprim17ROCPRIM_400000_NS6detail17trampoline_kernelINS0_14default_configENS1_35radix_sort_onesweep_config_selectorIiNS0_10empty_typeEEEZNS1_34radix_sort_onesweep_global_offsetsIS3_Lb1EN6thrust23THRUST_200600_302600_NS6detail15normal_iteratorINS9_10device_ptrIiEEEEPS5_jNS0_19identity_decomposerEEE10hipError_tT1_T2_PT3_SK_jT4_jjP12ihipStream_tbEUlT_E_NS1_11comp_targetILNS1_3genE2ELNS1_11target_archE906ELNS1_3gpuE6ELNS1_3repE0EEENS1_52radix_sort_onesweep_histogram_config_static_selectorELNS0_4arch9wavefront6targetE0EEEvSI_.num_vgpr, 0
	.set _ZN7rocprim17ROCPRIM_400000_NS6detail17trampoline_kernelINS0_14default_configENS1_35radix_sort_onesweep_config_selectorIiNS0_10empty_typeEEEZNS1_34radix_sort_onesweep_global_offsetsIS3_Lb1EN6thrust23THRUST_200600_302600_NS6detail15normal_iteratorINS9_10device_ptrIiEEEEPS5_jNS0_19identity_decomposerEEE10hipError_tT1_T2_PT3_SK_jT4_jjP12ihipStream_tbEUlT_E_NS1_11comp_targetILNS1_3genE2ELNS1_11target_archE906ELNS1_3gpuE6ELNS1_3repE0EEENS1_52radix_sort_onesweep_histogram_config_static_selectorELNS0_4arch9wavefront6targetE0EEEvSI_.num_agpr, 0
	.set _ZN7rocprim17ROCPRIM_400000_NS6detail17trampoline_kernelINS0_14default_configENS1_35radix_sort_onesweep_config_selectorIiNS0_10empty_typeEEEZNS1_34radix_sort_onesweep_global_offsetsIS3_Lb1EN6thrust23THRUST_200600_302600_NS6detail15normal_iteratorINS9_10device_ptrIiEEEEPS5_jNS0_19identity_decomposerEEE10hipError_tT1_T2_PT3_SK_jT4_jjP12ihipStream_tbEUlT_E_NS1_11comp_targetILNS1_3genE2ELNS1_11target_archE906ELNS1_3gpuE6ELNS1_3repE0EEENS1_52radix_sort_onesweep_histogram_config_static_selectorELNS0_4arch9wavefront6targetE0EEEvSI_.numbered_sgpr, 0
	.set _ZN7rocprim17ROCPRIM_400000_NS6detail17trampoline_kernelINS0_14default_configENS1_35radix_sort_onesweep_config_selectorIiNS0_10empty_typeEEEZNS1_34radix_sort_onesweep_global_offsetsIS3_Lb1EN6thrust23THRUST_200600_302600_NS6detail15normal_iteratorINS9_10device_ptrIiEEEEPS5_jNS0_19identity_decomposerEEE10hipError_tT1_T2_PT3_SK_jT4_jjP12ihipStream_tbEUlT_E_NS1_11comp_targetILNS1_3genE2ELNS1_11target_archE906ELNS1_3gpuE6ELNS1_3repE0EEENS1_52radix_sort_onesweep_histogram_config_static_selectorELNS0_4arch9wavefront6targetE0EEEvSI_.num_named_barrier, 0
	.set _ZN7rocprim17ROCPRIM_400000_NS6detail17trampoline_kernelINS0_14default_configENS1_35radix_sort_onesweep_config_selectorIiNS0_10empty_typeEEEZNS1_34radix_sort_onesweep_global_offsetsIS3_Lb1EN6thrust23THRUST_200600_302600_NS6detail15normal_iteratorINS9_10device_ptrIiEEEEPS5_jNS0_19identity_decomposerEEE10hipError_tT1_T2_PT3_SK_jT4_jjP12ihipStream_tbEUlT_E_NS1_11comp_targetILNS1_3genE2ELNS1_11target_archE906ELNS1_3gpuE6ELNS1_3repE0EEENS1_52radix_sort_onesweep_histogram_config_static_selectorELNS0_4arch9wavefront6targetE0EEEvSI_.private_seg_size, 0
	.set _ZN7rocprim17ROCPRIM_400000_NS6detail17trampoline_kernelINS0_14default_configENS1_35radix_sort_onesweep_config_selectorIiNS0_10empty_typeEEEZNS1_34radix_sort_onesweep_global_offsetsIS3_Lb1EN6thrust23THRUST_200600_302600_NS6detail15normal_iteratorINS9_10device_ptrIiEEEEPS5_jNS0_19identity_decomposerEEE10hipError_tT1_T2_PT3_SK_jT4_jjP12ihipStream_tbEUlT_E_NS1_11comp_targetILNS1_3genE2ELNS1_11target_archE906ELNS1_3gpuE6ELNS1_3repE0EEENS1_52radix_sort_onesweep_histogram_config_static_selectorELNS0_4arch9wavefront6targetE0EEEvSI_.uses_vcc, 0
	.set _ZN7rocprim17ROCPRIM_400000_NS6detail17trampoline_kernelINS0_14default_configENS1_35radix_sort_onesweep_config_selectorIiNS0_10empty_typeEEEZNS1_34radix_sort_onesweep_global_offsetsIS3_Lb1EN6thrust23THRUST_200600_302600_NS6detail15normal_iteratorINS9_10device_ptrIiEEEEPS5_jNS0_19identity_decomposerEEE10hipError_tT1_T2_PT3_SK_jT4_jjP12ihipStream_tbEUlT_E_NS1_11comp_targetILNS1_3genE2ELNS1_11target_archE906ELNS1_3gpuE6ELNS1_3repE0EEENS1_52radix_sort_onesweep_histogram_config_static_selectorELNS0_4arch9wavefront6targetE0EEEvSI_.uses_flat_scratch, 0
	.set _ZN7rocprim17ROCPRIM_400000_NS6detail17trampoline_kernelINS0_14default_configENS1_35radix_sort_onesweep_config_selectorIiNS0_10empty_typeEEEZNS1_34radix_sort_onesweep_global_offsetsIS3_Lb1EN6thrust23THRUST_200600_302600_NS6detail15normal_iteratorINS9_10device_ptrIiEEEEPS5_jNS0_19identity_decomposerEEE10hipError_tT1_T2_PT3_SK_jT4_jjP12ihipStream_tbEUlT_E_NS1_11comp_targetILNS1_3genE2ELNS1_11target_archE906ELNS1_3gpuE6ELNS1_3repE0EEENS1_52radix_sort_onesweep_histogram_config_static_selectorELNS0_4arch9wavefront6targetE0EEEvSI_.has_dyn_sized_stack, 0
	.set _ZN7rocprim17ROCPRIM_400000_NS6detail17trampoline_kernelINS0_14default_configENS1_35radix_sort_onesweep_config_selectorIiNS0_10empty_typeEEEZNS1_34radix_sort_onesweep_global_offsetsIS3_Lb1EN6thrust23THRUST_200600_302600_NS6detail15normal_iteratorINS9_10device_ptrIiEEEEPS5_jNS0_19identity_decomposerEEE10hipError_tT1_T2_PT3_SK_jT4_jjP12ihipStream_tbEUlT_E_NS1_11comp_targetILNS1_3genE2ELNS1_11target_archE906ELNS1_3gpuE6ELNS1_3repE0EEENS1_52radix_sort_onesweep_histogram_config_static_selectorELNS0_4arch9wavefront6targetE0EEEvSI_.has_recursion, 0
	.set _ZN7rocprim17ROCPRIM_400000_NS6detail17trampoline_kernelINS0_14default_configENS1_35radix_sort_onesweep_config_selectorIiNS0_10empty_typeEEEZNS1_34radix_sort_onesweep_global_offsetsIS3_Lb1EN6thrust23THRUST_200600_302600_NS6detail15normal_iteratorINS9_10device_ptrIiEEEEPS5_jNS0_19identity_decomposerEEE10hipError_tT1_T2_PT3_SK_jT4_jjP12ihipStream_tbEUlT_E_NS1_11comp_targetILNS1_3genE2ELNS1_11target_archE906ELNS1_3gpuE6ELNS1_3repE0EEENS1_52radix_sort_onesweep_histogram_config_static_selectorELNS0_4arch9wavefront6targetE0EEEvSI_.has_indirect_call, 0
	.section	.AMDGPU.csdata,"",@progbits
; Kernel info:
; codeLenInByte = 0
; TotalNumSgprs: 0
; NumVgprs: 0
; ScratchSize: 0
; MemoryBound: 0
; FloatMode: 240
; IeeeMode: 1
; LDSByteSize: 0 bytes/workgroup (compile time only)
; SGPRBlocks: 0
; VGPRBlocks: 0
; NumSGPRsForWavesPerEU: 1
; NumVGPRsForWavesPerEU: 1
; Occupancy: 16
; WaveLimiterHint : 0
; COMPUTE_PGM_RSRC2:SCRATCH_EN: 0
; COMPUTE_PGM_RSRC2:USER_SGPR: 6
; COMPUTE_PGM_RSRC2:TRAP_HANDLER: 0
; COMPUTE_PGM_RSRC2:TGID_X_EN: 1
; COMPUTE_PGM_RSRC2:TGID_Y_EN: 0
; COMPUTE_PGM_RSRC2:TGID_Z_EN: 0
; COMPUTE_PGM_RSRC2:TIDIG_COMP_CNT: 0
	.section	.text._ZN7rocprim17ROCPRIM_400000_NS6detail17trampoline_kernelINS0_14default_configENS1_35radix_sort_onesweep_config_selectorIiNS0_10empty_typeEEEZNS1_34radix_sort_onesweep_global_offsetsIS3_Lb1EN6thrust23THRUST_200600_302600_NS6detail15normal_iteratorINS9_10device_ptrIiEEEEPS5_jNS0_19identity_decomposerEEE10hipError_tT1_T2_PT3_SK_jT4_jjP12ihipStream_tbEUlT_E_NS1_11comp_targetILNS1_3genE4ELNS1_11target_archE910ELNS1_3gpuE8ELNS1_3repE0EEENS1_52radix_sort_onesweep_histogram_config_static_selectorELNS0_4arch9wavefront6targetE0EEEvSI_,"axG",@progbits,_ZN7rocprim17ROCPRIM_400000_NS6detail17trampoline_kernelINS0_14default_configENS1_35radix_sort_onesweep_config_selectorIiNS0_10empty_typeEEEZNS1_34radix_sort_onesweep_global_offsetsIS3_Lb1EN6thrust23THRUST_200600_302600_NS6detail15normal_iteratorINS9_10device_ptrIiEEEEPS5_jNS0_19identity_decomposerEEE10hipError_tT1_T2_PT3_SK_jT4_jjP12ihipStream_tbEUlT_E_NS1_11comp_targetILNS1_3genE4ELNS1_11target_archE910ELNS1_3gpuE8ELNS1_3repE0EEENS1_52radix_sort_onesweep_histogram_config_static_selectorELNS0_4arch9wavefront6targetE0EEEvSI_,comdat
	.protected	_ZN7rocprim17ROCPRIM_400000_NS6detail17trampoline_kernelINS0_14default_configENS1_35radix_sort_onesweep_config_selectorIiNS0_10empty_typeEEEZNS1_34radix_sort_onesweep_global_offsetsIS3_Lb1EN6thrust23THRUST_200600_302600_NS6detail15normal_iteratorINS9_10device_ptrIiEEEEPS5_jNS0_19identity_decomposerEEE10hipError_tT1_T2_PT3_SK_jT4_jjP12ihipStream_tbEUlT_E_NS1_11comp_targetILNS1_3genE4ELNS1_11target_archE910ELNS1_3gpuE8ELNS1_3repE0EEENS1_52radix_sort_onesweep_histogram_config_static_selectorELNS0_4arch9wavefront6targetE0EEEvSI_ ; -- Begin function _ZN7rocprim17ROCPRIM_400000_NS6detail17trampoline_kernelINS0_14default_configENS1_35radix_sort_onesweep_config_selectorIiNS0_10empty_typeEEEZNS1_34radix_sort_onesweep_global_offsetsIS3_Lb1EN6thrust23THRUST_200600_302600_NS6detail15normal_iteratorINS9_10device_ptrIiEEEEPS5_jNS0_19identity_decomposerEEE10hipError_tT1_T2_PT3_SK_jT4_jjP12ihipStream_tbEUlT_E_NS1_11comp_targetILNS1_3genE4ELNS1_11target_archE910ELNS1_3gpuE8ELNS1_3repE0EEENS1_52radix_sort_onesweep_histogram_config_static_selectorELNS0_4arch9wavefront6targetE0EEEvSI_
	.globl	_ZN7rocprim17ROCPRIM_400000_NS6detail17trampoline_kernelINS0_14default_configENS1_35radix_sort_onesweep_config_selectorIiNS0_10empty_typeEEEZNS1_34radix_sort_onesweep_global_offsetsIS3_Lb1EN6thrust23THRUST_200600_302600_NS6detail15normal_iteratorINS9_10device_ptrIiEEEEPS5_jNS0_19identity_decomposerEEE10hipError_tT1_T2_PT3_SK_jT4_jjP12ihipStream_tbEUlT_E_NS1_11comp_targetILNS1_3genE4ELNS1_11target_archE910ELNS1_3gpuE8ELNS1_3repE0EEENS1_52radix_sort_onesweep_histogram_config_static_selectorELNS0_4arch9wavefront6targetE0EEEvSI_
	.p2align	8
	.type	_ZN7rocprim17ROCPRIM_400000_NS6detail17trampoline_kernelINS0_14default_configENS1_35radix_sort_onesweep_config_selectorIiNS0_10empty_typeEEEZNS1_34radix_sort_onesweep_global_offsetsIS3_Lb1EN6thrust23THRUST_200600_302600_NS6detail15normal_iteratorINS9_10device_ptrIiEEEEPS5_jNS0_19identity_decomposerEEE10hipError_tT1_T2_PT3_SK_jT4_jjP12ihipStream_tbEUlT_E_NS1_11comp_targetILNS1_3genE4ELNS1_11target_archE910ELNS1_3gpuE8ELNS1_3repE0EEENS1_52radix_sort_onesweep_histogram_config_static_selectorELNS0_4arch9wavefront6targetE0EEEvSI_,@function
_ZN7rocprim17ROCPRIM_400000_NS6detail17trampoline_kernelINS0_14default_configENS1_35radix_sort_onesweep_config_selectorIiNS0_10empty_typeEEEZNS1_34radix_sort_onesweep_global_offsetsIS3_Lb1EN6thrust23THRUST_200600_302600_NS6detail15normal_iteratorINS9_10device_ptrIiEEEEPS5_jNS0_19identity_decomposerEEE10hipError_tT1_T2_PT3_SK_jT4_jjP12ihipStream_tbEUlT_E_NS1_11comp_targetILNS1_3genE4ELNS1_11target_archE910ELNS1_3gpuE8ELNS1_3repE0EEENS1_52radix_sort_onesweep_histogram_config_static_selectorELNS0_4arch9wavefront6targetE0EEEvSI_: ; @_ZN7rocprim17ROCPRIM_400000_NS6detail17trampoline_kernelINS0_14default_configENS1_35radix_sort_onesweep_config_selectorIiNS0_10empty_typeEEEZNS1_34radix_sort_onesweep_global_offsetsIS3_Lb1EN6thrust23THRUST_200600_302600_NS6detail15normal_iteratorINS9_10device_ptrIiEEEEPS5_jNS0_19identity_decomposerEEE10hipError_tT1_T2_PT3_SK_jT4_jjP12ihipStream_tbEUlT_E_NS1_11comp_targetILNS1_3genE4ELNS1_11target_archE910ELNS1_3gpuE8ELNS1_3repE0EEENS1_52radix_sort_onesweep_histogram_config_static_selectorELNS0_4arch9wavefront6targetE0EEEvSI_
; %bb.0:
	.section	.rodata,"a",@progbits
	.p2align	6, 0x0
	.amdhsa_kernel _ZN7rocprim17ROCPRIM_400000_NS6detail17trampoline_kernelINS0_14default_configENS1_35radix_sort_onesweep_config_selectorIiNS0_10empty_typeEEEZNS1_34radix_sort_onesweep_global_offsetsIS3_Lb1EN6thrust23THRUST_200600_302600_NS6detail15normal_iteratorINS9_10device_ptrIiEEEEPS5_jNS0_19identity_decomposerEEE10hipError_tT1_T2_PT3_SK_jT4_jjP12ihipStream_tbEUlT_E_NS1_11comp_targetILNS1_3genE4ELNS1_11target_archE910ELNS1_3gpuE8ELNS1_3repE0EEENS1_52radix_sort_onesweep_histogram_config_static_selectorELNS0_4arch9wavefront6targetE0EEEvSI_
		.amdhsa_group_segment_fixed_size 0
		.amdhsa_private_segment_fixed_size 0
		.amdhsa_kernarg_size 40
		.amdhsa_user_sgpr_count 6
		.amdhsa_user_sgpr_private_segment_buffer 1
		.amdhsa_user_sgpr_dispatch_ptr 0
		.amdhsa_user_sgpr_queue_ptr 0
		.amdhsa_user_sgpr_kernarg_segment_ptr 1
		.amdhsa_user_sgpr_dispatch_id 0
		.amdhsa_user_sgpr_flat_scratch_init 0
		.amdhsa_user_sgpr_private_segment_size 0
		.amdhsa_wavefront_size32 1
		.amdhsa_uses_dynamic_stack 0
		.amdhsa_system_sgpr_private_segment_wavefront_offset 0
		.amdhsa_system_sgpr_workgroup_id_x 1
		.amdhsa_system_sgpr_workgroup_id_y 0
		.amdhsa_system_sgpr_workgroup_id_z 0
		.amdhsa_system_sgpr_workgroup_info 0
		.amdhsa_system_vgpr_workitem_id 0
		.amdhsa_next_free_vgpr 1
		.amdhsa_next_free_sgpr 1
		.amdhsa_reserve_vcc 0
		.amdhsa_reserve_flat_scratch 0
		.amdhsa_float_round_mode_32 0
		.amdhsa_float_round_mode_16_64 0
		.amdhsa_float_denorm_mode_32 3
		.amdhsa_float_denorm_mode_16_64 3
		.amdhsa_dx10_clamp 1
		.amdhsa_ieee_mode 1
		.amdhsa_fp16_overflow 0
		.amdhsa_workgroup_processor_mode 1
		.amdhsa_memory_ordered 1
		.amdhsa_forward_progress 1
		.amdhsa_shared_vgpr_count 0
		.amdhsa_exception_fp_ieee_invalid_op 0
		.amdhsa_exception_fp_denorm_src 0
		.amdhsa_exception_fp_ieee_div_zero 0
		.amdhsa_exception_fp_ieee_overflow 0
		.amdhsa_exception_fp_ieee_underflow 0
		.amdhsa_exception_fp_ieee_inexact 0
		.amdhsa_exception_int_div_zero 0
	.end_amdhsa_kernel
	.section	.text._ZN7rocprim17ROCPRIM_400000_NS6detail17trampoline_kernelINS0_14default_configENS1_35radix_sort_onesweep_config_selectorIiNS0_10empty_typeEEEZNS1_34radix_sort_onesweep_global_offsetsIS3_Lb1EN6thrust23THRUST_200600_302600_NS6detail15normal_iteratorINS9_10device_ptrIiEEEEPS5_jNS0_19identity_decomposerEEE10hipError_tT1_T2_PT3_SK_jT4_jjP12ihipStream_tbEUlT_E_NS1_11comp_targetILNS1_3genE4ELNS1_11target_archE910ELNS1_3gpuE8ELNS1_3repE0EEENS1_52radix_sort_onesweep_histogram_config_static_selectorELNS0_4arch9wavefront6targetE0EEEvSI_,"axG",@progbits,_ZN7rocprim17ROCPRIM_400000_NS6detail17trampoline_kernelINS0_14default_configENS1_35radix_sort_onesweep_config_selectorIiNS0_10empty_typeEEEZNS1_34radix_sort_onesweep_global_offsetsIS3_Lb1EN6thrust23THRUST_200600_302600_NS6detail15normal_iteratorINS9_10device_ptrIiEEEEPS5_jNS0_19identity_decomposerEEE10hipError_tT1_T2_PT3_SK_jT4_jjP12ihipStream_tbEUlT_E_NS1_11comp_targetILNS1_3genE4ELNS1_11target_archE910ELNS1_3gpuE8ELNS1_3repE0EEENS1_52radix_sort_onesweep_histogram_config_static_selectorELNS0_4arch9wavefront6targetE0EEEvSI_,comdat
.Lfunc_end322:
	.size	_ZN7rocprim17ROCPRIM_400000_NS6detail17trampoline_kernelINS0_14default_configENS1_35radix_sort_onesweep_config_selectorIiNS0_10empty_typeEEEZNS1_34radix_sort_onesweep_global_offsetsIS3_Lb1EN6thrust23THRUST_200600_302600_NS6detail15normal_iteratorINS9_10device_ptrIiEEEEPS5_jNS0_19identity_decomposerEEE10hipError_tT1_T2_PT3_SK_jT4_jjP12ihipStream_tbEUlT_E_NS1_11comp_targetILNS1_3genE4ELNS1_11target_archE910ELNS1_3gpuE8ELNS1_3repE0EEENS1_52radix_sort_onesweep_histogram_config_static_selectorELNS0_4arch9wavefront6targetE0EEEvSI_, .Lfunc_end322-_ZN7rocprim17ROCPRIM_400000_NS6detail17trampoline_kernelINS0_14default_configENS1_35radix_sort_onesweep_config_selectorIiNS0_10empty_typeEEEZNS1_34radix_sort_onesweep_global_offsetsIS3_Lb1EN6thrust23THRUST_200600_302600_NS6detail15normal_iteratorINS9_10device_ptrIiEEEEPS5_jNS0_19identity_decomposerEEE10hipError_tT1_T2_PT3_SK_jT4_jjP12ihipStream_tbEUlT_E_NS1_11comp_targetILNS1_3genE4ELNS1_11target_archE910ELNS1_3gpuE8ELNS1_3repE0EEENS1_52radix_sort_onesweep_histogram_config_static_selectorELNS0_4arch9wavefront6targetE0EEEvSI_
                                        ; -- End function
	.set _ZN7rocprim17ROCPRIM_400000_NS6detail17trampoline_kernelINS0_14default_configENS1_35radix_sort_onesweep_config_selectorIiNS0_10empty_typeEEEZNS1_34radix_sort_onesweep_global_offsetsIS3_Lb1EN6thrust23THRUST_200600_302600_NS6detail15normal_iteratorINS9_10device_ptrIiEEEEPS5_jNS0_19identity_decomposerEEE10hipError_tT1_T2_PT3_SK_jT4_jjP12ihipStream_tbEUlT_E_NS1_11comp_targetILNS1_3genE4ELNS1_11target_archE910ELNS1_3gpuE8ELNS1_3repE0EEENS1_52radix_sort_onesweep_histogram_config_static_selectorELNS0_4arch9wavefront6targetE0EEEvSI_.num_vgpr, 0
	.set _ZN7rocprim17ROCPRIM_400000_NS6detail17trampoline_kernelINS0_14default_configENS1_35radix_sort_onesweep_config_selectorIiNS0_10empty_typeEEEZNS1_34radix_sort_onesweep_global_offsetsIS3_Lb1EN6thrust23THRUST_200600_302600_NS6detail15normal_iteratorINS9_10device_ptrIiEEEEPS5_jNS0_19identity_decomposerEEE10hipError_tT1_T2_PT3_SK_jT4_jjP12ihipStream_tbEUlT_E_NS1_11comp_targetILNS1_3genE4ELNS1_11target_archE910ELNS1_3gpuE8ELNS1_3repE0EEENS1_52radix_sort_onesweep_histogram_config_static_selectorELNS0_4arch9wavefront6targetE0EEEvSI_.num_agpr, 0
	.set _ZN7rocprim17ROCPRIM_400000_NS6detail17trampoline_kernelINS0_14default_configENS1_35radix_sort_onesweep_config_selectorIiNS0_10empty_typeEEEZNS1_34radix_sort_onesweep_global_offsetsIS3_Lb1EN6thrust23THRUST_200600_302600_NS6detail15normal_iteratorINS9_10device_ptrIiEEEEPS5_jNS0_19identity_decomposerEEE10hipError_tT1_T2_PT3_SK_jT4_jjP12ihipStream_tbEUlT_E_NS1_11comp_targetILNS1_3genE4ELNS1_11target_archE910ELNS1_3gpuE8ELNS1_3repE0EEENS1_52radix_sort_onesweep_histogram_config_static_selectorELNS0_4arch9wavefront6targetE0EEEvSI_.numbered_sgpr, 0
	.set _ZN7rocprim17ROCPRIM_400000_NS6detail17trampoline_kernelINS0_14default_configENS1_35radix_sort_onesweep_config_selectorIiNS0_10empty_typeEEEZNS1_34radix_sort_onesweep_global_offsetsIS3_Lb1EN6thrust23THRUST_200600_302600_NS6detail15normal_iteratorINS9_10device_ptrIiEEEEPS5_jNS0_19identity_decomposerEEE10hipError_tT1_T2_PT3_SK_jT4_jjP12ihipStream_tbEUlT_E_NS1_11comp_targetILNS1_3genE4ELNS1_11target_archE910ELNS1_3gpuE8ELNS1_3repE0EEENS1_52radix_sort_onesweep_histogram_config_static_selectorELNS0_4arch9wavefront6targetE0EEEvSI_.num_named_barrier, 0
	.set _ZN7rocprim17ROCPRIM_400000_NS6detail17trampoline_kernelINS0_14default_configENS1_35radix_sort_onesweep_config_selectorIiNS0_10empty_typeEEEZNS1_34radix_sort_onesweep_global_offsetsIS3_Lb1EN6thrust23THRUST_200600_302600_NS6detail15normal_iteratorINS9_10device_ptrIiEEEEPS5_jNS0_19identity_decomposerEEE10hipError_tT1_T2_PT3_SK_jT4_jjP12ihipStream_tbEUlT_E_NS1_11comp_targetILNS1_3genE4ELNS1_11target_archE910ELNS1_3gpuE8ELNS1_3repE0EEENS1_52radix_sort_onesweep_histogram_config_static_selectorELNS0_4arch9wavefront6targetE0EEEvSI_.private_seg_size, 0
	.set _ZN7rocprim17ROCPRIM_400000_NS6detail17trampoline_kernelINS0_14default_configENS1_35radix_sort_onesweep_config_selectorIiNS0_10empty_typeEEEZNS1_34radix_sort_onesweep_global_offsetsIS3_Lb1EN6thrust23THRUST_200600_302600_NS6detail15normal_iteratorINS9_10device_ptrIiEEEEPS5_jNS0_19identity_decomposerEEE10hipError_tT1_T2_PT3_SK_jT4_jjP12ihipStream_tbEUlT_E_NS1_11comp_targetILNS1_3genE4ELNS1_11target_archE910ELNS1_3gpuE8ELNS1_3repE0EEENS1_52radix_sort_onesweep_histogram_config_static_selectorELNS0_4arch9wavefront6targetE0EEEvSI_.uses_vcc, 0
	.set _ZN7rocprim17ROCPRIM_400000_NS6detail17trampoline_kernelINS0_14default_configENS1_35radix_sort_onesweep_config_selectorIiNS0_10empty_typeEEEZNS1_34radix_sort_onesweep_global_offsetsIS3_Lb1EN6thrust23THRUST_200600_302600_NS6detail15normal_iteratorINS9_10device_ptrIiEEEEPS5_jNS0_19identity_decomposerEEE10hipError_tT1_T2_PT3_SK_jT4_jjP12ihipStream_tbEUlT_E_NS1_11comp_targetILNS1_3genE4ELNS1_11target_archE910ELNS1_3gpuE8ELNS1_3repE0EEENS1_52radix_sort_onesweep_histogram_config_static_selectorELNS0_4arch9wavefront6targetE0EEEvSI_.uses_flat_scratch, 0
	.set _ZN7rocprim17ROCPRIM_400000_NS6detail17trampoline_kernelINS0_14default_configENS1_35radix_sort_onesweep_config_selectorIiNS0_10empty_typeEEEZNS1_34radix_sort_onesweep_global_offsetsIS3_Lb1EN6thrust23THRUST_200600_302600_NS6detail15normal_iteratorINS9_10device_ptrIiEEEEPS5_jNS0_19identity_decomposerEEE10hipError_tT1_T2_PT3_SK_jT4_jjP12ihipStream_tbEUlT_E_NS1_11comp_targetILNS1_3genE4ELNS1_11target_archE910ELNS1_3gpuE8ELNS1_3repE0EEENS1_52radix_sort_onesweep_histogram_config_static_selectorELNS0_4arch9wavefront6targetE0EEEvSI_.has_dyn_sized_stack, 0
	.set _ZN7rocprim17ROCPRIM_400000_NS6detail17trampoline_kernelINS0_14default_configENS1_35radix_sort_onesweep_config_selectorIiNS0_10empty_typeEEEZNS1_34radix_sort_onesweep_global_offsetsIS3_Lb1EN6thrust23THRUST_200600_302600_NS6detail15normal_iteratorINS9_10device_ptrIiEEEEPS5_jNS0_19identity_decomposerEEE10hipError_tT1_T2_PT3_SK_jT4_jjP12ihipStream_tbEUlT_E_NS1_11comp_targetILNS1_3genE4ELNS1_11target_archE910ELNS1_3gpuE8ELNS1_3repE0EEENS1_52radix_sort_onesweep_histogram_config_static_selectorELNS0_4arch9wavefront6targetE0EEEvSI_.has_recursion, 0
	.set _ZN7rocprim17ROCPRIM_400000_NS6detail17trampoline_kernelINS0_14default_configENS1_35radix_sort_onesweep_config_selectorIiNS0_10empty_typeEEEZNS1_34radix_sort_onesweep_global_offsetsIS3_Lb1EN6thrust23THRUST_200600_302600_NS6detail15normal_iteratorINS9_10device_ptrIiEEEEPS5_jNS0_19identity_decomposerEEE10hipError_tT1_T2_PT3_SK_jT4_jjP12ihipStream_tbEUlT_E_NS1_11comp_targetILNS1_3genE4ELNS1_11target_archE910ELNS1_3gpuE8ELNS1_3repE0EEENS1_52radix_sort_onesweep_histogram_config_static_selectorELNS0_4arch9wavefront6targetE0EEEvSI_.has_indirect_call, 0
	.section	.AMDGPU.csdata,"",@progbits
; Kernel info:
; codeLenInByte = 0
; TotalNumSgprs: 0
; NumVgprs: 0
; ScratchSize: 0
; MemoryBound: 0
; FloatMode: 240
; IeeeMode: 1
; LDSByteSize: 0 bytes/workgroup (compile time only)
; SGPRBlocks: 0
; VGPRBlocks: 0
; NumSGPRsForWavesPerEU: 1
; NumVGPRsForWavesPerEU: 1
; Occupancy: 16
; WaveLimiterHint : 0
; COMPUTE_PGM_RSRC2:SCRATCH_EN: 0
; COMPUTE_PGM_RSRC2:USER_SGPR: 6
; COMPUTE_PGM_RSRC2:TRAP_HANDLER: 0
; COMPUTE_PGM_RSRC2:TGID_X_EN: 1
; COMPUTE_PGM_RSRC2:TGID_Y_EN: 0
; COMPUTE_PGM_RSRC2:TGID_Z_EN: 0
; COMPUTE_PGM_RSRC2:TIDIG_COMP_CNT: 0
	.section	.text._ZN7rocprim17ROCPRIM_400000_NS6detail17trampoline_kernelINS0_14default_configENS1_35radix_sort_onesweep_config_selectorIiNS0_10empty_typeEEEZNS1_34radix_sort_onesweep_global_offsetsIS3_Lb1EN6thrust23THRUST_200600_302600_NS6detail15normal_iteratorINS9_10device_ptrIiEEEEPS5_jNS0_19identity_decomposerEEE10hipError_tT1_T2_PT3_SK_jT4_jjP12ihipStream_tbEUlT_E_NS1_11comp_targetILNS1_3genE3ELNS1_11target_archE908ELNS1_3gpuE7ELNS1_3repE0EEENS1_52radix_sort_onesweep_histogram_config_static_selectorELNS0_4arch9wavefront6targetE0EEEvSI_,"axG",@progbits,_ZN7rocprim17ROCPRIM_400000_NS6detail17trampoline_kernelINS0_14default_configENS1_35radix_sort_onesweep_config_selectorIiNS0_10empty_typeEEEZNS1_34radix_sort_onesweep_global_offsetsIS3_Lb1EN6thrust23THRUST_200600_302600_NS6detail15normal_iteratorINS9_10device_ptrIiEEEEPS5_jNS0_19identity_decomposerEEE10hipError_tT1_T2_PT3_SK_jT4_jjP12ihipStream_tbEUlT_E_NS1_11comp_targetILNS1_3genE3ELNS1_11target_archE908ELNS1_3gpuE7ELNS1_3repE0EEENS1_52radix_sort_onesweep_histogram_config_static_selectorELNS0_4arch9wavefront6targetE0EEEvSI_,comdat
	.protected	_ZN7rocprim17ROCPRIM_400000_NS6detail17trampoline_kernelINS0_14default_configENS1_35radix_sort_onesweep_config_selectorIiNS0_10empty_typeEEEZNS1_34radix_sort_onesweep_global_offsetsIS3_Lb1EN6thrust23THRUST_200600_302600_NS6detail15normal_iteratorINS9_10device_ptrIiEEEEPS5_jNS0_19identity_decomposerEEE10hipError_tT1_T2_PT3_SK_jT4_jjP12ihipStream_tbEUlT_E_NS1_11comp_targetILNS1_3genE3ELNS1_11target_archE908ELNS1_3gpuE7ELNS1_3repE0EEENS1_52radix_sort_onesweep_histogram_config_static_selectorELNS0_4arch9wavefront6targetE0EEEvSI_ ; -- Begin function _ZN7rocprim17ROCPRIM_400000_NS6detail17trampoline_kernelINS0_14default_configENS1_35radix_sort_onesweep_config_selectorIiNS0_10empty_typeEEEZNS1_34radix_sort_onesweep_global_offsetsIS3_Lb1EN6thrust23THRUST_200600_302600_NS6detail15normal_iteratorINS9_10device_ptrIiEEEEPS5_jNS0_19identity_decomposerEEE10hipError_tT1_T2_PT3_SK_jT4_jjP12ihipStream_tbEUlT_E_NS1_11comp_targetILNS1_3genE3ELNS1_11target_archE908ELNS1_3gpuE7ELNS1_3repE0EEENS1_52radix_sort_onesweep_histogram_config_static_selectorELNS0_4arch9wavefront6targetE0EEEvSI_
	.globl	_ZN7rocprim17ROCPRIM_400000_NS6detail17trampoline_kernelINS0_14default_configENS1_35radix_sort_onesweep_config_selectorIiNS0_10empty_typeEEEZNS1_34radix_sort_onesweep_global_offsetsIS3_Lb1EN6thrust23THRUST_200600_302600_NS6detail15normal_iteratorINS9_10device_ptrIiEEEEPS5_jNS0_19identity_decomposerEEE10hipError_tT1_T2_PT3_SK_jT4_jjP12ihipStream_tbEUlT_E_NS1_11comp_targetILNS1_3genE3ELNS1_11target_archE908ELNS1_3gpuE7ELNS1_3repE0EEENS1_52radix_sort_onesweep_histogram_config_static_selectorELNS0_4arch9wavefront6targetE0EEEvSI_
	.p2align	8
	.type	_ZN7rocprim17ROCPRIM_400000_NS6detail17trampoline_kernelINS0_14default_configENS1_35radix_sort_onesweep_config_selectorIiNS0_10empty_typeEEEZNS1_34radix_sort_onesweep_global_offsetsIS3_Lb1EN6thrust23THRUST_200600_302600_NS6detail15normal_iteratorINS9_10device_ptrIiEEEEPS5_jNS0_19identity_decomposerEEE10hipError_tT1_T2_PT3_SK_jT4_jjP12ihipStream_tbEUlT_E_NS1_11comp_targetILNS1_3genE3ELNS1_11target_archE908ELNS1_3gpuE7ELNS1_3repE0EEENS1_52radix_sort_onesweep_histogram_config_static_selectorELNS0_4arch9wavefront6targetE0EEEvSI_,@function
_ZN7rocprim17ROCPRIM_400000_NS6detail17trampoline_kernelINS0_14default_configENS1_35radix_sort_onesweep_config_selectorIiNS0_10empty_typeEEEZNS1_34radix_sort_onesweep_global_offsetsIS3_Lb1EN6thrust23THRUST_200600_302600_NS6detail15normal_iteratorINS9_10device_ptrIiEEEEPS5_jNS0_19identity_decomposerEEE10hipError_tT1_T2_PT3_SK_jT4_jjP12ihipStream_tbEUlT_E_NS1_11comp_targetILNS1_3genE3ELNS1_11target_archE908ELNS1_3gpuE7ELNS1_3repE0EEENS1_52radix_sort_onesweep_histogram_config_static_selectorELNS0_4arch9wavefront6targetE0EEEvSI_: ; @_ZN7rocprim17ROCPRIM_400000_NS6detail17trampoline_kernelINS0_14default_configENS1_35radix_sort_onesweep_config_selectorIiNS0_10empty_typeEEEZNS1_34radix_sort_onesweep_global_offsetsIS3_Lb1EN6thrust23THRUST_200600_302600_NS6detail15normal_iteratorINS9_10device_ptrIiEEEEPS5_jNS0_19identity_decomposerEEE10hipError_tT1_T2_PT3_SK_jT4_jjP12ihipStream_tbEUlT_E_NS1_11comp_targetILNS1_3genE3ELNS1_11target_archE908ELNS1_3gpuE7ELNS1_3repE0EEENS1_52radix_sort_onesweep_histogram_config_static_selectorELNS0_4arch9wavefront6targetE0EEEvSI_
; %bb.0:
	.section	.rodata,"a",@progbits
	.p2align	6, 0x0
	.amdhsa_kernel _ZN7rocprim17ROCPRIM_400000_NS6detail17trampoline_kernelINS0_14default_configENS1_35radix_sort_onesweep_config_selectorIiNS0_10empty_typeEEEZNS1_34radix_sort_onesweep_global_offsetsIS3_Lb1EN6thrust23THRUST_200600_302600_NS6detail15normal_iteratorINS9_10device_ptrIiEEEEPS5_jNS0_19identity_decomposerEEE10hipError_tT1_T2_PT3_SK_jT4_jjP12ihipStream_tbEUlT_E_NS1_11comp_targetILNS1_3genE3ELNS1_11target_archE908ELNS1_3gpuE7ELNS1_3repE0EEENS1_52radix_sort_onesweep_histogram_config_static_selectorELNS0_4arch9wavefront6targetE0EEEvSI_
		.amdhsa_group_segment_fixed_size 0
		.amdhsa_private_segment_fixed_size 0
		.amdhsa_kernarg_size 40
		.amdhsa_user_sgpr_count 6
		.amdhsa_user_sgpr_private_segment_buffer 1
		.amdhsa_user_sgpr_dispatch_ptr 0
		.amdhsa_user_sgpr_queue_ptr 0
		.amdhsa_user_sgpr_kernarg_segment_ptr 1
		.amdhsa_user_sgpr_dispatch_id 0
		.amdhsa_user_sgpr_flat_scratch_init 0
		.amdhsa_user_sgpr_private_segment_size 0
		.amdhsa_wavefront_size32 1
		.amdhsa_uses_dynamic_stack 0
		.amdhsa_system_sgpr_private_segment_wavefront_offset 0
		.amdhsa_system_sgpr_workgroup_id_x 1
		.amdhsa_system_sgpr_workgroup_id_y 0
		.amdhsa_system_sgpr_workgroup_id_z 0
		.amdhsa_system_sgpr_workgroup_info 0
		.amdhsa_system_vgpr_workitem_id 0
		.amdhsa_next_free_vgpr 1
		.amdhsa_next_free_sgpr 1
		.amdhsa_reserve_vcc 0
		.amdhsa_reserve_flat_scratch 0
		.amdhsa_float_round_mode_32 0
		.amdhsa_float_round_mode_16_64 0
		.amdhsa_float_denorm_mode_32 3
		.amdhsa_float_denorm_mode_16_64 3
		.amdhsa_dx10_clamp 1
		.amdhsa_ieee_mode 1
		.amdhsa_fp16_overflow 0
		.amdhsa_workgroup_processor_mode 1
		.amdhsa_memory_ordered 1
		.amdhsa_forward_progress 1
		.amdhsa_shared_vgpr_count 0
		.amdhsa_exception_fp_ieee_invalid_op 0
		.amdhsa_exception_fp_denorm_src 0
		.amdhsa_exception_fp_ieee_div_zero 0
		.amdhsa_exception_fp_ieee_overflow 0
		.amdhsa_exception_fp_ieee_underflow 0
		.amdhsa_exception_fp_ieee_inexact 0
		.amdhsa_exception_int_div_zero 0
	.end_amdhsa_kernel
	.section	.text._ZN7rocprim17ROCPRIM_400000_NS6detail17trampoline_kernelINS0_14default_configENS1_35radix_sort_onesweep_config_selectorIiNS0_10empty_typeEEEZNS1_34radix_sort_onesweep_global_offsetsIS3_Lb1EN6thrust23THRUST_200600_302600_NS6detail15normal_iteratorINS9_10device_ptrIiEEEEPS5_jNS0_19identity_decomposerEEE10hipError_tT1_T2_PT3_SK_jT4_jjP12ihipStream_tbEUlT_E_NS1_11comp_targetILNS1_3genE3ELNS1_11target_archE908ELNS1_3gpuE7ELNS1_3repE0EEENS1_52radix_sort_onesweep_histogram_config_static_selectorELNS0_4arch9wavefront6targetE0EEEvSI_,"axG",@progbits,_ZN7rocprim17ROCPRIM_400000_NS6detail17trampoline_kernelINS0_14default_configENS1_35radix_sort_onesweep_config_selectorIiNS0_10empty_typeEEEZNS1_34radix_sort_onesweep_global_offsetsIS3_Lb1EN6thrust23THRUST_200600_302600_NS6detail15normal_iteratorINS9_10device_ptrIiEEEEPS5_jNS0_19identity_decomposerEEE10hipError_tT1_T2_PT3_SK_jT4_jjP12ihipStream_tbEUlT_E_NS1_11comp_targetILNS1_3genE3ELNS1_11target_archE908ELNS1_3gpuE7ELNS1_3repE0EEENS1_52radix_sort_onesweep_histogram_config_static_selectorELNS0_4arch9wavefront6targetE0EEEvSI_,comdat
.Lfunc_end323:
	.size	_ZN7rocprim17ROCPRIM_400000_NS6detail17trampoline_kernelINS0_14default_configENS1_35radix_sort_onesweep_config_selectorIiNS0_10empty_typeEEEZNS1_34radix_sort_onesweep_global_offsetsIS3_Lb1EN6thrust23THRUST_200600_302600_NS6detail15normal_iteratorINS9_10device_ptrIiEEEEPS5_jNS0_19identity_decomposerEEE10hipError_tT1_T2_PT3_SK_jT4_jjP12ihipStream_tbEUlT_E_NS1_11comp_targetILNS1_3genE3ELNS1_11target_archE908ELNS1_3gpuE7ELNS1_3repE0EEENS1_52radix_sort_onesweep_histogram_config_static_selectorELNS0_4arch9wavefront6targetE0EEEvSI_, .Lfunc_end323-_ZN7rocprim17ROCPRIM_400000_NS6detail17trampoline_kernelINS0_14default_configENS1_35radix_sort_onesweep_config_selectorIiNS0_10empty_typeEEEZNS1_34radix_sort_onesweep_global_offsetsIS3_Lb1EN6thrust23THRUST_200600_302600_NS6detail15normal_iteratorINS9_10device_ptrIiEEEEPS5_jNS0_19identity_decomposerEEE10hipError_tT1_T2_PT3_SK_jT4_jjP12ihipStream_tbEUlT_E_NS1_11comp_targetILNS1_3genE3ELNS1_11target_archE908ELNS1_3gpuE7ELNS1_3repE0EEENS1_52radix_sort_onesweep_histogram_config_static_selectorELNS0_4arch9wavefront6targetE0EEEvSI_
                                        ; -- End function
	.set _ZN7rocprim17ROCPRIM_400000_NS6detail17trampoline_kernelINS0_14default_configENS1_35radix_sort_onesweep_config_selectorIiNS0_10empty_typeEEEZNS1_34radix_sort_onesweep_global_offsetsIS3_Lb1EN6thrust23THRUST_200600_302600_NS6detail15normal_iteratorINS9_10device_ptrIiEEEEPS5_jNS0_19identity_decomposerEEE10hipError_tT1_T2_PT3_SK_jT4_jjP12ihipStream_tbEUlT_E_NS1_11comp_targetILNS1_3genE3ELNS1_11target_archE908ELNS1_3gpuE7ELNS1_3repE0EEENS1_52radix_sort_onesweep_histogram_config_static_selectorELNS0_4arch9wavefront6targetE0EEEvSI_.num_vgpr, 0
	.set _ZN7rocprim17ROCPRIM_400000_NS6detail17trampoline_kernelINS0_14default_configENS1_35radix_sort_onesweep_config_selectorIiNS0_10empty_typeEEEZNS1_34radix_sort_onesweep_global_offsetsIS3_Lb1EN6thrust23THRUST_200600_302600_NS6detail15normal_iteratorINS9_10device_ptrIiEEEEPS5_jNS0_19identity_decomposerEEE10hipError_tT1_T2_PT3_SK_jT4_jjP12ihipStream_tbEUlT_E_NS1_11comp_targetILNS1_3genE3ELNS1_11target_archE908ELNS1_3gpuE7ELNS1_3repE0EEENS1_52radix_sort_onesweep_histogram_config_static_selectorELNS0_4arch9wavefront6targetE0EEEvSI_.num_agpr, 0
	.set _ZN7rocprim17ROCPRIM_400000_NS6detail17trampoline_kernelINS0_14default_configENS1_35radix_sort_onesweep_config_selectorIiNS0_10empty_typeEEEZNS1_34radix_sort_onesweep_global_offsetsIS3_Lb1EN6thrust23THRUST_200600_302600_NS6detail15normal_iteratorINS9_10device_ptrIiEEEEPS5_jNS0_19identity_decomposerEEE10hipError_tT1_T2_PT3_SK_jT4_jjP12ihipStream_tbEUlT_E_NS1_11comp_targetILNS1_3genE3ELNS1_11target_archE908ELNS1_3gpuE7ELNS1_3repE0EEENS1_52radix_sort_onesweep_histogram_config_static_selectorELNS0_4arch9wavefront6targetE0EEEvSI_.numbered_sgpr, 0
	.set _ZN7rocprim17ROCPRIM_400000_NS6detail17trampoline_kernelINS0_14default_configENS1_35radix_sort_onesweep_config_selectorIiNS0_10empty_typeEEEZNS1_34radix_sort_onesweep_global_offsetsIS3_Lb1EN6thrust23THRUST_200600_302600_NS6detail15normal_iteratorINS9_10device_ptrIiEEEEPS5_jNS0_19identity_decomposerEEE10hipError_tT1_T2_PT3_SK_jT4_jjP12ihipStream_tbEUlT_E_NS1_11comp_targetILNS1_3genE3ELNS1_11target_archE908ELNS1_3gpuE7ELNS1_3repE0EEENS1_52radix_sort_onesweep_histogram_config_static_selectorELNS0_4arch9wavefront6targetE0EEEvSI_.num_named_barrier, 0
	.set _ZN7rocprim17ROCPRIM_400000_NS6detail17trampoline_kernelINS0_14default_configENS1_35radix_sort_onesweep_config_selectorIiNS0_10empty_typeEEEZNS1_34radix_sort_onesweep_global_offsetsIS3_Lb1EN6thrust23THRUST_200600_302600_NS6detail15normal_iteratorINS9_10device_ptrIiEEEEPS5_jNS0_19identity_decomposerEEE10hipError_tT1_T2_PT3_SK_jT4_jjP12ihipStream_tbEUlT_E_NS1_11comp_targetILNS1_3genE3ELNS1_11target_archE908ELNS1_3gpuE7ELNS1_3repE0EEENS1_52radix_sort_onesweep_histogram_config_static_selectorELNS0_4arch9wavefront6targetE0EEEvSI_.private_seg_size, 0
	.set _ZN7rocprim17ROCPRIM_400000_NS6detail17trampoline_kernelINS0_14default_configENS1_35radix_sort_onesweep_config_selectorIiNS0_10empty_typeEEEZNS1_34radix_sort_onesweep_global_offsetsIS3_Lb1EN6thrust23THRUST_200600_302600_NS6detail15normal_iteratorINS9_10device_ptrIiEEEEPS5_jNS0_19identity_decomposerEEE10hipError_tT1_T2_PT3_SK_jT4_jjP12ihipStream_tbEUlT_E_NS1_11comp_targetILNS1_3genE3ELNS1_11target_archE908ELNS1_3gpuE7ELNS1_3repE0EEENS1_52radix_sort_onesweep_histogram_config_static_selectorELNS0_4arch9wavefront6targetE0EEEvSI_.uses_vcc, 0
	.set _ZN7rocprim17ROCPRIM_400000_NS6detail17trampoline_kernelINS0_14default_configENS1_35radix_sort_onesweep_config_selectorIiNS0_10empty_typeEEEZNS1_34radix_sort_onesweep_global_offsetsIS3_Lb1EN6thrust23THRUST_200600_302600_NS6detail15normal_iteratorINS9_10device_ptrIiEEEEPS5_jNS0_19identity_decomposerEEE10hipError_tT1_T2_PT3_SK_jT4_jjP12ihipStream_tbEUlT_E_NS1_11comp_targetILNS1_3genE3ELNS1_11target_archE908ELNS1_3gpuE7ELNS1_3repE0EEENS1_52radix_sort_onesweep_histogram_config_static_selectorELNS0_4arch9wavefront6targetE0EEEvSI_.uses_flat_scratch, 0
	.set _ZN7rocprim17ROCPRIM_400000_NS6detail17trampoline_kernelINS0_14default_configENS1_35radix_sort_onesweep_config_selectorIiNS0_10empty_typeEEEZNS1_34radix_sort_onesweep_global_offsetsIS3_Lb1EN6thrust23THRUST_200600_302600_NS6detail15normal_iteratorINS9_10device_ptrIiEEEEPS5_jNS0_19identity_decomposerEEE10hipError_tT1_T2_PT3_SK_jT4_jjP12ihipStream_tbEUlT_E_NS1_11comp_targetILNS1_3genE3ELNS1_11target_archE908ELNS1_3gpuE7ELNS1_3repE0EEENS1_52radix_sort_onesweep_histogram_config_static_selectorELNS0_4arch9wavefront6targetE0EEEvSI_.has_dyn_sized_stack, 0
	.set _ZN7rocprim17ROCPRIM_400000_NS6detail17trampoline_kernelINS0_14default_configENS1_35radix_sort_onesweep_config_selectorIiNS0_10empty_typeEEEZNS1_34radix_sort_onesweep_global_offsetsIS3_Lb1EN6thrust23THRUST_200600_302600_NS6detail15normal_iteratorINS9_10device_ptrIiEEEEPS5_jNS0_19identity_decomposerEEE10hipError_tT1_T2_PT3_SK_jT4_jjP12ihipStream_tbEUlT_E_NS1_11comp_targetILNS1_3genE3ELNS1_11target_archE908ELNS1_3gpuE7ELNS1_3repE0EEENS1_52radix_sort_onesweep_histogram_config_static_selectorELNS0_4arch9wavefront6targetE0EEEvSI_.has_recursion, 0
	.set _ZN7rocprim17ROCPRIM_400000_NS6detail17trampoline_kernelINS0_14default_configENS1_35radix_sort_onesweep_config_selectorIiNS0_10empty_typeEEEZNS1_34radix_sort_onesweep_global_offsetsIS3_Lb1EN6thrust23THRUST_200600_302600_NS6detail15normal_iteratorINS9_10device_ptrIiEEEEPS5_jNS0_19identity_decomposerEEE10hipError_tT1_T2_PT3_SK_jT4_jjP12ihipStream_tbEUlT_E_NS1_11comp_targetILNS1_3genE3ELNS1_11target_archE908ELNS1_3gpuE7ELNS1_3repE0EEENS1_52radix_sort_onesweep_histogram_config_static_selectorELNS0_4arch9wavefront6targetE0EEEvSI_.has_indirect_call, 0
	.section	.AMDGPU.csdata,"",@progbits
; Kernel info:
; codeLenInByte = 0
; TotalNumSgprs: 0
; NumVgprs: 0
; ScratchSize: 0
; MemoryBound: 0
; FloatMode: 240
; IeeeMode: 1
; LDSByteSize: 0 bytes/workgroup (compile time only)
; SGPRBlocks: 0
; VGPRBlocks: 0
; NumSGPRsForWavesPerEU: 1
; NumVGPRsForWavesPerEU: 1
; Occupancy: 16
; WaveLimiterHint : 0
; COMPUTE_PGM_RSRC2:SCRATCH_EN: 0
; COMPUTE_PGM_RSRC2:USER_SGPR: 6
; COMPUTE_PGM_RSRC2:TRAP_HANDLER: 0
; COMPUTE_PGM_RSRC2:TGID_X_EN: 1
; COMPUTE_PGM_RSRC2:TGID_Y_EN: 0
; COMPUTE_PGM_RSRC2:TGID_Z_EN: 0
; COMPUTE_PGM_RSRC2:TIDIG_COMP_CNT: 0
	.section	.text._ZN7rocprim17ROCPRIM_400000_NS6detail17trampoline_kernelINS0_14default_configENS1_35radix_sort_onesweep_config_selectorIiNS0_10empty_typeEEEZNS1_34radix_sort_onesweep_global_offsetsIS3_Lb1EN6thrust23THRUST_200600_302600_NS6detail15normal_iteratorINS9_10device_ptrIiEEEEPS5_jNS0_19identity_decomposerEEE10hipError_tT1_T2_PT3_SK_jT4_jjP12ihipStream_tbEUlT_E_NS1_11comp_targetILNS1_3genE10ELNS1_11target_archE1201ELNS1_3gpuE5ELNS1_3repE0EEENS1_52radix_sort_onesweep_histogram_config_static_selectorELNS0_4arch9wavefront6targetE0EEEvSI_,"axG",@progbits,_ZN7rocprim17ROCPRIM_400000_NS6detail17trampoline_kernelINS0_14default_configENS1_35radix_sort_onesweep_config_selectorIiNS0_10empty_typeEEEZNS1_34radix_sort_onesweep_global_offsetsIS3_Lb1EN6thrust23THRUST_200600_302600_NS6detail15normal_iteratorINS9_10device_ptrIiEEEEPS5_jNS0_19identity_decomposerEEE10hipError_tT1_T2_PT3_SK_jT4_jjP12ihipStream_tbEUlT_E_NS1_11comp_targetILNS1_3genE10ELNS1_11target_archE1201ELNS1_3gpuE5ELNS1_3repE0EEENS1_52radix_sort_onesweep_histogram_config_static_selectorELNS0_4arch9wavefront6targetE0EEEvSI_,comdat
	.protected	_ZN7rocprim17ROCPRIM_400000_NS6detail17trampoline_kernelINS0_14default_configENS1_35radix_sort_onesweep_config_selectorIiNS0_10empty_typeEEEZNS1_34radix_sort_onesweep_global_offsetsIS3_Lb1EN6thrust23THRUST_200600_302600_NS6detail15normal_iteratorINS9_10device_ptrIiEEEEPS5_jNS0_19identity_decomposerEEE10hipError_tT1_T2_PT3_SK_jT4_jjP12ihipStream_tbEUlT_E_NS1_11comp_targetILNS1_3genE10ELNS1_11target_archE1201ELNS1_3gpuE5ELNS1_3repE0EEENS1_52radix_sort_onesweep_histogram_config_static_selectorELNS0_4arch9wavefront6targetE0EEEvSI_ ; -- Begin function _ZN7rocprim17ROCPRIM_400000_NS6detail17trampoline_kernelINS0_14default_configENS1_35radix_sort_onesweep_config_selectorIiNS0_10empty_typeEEEZNS1_34radix_sort_onesweep_global_offsetsIS3_Lb1EN6thrust23THRUST_200600_302600_NS6detail15normal_iteratorINS9_10device_ptrIiEEEEPS5_jNS0_19identity_decomposerEEE10hipError_tT1_T2_PT3_SK_jT4_jjP12ihipStream_tbEUlT_E_NS1_11comp_targetILNS1_3genE10ELNS1_11target_archE1201ELNS1_3gpuE5ELNS1_3repE0EEENS1_52radix_sort_onesweep_histogram_config_static_selectorELNS0_4arch9wavefront6targetE0EEEvSI_
	.globl	_ZN7rocprim17ROCPRIM_400000_NS6detail17trampoline_kernelINS0_14default_configENS1_35radix_sort_onesweep_config_selectorIiNS0_10empty_typeEEEZNS1_34radix_sort_onesweep_global_offsetsIS3_Lb1EN6thrust23THRUST_200600_302600_NS6detail15normal_iteratorINS9_10device_ptrIiEEEEPS5_jNS0_19identity_decomposerEEE10hipError_tT1_T2_PT3_SK_jT4_jjP12ihipStream_tbEUlT_E_NS1_11comp_targetILNS1_3genE10ELNS1_11target_archE1201ELNS1_3gpuE5ELNS1_3repE0EEENS1_52radix_sort_onesweep_histogram_config_static_selectorELNS0_4arch9wavefront6targetE0EEEvSI_
	.p2align	8
	.type	_ZN7rocprim17ROCPRIM_400000_NS6detail17trampoline_kernelINS0_14default_configENS1_35radix_sort_onesweep_config_selectorIiNS0_10empty_typeEEEZNS1_34radix_sort_onesweep_global_offsetsIS3_Lb1EN6thrust23THRUST_200600_302600_NS6detail15normal_iteratorINS9_10device_ptrIiEEEEPS5_jNS0_19identity_decomposerEEE10hipError_tT1_T2_PT3_SK_jT4_jjP12ihipStream_tbEUlT_E_NS1_11comp_targetILNS1_3genE10ELNS1_11target_archE1201ELNS1_3gpuE5ELNS1_3repE0EEENS1_52radix_sort_onesweep_histogram_config_static_selectorELNS0_4arch9wavefront6targetE0EEEvSI_,@function
_ZN7rocprim17ROCPRIM_400000_NS6detail17trampoline_kernelINS0_14default_configENS1_35radix_sort_onesweep_config_selectorIiNS0_10empty_typeEEEZNS1_34radix_sort_onesweep_global_offsetsIS3_Lb1EN6thrust23THRUST_200600_302600_NS6detail15normal_iteratorINS9_10device_ptrIiEEEEPS5_jNS0_19identity_decomposerEEE10hipError_tT1_T2_PT3_SK_jT4_jjP12ihipStream_tbEUlT_E_NS1_11comp_targetILNS1_3genE10ELNS1_11target_archE1201ELNS1_3gpuE5ELNS1_3repE0EEENS1_52radix_sort_onesweep_histogram_config_static_selectorELNS0_4arch9wavefront6targetE0EEEvSI_: ; @_ZN7rocprim17ROCPRIM_400000_NS6detail17trampoline_kernelINS0_14default_configENS1_35radix_sort_onesweep_config_selectorIiNS0_10empty_typeEEEZNS1_34radix_sort_onesweep_global_offsetsIS3_Lb1EN6thrust23THRUST_200600_302600_NS6detail15normal_iteratorINS9_10device_ptrIiEEEEPS5_jNS0_19identity_decomposerEEE10hipError_tT1_T2_PT3_SK_jT4_jjP12ihipStream_tbEUlT_E_NS1_11comp_targetILNS1_3genE10ELNS1_11target_archE1201ELNS1_3gpuE5ELNS1_3repE0EEENS1_52radix_sort_onesweep_histogram_config_static_selectorELNS0_4arch9wavefront6targetE0EEEvSI_
; %bb.0:
	.section	.rodata,"a",@progbits
	.p2align	6, 0x0
	.amdhsa_kernel _ZN7rocprim17ROCPRIM_400000_NS6detail17trampoline_kernelINS0_14default_configENS1_35radix_sort_onesweep_config_selectorIiNS0_10empty_typeEEEZNS1_34radix_sort_onesweep_global_offsetsIS3_Lb1EN6thrust23THRUST_200600_302600_NS6detail15normal_iteratorINS9_10device_ptrIiEEEEPS5_jNS0_19identity_decomposerEEE10hipError_tT1_T2_PT3_SK_jT4_jjP12ihipStream_tbEUlT_E_NS1_11comp_targetILNS1_3genE10ELNS1_11target_archE1201ELNS1_3gpuE5ELNS1_3repE0EEENS1_52radix_sort_onesweep_histogram_config_static_selectorELNS0_4arch9wavefront6targetE0EEEvSI_
		.amdhsa_group_segment_fixed_size 0
		.amdhsa_private_segment_fixed_size 0
		.amdhsa_kernarg_size 40
		.amdhsa_user_sgpr_count 6
		.amdhsa_user_sgpr_private_segment_buffer 1
		.amdhsa_user_sgpr_dispatch_ptr 0
		.amdhsa_user_sgpr_queue_ptr 0
		.amdhsa_user_sgpr_kernarg_segment_ptr 1
		.amdhsa_user_sgpr_dispatch_id 0
		.amdhsa_user_sgpr_flat_scratch_init 0
		.amdhsa_user_sgpr_private_segment_size 0
		.amdhsa_wavefront_size32 1
		.amdhsa_uses_dynamic_stack 0
		.amdhsa_system_sgpr_private_segment_wavefront_offset 0
		.amdhsa_system_sgpr_workgroup_id_x 1
		.amdhsa_system_sgpr_workgroup_id_y 0
		.amdhsa_system_sgpr_workgroup_id_z 0
		.amdhsa_system_sgpr_workgroup_info 0
		.amdhsa_system_vgpr_workitem_id 0
		.amdhsa_next_free_vgpr 1
		.amdhsa_next_free_sgpr 1
		.amdhsa_reserve_vcc 0
		.amdhsa_reserve_flat_scratch 0
		.amdhsa_float_round_mode_32 0
		.amdhsa_float_round_mode_16_64 0
		.amdhsa_float_denorm_mode_32 3
		.amdhsa_float_denorm_mode_16_64 3
		.amdhsa_dx10_clamp 1
		.amdhsa_ieee_mode 1
		.amdhsa_fp16_overflow 0
		.amdhsa_workgroup_processor_mode 1
		.amdhsa_memory_ordered 1
		.amdhsa_forward_progress 1
		.amdhsa_shared_vgpr_count 0
		.amdhsa_exception_fp_ieee_invalid_op 0
		.amdhsa_exception_fp_denorm_src 0
		.amdhsa_exception_fp_ieee_div_zero 0
		.amdhsa_exception_fp_ieee_overflow 0
		.amdhsa_exception_fp_ieee_underflow 0
		.amdhsa_exception_fp_ieee_inexact 0
		.amdhsa_exception_int_div_zero 0
	.end_amdhsa_kernel
	.section	.text._ZN7rocprim17ROCPRIM_400000_NS6detail17trampoline_kernelINS0_14default_configENS1_35radix_sort_onesweep_config_selectorIiNS0_10empty_typeEEEZNS1_34radix_sort_onesweep_global_offsetsIS3_Lb1EN6thrust23THRUST_200600_302600_NS6detail15normal_iteratorINS9_10device_ptrIiEEEEPS5_jNS0_19identity_decomposerEEE10hipError_tT1_T2_PT3_SK_jT4_jjP12ihipStream_tbEUlT_E_NS1_11comp_targetILNS1_3genE10ELNS1_11target_archE1201ELNS1_3gpuE5ELNS1_3repE0EEENS1_52radix_sort_onesweep_histogram_config_static_selectorELNS0_4arch9wavefront6targetE0EEEvSI_,"axG",@progbits,_ZN7rocprim17ROCPRIM_400000_NS6detail17trampoline_kernelINS0_14default_configENS1_35radix_sort_onesweep_config_selectorIiNS0_10empty_typeEEEZNS1_34radix_sort_onesweep_global_offsetsIS3_Lb1EN6thrust23THRUST_200600_302600_NS6detail15normal_iteratorINS9_10device_ptrIiEEEEPS5_jNS0_19identity_decomposerEEE10hipError_tT1_T2_PT3_SK_jT4_jjP12ihipStream_tbEUlT_E_NS1_11comp_targetILNS1_3genE10ELNS1_11target_archE1201ELNS1_3gpuE5ELNS1_3repE0EEENS1_52radix_sort_onesweep_histogram_config_static_selectorELNS0_4arch9wavefront6targetE0EEEvSI_,comdat
.Lfunc_end324:
	.size	_ZN7rocprim17ROCPRIM_400000_NS6detail17trampoline_kernelINS0_14default_configENS1_35radix_sort_onesweep_config_selectorIiNS0_10empty_typeEEEZNS1_34radix_sort_onesweep_global_offsetsIS3_Lb1EN6thrust23THRUST_200600_302600_NS6detail15normal_iteratorINS9_10device_ptrIiEEEEPS5_jNS0_19identity_decomposerEEE10hipError_tT1_T2_PT3_SK_jT4_jjP12ihipStream_tbEUlT_E_NS1_11comp_targetILNS1_3genE10ELNS1_11target_archE1201ELNS1_3gpuE5ELNS1_3repE0EEENS1_52radix_sort_onesweep_histogram_config_static_selectorELNS0_4arch9wavefront6targetE0EEEvSI_, .Lfunc_end324-_ZN7rocprim17ROCPRIM_400000_NS6detail17trampoline_kernelINS0_14default_configENS1_35radix_sort_onesweep_config_selectorIiNS0_10empty_typeEEEZNS1_34radix_sort_onesweep_global_offsetsIS3_Lb1EN6thrust23THRUST_200600_302600_NS6detail15normal_iteratorINS9_10device_ptrIiEEEEPS5_jNS0_19identity_decomposerEEE10hipError_tT1_T2_PT3_SK_jT4_jjP12ihipStream_tbEUlT_E_NS1_11comp_targetILNS1_3genE10ELNS1_11target_archE1201ELNS1_3gpuE5ELNS1_3repE0EEENS1_52radix_sort_onesweep_histogram_config_static_selectorELNS0_4arch9wavefront6targetE0EEEvSI_
                                        ; -- End function
	.set _ZN7rocprim17ROCPRIM_400000_NS6detail17trampoline_kernelINS0_14default_configENS1_35radix_sort_onesweep_config_selectorIiNS0_10empty_typeEEEZNS1_34radix_sort_onesweep_global_offsetsIS3_Lb1EN6thrust23THRUST_200600_302600_NS6detail15normal_iteratorINS9_10device_ptrIiEEEEPS5_jNS0_19identity_decomposerEEE10hipError_tT1_T2_PT3_SK_jT4_jjP12ihipStream_tbEUlT_E_NS1_11comp_targetILNS1_3genE10ELNS1_11target_archE1201ELNS1_3gpuE5ELNS1_3repE0EEENS1_52radix_sort_onesweep_histogram_config_static_selectorELNS0_4arch9wavefront6targetE0EEEvSI_.num_vgpr, 0
	.set _ZN7rocprim17ROCPRIM_400000_NS6detail17trampoline_kernelINS0_14default_configENS1_35radix_sort_onesweep_config_selectorIiNS0_10empty_typeEEEZNS1_34radix_sort_onesweep_global_offsetsIS3_Lb1EN6thrust23THRUST_200600_302600_NS6detail15normal_iteratorINS9_10device_ptrIiEEEEPS5_jNS0_19identity_decomposerEEE10hipError_tT1_T2_PT3_SK_jT4_jjP12ihipStream_tbEUlT_E_NS1_11comp_targetILNS1_3genE10ELNS1_11target_archE1201ELNS1_3gpuE5ELNS1_3repE0EEENS1_52radix_sort_onesweep_histogram_config_static_selectorELNS0_4arch9wavefront6targetE0EEEvSI_.num_agpr, 0
	.set _ZN7rocprim17ROCPRIM_400000_NS6detail17trampoline_kernelINS0_14default_configENS1_35radix_sort_onesweep_config_selectorIiNS0_10empty_typeEEEZNS1_34radix_sort_onesweep_global_offsetsIS3_Lb1EN6thrust23THRUST_200600_302600_NS6detail15normal_iteratorINS9_10device_ptrIiEEEEPS5_jNS0_19identity_decomposerEEE10hipError_tT1_T2_PT3_SK_jT4_jjP12ihipStream_tbEUlT_E_NS1_11comp_targetILNS1_3genE10ELNS1_11target_archE1201ELNS1_3gpuE5ELNS1_3repE0EEENS1_52radix_sort_onesweep_histogram_config_static_selectorELNS0_4arch9wavefront6targetE0EEEvSI_.numbered_sgpr, 0
	.set _ZN7rocprim17ROCPRIM_400000_NS6detail17trampoline_kernelINS0_14default_configENS1_35radix_sort_onesweep_config_selectorIiNS0_10empty_typeEEEZNS1_34radix_sort_onesweep_global_offsetsIS3_Lb1EN6thrust23THRUST_200600_302600_NS6detail15normal_iteratorINS9_10device_ptrIiEEEEPS5_jNS0_19identity_decomposerEEE10hipError_tT1_T2_PT3_SK_jT4_jjP12ihipStream_tbEUlT_E_NS1_11comp_targetILNS1_3genE10ELNS1_11target_archE1201ELNS1_3gpuE5ELNS1_3repE0EEENS1_52radix_sort_onesweep_histogram_config_static_selectorELNS0_4arch9wavefront6targetE0EEEvSI_.num_named_barrier, 0
	.set _ZN7rocprim17ROCPRIM_400000_NS6detail17trampoline_kernelINS0_14default_configENS1_35radix_sort_onesweep_config_selectorIiNS0_10empty_typeEEEZNS1_34radix_sort_onesweep_global_offsetsIS3_Lb1EN6thrust23THRUST_200600_302600_NS6detail15normal_iteratorINS9_10device_ptrIiEEEEPS5_jNS0_19identity_decomposerEEE10hipError_tT1_T2_PT3_SK_jT4_jjP12ihipStream_tbEUlT_E_NS1_11comp_targetILNS1_3genE10ELNS1_11target_archE1201ELNS1_3gpuE5ELNS1_3repE0EEENS1_52radix_sort_onesweep_histogram_config_static_selectorELNS0_4arch9wavefront6targetE0EEEvSI_.private_seg_size, 0
	.set _ZN7rocprim17ROCPRIM_400000_NS6detail17trampoline_kernelINS0_14default_configENS1_35radix_sort_onesweep_config_selectorIiNS0_10empty_typeEEEZNS1_34radix_sort_onesweep_global_offsetsIS3_Lb1EN6thrust23THRUST_200600_302600_NS6detail15normal_iteratorINS9_10device_ptrIiEEEEPS5_jNS0_19identity_decomposerEEE10hipError_tT1_T2_PT3_SK_jT4_jjP12ihipStream_tbEUlT_E_NS1_11comp_targetILNS1_3genE10ELNS1_11target_archE1201ELNS1_3gpuE5ELNS1_3repE0EEENS1_52radix_sort_onesweep_histogram_config_static_selectorELNS0_4arch9wavefront6targetE0EEEvSI_.uses_vcc, 0
	.set _ZN7rocprim17ROCPRIM_400000_NS6detail17trampoline_kernelINS0_14default_configENS1_35radix_sort_onesweep_config_selectorIiNS0_10empty_typeEEEZNS1_34radix_sort_onesweep_global_offsetsIS3_Lb1EN6thrust23THRUST_200600_302600_NS6detail15normal_iteratorINS9_10device_ptrIiEEEEPS5_jNS0_19identity_decomposerEEE10hipError_tT1_T2_PT3_SK_jT4_jjP12ihipStream_tbEUlT_E_NS1_11comp_targetILNS1_3genE10ELNS1_11target_archE1201ELNS1_3gpuE5ELNS1_3repE0EEENS1_52radix_sort_onesweep_histogram_config_static_selectorELNS0_4arch9wavefront6targetE0EEEvSI_.uses_flat_scratch, 0
	.set _ZN7rocprim17ROCPRIM_400000_NS6detail17trampoline_kernelINS0_14default_configENS1_35radix_sort_onesweep_config_selectorIiNS0_10empty_typeEEEZNS1_34radix_sort_onesweep_global_offsetsIS3_Lb1EN6thrust23THRUST_200600_302600_NS6detail15normal_iteratorINS9_10device_ptrIiEEEEPS5_jNS0_19identity_decomposerEEE10hipError_tT1_T2_PT3_SK_jT4_jjP12ihipStream_tbEUlT_E_NS1_11comp_targetILNS1_3genE10ELNS1_11target_archE1201ELNS1_3gpuE5ELNS1_3repE0EEENS1_52radix_sort_onesweep_histogram_config_static_selectorELNS0_4arch9wavefront6targetE0EEEvSI_.has_dyn_sized_stack, 0
	.set _ZN7rocprim17ROCPRIM_400000_NS6detail17trampoline_kernelINS0_14default_configENS1_35radix_sort_onesweep_config_selectorIiNS0_10empty_typeEEEZNS1_34radix_sort_onesweep_global_offsetsIS3_Lb1EN6thrust23THRUST_200600_302600_NS6detail15normal_iteratorINS9_10device_ptrIiEEEEPS5_jNS0_19identity_decomposerEEE10hipError_tT1_T2_PT3_SK_jT4_jjP12ihipStream_tbEUlT_E_NS1_11comp_targetILNS1_3genE10ELNS1_11target_archE1201ELNS1_3gpuE5ELNS1_3repE0EEENS1_52radix_sort_onesweep_histogram_config_static_selectorELNS0_4arch9wavefront6targetE0EEEvSI_.has_recursion, 0
	.set _ZN7rocprim17ROCPRIM_400000_NS6detail17trampoline_kernelINS0_14default_configENS1_35radix_sort_onesweep_config_selectorIiNS0_10empty_typeEEEZNS1_34radix_sort_onesweep_global_offsetsIS3_Lb1EN6thrust23THRUST_200600_302600_NS6detail15normal_iteratorINS9_10device_ptrIiEEEEPS5_jNS0_19identity_decomposerEEE10hipError_tT1_T2_PT3_SK_jT4_jjP12ihipStream_tbEUlT_E_NS1_11comp_targetILNS1_3genE10ELNS1_11target_archE1201ELNS1_3gpuE5ELNS1_3repE0EEENS1_52radix_sort_onesweep_histogram_config_static_selectorELNS0_4arch9wavefront6targetE0EEEvSI_.has_indirect_call, 0
	.section	.AMDGPU.csdata,"",@progbits
; Kernel info:
; codeLenInByte = 0
; TotalNumSgprs: 0
; NumVgprs: 0
; ScratchSize: 0
; MemoryBound: 0
; FloatMode: 240
; IeeeMode: 1
; LDSByteSize: 0 bytes/workgroup (compile time only)
; SGPRBlocks: 0
; VGPRBlocks: 0
; NumSGPRsForWavesPerEU: 1
; NumVGPRsForWavesPerEU: 1
; Occupancy: 16
; WaveLimiterHint : 0
; COMPUTE_PGM_RSRC2:SCRATCH_EN: 0
; COMPUTE_PGM_RSRC2:USER_SGPR: 6
; COMPUTE_PGM_RSRC2:TRAP_HANDLER: 0
; COMPUTE_PGM_RSRC2:TGID_X_EN: 1
; COMPUTE_PGM_RSRC2:TGID_Y_EN: 0
; COMPUTE_PGM_RSRC2:TGID_Z_EN: 0
; COMPUTE_PGM_RSRC2:TIDIG_COMP_CNT: 0
	.section	.text._ZN7rocprim17ROCPRIM_400000_NS6detail17trampoline_kernelINS0_14default_configENS1_35radix_sort_onesweep_config_selectorIiNS0_10empty_typeEEEZNS1_34radix_sort_onesweep_global_offsetsIS3_Lb1EN6thrust23THRUST_200600_302600_NS6detail15normal_iteratorINS9_10device_ptrIiEEEEPS5_jNS0_19identity_decomposerEEE10hipError_tT1_T2_PT3_SK_jT4_jjP12ihipStream_tbEUlT_E_NS1_11comp_targetILNS1_3genE9ELNS1_11target_archE1100ELNS1_3gpuE3ELNS1_3repE0EEENS1_52radix_sort_onesweep_histogram_config_static_selectorELNS0_4arch9wavefront6targetE0EEEvSI_,"axG",@progbits,_ZN7rocprim17ROCPRIM_400000_NS6detail17trampoline_kernelINS0_14default_configENS1_35radix_sort_onesweep_config_selectorIiNS0_10empty_typeEEEZNS1_34radix_sort_onesweep_global_offsetsIS3_Lb1EN6thrust23THRUST_200600_302600_NS6detail15normal_iteratorINS9_10device_ptrIiEEEEPS5_jNS0_19identity_decomposerEEE10hipError_tT1_T2_PT3_SK_jT4_jjP12ihipStream_tbEUlT_E_NS1_11comp_targetILNS1_3genE9ELNS1_11target_archE1100ELNS1_3gpuE3ELNS1_3repE0EEENS1_52radix_sort_onesweep_histogram_config_static_selectorELNS0_4arch9wavefront6targetE0EEEvSI_,comdat
	.protected	_ZN7rocprim17ROCPRIM_400000_NS6detail17trampoline_kernelINS0_14default_configENS1_35radix_sort_onesweep_config_selectorIiNS0_10empty_typeEEEZNS1_34radix_sort_onesweep_global_offsetsIS3_Lb1EN6thrust23THRUST_200600_302600_NS6detail15normal_iteratorINS9_10device_ptrIiEEEEPS5_jNS0_19identity_decomposerEEE10hipError_tT1_T2_PT3_SK_jT4_jjP12ihipStream_tbEUlT_E_NS1_11comp_targetILNS1_3genE9ELNS1_11target_archE1100ELNS1_3gpuE3ELNS1_3repE0EEENS1_52radix_sort_onesweep_histogram_config_static_selectorELNS0_4arch9wavefront6targetE0EEEvSI_ ; -- Begin function _ZN7rocprim17ROCPRIM_400000_NS6detail17trampoline_kernelINS0_14default_configENS1_35radix_sort_onesweep_config_selectorIiNS0_10empty_typeEEEZNS1_34radix_sort_onesweep_global_offsetsIS3_Lb1EN6thrust23THRUST_200600_302600_NS6detail15normal_iteratorINS9_10device_ptrIiEEEEPS5_jNS0_19identity_decomposerEEE10hipError_tT1_T2_PT3_SK_jT4_jjP12ihipStream_tbEUlT_E_NS1_11comp_targetILNS1_3genE9ELNS1_11target_archE1100ELNS1_3gpuE3ELNS1_3repE0EEENS1_52radix_sort_onesweep_histogram_config_static_selectorELNS0_4arch9wavefront6targetE0EEEvSI_
	.globl	_ZN7rocprim17ROCPRIM_400000_NS6detail17trampoline_kernelINS0_14default_configENS1_35radix_sort_onesweep_config_selectorIiNS0_10empty_typeEEEZNS1_34radix_sort_onesweep_global_offsetsIS3_Lb1EN6thrust23THRUST_200600_302600_NS6detail15normal_iteratorINS9_10device_ptrIiEEEEPS5_jNS0_19identity_decomposerEEE10hipError_tT1_T2_PT3_SK_jT4_jjP12ihipStream_tbEUlT_E_NS1_11comp_targetILNS1_3genE9ELNS1_11target_archE1100ELNS1_3gpuE3ELNS1_3repE0EEENS1_52radix_sort_onesweep_histogram_config_static_selectorELNS0_4arch9wavefront6targetE0EEEvSI_
	.p2align	8
	.type	_ZN7rocprim17ROCPRIM_400000_NS6detail17trampoline_kernelINS0_14default_configENS1_35radix_sort_onesweep_config_selectorIiNS0_10empty_typeEEEZNS1_34radix_sort_onesweep_global_offsetsIS3_Lb1EN6thrust23THRUST_200600_302600_NS6detail15normal_iteratorINS9_10device_ptrIiEEEEPS5_jNS0_19identity_decomposerEEE10hipError_tT1_T2_PT3_SK_jT4_jjP12ihipStream_tbEUlT_E_NS1_11comp_targetILNS1_3genE9ELNS1_11target_archE1100ELNS1_3gpuE3ELNS1_3repE0EEENS1_52radix_sort_onesweep_histogram_config_static_selectorELNS0_4arch9wavefront6targetE0EEEvSI_,@function
_ZN7rocprim17ROCPRIM_400000_NS6detail17trampoline_kernelINS0_14default_configENS1_35radix_sort_onesweep_config_selectorIiNS0_10empty_typeEEEZNS1_34radix_sort_onesweep_global_offsetsIS3_Lb1EN6thrust23THRUST_200600_302600_NS6detail15normal_iteratorINS9_10device_ptrIiEEEEPS5_jNS0_19identity_decomposerEEE10hipError_tT1_T2_PT3_SK_jT4_jjP12ihipStream_tbEUlT_E_NS1_11comp_targetILNS1_3genE9ELNS1_11target_archE1100ELNS1_3gpuE3ELNS1_3repE0EEENS1_52radix_sort_onesweep_histogram_config_static_selectorELNS0_4arch9wavefront6targetE0EEEvSI_: ; @_ZN7rocprim17ROCPRIM_400000_NS6detail17trampoline_kernelINS0_14default_configENS1_35radix_sort_onesweep_config_selectorIiNS0_10empty_typeEEEZNS1_34radix_sort_onesweep_global_offsetsIS3_Lb1EN6thrust23THRUST_200600_302600_NS6detail15normal_iteratorINS9_10device_ptrIiEEEEPS5_jNS0_19identity_decomposerEEE10hipError_tT1_T2_PT3_SK_jT4_jjP12ihipStream_tbEUlT_E_NS1_11comp_targetILNS1_3genE9ELNS1_11target_archE1100ELNS1_3gpuE3ELNS1_3repE0EEENS1_52radix_sort_onesweep_histogram_config_static_selectorELNS0_4arch9wavefront6targetE0EEEvSI_
; %bb.0:
	.section	.rodata,"a",@progbits
	.p2align	6, 0x0
	.amdhsa_kernel _ZN7rocprim17ROCPRIM_400000_NS6detail17trampoline_kernelINS0_14default_configENS1_35radix_sort_onesweep_config_selectorIiNS0_10empty_typeEEEZNS1_34radix_sort_onesweep_global_offsetsIS3_Lb1EN6thrust23THRUST_200600_302600_NS6detail15normal_iteratorINS9_10device_ptrIiEEEEPS5_jNS0_19identity_decomposerEEE10hipError_tT1_T2_PT3_SK_jT4_jjP12ihipStream_tbEUlT_E_NS1_11comp_targetILNS1_3genE9ELNS1_11target_archE1100ELNS1_3gpuE3ELNS1_3repE0EEENS1_52radix_sort_onesweep_histogram_config_static_selectorELNS0_4arch9wavefront6targetE0EEEvSI_
		.amdhsa_group_segment_fixed_size 0
		.amdhsa_private_segment_fixed_size 0
		.amdhsa_kernarg_size 40
		.amdhsa_user_sgpr_count 6
		.amdhsa_user_sgpr_private_segment_buffer 1
		.amdhsa_user_sgpr_dispatch_ptr 0
		.amdhsa_user_sgpr_queue_ptr 0
		.amdhsa_user_sgpr_kernarg_segment_ptr 1
		.amdhsa_user_sgpr_dispatch_id 0
		.amdhsa_user_sgpr_flat_scratch_init 0
		.amdhsa_user_sgpr_private_segment_size 0
		.amdhsa_wavefront_size32 1
		.amdhsa_uses_dynamic_stack 0
		.amdhsa_system_sgpr_private_segment_wavefront_offset 0
		.amdhsa_system_sgpr_workgroup_id_x 1
		.amdhsa_system_sgpr_workgroup_id_y 0
		.amdhsa_system_sgpr_workgroup_id_z 0
		.amdhsa_system_sgpr_workgroup_info 0
		.amdhsa_system_vgpr_workitem_id 0
		.amdhsa_next_free_vgpr 1
		.amdhsa_next_free_sgpr 1
		.amdhsa_reserve_vcc 0
		.amdhsa_reserve_flat_scratch 0
		.amdhsa_float_round_mode_32 0
		.amdhsa_float_round_mode_16_64 0
		.amdhsa_float_denorm_mode_32 3
		.amdhsa_float_denorm_mode_16_64 3
		.amdhsa_dx10_clamp 1
		.amdhsa_ieee_mode 1
		.amdhsa_fp16_overflow 0
		.amdhsa_workgroup_processor_mode 1
		.amdhsa_memory_ordered 1
		.amdhsa_forward_progress 1
		.amdhsa_shared_vgpr_count 0
		.amdhsa_exception_fp_ieee_invalid_op 0
		.amdhsa_exception_fp_denorm_src 0
		.amdhsa_exception_fp_ieee_div_zero 0
		.amdhsa_exception_fp_ieee_overflow 0
		.amdhsa_exception_fp_ieee_underflow 0
		.amdhsa_exception_fp_ieee_inexact 0
		.amdhsa_exception_int_div_zero 0
	.end_amdhsa_kernel
	.section	.text._ZN7rocprim17ROCPRIM_400000_NS6detail17trampoline_kernelINS0_14default_configENS1_35radix_sort_onesweep_config_selectorIiNS0_10empty_typeEEEZNS1_34radix_sort_onesweep_global_offsetsIS3_Lb1EN6thrust23THRUST_200600_302600_NS6detail15normal_iteratorINS9_10device_ptrIiEEEEPS5_jNS0_19identity_decomposerEEE10hipError_tT1_T2_PT3_SK_jT4_jjP12ihipStream_tbEUlT_E_NS1_11comp_targetILNS1_3genE9ELNS1_11target_archE1100ELNS1_3gpuE3ELNS1_3repE0EEENS1_52radix_sort_onesweep_histogram_config_static_selectorELNS0_4arch9wavefront6targetE0EEEvSI_,"axG",@progbits,_ZN7rocprim17ROCPRIM_400000_NS6detail17trampoline_kernelINS0_14default_configENS1_35radix_sort_onesweep_config_selectorIiNS0_10empty_typeEEEZNS1_34radix_sort_onesweep_global_offsetsIS3_Lb1EN6thrust23THRUST_200600_302600_NS6detail15normal_iteratorINS9_10device_ptrIiEEEEPS5_jNS0_19identity_decomposerEEE10hipError_tT1_T2_PT3_SK_jT4_jjP12ihipStream_tbEUlT_E_NS1_11comp_targetILNS1_3genE9ELNS1_11target_archE1100ELNS1_3gpuE3ELNS1_3repE0EEENS1_52radix_sort_onesweep_histogram_config_static_selectorELNS0_4arch9wavefront6targetE0EEEvSI_,comdat
.Lfunc_end325:
	.size	_ZN7rocprim17ROCPRIM_400000_NS6detail17trampoline_kernelINS0_14default_configENS1_35radix_sort_onesweep_config_selectorIiNS0_10empty_typeEEEZNS1_34radix_sort_onesweep_global_offsetsIS3_Lb1EN6thrust23THRUST_200600_302600_NS6detail15normal_iteratorINS9_10device_ptrIiEEEEPS5_jNS0_19identity_decomposerEEE10hipError_tT1_T2_PT3_SK_jT4_jjP12ihipStream_tbEUlT_E_NS1_11comp_targetILNS1_3genE9ELNS1_11target_archE1100ELNS1_3gpuE3ELNS1_3repE0EEENS1_52radix_sort_onesweep_histogram_config_static_selectorELNS0_4arch9wavefront6targetE0EEEvSI_, .Lfunc_end325-_ZN7rocprim17ROCPRIM_400000_NS6detail17trampoline_kernelINS0_14default_configENS1_35radix_sort_onesweep_config_selectorIiNS0_10empty_typeEEEZNS1_34radix_sort_onesweep_global_offsetsIS3_Lb1EN6thrust23THRUST_200600_302600_NS6detail15normal_iteratorINS9_10device_ptrIiEEEEPS5_jNS0_19identity_decomposerEEE10hipError_tT1_T2_PT3_SK_jT4_jjP12ihipStream_tbEUlT_E_NS1_11comp_targetILNS1_3genE9ELNS1_11target_archE1100ELNS1_3gpuE3ELNS1_3repE0EEENS1_52radix_sort_onesweep_histogram_config_static_selectorELNS0_4arch9wavefront6targetE0EEEvSI_
                                        ; -- End function
	.set _ZN7rocprim17ROCPRIM_400000_NS6detail17trampoline_kernelINS0_14default_configENS1_35radix_sort_onesweep_config_selectorIiNS0_10empty_typeEEEZNS1_34radix_sort_onesweep_global_offsetsIS3_Lb1EN6thrust23THRUST_200600_302600_NS6detail15normal_iteratorINS9_10device_ptrIiEEEEPS5_jNS0_19identity_decomposerEEE10hipError_tT1_T2_PT3_SK_jT4_jjP12ihipStream_tbEUlT_E_NS1_11comp_targetILNS1_3genE9ELNS1_11target_archE1100ELNS1_3gpuE3ELNS1_3repE0EEENS1_52radix_sort_onesweep_histogram_config_static_selectorELNS0_4arch9wavefront6targetE0EEEvSI_.num_vgpr, 0
	.set _ZN7rocprim17ROCPRIM_400000_NS6detail17trampoline_kernelINS0_14default_configENS1_35radix_sort_onesweep_config_selectorIiNS0_10empty_typeEEEZNS1_34radix_sort_onesweep_global_offsetsIS3_Lb1EN6thrust23THRUST_200600_302600_NS6detail15normal_iteratorINS9_10device_ptrIiEEEEPS5_jNS0_19identity_decomposerEEE10hipError_tT1_T2_PT3_SK_jT4_jjP12ihipStream_tbEUlT_E_NS1_11comp_targetILNS1_3genE9ELNS1_11target_archE1100ELNS1_3gpuE3ELNS1_3repE0EEENS1_52radix_sort_onesweep_histogram_config_static_selectorELNS0_4arch9wavefront6targetE0EEEvSI_.num_agpr, 0
	.set _ZN7rocprim17ROCPRIM_400000_NS6detail17trampoline_kernelINS0_14default_configENS1_35radix_sort_onesweep_config_selectorIiNS0_10empty_typeEEEZNS1_34radix_sort_onesweep_global_offsetsIS3_Lb1EN6thrust23THRUST_200600_302600_NS6detail15normal_iteratorINS9_10device_ptrIiEEEEPS5_jNS0_19identity_decomposerEEE10hipError_tT1_T2_PT3_SK_jT4_jjP12ihipStream_tbEUlT_E_NS1_11comp_targetILNS1_3genE9ELNS1_11target_archE1100ELNS1_3gpuE3ELNS1_3repE0EEENS1_52radix_sort_onesweep_histogram_config_static_selectorELNS0_4arch9wavefront6targetE0EEEvSI_.numbered_sgpr, 0
	.set _ZN7rocprim17ROCPRIM_400000_NS6detail17trampoline_kernelINS0_14default_configENS1_35radix_sort_onesweep_config_selectorIiNS0_10empty_typeEEEZNS1_34radix_sort_onesweep_global_offsetsIS3_Lb1EN6thrust23THRUST_200600_302600_NS6detail15normal_iteratorINS9_10device_ptrIiEEEEPS5_jNS0_19identity_decomposerEEE10hipError_tT1_T2_PT3_SK_jT4_jjP12ihipStream_tbEUlT_E_NS1_11comp_targetILNS1_3genE9ELNS1_11target_archE1100ELNS1_3gpuE3ELNS1_3repE0EEENS1_52radix_sort_onesweep_histogram_config_static_selectorELNS0_4arch9wavefront6targetE0EEEvSI_.num_named_barrier, 0
	.set _ZN7rocprim17ROCPRIM_400000_NS6detail17trampoline_kernelINS0_14default_configENS1_35radix_sort_onesweep_config_selectorIiNS0_10empty_typeEEEZNS1_34radix_sort_onesweep_global_offsetsIS3_Lb1EN6thrust23THRUST_200600_302600_NS6detail15normal_iteratorINS9_10device_ptrIiEEEEPS5_jNS0_19identity_decomposerEEE10hipError_tT1_T2_PT3_SK_jT4_jjP12ihipStream_tbEUlT_E_NS1_11comp_targetILNS1_3genE9ELNS1_11target_archE1100ELNS1_3gpuE3ELNS1_3repE0EEENS1_52radix_sort_onesweep_histogram_config_static_selectorELNS0_4arch9wavefront6targetE0EEEvSI_.private_seg_size, 0
	.set _ZN7rocprim17ROCPRIM_400000_NS6detail17trampoline_kernelINS0_14default_configENS1_35radix_sort_onesweep_config_selectorIiNS0_10empty_typeEEEZNS1_34radix_sort_onesweep_global_offsetsIS3_Lb1EN6thrust23THRUST_200600_302600_NS6detail15normal_iteratorINS9_10device_ptrIiEEEEPS5_jNS0_19identity_decomposerEEE10hipError_tT1_T2_PT3_SK_jT4_jjP12ihipStream_tbEUlT_E_NS1_11comp_targetILNS1_3genE9ELNS1_11target_archE1100ELNS1_3gpuE3ELNS1_3repE0EEENS1_52radix_sort_onesweep_histogram_config_static_selectorELNS0_4arch9wavefront6targetE0EEEvSI_.uses_vcc, 0
	.set _ZN7rocprim17ROCPRIM_400000_NS6detail17trampoline_kernelINS0_14default_configENS1_35radix_sort_onesweep_config_selectorIiNS0_10empty_typeEEEZNS1_34radix_sort_onesweep_global_offsetsIS3_Lb1EN6thrust23THRUST_200600_302600_NS6detail15normal_iteratorINS9_10device_ptrIiEEEEPS5_jNS0_19identity_decomposerEEE10hipError_tT1_T2_PT3_SK_jT4_jjP12ihipStream_tbEUlT_E_NS1_11comp_targetILNS1_3genE9ELNS1_11target_archE1100ELNS1_3gpuE3ELNS1_3repE0EEENS1_52radix_sort_onesweep_histogram_config_static_selectorELNS0_4arch9wavefront6targetE0EEEvSI_.uses_flat_scratch, 0
	.set _ZN7rocprim17ROCPRIM_400000_NS6detail17trampoline_kernelINS0_14default_configENS1_35radix_sort_onesweep_config_selectorIiNS0_10empty_typeEEEZNS1_34radix_sort_onesweep_global_offsetsIS3_Lb1EN6thrust23THRUST_200600_302600_NS6detail15normal_iteratorINS9_10device_ptrIiEEEEPS5_jNS0_19identity_decomposerEEE10hipError_tT1_T2_PT3_SK_jT4_jjP12ihipStream_tbEUlT_E_NS1_11comp_targetILNS1_3genE9ELNS1_11target_archE1100ELNS1_3gpuE3ELNS1_3repE0EEENS1_52radix_sort_onesweep_histogram_config_static_selectorELNS0_4arch9wavefront6targetE0EEEvSI_.has_dyn_sized_stack, 0
	.set _ZN7rocprim17ROCPRIM_400000_NS6detail17trampoline_kernelINS0_14default_configENS1_35radix_sort_onesweep_config_selectorIiNS0_10empty_typeEEEZNS1_34radix_sort_onesweep_global_offsetsIS3_Lb1EN6thrust23THRUST_200600_302600_NS6detail15normal_iteratorINS9_10device_ptrIiEEEEPS5_jNS0_19identity_decomposerEEE10hipError_tT1_T2_PT3_SK_jT4_jjP12ihipStream_tbEUlT_E_NS1_11comp_targetILNS1_3genE9ELNS1_11target_archE1100ELNS1_3gpuE3ELNS1_3repE0EEENS1_52radix_sort_onesweep_histogram_config_static_selectorELNS0_4arch9wavefront6targetE0EEEvSI_.has_recursion, 0
	.set _ZN7rocprim17ROCPRIM_400000_NS6detail17trampoline_kernelINS0_14default_configENS1_35radix_sort_onesweep_config_selectorIiNS0_10empty_typeEEEZNS1_34radix_sort_onesweep_global_offsetsIS3_Lb1EN6thrust23THRUST_200600_302600_NS6detail15normal_iteratorINS9_10device_ptrIiEEEEPS5_jNS0_19identity_decomposerEEE10hipError_tT1_T2_PT3_SK_jT4_jjP12ihipStream_tbEUlT_E_NS1_11comp_targetILNS1_3genE9ELNS1_11target_archE1100ELNS1_3gpuE3ELNS1_3repE0EEENS1_52radix_sort_onesweep_histogram_config_static_selectorELNS0_4arch9wavefront6targetE0EEEvSI_.has_indirect_call, 0
	.section	.AMDGPU.csdata,"",@progbits
; Kernel info:
; codeLenInByte = 0
; TotalNumSgprs: 0
; NumVgprs: 0
; ScratchSize: 0
; MemoryBound: 0
; FloatMode: 240
; IeeeMode: 1
; LDSByteSize: 0 bytes/workgroup (compile time only)
; SGPRBlocks: 0
; VGPRBlocks: 0
; NumSGPRsForWavesPerEU: 1
; NumVGPRsForWavesPerEU: 1
; Occupancy: 16
; WaveLimiterHint : 0
; COMPUTE_PGM_RSRC2:SCRATCH_EN: 0
; COMPUTE_PGM_RSRC2:USER_SGPR: 6
; COMPUTE_PGM_RSRC2:TRAP_HANDLER: 0
; COMPUTE_PGM_RSRC2:TGID_X_EN: 1
; COMPUTE_PGM_RSRC2:TGID_Y_EN: 0
; COMPUTE_PGM_RSRC2:TGID_Z_EN: 0
; COMPUTE_PGM_RSRC2:TIDIG_COMP_CNT: 0
	.section	.text._ZN7rocprim17ROCPRIM_400000_NS6detail17trampoline_kernelINS0_14default_configENS1_35radix_sort_onesweep_config_selectorIiNS0_10empty_typeEEEZNS1_34radix_sort_onesweep_global_offsetsIS3_Lb1EN6thrust23THRUST_200600_302600_NS6detail15normal_iteratorINS9_10device_ptrIiEEEEPS5_jNS0_19identity_decomposerEEE10hipError_tT1_T2_PT3_SK_jT4_jjP12ihipStream_tbEUlT_E_NS1_11comp_targetILNS1_3genE8ELNS1_11target_archE1030ELNS1_3gpuE2ELNS1_3repE0EEENS1_52radix_sort_onesweep_histogram_config_static_selectorELNS0_4arch9wavefront6targetE0EEEvSI_,"axG",@progbits,_ZN7rocprim17ROCPRIM_400000_NS6detail17trampoline_kernelINS0_14default_configENS1_35radix_sort_onesweep_config_selectorIiNS0_10empty_typeEEEZNS1_34radix_sort_onesweep_global_offsetsIS3_Lb1EN6thrust23THRUST_200600_302600_NS6detail15normal_iteratorINS9_10device_ptrIiEEEEPS5_jNS0_19identity_decomposerEEE10hipError_tT1_T2_PT3_SK_jT4_jjP12ihipStream_tbEUlT_E_NS1_11comp_targetILNS1_3genE8ELNS1_11target_archE1030ELNS1_3gpuE2ELNS1_3repE0EEENS1_52radix_sort_onesweep_histogram_config_static_selectorELNS0_4arch9wavefront6targetE0EEEvSI_,comdat
	.protected	_ZN7rocprim17ROCPRIM_400000_NS6detail17trampoline_kernelINS0_14default_configENS1_35radix_sort_onesweep_config_selectorIiNS0_10empty_typeEEEZNS1_34radix_sort_onesweep_global_offsetsIS3_Lb1EN6thrust23THRUST_200600_302600_NS6detail15normal_iteratorINS9_10device_ptrIiEEEEPS5_jNS0_19identity_decomposerEEE10hipError_tT1_T2_PT3_SK_jT4_jjP12ihipStream_tbEUlT_E_NS1_11comp_targetILNS1_3genE8ELNS1_11target_archE1030ELNS1_3gpuE2ELNS1_3repE0EEENS1_52radix_sort_onesweep_histogram_config_static_selectorELNS0_4arch9wavefront6targetE0EEEvSI_ ; -- Begin function _ZN7rocprim17ROCPRIM_400000_NS6detail17trampoline_kernelINS0_14default_configENS1_35radix_sort_onesweep_config_selectorIiNS0_10empty_typeEEEZNS1_34radix_sort_onesweep_global_offsetsIS3_Lb1EN6thrust23THRUST_200600_302600_NS6detail15normal_iteratorINS9_10device_ptrIiEEEEPS5_jNS0_19identity_decomposerEEE10hipError_tT1_T2_PT3_SK_jT4_jjP12ihipStream_tbEUlT_E_NS1_11comp_targetILNS1_3genE8ELNS1_11target_archE1030ELNS1_3gpuE2ELNS1_3repE0EEENS1_52radix_sort_onesweep_histogram_config_static_selectorELNS0_4arch9wavefront6targetE0EEEvSI_
	.globl	_ZN7rocprim17ROCPRIM_400000_NS6detail17trampoline_kernelINS0_14default_configENS1_35radix_sort_onesweep_config_selectorIiNS0_10empty_typeEEEZNS1_34radix_sort_onesweep_global_offsetsIS3_Lb1EN6thrust23THRUST_200600_302600_NS6detail15normal_iteratorINS9_10device_ptrIiEEEEPS5_jNS0_19identity_decomposerEEE10hipError_tT1_T2_PT3_SK_jT4_jjP12ihipStream_tbEUlT_E_NS1_11comp_targetILNS1_3genE8ELNS1_11target_archE1030ELNS1_3gpuE2ELNS1_3repE0EEENS1_52radix_sort_onesweep_histogram_config_static_selectorELNS0_4arch9wavefront6targetE0EEEvSI_
	.p2align	8
	.type	_ZN7rocprim17ROCPRIM_400000_NS6detail17trampoline_kernelINS0_14default_configENS1_35radix_sort_onesweep_config_selectorIiNS0_10empty_typeEEEZNS1_34radix_sort_onesweep_global_offsetsIS3_Lb1EN6thrust23THRUST_200600_302600_NS6detail15normal_iteratorINS9_10device_ptrIiEEEEPS5_jNS0_19identity_decomposerEEE10hipError_tT1_T2_PT3_SK_jT4_jjP12ihipStream_tbEUlT_E_NS1_11comp_targetILNS1_3genE8ELNS1_11target_archE1030ELNS1_3gpuE2ELNS1_3repE0EEENS1_52radix_sort_onesweep_histogram_config_static_selectorELNS0_4arch9wavefront6targetE0EEEvSI_,@function
_ZN7rocprim17ROCPRIM_400000_NS6detail17trampoline_kernelINS0_14default_configENS1_35radix_sort_onesweep_config_selectorIiNS0_10empty_typeEEEZNS1_34radix_sort_onesweep_global_offsetsIS3_Lb1EN6thrust23THRUST_200600_302600_NS6detail15normal_iteratorINS9_10device_ptrIiEEEEPS5_jNS0_19identity_decomposerEEE10hipError_tT1_T2_PT3_SK_jT4_jjP12ihipStream_tbEUlT_E_NS1_11comp_targetILNS1_3genE8ELNS1_11target_archE1030ELNS1_3gpuE2ELNS1_3repE0EEENS1_52radix_sort_onesweep_histogram_config_static_selectorELNS0_4arch9wavefront6targetE0EEEvSI_: ; @_ZN7rocprim17ROCPRIM_400000_NS6detail17trampoline_kernelINS0_14default_configENS1_35radix_sort_onesweep_config_selectorIiNS0_10empty_typeEEEZNS1_34radix_sort_onesweep_global_offsetsIS3_Lb1EN6thrust23THRUST_200600_302600_NS6detail15normal_iteratorINS9_10device_ptrIiEEEEPS5_jNS0_19identity_decomposerEEE10hipError_tT1_T2_PT3_SK_jT4_jjP12ihipStream_tbEUlT_E_NS1_11comp_targetILNS1_3genE8ELNS1_11target_archE1030ELNS1_3gpuE2ELNS1_3repE0EEENS1_52radix_sort_onesweep_histogram_config_static_selectorELNS0_4arch9wavefront6targetE0EEEvSI_
; %bb.0:
	s_clause 0x2
	s_load_dword s0, s[4:5], 0x14
	s_load_dwordx4 s[8:11], s[4:5], 0x0
	s_load_dwordx2 s[2:3], s[4:5], 0x1c
	s_lshl_b32 s12, s6, 12
	s_mov_b32 s1, -1
	s_waitcnt lgkmcnt(0)
	s_cmp_ge_u32 s6, s0
	s_cbranch_scc0 .LBB326_85
; %bb.1:
	s_load_dword s4, s[4:5], 0x10
	v_mov_b32_e32 v1, 0
	s_mov_b32 s13, 0
	s_lshl_b32 s5, s0, 12
	s_lshl_b64 s[0:1], s[12:13], 2
	v_mov_b32_e32 v2, v1
	v_mov_b32_e32 v3, v1
	;; [unrolled: 1-line block ×3, first 2 shown]
	s_waitcnt lgkmcnt(0)
	s_sub_i32 s4, s4, s5
	s_add_u32 s0, s8, s0
	s_addc_u32 s1, s9, s1
	s_mov_b32 s5, exec_lo
	v_cmpx_gt_u32_e64 s4, v0
	s_cbranch_execz .LBB326_3
; %bb.2:
	v_lshlrev_b32_e32 v2, 2, v0
	v_mov_b32_e32 v5, v1
	v_mov_b32_e32 v3, v1
	;; [unrolled: 1-line block ×3, first 2 shown]
	global_load_dword v2, v2, s[0:1]
	s_waitcnt vmcnt(0)
	v_mov_b32_e32 v1, v2
	v_mov_b32_e32 v2, v3
	;; [unrolled: 1-line block ×4, first 2 shown]
.LBB326_3:
	s_or_b32 exec_lo, exec_lo, s5
	v_or_b32_e32 v8, 0x400, v0
	s_mov_b32 s5, exec_lo
	v_cmpx_gt_u32_e64 s4, v8
	s_cbranch_execz .LBB326_5
; %bb.4:
	v_lshlrev_b32_e32 v2, 2, v8
	global_load_dword v2, v2, s[0:1]
.LBB326_5:
	s_or_b32 exec_lo, exec_lo, s5
	v_or_b32_e32 v7, 0x800, v0
	s_mov_b32 s5, exec_lo
	v_cmpx_gt_u32_e64 s4, v7
	s_cbranch_execz .LBB326_7
; %bb.6:
	v_lshlrev_b32_e32 v3, 2, v7
	global_load_dword v3, v3, s[0:1]
.LBB326_7:
	;; [unrolled: 9-line block ×3, first 2 shown]
	s_or_b32 exec_lo, exec_lo, s5
	v_or_b32_e32 v5, 0xfffffc00, v0
	v_lshlrev_b32_e32 v9, 2, v0
	v_mov_b32_e32 v10, 0
	s_mov_b32 s0, 0
.LBB326_10:                             ; =>This Inner Loop Header: Depth=1
	v_add_nc_u32_e32 v5, 0x400, v5
	ds_write_b32 v9, v10
	v_add_nc_u32_e32 v9, 0x1000, v9
	v_cmp_lt_u32_e32 vcc_lo, 0xbff, v5
	s_or_b32 s0, vcc_lo, s0
	s_andn2_b32 exec_lo, exec_lo, s0
	s_cbranch_execnz .LBB326_10
; %bb.11:
	s_or_b32 exec_lo, exec_lo, s0
	s_cmp_le_u32 s3, s2
	v_cmp_le_u32_e32 vcc_lo, s4, v0
	s_cselect_b32 s1, -1, 0
	v_and_b32_e32 v5, 3, v0
	s_and_b32 s0, s1, exec_lo
	s_cselect_b32 s5, 8, 10
	v_xor_b32_e32 v1, 0x7fffffff, v1
	v_mov_b32_e32 v9, s5
	s_nor_b32 s6, s1, vcc_lo
	s_waitcnt vmcnt(0) lgkmcnt(0)
	s_barrier
	buffer_gl0_inv
	s_and_saveexec_b32 s0, s6
	s_cbranch_execz .LBB326_13
; %bb.12:
	v_lshrrev_b32_e32 v9, s2, v1
	s_sub_i32 s6, s3, s2
	v_lshlrev_b32_e32 v10, 2, v5
	s_min_u32 s6, s6, 8
	v_bfe_u32 v9, v9, 0, s6
	v_lshl_or_b32 v9, v9, 4, v10
	v_mov_b32_e32 v10, 1
	ds_add_u32 v9, v10
	v_mov_b32_e32 v9, 0
.LBB326_13:
	s_or_b32 exec_lo, exec_lo, s0
	s_mov_b32 s7, -1
	s_mov_b32 s6, exec_lo
	v_cmpx_gt_i32_e32 10, v9
; %bb.14:
	v_cmp_eq_u32_e64 s0, 0, v9
	s_orn2_b32 s7, s0, exec_lo
; %bb.15:
	s_or_b32 exec_lo, exec_lo, s6
	s_and_saveexec_b32 s6, s7
	s_cbranch_execz .LBB326_28
; %bb.16:
	s_add_i32 s7, s2, 8
	s_cmp_le_u32 s3, s7
	s_cselect_b32 s0, -1, 0
	s_and_b32 s13, s0, exec_lo
	s_cselect_b32 s13, 8, 10
	v_mov_b32_e32 v9, s13
	s_nor_b32 s13, s0, vcc_lo
	s_and_saveexec_b32 s0, s13
	s_cbranch_execz .LBB326_18
; %bb.17:
	v_lshrrev_b32_e32 v9, s7, v1
	s_sub_i32 s7, s3, s7
	v_lshlrev_b32_e32 v10, 2, v5
	s_min_u32 s7, s7, 8
	v_bfe_u32 v9, v9, 0, s7
	v_lshl_or_b32 v9, v9, 4, v10
	v_mov_b32_e32 v10, 1
	ds_add_u32 v9, v10 offset:4096
	v_mov_b32_e32 v9, 0
.LBB326_18:
	s_or_b32 exec_lo, exec_lo, s0
	s_mov_b32 s7, -1
	s_mov_b32 s13, exec_lo
	v_cmpx_gt_i32_e32 10, v9
; %bb.19:
	v_cmp_eq_u32_e64 s0, 0, v9
	s_orn2_b32 s7, s0, exec_lo
; %bb.20:
	s_or_b32 exec_lo, exec_lo, s13
	s_and_b32 exec_lo, exec_lo, s7
	s_cbranch_execz .LBB326_28
; %bb.21:
	s_add_i32 s7, s2, 16
	s_cmp_le_u32 s3, s7
	s_cselect_b32 s0, -1, 0
	s_and_b32 s13, s0, exec_lo
	s_cselect_b32 s13, 8, 10
	v_mov_b32_e32 v9, s13
	s_nor_b32 s13, s0, vcc_lo
	s_and_saveexec_b32 s0, s13
	s_cbranch_execz .LBB326_23
; %bb.22:
	v_lshrrev_b32_e32 v9, s7, v1
	s_sub_i32 s7, s3, s7
	v_lshlrev_b32_e32 v10, 2, v5
	s_min_u32 s7, s7, 8
	v_bfe_u32 v9, v9, 0, s7
	v_lshl_or_b32 v9, v9, 4, v10
	v_mov_b32_e32 v10, 1
	ds_add_u32 v9, v10 offset:8192
	v_mov_b32_e32 v9, 0
.LBB326_23:
	s_or_b32 exec_lo, exec_lo, s0
	s_mov_b32 s7, -1
	s_mov_b32 s13, exec_lo
	v_cmpx_gt_i32_e32 10, v9
; %bb.24:
	v_cmp_eq_u32_e64 s0, 0, v9
	s_orn2_b32 s7, s0, exec_lo
; %bb.25:
	s_or_b32 exec_lo, exec_lo, s13
	s_and_b32 exec_lo, exec_lo, s7
	s_cbranch_execz .LBB326_28
; %bb.26:
	s_add_i32 s0, s2, 24
	s_cmp_gt_u32 s3, s0
	s_cselect_b32 s7, -1, 0
	s_xor_b32 s13, vcc_lo, -1
	s_and_b32 s7, s7, s13
	s_and_b32 exec_lo, exec_lo, s7
	s_cbranch_execz .LBB326_28
; %bb.27:
	v_lshrrev_b32_e32 v1, s0, v1
	s_sub_i32 s0, s3, s0
	v_lshlrev_b32_e32 v9, 2, v5
	s_min_u32 s0, s0, 8
	v_bfe_u32 v1, v1, 0, s0
	v_lshl_or_b32 v1, v1, 4, v9
	v_mov_b32_e32 v9, 1
	ds_add_u32 v1, v9 offset:12288
.LBB326_28:
	s_or_b32 exec_lo, exec_lo, s6
	v_cmp_le_u32_e32 vcc_lo, s4, v8
	v_xor_b32_e32 v1, 0x7fffffff, v2
	v_mov_b32_e32 v2, s5
	s_nor_b32 s6, s1, vcc_lo
	s_and_saveexec_b32 s0, s6
	s_cbranch_execz .LBB326_30
; %bb.29:
	v_lshrrev_b32_e32 v2, s2, v1
	s_sub_i32 s6, s3, s2
	v_lshlrev_b32_e32 v8, 2, v5
	s_min_u32 s6, s6, 8
	v_bfe_u32 v2, v2, 0, s6
	v_lshl_or_b32 v2, v2, 4, v8
	v_mov_b32_e32 v8, 1
	ds_add_u32 v2, v8
	v_mov_b32_e32 v2, 0
.LBB326_30:
	s_or_b32 exec_lo, exec_lo, s0
	s_mov_b32 s7, -1
	s_mov_b32 s6, exec_lo
	v_cmpx_gt_i32_e32 10, v2
; %bb.31:
	v_cmp_eq_u32_e64 s0, 0, v2
	s_orn2_b32 s7, s0, exec_lo
; %bb.32:
	s_or_b32 exec_lo, exec_lo, s6
	s_and_saveexec_b32 s6, s7
	s_cbranch_execz .LBB326_45
; %bb.33:
	s_add_i32 s7, s2, 8
	s_cmp_le_u32 s3, s7
	s_cselect_b32 s0, -1, 0
	s_and_b32 s13, s0, exec_lo
	s_cselect_b32 s13, 8, 10
	v_mov_b32_e32 v2, s13
	s_nor_b32 s13, s0, vcc_lo
	s_and_saveexec_b32 s0, s13
	s_cbranch_execz .LBB326_35
; %bb.34:
	v_lshrrev_b32_e32 v2, s7, v1
	s_sub_i32 s7, s3, s7
	v_lshlrev_b32_e32 v8, 2, v5
	s_min_u32 s7, s7, 8
	v_bfe_u32 v2, v2, 0, s7
	v_lshl_or_b32 v2, v2, 4, v8
	v_mov_b32_e32 v8, 1
	ds_add_u32 v2, v8 offset:4096
	v_mov_b32_e32 v2, 0
.LBB326_35:
	s_or_b32 exec_lo, exec_lo, s0
	s_mov_b32 s7, -1
	s_mov_b32 s13, exec_lo
	v_cmpx_gt_i32_e32 10, v2
; %bb.36:
	v_cmp_eq_u32_e64 s0, 0, v2
	s_orn2_b32 s7, s0, exec_lo
; %bb.37:
	s_or_b32 exec_lo, exec_lo, s13
	s_and_b32 exec_lo, exec_lo, s7
	s_cbranch_execz .LBB326_45
; %bb.38:
	s_add_i32 s7, s2, 16
	s_cmp_le_u32 s3, s7
	s_cselect_b32 s0, -1, 0
	s_and_b32 s13, s0, exec_lo
	s_cselect_b32 s13, 8, 10
	v_mov_b32_e32 v2, s13
	s_nor_b32 s13, s0, vcc_lo
	s_and_saveexec_b32 s0, s13
	s_cbranch_execz .LBB326_40
; %bb.39:
	v_lshrrev_b32_e32 v2, s7, v1
	s_sub_i32 s7, s3, s7
	v_lshlrev_b32_e32 v8, 2, v5
	s_min_u32 s7, s7, 8
	v_bfe_u32 v2, v2, 0, s7
	v_lshl_or_b32 v2, v2, 4, v8
	v_mov_b32_e32 v8, 1
	ds_add_u32 v2, v8 offset:8192
	v_mov_b32_e32 v2, 0
.LBB326_40:
	s_or_b32 exec_lo, exec_lo, s0
	s_mov_b32 s7, -1
	s_mov_b32 s13, exec_lo
	v_cmpx_gt_i32_e32 10, v2
; %bb.41:
	v_cmp_eq_u32_e64 s0, 0, v2
	s_orn2_b32 s7, s0, exec_lo
; %bb.42:
	s_or_b32 exec_lo, exec_lo, s13
	s_and_b32 exec_lo, exec_lo, s7
	s_cbranch_execz .LBB326_45
; %bb.43:
	s_add_i32 s0, s2, 24
	s_cmp_gt_u32 s3, s0
	s_cselect_b32 s7, -1, 0
	s_xor_b32 s13, vcc_lo, -1
	s_and_b32 s7, s7, s13
	s_and_b32 exec_lo, exec_lo, s7
	s_cbranch_execz .LBB326_45
; %bb.44:
	v_lshrrev_b32_e32 v1, s0, v1
	s_sub_i32 s0, s3, s0
	v_lshlrev_b32_e32 v2, 2, v5
	s_min_u32 s0, s0, 8
	v_bfe_u32 v1, v1, 0, s0
	v_lshl_or_b32 v1, v1, 4, v2
	v_mov_b32_e32 v2, 1
	ds_add_u32 v1, v2 offset:12288
.LBB326_45:
	s_or_b32 exec_lo, exec_lo, s6
	v_cmp_le_u32_e32 vcc_lo, s4, v7
	v_xor_b32_e32 v1, 0x7fffffff, v3
	v_mov_b32_e32 v2, s5
	s_nor_b32 s6, s1, vcc_lo
	s_and_saveexec_b32 s0, s6
	s_cbranch_execz .LBB326_47
; %bb.46:
	v_lshrrev_b32_e32 v2, s2, v1
	s_sub_i32 s6, s3, s2
	v_lshlrev_b32_e32 v3, 2, v5
	s_min_u32 s6, s6, 8
	v_bfe_u32 v2, v2, 0, s6
	v_lshl_or_b32 v2, v2, 4, v3
	v_mov_b32_e32 v3, 1
	ds_add_u32 v2, v3
	v_mov_b32_e32 v2, 0
.LBB326_47:
	s_or_b32 exec_lo, exec_lo, s0
	s_mov_b32 s7, -1
	s_mov_b32 s6, exec_lo
	v_cmpx_gt_i32_e32 10, v2
; %bb.48:
	v_cmp_eq_u32_e64 s0, 0, v2
	s_orn2_b32 s7, s0, exec_lo
; %bb.49:
	s_or_b32 exec_lo, exec_lo, s6
	s_and_saveexec_b32 s6, s7
	s_cbranch_execz .LBB326_62
; %bb.50:
	s_add_i32 s7, s2, 8
	s_cmp_le_u32 s3, s7
	s_cselect_b32 s0, -1, 0
	s_and_b32 s13, s0, exec_lo
	s_cselect_b32 s13, 8, 10
	v_mov_b32_e32 v2, s13
	s_nor_b32 s13, s0, vcc_lo
	s_and_saveexec_b32 s0, s13
	s_cbranch_execz .LBB326_52
; %bb.51:
	v_lshrrev_b32_e32 v2, s7, v1
	s_sub_i32 s7, s3, s7
	v_lshlrev_b32_e32 v3, 2, v5
	s_min_u32 s7, s7, 8
	v_bfe_u32 v2, v2, 0, s7
	v_lshl_or_b32 v2, v2, 4, v3
	v_mov_b32_e32 v3, 1
	ds_add_u32 v2, v3 offset:4096
	v_mov_b32_e32 v2, 0
.LBB326_52:
	s_or_b32 exec_lo, exec_lo, s0
	s_mov_b32 s7, -1
	s_mov_b32 s13, exec_lo
	v_cmpx_gt_i32_e32 10, v2
; %bb.53:
	v_cmp_eq_u32_e64 s0, 0, v2
	s_orn2_b32 s7, s0, exec_lo
; %bb.54:
	s_or_b32 exec_lo, exec_lo, s13
	s_and_b32 exec_lo, exec_lo, s7
	s_cbranch_execz .LBB326_62
; %bb.55:
	s_add_i32 s7, s2, 16
	s_cmp_le_u32 s3, s7
	s_cselect_b32 s0, -1, 0
	s_and_b32 s13, s0, exec_lo
	s_cselect_b32 s13, 8, 10
	v_mov_b32_e32 v2, s13
	s_nor_b32 s13, s0, vcc_lo
	s_and_saveexec_b32 s0, s13
	s_cbranch_execz .LBB326_57
; %bb.56:
	v_lshrrev_b32_e32 v2, s7, v1
	s_sub_i32 s7, s3, s7
	v_lshlrev_b32_e32 v3, 2, v5
	s_min_u32 s7, s7, 8
	v_bfe_u32 v2, v2, 0, s7
	v_lshl_or_b32 v2, v2, 4, v3
	v_mov_b32_e32 v3, 1
	ds_add_u32 v2, v3 offset:8192
	v_mov_b32_e32 v2, 0
.LBB326_57:
	s_or_b32 exec_lo, exec_lo, s0
	s_mov_b32 s7, -1
	s_mov_b32 s13, exec_lo
	v_cmpx_gt_i32_e32 10, v2
; %bb.58:
	v_cmp_eq_u32_e64 s0, 0, v2
	s_orn2_b32 s7, s0, exec_lo
; %bb.59:
	s_or_b32 exec_lo, exec_lo, s13
	s_and_b32 exec_lo, exec_lo, s7
	s_cbranch_execz .LBB326_62
; %bb.60:
	s_add_i32 s0, s2, 24
	s_cmp_gt_u32 s3, s0
	s_cselect_b32 s7, -1, 0
	s_xor_b32 s13, vcc_lo, -1
	s_and_b32 s7, s7, s13
	s_and_b32 exec_lo, exec_lo, s7
	s_cbranch_execz .LBB326_62
; %bb.61:
	v_lshrrev_b32_e32 v1, s0, v1
	s_sub_i32 s0, s3, s0
	v_lshlrev_b32_e32 v2, 2, v5
	s_min_u32 s0, s0, 8
	v_bfe_u32 v1, v1, 0, s0
	v_lshl_or_b32 v1, v1, 4, v2
	v_mov_b32_e32 v2, 1
	ds_add_u32 v1, v2 offset:12288
.LBB326_62:
	s_or_b32 exec_lo, exec_lo, s6
	v_cmp_le_u32_e32 vcc_lo, s4, v6
	v_xor_b32_e32 v1, 0x7fffffff, v4
	v_mov_b32_e32 v2, s5
	s_nor_b32 s1, s1, vcc_lo
	s_and_saveexec_b32 s0, s1
	s_cbranch_execz .LBB326_64
; %bb.63:
	v_lshrrev_b32_e32 v2, s2, v1
	s_sub_i32 s1, s3, s2
	v_lshlrev_b32_e32 v3, 2, v5
	s_min_u32 s1, s1, 8
	v_bfe_u32 v2, v2, 0, s1
	v_lshl_or_b32 v2, v2, 4, v3
	v_mov_b32_e32 v3, 1
	ds_add_u32 v2, v3
	v_mov_b32_e32 v2, 0
.LBB326_64:
	s_or_b32 exec_lo, exec_lo, s0
	s_mov_b32 s4, -1
	s_mov_b32 s1, exec_lo
	v_cmpx_gt_i32_e32 10, v2
; %bb.65:
	v_cmp_eq_u32_e64 s0, 0, v2
	s_orn2_b32 s4, s0, exec_lo
; %bb.66:
	s_or_b32 exec_lo, exec_lo, s1
	s_and_saveexec_b32 s1, s4
	s_cbranch_execz .LBB326_79
; %bb.67:
	s_add_i32 s4, s2, 8
	s_cmp_le_u32 s3, s4
	s_cselect_b32 s0, -1, 0
	s_and_b32 s5, s0, exec_lo
	s_cselect_b32 s5, 8, 10
	v_mov_b32_e32 v2, s5
	s_nor_b32 s5, s0, vcc_lo
	s_and_saveexec_b32 s0, s5
	s_cbranch_execz .LBB326_69
; %bb.68:
	v_lshrrev_b32_e32 v2, s4, v1
	s_sub_i32 s4, s3, s4
	v_lshlrev_b32_e32 v3, 2, v5
	s_min_u32 s4, s4, 8
	v_bfe_u32 v2, v2, 0, s4
	v_lshl_or_b32 v2, v2, 4, v3
	v_mov_b32_e32 v3, 1
	ds_add_u32 v2, v3 offset:4096
	v_mov_b32_e32 v2, 0
.LBB326_69:
	s_or_b32 exec_lo, exec_lo, s0
	s_mov_b32 s4, -1
	s_mov_b32 s5, exec_lo
	v_cmpx_gt_i32_e32 10, v2
; %bb.70:
	v_cmp_eq_u32_e64 s0, 0, v2
	s_orn2_b32 s4, s0, exec_lo
; %bb.71:
	s_or_b32 exec_lo, exec_lo, s5
	s_and_b32 exec_lo, exec_lo, s4
	s_cbranch_execz .LBB326_79
; %bb.72:
	s_add_i32 s4, s2, 16
	s_cmp_le_u32 s3, s4
	s_cselect_b32 s0, -1, 0
	s_and_b32 s5, s0, exec_lo
	s_cselect_b32 s5, 8, 10
	v_mov_b32_e32 v2, s5
	s_nor_b32 s5, s0, vcc_lo
	s_and_saveexec_b32 s0, s5
	s_cbranch_execz .LBB326_74
; %bb.73:
	v_lshrrev_b32_e32 v2, s4, v1
	s_sub_i32 s4, s3, s4
	v_lshlrev_b32_e32 v3, 2, v5
	s_min_u32 s4, s4, 8
	v_bfe_u32 v2, v2, 0, s4
	v_lshl_or_b32 v2, v2, 4, v3
	v_mov_b32_e32 v3, 1
	ds_add_u32 v2, v3 offset:8192
	v_mov_b32_e32 v2, 0
.LBB326_74:
	s_or_b32 exec_lo, exec_lo, s0
	s_mov_b32 s4, -1
	s_mov_b32 s5, exec_lo
	v_cmpx_gt_i32_e32 10, v2
; %bb.75:
	v_cmp_eq_u32_e64 s0, 0, v2
	s_orn2_b32 s4, s0, exec_lo
; %bb.76:
	s_or_b32 exec_lo, exec_lo, s5
	s_and_b32 exec_lo, exec_lo, s4
	s_cbranch_execz .LBB326_79
; %bb.77:
	s_add_i32 s0, s2, 24
	s_cmp_gt_u32 s3, s0
	s_cselect_b32 s4, -1, 0
	s_xor_b32 s5, vcc_lo, -1
	s_and_b32 s4, s4, s5
	s_and_b32 exec_lo, exec_lo, s4
	s_cbranch_execz .LBB326_79
; %bb.78:
	v_lshrrev_b32_e32 v1, s0, v1
	s_sub_i32 s0, s3, s0
	v_lshlrev_b32_e32 v2, 2, v5
	s_min_u32 s0, s0, 8
	v_bfe_u32 v1, v1, 0, s0
	v_lshl_or_b32 v1, v1, 4, v2
	v_mov_b32_e32 v2, 1
	ds_add_u32 v1, v2 offset:12288
.LBB326_79:
	s_or_b32 exec_lo, exec_lo, s1
	s_cmp_gt_u32 s3, s2
	s_waitcnt lgkmcnt(0)
	s_barrier
	buffer_gl0_inv
	s_cbranch_scc0 .LBB326_84
; %bb.80:
	v_lshlrev_b32_e32 v3, 4, v0
	v_mov_b32_e32 v2, 0
	v_mov_b32_e32 v1, v0
	s_mov_b32 s1, s2
	v_cmp_gt_u32_e32 vcc_lo, 0x100, v0
	s_inst_prefetch 0x1
	s_branch .LBB326_82
	.p2align	6
.LBB326_81:                             ;   in Loop: Header=BB326_82 Depth=1
	s_or_b32 exec_lo, exec_lo, s4
	v_add_nc_u32_e32 v1, 0x100, v1
	v_add_nc_u32_e32 v3, 0x1000, v3
	s_add_i32 s1, s1, 8
	s_cmp_lt_u32 s1, s3
	s_cbranch_scc0 .LBB326_84
.LBB326_82:                             ; =>This Inner Loop Header: Depth=1
	s_and_saveexec_b32 s4, vcc_lo
	s_cbranch_execz .LBB326_81
; %bb.83:                               ;   in Loop: Header=BB326_82 Depth=1
	ds_read2_b32 v[4:5], v3 offset1:1
	ds_read2_b32 v[6:7], v3 offset0:2 offset1:3
	s_waitcnt lgkmcnt(1)
	v_add_nc_u32_e32 v8, v5, v4
	v_lshlrev_b64 v[4:5], 2, v[1:2]
	s_waitcnt lgkmcnt(0)
	v_add3_u32 v6, v8, v6, v7
	v_add_co_u32 v4, s0, s10, v4
	v_add_co_ci_u32_e64 v5, null, s11, v5, s0
	global_atomic_add v[4:5], v6, off
	s_branch .LBB326_81
.LBB326_84:
	s_inst_prefetch 0x2
	s_mov_b32 s1, 0
.LBB326_85:
	s_and_b32 vcc_lo, exec_lo, s1
	s_cbranch_vccz .LBB326_125
; %bb.86:
	s_cmp_eq_u32 s2, 0
	s_mov_b32 s13, 0
	s_cselect_b32 s4, -1, 0
	s_cmp_eq_u32 s3, 32
	v_lshlrev_b32_e32 v1, 2, v0
	s_cselect_b32 s5, -1, 0
	s_lshl_b64 s[0:1], s[12:13], 2
	s_and_b32 s4, s4, s5
	s_add_u32 s0, s8, s0
	s_addc_u32 s1, s9, s1
	v_add_co_u32 v4, s5, s0, v1
	v_add_co_ci_u32_e64 v5, null, s1, 0, s5
	v_add_co_u32 v2, vcc_lo, 0x1000, v4
	v_add_co_ci_u32_e64 v3, null, 0, v5, vcc_lo
	v_add_co_u32 v7, vcc_lo, 0x2000, v4
	v_add_co_ci_u32_e64 v8, null, 0, v5, vcc_lo
	v_add_co_u32 v9, vcc_lo, 0x3000, v4
	v_add_co_ci_u32_e64 v10, null, 0, v5, vcc_lo
	s_clause 0x3
	global_load_dword v6, v1, s[0:1]
	global_load_dword v4, v[2:3], off
	global_load_dword v5, v[7:8], off
	;; [unrolled: 1-line block ×3, first 2 shown]
	v_mov_b32_e32 v2, 0
	v_or_b32_e32 v7, 0xfffffc00, v0
	s_and_b32 vcc_lo, exec_lo, s4
	s_mov_b32 s0, -1
	s_cbranch_vccnz .LBB326_120
; %bb.87:
	v_or_b32_e32 v8, 0xfffffc00, v0
.LBB326_88:                             ; =>This Inner Loop Header: Depth=1
	v_add_nc_u32_e32 v8, 0x400, v8
	ds_write_b32 v1, v2
	v_add_nc_u32_e32 v1, 0x1000, v1
	v_cmp_lt_u32_e32 vcc_lo, 0xbff, v8
	s_or_b32 s13, vcc_lo, s13
	s_andn2_b32 exec_lo, exec_lo, s13
	s_cbranch_execnz .LBB326_88
; %bb.89:
	s_or_b32 exec_lo, exec_lo, s13
	s_cmp_gt_u32 s3, s2
	s_waitcnt vmcnt(0) lgkmcnt(0)
	s_waitcnt_vscnt null, 0x0
	s_cselect_b32 s0, -1, 0
	s_barrier
	s_and_b32 vcc_lo, exec_lo, s0
	buffer_gl0_inv
	s_cbranch_vccz .LBB326_114
; %bb.90:
	v_xor_b32_e32 v9, 0x7fffffff, v6
	s_sub_i32 s1, s3, s2
	v_and_b32_e32 v1, 3, v0
	s_min_u32 s1, s1, 8
	v_mov_b32_e32 v10, 1
	v_lshrrev_b32_e32 v8, s2, v9
	s_lshl_b32 s1, -1, s1
	v_lshlrev_b32_e32 v2, 2, v1
	s_not_b32 s4, s1
	s_add_i32 s1, s2, 8
	v_and_b32_e32 v8, s4, v8
	s_cmp_le_u32 s3, s1
	s_mov_b32 s7, -1
	s_cselect_b32 s5, -1, 0
	s_and_b32 vcc_lo, exec_lo, s5
	v_lshl_or_b32 v8, v8, 4, v2
	ds_add_u32 v8, v10
	v_xor_b32_e32 v8, 0x7fffffff, v4
	v_lshrrev_b32_e32 v10, s2, v8
	v_and_b32_e32 v10, s4, v10
	s_cbranch_vccz .LBB326_92
; %bb.91:
	v_lshlrev_b32_e32 v11, 4, v10
	s_mov_b32 s6, -1
	s_cbranch_execz .LBB326_93
	s_branch .LBB326_100
.LBB326_92:
	s_mov_b32 s6, 0
                                        ; implicit-def: $vgpr11
	s_andn2_b32 vcc_lo, exec_lo, s7
	s_cbranch_vccnz .LBB326_100
.LBB326_93:
	s_sub_i32 s7, s3, s1
	v_lshrrev_b32_e32 v11, s1, v9
	s_min_u32 s7, s7, 8
	s_lshl_b32 s7, -1, s7
	s_not_b32 s8, s7
	s_add_i32 s7, s2, 16
	v_and_b32_e32 v11, s8, v11
	s_cmp_gt_u32 s3, s7
	s_cselect_b32 s9, -1, 0
	s_cmp_le_u32 s3, s7
	v_lshl_or_b32 v12, v11, 4, v2
	v_mov_b32_e32 v11, 1
	ds_add_u32 v12, v11 offset:4096
	s_cbranch_scc1 .LBB326_96
; %bb.94:
	v_lshrrev_b32_e32 v12, s7, v9
	s_sub_i32 s12, s3, s7
	s_min_u32 s12, s12, 8
	v_bfe_u32 v12, v12, 0, s12
	s_add_i32 s12, s2, 24
	s_cmp_le_u32 s3, s12
	v_lshl_or_b32 v12, v12, 4, v2
	ds_add_u32 v12, v11 offset:8192
	s_cbranch_scc1 .LBB326_96
; %bb.95:
	v_lshrrev_b32_e32 v9, s12, v9
	s_sub_i32 s12, s3, s12
	v_mov_b32_e32 v12, 1
	s_min_u32 s12, s12, 8
	v_bfe_u32 v9, v9, 0, s12
	v_lshl_or_b32 v9, v9, 4, v2
	ds_add_u32 v9, v12 offset:12288
.LBB326_96:
	v_lshrrev_b32_e32 v9, s1, v8
	v_lshl_or_b32 v10, v10, 4, v2
	s_andn2_b32 vcc_lo, exec_lo, s9
	v_and_b32_e32 v9, s8, v9
	v_lshl_or_b32 v9, v9, 4, v2
	ds_add_u32 v10, v11
	ds_add_u32 v9, v11 offset:4096
	s_cbranch_vccnz .LBB326_99
; %bb.97:
	v_lshrrev_b32_e32 v9, s7, v8
	s_sub_i32 s7, s3, s7
	v_mov_b32_e32 v10, 1
	s_min_u32 s7, s7, 8
                                        ; implicit-def: $vgpr11
	v_bfe_u32 v9, v9, 0, s7
	s_add_i32 s7, s2, 24
	s_cmp_gt_u32 s3, s7
	v_lshl_or_b32 v9, v9, 4, v2
	ds_add_u32 v9, v10 offset:8192
	s_cbranch_scc0 .LBB326_100
; %bb.98:
	v_lshrrev_b32_e32 v8, s7, v8
	s_sub_i32 s6, s3, s7
	s_min_u32 s6, s6, 8
	v_bfe_u32 v8, v8, 0, s6
	s_mov_b32 s6, -1
	v_lshl_add_u32 v11, v8, 4, 0x3000
	s_branch .LBB326_100
.LBB326_99:
                                        ; implicit-def: $vgpr11
.LBB326_100:
	s_and_b32 vcc_lo, exec_lo, s6
	s_cbranch_vccz .LBB326_102
; %bb.101:
	v_lshl_add_u32 v8, v1, 2, v11
	v_mov_b32_e32 v9, 1
	ds_add_u32 v8, v9
.LBB326_102:
	v_xor_b32_e32 v10, 0x7fffffff, v5
	v_mov_b32_e32 v9, 1
	s_and_b32 vcc_lo, exec_lo, s5
	v_lshrrev_b32_e32 v8, s2, v10
	v_and_b32_e32 v8, s4, v8
	v_lshl_or_b32 v8, v8, 4, v2
	ds_add_u32 v8, v9
	v_xor_b32_e32 v8, 0x7fffffff, v3
	v_lshrrev_b32_e32 v9, s2, v8
	v_and_b32_e32 v9, s4, v9
	s_cbranch_vccz .LBB326_104
; %bb.103:
	v_lshlrev_b32_e32 v11, 4, v9
	s_mov_b32 s4, -1
	s_cbranch_execz .LBB326_105
	s_branch .LBB326_112
.LBB326_104:
	s_mov_b32 s4, 0
                                        ; implicit-def: $vgpr11
.LBB326_105:
	s_sub_i32 s5, s3, s1
	v_lshrrev_b32_e32 v11, s1, v10
	s_min_u32 s5, s5, 8
	s_lshl_b32 s5, -1, s5
	s_not_b32 s6, s5
	s_add_i32 s5, s2, 16
	v_and_b32_e32 v11, s6, v11
	s_cmp_gt_u32 s3, s5
	s_cselect_b32 s7, -1, 0
	s_cmp_le_u32 s3, s5
	v_lshl_or_b32 v12, v11, 4, v2
	v_mov_b32_e32 v11, 1
	ds_add_u32 v12, v11 offset:4096
	s_cbranch_scc1 .LBB326_108
; %bb.106:
	v_lshrrev_b32_e32 v12, s5, v10
	s_sub_i32 s8, s3, s5
	s_min_u32 s8, s8, 8
	v_bfe_u32 v12, v12, 0, s8
	s_add_i32 s8, s2, 24
	s_cmp_le_u32 s3, s8
	v_lshl_or_b32 v12, v12, 4, v2
	ds_add_u32 v12, v11 offset:8192
	s_cbranch_scc1 .LBB326_108
; %bb.107:
	v_lshrrev_b32_e32 v10, s8, v10
	s_sub_i32 s8, s3, s8
	v_mov_b32_e32 v12, 1
	s_min_u32 s8, s8, 8
	v_bfe_u32 v10, v10, 0, s8
	v_lshl_or_b32 v10, v10, 4, v2
	ds_add_u32 v10, v12 offset:12288
.LBB326_108:
	v_lshrrev_b32_e32 v10, s1, v8
	v_lshl_or_b32 v9, v9, 4, v2
	s_andn2_b32 vcc_lo, exec_lo, s7
	v_and_b32_e32 v10, s6, v10
	v_lshl_or_b32 v10, v10, 4, v2
	ds_add_u32 v9, v11
	ds_add_u32 v10, v11 offset:4096
	s_cbranch_vccnz .LBB326_111
; %bb.109:
	v_lshrrev_b32_e32 v9, s5, v8
	s_sub_i32 s1, s3, s5
                                        ; implicit-def: $vgpr11
	s_min_u32 s1, s1, 8
	v_bfe_u32 v9, v9, 0, s1
	s_add_i32 s1, s2, 24
	s_cmp_gt_u32 s3, s1
	v_lshl_or_b32 v2, v9, 4, v2
	v_mov_b32_e32 v9, 1
	ds_add_u32 v2, v9 offset:8192
	s_cbranch_scc0 .LBB326_112
; %bb.110:
	v_lshrrev_b32_e32 v2, s1, v8
	s_sub_i32 s1, s3, s1
	s_mov_b32 s4, -1
	s_min_u32 s1, s1, 8
	v_bfe_u32 v2, v2, 0, s1
	v_lshl_add_u32 v11, v2, 4, 0x3000
	s_branch .LBB326_112
.LBB326_111:
                                        ; implicit-def: $vgpr11
.LBB326_112:
	s_and_b32 vcc_lo, exec_lo, s4
	s_cbranch_vccz .LBB326_114
; %bb.113:
	v_lshl_add_u32 v1, v1, 2, v11
	v_mov_b32_e32 v2, 1
	ds_add_u32 v1, v2
.LBB326_114:
	s_and_b32 vcc_lo, exec_lo, s0
	s_waitcnt lgkmcnt(0)
	s_barrier
	buffer_gl0_inv
	s_cbranch_vccz .LBB326_119
; %bb.115:
	v_lshlrev_b32_e32 v8, 4, v0
	v_mov_b32_e32 v2, 0
	v_mov_b32_e32 v1, v0
	v_cmp_gt_u32_e32 vcc_lo, 0x100, v0
	s_inst_prefetch 0x1
	s_branch .LBB326_117
	.p2align	6
.LBB326_116:                            ;   in Loop: Header=BB326_117 Depth=1
	s_or_b32 exec_lo, exec_lo, s1
	v_add_nc_u32_e32 v1, 0x100, v1
	v_add_nc_u32_e32 v8, 0x1000, v8
	s_add_i32 s2, s2, 8
	s_cmp_ge_u32 s2, s3
	s_cbranch_scc1 .LBB326_119
.LBB326_117:                            ; =>This Inner Loop Header: Depth=1
	s_and_saveexec_b32 s1, vcc_lo
	s_cbranch_execz .LBB326_116
; %bb.118:                              ;   in Loop: Header=BB326_117 Depth=1
	ds_read2_b32 v[9:10], v8 offset1:1
	ds_read2_b32 v[11:12], v8 offset0:2 offset1:3
	s_waitcnt lgkmcnt(1)
	v_add_nc_u32_e32 v13, v10, v9
	v_lshlrev_b64 v[9:10], 2, v[1:2]
	s_waitcnt lgkmcnt(0)
	v_add3_u32 v11, v13, v11, v12
	v_add_co_u32 v9, s0, s10, v9
	v_add_co_ci_u32_e64 v10, null, s11, v10, s0
	global_atomic_add v[9:10], v11, off
	s_branch .LBB326_116
.LBB326_119:
	s_inst_prefetch 0x2
	s_mov_b32 s0, 0
.LBB326_120:
	s_and_b32 vcc_lo, exec_lo, s0
	s_cbranch_vccz .LBB326_125
; %bb.121:
	v_lshlrev_b32_e32 v1, 2, v0
	v_mov_b32_e32 v2, 0
	s_mov_b32 s0, 0
.LBB326_122:                            ; =>This Inner Loop Header: Depth=1
	v_add_nc_u32_e32 v7, 0x400, v7
	ds_write_b32 v1, v2
	v_add_nc_u32_e32 v1, 0x1000, v1
	v_cmp_lt_u32_e32 vcc_lo, 0xbff, v7
	s_or_b32 s0, vcc_lo, s0
	s_andn2_b32 exec_lo, exec_lo, s0
	s_cbranch_execnz .LBB326_122
; %bb.123:
	s_or_b32 exec_lo, exec_lo, s0
	s_waitcnt vmcnt(3)
	v_xor_b32_e32 v1, 0x7fffffff, v6
	v_and_b32_e32 v2, 3, v0
	s_waitcnt vmcnt(2)
	v_xor_b32_e32 v4, 0x7fffffff, v4
	v_mov_b32_e32 v7, 1
	s_waitcnt vmcnt(0) lgkmcnt(0)
	s_waitcnt_vscnt null, 0x0
	v_lshlrev_b32_e32 v6, 4, v1
	v_lshlrev_b32_e32 v2, 2, v2
	v_bfe_u32 v8, v1, 8, 8
	v_bfe_u32 v9, v1, 16, 8
	v_lshrrev_b32_e32 v1, 24, v1
	s_barrier
	v_and_or_b32 v6, 0xff0, v6, v2
	buffer_gl0_inv
	v_bfe_u32 v10, v4, 8, 8
	v_lshl_or_b32 v8, v8, 4, v2
	v_lshl_or_b32 v9, v9, 4, v2
	ds_add_u32 v6, v7
	v_lshlrev_b32_e32 v6, 4, v4
	v_xor_b32_e32 v5, 0x7fffffff, v5
	v_lshl_or_b32 v1, v1, 4, v2
	v_lshl_or_b32 v10, v10, 4, v2
	v_xor_b32_e32 v3, 0x7fffffff, v3
	v_and_or_b32 v6, 0xff0, v6, v2
	ds_add_u32 v8, v7 offset:4096
	ds_add_u32 v9, v7 offset:8192
	;; [unrolled: 1-line block ×3, first 2 shown]
	ds_add_u32 v6, v7
	ds_add_u32 v10, v7 offset:4096
	v_bfe_u32 v1, v4, 16, 8
	v_lshrrev_b32_e32 v4, 24, v4
	v_lshlrev_b32_e32 v6, 4, v5
	v_bfe_u32 v8, v5, 8, 8
	v_bfe_u32 v9, v5, 16, 8
	v_lshl_or_b32 v1, v1, 4, v2
	v_lshl_or_b32 v4, v4, 4, v2
	v_and_or_b32 v6, 0xff0, v6, v2
	v_lshl_or_b32 v8, v8, 4, v2
	v_lshl_or_b32 v9, v9, 4, v2
	ds_add_u32 v1, v7 offset:8192
	ds_add_u32 v4, v7 offset:12288
	ds_add_u32 v6, v7
	ds_add_u32 v8, v7 offset:4096
	ds_add_u32 v9, v7 offset:8192
	v_lshrrev_b32_e32 v1, 24, v5
	v_lshlrev_b32_e32 v4, 4, v3
	v_bfe_u32 v5, v3, 8, 8
	v_bfe_u32 v6, v3, 16, 8
	v_lshrrev_b32_e32 v3, 24, v3
	v_lshl_or_b32 v1, v1, 4, v2
	v_and_or_b32 v4, 0xff0, v4, v2
	v_lshl_or_b32 v5, v5, 4, v2
	v_lshl_or_b32 v6, v6, 4, v2
	v_lshl_or_b32 v2, v3, 4, v2
	ds_add_u32 v1, v7 offset:12288
	ds_add_u32 v4, v7
	ds_add_u32 v5, v7 offset:4096
	ds_add_u32 v6, v7 offset:8192
	;; [unrolled: 1-line block ×3, first 2 shown]
	s_waitcnt lgkmcnt(0)
	s_barrier
	buffer_gl0_inv
	s_mov_b32 s0, exec_lo
	v_cmpx_gt_u32_e32 0x100, v0
	s_cbranch_execz .LBB326_125
; %bb.124:
	v_lshlrev_b32_e32 v5, 4, v0
	v_lshlrev_b32_e32 v6, 2, v0
	ds_read2_b32 v[1:2], v5 offset1:1
	ds_read2_b32 v[3:4], v5 offset0:2 offset1:3
	s_waitcnt lgkmcnt(1)
	v_add_nc_u32_e32 v1, v2, v1
	v_add_nc_u32_e32 v2, 0x1008, v5
	s_waitcnt lgkmcnt(0)
	v_add3_u32 v0, v1, v3, v4
	v_add_nc_u32_e32 v1, 0x1000, v5
	v_add_co_u32 v4, s0, s10, v6
	global_atomic_add v6, v0, s[10:11]
	ds_read2_b32 v[0:1], v1 offset1:1
	ds_read2_b32 v[2:3], v2 offset1:1
	s_waitcnt lgkmcnt(1)
	v_add_nc_u32_e32 v0, v1, v0
	v_add_nc_u32_e32 v1, 0x2000, v5
	s_waitcnt lgkmcnt(0)
	v_add3_u32 v0, v0, v2, v3
	v_add_nc_u32_e32 v2, 0x2008, v5
	global_atomic_add v6, v0, s[10:11] offset:1024
	ds_read2_b32 v[0:1], v1 offset1:1
	ds_read2_b32 v[2:3], v2 offset1:1
	v_add_co_ci_u32_e64 v6, null, s11, 0, s0
	s_waitcnt lgkmcnt(1)
	v_add_nc_u32_e32 v7, v1, v0
	v_add_co_u32 v0, vcc_lo, 0x800, v4
	v_add_co_ci_u32_e64 v1, null, 0, v6, vcc_lo
	s_waitcnt lgkmcnt(0)
	v_add3_u32 v2, v7, v2, v3
	v_add_nc_u32_e32 v3, 0x3000, v5
	v_add_nc_u32_e32 v4, 0x3008, v5
	global_atomic_add v[0:1], v2, off
	ds_read2_b32 v[2:3], v3 offset1:1
	ds_read2_b32 v[4:5], v4 offset1:1
	s_waitcnt lgkmcnt(1)
	v_add_nc_u32_e32 v2, v3, v2
	s_waitcnt lgkmcnt(0)
	v_add3_u32 v2, v2, v4, v5
	global_atomic_add v[0:1], v2, off offset:1024
.LBB326_125:
	s_endpgm
	.section	.rodata,"a",@progbits
	.p2align	6, 0x0
	.amdhsa_kernel _ZN7rocprim17ROCPRIM_400000_NS6detail17trampoline_kernelINS0_14default_configENS1_35radix_sort_onesweep_config_selectorIiNS0_10empty_typeEEEZNS1_34radix_sort_onesweep_global_offsetsIS3_Lb1EN6thrust23THRUST_200600_302600_NS6detail15normal_iteratorINS9_10device_ptrIiEEEEPS5_jNS0_19identity_decomposerEEE10hipError_tT1_T2_PT3_SK_jT4_jjP12ihipStream_tbEUlT_E_NS1_11comp_targetILNS1_3genE8ELNS1_11target_archE1030ELNS1_3gpuE2ELNS1_3repE0EEENS1_52radix_sort_onesweep_histogram_config_static_selectorELNS0_4arch9wavefront6targetE0EEEvSI_
		.amdhsa_group_segment_fixed_size 16384
		.amdhsa_private_segment_fixed_size 0
		.amdhsa_kernarg_size 40
		.amdhsa_user_sgpr_count 6
		.amdhsa_user_sgpr_private_segment_buffer 1
		.amdhsa_user_sgpr_dispatch_ptr 0
		.amdhsa_user_sgpr_queue_ptr 0
		.amdhsa_user_sgpr_kernarg_segment_ptr 1
		.amdhsa_user_sgpr_dispatch_id 0
		.amdhsa_user_sgpr_flat_scratch_init 0
		.amdhsa_user_sgpr_private_segment_size 0
		.amdhsa_wavefront_size32 1
		.amdhsa_uses_dynamic_stack 0
		.amdhsa_system_sgpr_private_segment_wavefront_offset 0
		.amdhsa_system_sgpr_workgroup_id_x 1
		.amdhsa_system_sgpr_workgroup_id_y 0
		.amdhsa_system_sgpr_workgroup_id_z 0
		.amdhsa_system_sgpr_workgroup_info 0
		.amdhsa_system_vgpr_workitem_id 0
		.amdhsa_next_free_vgpr 14
		.amdhsa_next_free_sgpr 14
		.amdhsa_reserve_vcc 1
		.amdhsa_reserve_flat_scratch 0
		.amdhsa_float_round_mode_32 0
		.amdhsa_float_round_mode_16_64 0
		.amdhsa_float_denorm_mode_32 3
		.amdhsa_float_denorm_mode_16_64 3
		.amdhsa_dx10_clamp 1
		.amdhsa_ieee_mode 1
		.amdhsa_fp16_overflow 0
		.amdhsa_workgroup_processor_mode 1
		.amdhsa_memory_ordered 1
		.amdhsa_forward_progress 1
		.amdhsa_shared_vgpr_count 0
		.amdhsa_exception_fp_ieee_invalid_op 0
		.amdhsa_exception_fp_denorm_src 0
		.amdhsa_exception_fp_ieee_div_zero 0
		.amdhsa_exception_fp_ieee_overflow 0
		.amdhsa_exception_fp_ieee_underflow 0
		.amdhsa_exception_fp_ieee_inexact 0
		.amdhsa_exception_int_div_zero 0
	.end_amdhsa_kernel
	.section	.text._ZN7rocprim17ROCPRIM_400000_NS6detail17trampoline_kernelINS0_14default_configENS1_35radix_sort_onesweep_config_selectorIiNS0_10empty_typeEEEZNS1_34radix_sort_onesweep_global_offsetsIS3_Lb1EN6thrust23THRUST_200600_302600_NS6detail15normal_iteratorINS9_10device_ptrIiEEEEPS5_jNS0_19identity_decomposerEEE10hipError_tT1_T2_PT3_SK_jT4_jjP12ihipStream_tbEUlT_E_NS1_11comp_targetILNS1_3genE8ELNS1_11target_archE1030ELNS1_3gpuE2ELNS1_3repE0EEENS1_52radix_sort_onesweep_histogram_config_static_selectorELNS0_4arch9wavefront6targetE0EEEvSI_,"axG",@progbits,_ZN7rocprim17ROCPRIM_400000_NS6detail17trampoline_kernelINS0_14default_configENS1_35radix_sort_onesweep_config_selectorIiNS0_10empty_typeEEEZNS1_34radix_sort_onesweep_global_offsetsIS3_Lb1EN6thrust23THRUST_200600_302600_NS6detail15normal_iteratorINS9_10device_ptrIiEEEEPS5_jNS0_19identity_decomposerEEE10hipError_tT1_T2_PT3_SK_jT4_jjP12ihipStream_tbEUlT_E_NS1_11comp_targetILNS1_3genE8ELNS1_11target_archE1030ELNS1_3gpuE2ELNS1_3repE0EEENS1_52radix_sort_onesweep_histogram_config_static_selectorELNS0_4arch9wavefront6targetE0EEEvSI_,comdat
.Lfunc_end326:
	.size	_ZN7rocprim17ROCPRIM_400000_NS6detail17trampoline_kernelINS0_14default_configENS1_35radix_sort_onesweep_config_selectorIiNS0_10empty_typeEEEZNS1_34radix_sort_onesweep_global_offsetsIS3_Lb1EN6thrust23THRUST_200600_302600_NS6detail15normal_iteratorINS9_10device_ptrIiEEEEPS5_jNS0_19identity_decomposerEEE10hipError_tT1_T2_PT3_SK_jT4_jjP12ihipStream_tbEUlT_E_NS1_11comp_targetILNS1_3genE8ELNS1_11target_archE1030ELNS1_3gpuE2ELNS1_3repE0EEENS1_52radix_sort_onesweep_histogram_config_static_selectorELNS0_4arch9wavefront6targetE0EEEvSI_, .Lfunc_end326-_ZN7rocprim17ROCPRIM_400000_NS6detail17trampoline_kernelINS0_14default_configENS1_35radix_sort_onesweep_config_selectorIiNS0_10empty_typeEEEZNS1_34radix_sort_onesweep_global_offsetsIS3_Lb1EN6thrust23THRUST_200600_302600_NS6detail15normal_iteratorINS9_10device_ptrIiEEEEPS5_jNS0_19identity_decomposerEEE10hipError_tT1_T2_PT3_SK_jT4_jjP12ihipStream_tbEUlT_E_NS1_11comp_targetILNS1_3genE8ELNS1_11target_archE1030ELNS1_3gpuE2ELNS1_3repE0EEENS1_52radix_sort_onesweep_histogram_config_static_selectorELNS0_4arch9wavefront6targetE0EEEvSI_
                                        ; -- End function
	.set _ZN7rocprim17ROCPRIM_400000_NS6detail17trampoline_kernelINS0_14default_configENS1_35radix_sort_onesweep_config_selectorIiNS0_10empty_typeEEEZNS1_34radix_sort_onesweep_global_offsetsIS3_Lb1EN6thrust23THRUST_200600_302600_NS6detail15normal_iteratorINS9_10device_ptrIiEEEEPS5_jNS0_19identity_decomposerEEE10hipError_tT1_T2_PT3_SK_jT4_jjP12ihipStream_tbEUlT_E_NS1_11comp_targetILNS1_3genE8ELNS1_11target_archE1030ELNS1_3gpuE2ELNS1_3repE0EEENS1_52radix_sort_onesweep_histogram_config_static_selectorELNS0_4arch9wavefront6targetE0EEEvSI_.num_vgpr, 14
	.set _ZN7rocprim17ROCPRIM_400000_NS6detail17trampoline_kernelINS0_14default_configENS1_35radix_sort_onesweep_config_selectorIiNS0_10empty_typeEEEZNS1_34radix_sort_onesweep_global_offsetsIS3_Lb1EN6thrust23THRUST_200600_302600_NS6detail15normal_iteratorINS9_10device_ptrIiEEEEPS5_jNS0_19identity_decomposerEEE10hipError_tT1_T2_PT3_SK_jT4_jjP12ihipStream_tbEUlT_E_NS1_11comp_targetILNS1_3genE8ELNS1_11target_archE1030ELNS1_3gpuE2ELNS1_3repE0EEENS1_52radix_sort_onesweep_histogram_config_static_selectorELNS0_4arch9wavefront6targetE0EEEvSI_.num_agpr, 0
	.set _ZN7rocprim17ROCPRIM_400000_NS6detail17trampoline_kernelINS0_14default_configENS1_35radix_sort_onesweep_config_selectorIiNS0_10empty_typeEEEZNS1_34radix_sort_onesweep_global_offsetsIS3_Lb1EN6thrust23THRUST_200600_302600_NS6detail15normal_iteratorINS9_10device_ptrIiEEEEPS5_jNS0_19identity_decomposerEEE10hipError_tT1_T2_PT3_SK_jT4_jjP12ihipStream_tbEUlT_E_NS1_11comp_targetILNS1_3genE8ELNS1_11target_archE1030ELNS1_3gpuE2ELNS1_3repE0EEENS1_52radix_sort_onesweep_histogram_config_static_selectorELNS0_4arch9wavefront6targetE0EEEvSI_.numbered_sgpr, 14
	.set _ZN7rocprim17ROCPRIM_400000_NS6detail17trampoline_kernelINS0_14default_configENS1_35radix_sort_onesweep_config_selectorIiNS0_10empty_typeEEEZNS1_34radix_sort_onesweep_global_offsetsIS3_Lb1EN6thrust23THRUST_200600_302600_NS6detail15normal_iteratorINS9_10device_ptrIiEEEEPS5_jNS0_19identity_decomposerEEE10hipError_tT1_T2_PT3_SK_jT4_jjP12ihipStream_tbEUlT_E_NS1_11comp_targetILNS1_3genE8ELNS1_11target_archE1030ELNS1_3gpuE2ELNS1_3repE0EEENS1_52radix_sort_onesweep_histogram_config_static_selectorELNS0_4arch9wavefront6targetE0EEEvSI_.num_named_barrier, 0
	.set _ZN7rocprim17ROCPRIM_400000_NS6detail17trampoline_kernelINS0_14default_configENS1_35radix_sort_onesweep_config_selectorIiNS0_10empty_typeEEEZNS1_34radix_sort_onesweep_global_offsetsIS3_Lb1EN6thrust23THRUST_200600_302600_NS6detail15normal_iteratorINS9_10device_ptrIiEEEEPS5_jNS0_19identity_decomposerEEE10hipError_tT1_T2_PT3_SK_jT4_jjP12ihipStream_tbEUlT_E_NS1_11comp_targetILNS1_3genE8ELNS1_11target_archE1030ELNS1_3gpuE2ELNS1_3repE0EEENS1_52radix_sort_onesweep_histogram_config_static_selectorELNS0_4arch9wavefront6targetE0EEEvSI_.private_seg_size, 0
	.set _ZN7rocprim17ROCPRIM_400000_NS6detail17trampoline_kernelINS0_14default_configENS1_35radix_sort_onesweep_config_selectorIiNS0_10empty_typeEEEZNS1_34radix_sort_onesweep_global_offsetsIS3_Lb1EN6thrust23THRUST_200600_302600_NS6detail15normal_iteratorINS9_10device_ptrIiEEEEPS5_jNS0_19identity_decomposerEEE10hipError_tT1_T2_PT3_SK_jT4_jjP12ihipStream_tbEUlT_E_NS1_11comp_targetILNS1_3genE8ELNS1_11target_archE1030ELNS1_3gpuE2ELNS1_3repE0EEENS1_52radix_sort_onesweep_histogram_config_static_selectorELNS0_4arch9wavefront6targetE0EEEvSI_.uses_vcc, 1
	.set _ZN7rocprim17ROCPRIM_400000_NS6detail17trampoline_kernelINS0_14default_configENS1_35radix_sort_onesweep_config_selectorIiNS0_10empty_typeEEEZNS1_34radix_sort_onesweep_global_offsetsIS3_Lb1EN6thrust23THRUST_200600_302600_NS6detail15normal_iteratorINS9_10device_ptrIiEEEEPS5_jNS0_19identity_decomposerEEE10hipError_tT1_T2_PT3_SK_jT4_jjP12ihipStream_tbEUlT_E_NS1_11comp_targetILNS1_3genE8ELNS1_11target_archE1030ELNS1_3gpuE2ELNS1_3repE0EEENS1_52radix_sort_onesweep_histogram_config_static_selectorELNS0_4arch9wavefront6targetE0EEEvSI_.uses_flat_scratch, 0
	.set _ZN7rocprim17ROCPRIM_400000_NS6detail17trampoline_kernelINS0_14default_configENS1_35radix_sort_onesweep_config_selectorIiNS0_10empty_typeEEEZNS1_34radix_sort_onesweep_global_offsetsIS3_Lb1EN6thrust23THRUST_200600_302600_NS6detail15normal_iteratorINS9_10device_ptrIiEEEEPS5_jNS0_19identity_decomposerEEE10hipError_tT1_T2_PT3_SK_jT4_jjP12ihipStream_tbEUlT_E_NS1_11comp_targetILNS1_3genE8ELNS1_11target_archE1030ELNS1_3gpuE2ELNS1_3repE0EEENS1_52radix_sort_onesweep_histogram_config_static_selectorELNS0_4arch9wavefront6targetE0EEEvSI_.has_dyn_sized_stack, 0
	.set _ZN7rocprim17ROCPRIM_400000_NS6detail17trampoline_kernelINS0_14default_configENS1_35radix_sort_onesweep_config_selectorIiNS0_10empty_typeEEEZNS1_34radix_sort_onesweep_global_offsetsIS3_Lb1EN6thrust23THRUST_200600_302600_NS6detail15normal_iteratorINS9_10device_ptrIiEEEEPS5_jNS0_19identity_decomposerEEE10hipError_tT1_T2_PT3_SK_jT4_jjP12ihipStream_tbEUlT_E_NS1_11comp_targetILNS1_3genE8ELNS1_11target_archE1030ELNS1_3gpuE2ELNS1_3repE0EEENS1_52radix_sort_onesweep_histogram_config_static_selectorELNS0_4arch9wavefront6targetE0EEEvSI_.has_recursion, 0
	.set _ZN7rocprim17ROCPRIM_400000_NS6detail17trampoline_kernelINS0_14default_configENS1_35radix_sort_onesweep_config_selectorIiNS0_10empty_typeEEEZNS1_34radix_sort_onesweep_global_offsetsIS3_Lb1EN6thrust23THRUST_200600_302600_NS6detail15normal_iteratorINS9_10device_ptrIiEEEEPS5_jNS0_19identity_decomposerEEE10hipError_tT1_T2_PT3_SK_jT4_jjP12ihipStream_tbEUlT_E_NS1_11comp_targetILNS1_3genE8ELNS1_11target_archE1030ELNS1_3gpuE2ELNS1_3repE0EEENS1_52radix_sort_onesweep_histogram_config_static_selectorELNS0_4arch9wavefront6targetE0EEEvSI_.has_indirect_call, 0
	.section	.AMDGPU.csdata,"",@progbits
; Kernel info:
; codeLenInByte = 4516
; TotalNumSgprs: 16
; NumVgprs: 14
; ScratchSize: 0
; MemoryBound: 0
; FloatMode: 240
; IeeeMode: 1
; LDSByteSize: 16384 bytes/workgroup (compile time only)
; SGPRBlocks: 0
; VGPRBlocks: 1
; NumSGPRsForWavesPerEU: 16
; NumVGPRsForWavesPerEU: 14
; Occupancy: 16
; WaveLimiterHint : 1
; COMPUTE_PGM_RSRC2:SCRATCH_EN: 0
; COMPUTE_PGM_RSRC2:USER_SGPR: 6
; COMPUTE_PGM_RSRC2:TRAP_HANDLER: 0
; COMPUTE_PGM_RSRC2:TGID_X_EN: 1
; COMPUTE_PGM_RSRC2:TGID_Y_EN: 0
; COMPUTE_PGM_RSRC2:TGID_Z_EN: 0
; COMPUTE_PGM_RSRC2:TIDIG_COMP_CNT: 0
	.section	.text._ZN7rocprim17ROCPRIM_400000_NS6detail17trampoline_kernelINS0_14default_configENS1_35radix_sort_onesweep_config_selectorIiNS0_10empty_typeEEEZNS1_34radix_sort_onesweep_global_offsetsIS3_Lb1EN6thrust23THRUST_200600_302600_NS6detail15normal_iteratorINS9_10device_ptrIiEEEEPS5_jNS0_19identity_decomposerEEE10hipError_tT1_T2_PT3_SK_jT4_jjP12ihipStream_tbEUlT_E0_NS1_11comp_targetILNS1_3genE0ELNS1_11target_archE4294967295ELNS1_3gpuE0ELNS1_3repE0EEENS1_52radix_sort_onesweep_histogram_config_static_selectorELNS0_4arch9wavefront6targetE0EEEvSI_,"axG",@progbits,_ZN7rocprim17ROCPRIM_400000_NS6detail17trampoline_kernelINS0_14default_configENS1_35radix_sort_onesweep_config_selectorIiNS0_10empty_typeEEEZNS1_34radix_sort_onesweep_global_offsetsIS3_Lb1EN6thrust23THRUST_200600_302600_NS6detail15normal_iteratorINS9_10device_ptrIiEEEEPS5_jNS0_19identity_decomposerEEE10hipError_tT1_T2_PT3_SK_jT4_jjP12ihipStream_tbEUlT_E0_NS1_11comp_targetILNS1_3genE0ELNS1_11target_archE4294967295ELNS1_3gpuE0ELNS1_3repE0EEENS1_52radix_sort_onesweep_histogram_config_static_selectorELNS0_4arch9wavefront6targetE0EEEvSI_,comdat
	.protected	_ZN7rocprim17ROCPRIM_400000_NS6detail17trampoline_kernelINS0_14default_configENS1_35radix_sort_onesweep_config_selectorIiNS0_10empty_typeEEEZNS1_34radix_sort_onesweep_global_offsetsIS3_Lb1EN6thrust23THRUST_200600_302600_NS6detail15normal_iteratorINS9_10device_ptrIiEEEEPS5_jNS0_19identity_decomposerEEE10hipError_tT1_T2_PT3_SK_jT4_jjP12ihipStream_tbEUlT_E0_NS1_11comp_targetILNS1_3genE0ELNS1_11target_archE4294967295ELNS1_3gpuE0ELNS1_3repE0EEENS1_52radix_sort_onesweep_histogram_config_static_selectorELNS0_4arch9wavefront6targetE0EEEvSI_ ; -- Begin function _ZN7rocprim17ROCPRIM_400000_NS6detail17trampoline_kernelINS0_14default_configENS1_35radix_sort_onesweep_config_selectorIiNS0_10empty_typeEEEZNS1_34radix_sort_onesweep_global_offsetsIS3_Lb1EN6thrust23THRUST_200600_302600_NS6detail15normal_iteratorINS9_10device_ptrIiEEEEPS5_jNS0_19identity_decomposerEEE10hipError_tT1_T2_PT3_SK_jT4_jjP12ihipStream_tbEUlT_E0_NS1_11comp_targetILNS1_3genE0ELNS1_11target_archE4294967295ELNS1_3gpuE0ELNS1_3repE0EEENS1_52radix_sort_onesweep_histogram_config_static_selectorELNS0_4arch9wavefront6targetE0EEEvSI_
	.globl	_ZN7rocprim17ROCPRIM_400000_NS6detail17trampoline_kernelINS0_14default_configENS1_35radix_sort_onesweep_config_selectorIiNS0_10empty_typeEEEZNS1_34radix_sort_onesweep_global_offsetsIS3_Lb1EN6thrust23THRUST_200600_302600_NS6detail15normal_iteratorINS9_10device_ptrIiEEEEPS5_jNS0_19identity_decomposerEEE10hipError_tT1_T2_PT3_SK_jT4_jjP12ihipStream_tbEUlT_E0_NS1_11comp_targetILNS1_3genE0ELNS1_11target_archE4294967295ELNS1_3gpuE0ELNS1_3repE0EEENS1_52radix_sort_onesweep_histogram_config_static_selectorELNS0_4arch9wavefront6targetE0EEEvSI_
	.p2align	8
	.type	_ZN7rocprim17ROCPRIM_400000_NS6detail17trampoline_kernelINS0_14default_configENS1_35radix_sort_onesweep_config_selectorIiNS0_10empty_typeEEEZNS1_34radix_sort_onesweep_global_offsetsIS3_Lb1EN6thrust23THRUST_200600_302600_NS6detail15normal_iteratorINS9_10device_ptrIiEEEEPS5_jNS0_19identity_decomposerEEE10hipError_tT1_T2_PT3_SK_jT4_jjP12ihipStream_tbEUlT_E0_NS1_11comp_targetILNS1_3genE0ELNS1_11target_archE4294967295ELNS1_3gpuE0ELNS1_3repE0EEENS1_52radix_sort_onesweep_histogram_config_static_selectorELNS0_4arch9wavefront6targetE0EEEvSI_,@function
_ZN7rocprim17ROCPRIM_400000_NS6detail17trampoline_kernelINS0_14default_configENS1_35radix_sort_onesweep_config_selectorIiNS0_10empty_typeEEEZNS1_34radix_sort_onesweep_global_offsetsIS3_Lb1EN6thrust23THRUST_200600_302600_NS6detail15normal_iteratorINS9_10device_ptrIiEEEEPS5_jNS0_19identity_decomposerEEE10hipError_tT1_T2_PT3_SK_jT4_jjP12ihipStream_tbEUlT_E0_NS1_11comp_targetILNS1_3genE0ELNS1_11target_archE4294967295ELNS1_3gpuE0ELNS1_3repE0EEENS1_52radix_sort_onesweep_histogram_config_static_selectorELNS0_4arch9wavefront6targetE0EEEvSI_: ; @_ZN7rocprim17ROCPRIM_400000_NS6detail17trampoline_kernelINS0_14default_configENS1_35radix_sort_onesweep_config_selectorIiNS0_10empty_typeEEEZNS1_34radix_sort_onesweep_global_offsetsIS3_Lb1EN6thrust23THRUST_200600_302600_NS6detail15normal_iteratorINS9_10device_ptrIiEEEEPS5_jNS0_19identity_decomposerEEE10hipError_tT1_T2_PT3_SK_jT4_jjP12ihipStream_tbEUlT_E0_NS1_11comp_targetILNS1_3genE0ELNS1_11target_archE4294967295ELNS1_3gpuE0ELNS1_3repE0EEENS1_52radix_sort_onesweep_histogram_config_static_selectorELNS0_4arch9wavefront6targetE0EEEvSI_
; %bb.0:
	.section	.rodata,"a",@progbits
	.p2align	6, 0x0
	.amdhsa_kernel _ZN7rocprim17ROCPRIM_400000_NS6detail17trampoline_kernelINS0_14default_configENS1_35radix_sort_onesweep_config_selectorIiNS0_10empty_typeEEEZNS1_34radix_sort_onesweep_global_offsetsIS3_Lb1EN6thrust23THRUST_200600_302600_NS6detail15normal_iteratorINS9_10device_ptrIiEEEEPS5_jNS0_19identity_decomposerEEE10hipError_tT1_T2_PT3_SK_jT4_jjP12ihipStream_tbEUlT_E0_NS1_11comp_targetILNS1_3genE0ELNS1_11target_archE4294967295ELNS1_3gpuE0ELNS1_3repE0EEENS1_52radix_sort_onesweep_histogram_config_static_selectorELNS0_4arch9wavefront6targetE0EEEvSI_
		.amdhsa_group_segment_fixed_size 0
		.amdhsa_private_segment_fixed_size 0
		.amdhsa_kernarg_size 8
		.amdhsa_user_sgpr_count 6
		.amdhsa_user_sgpr_private_segment_buffer 1
		.amdhsa_user_sgpr_dispatch_ptr 0
		.amdhsa_user_sgpr_queue_ptr 0
		.amdhsa_user_sgpr_kernarg_segment_ptr 1
		.amdhsa_user_sgpr_dispatch_id 0
		.amdhsa_user_sgpr_flat_scratch_init 0
		.amdhsa_user_sgpr_private_segment_size 0
		.amdhsa_wavefront_size32 1
		.amdhsa_uses_dynamic_stack 0
		.amdhsa_system_sgpr_private_segment_wavefront_offset 0
		.amdhsa_system_sgpr_workgroup_id_x 1
		.amdhsa_system_sgpr_workgroup_id_y 0
		.amdhsa_system_sgpr_workgroup_id_z 0
		.amdhsa_system_sgpr_workgroup_info 0
		.amdhsa_system_vgpr_workitem_id 0
		.amdhsa_next_free_vgpr 1
		.amdhsa_next_free_sgpr 1
		.amdhsa_reserve_vcc 0
		.amdhsa_reserve_flat_scratch 0
		.amdhsa_float_round_mode_32 0
		.amdhsa_float_round_mode_16_64 0
		.amdhsa_float_denorm_mode_32 3
		.amdhsa_float_denorm_mode_16_64 3
		.amdhsa_dx10_clamp 1
		.amdhsa_ieee_mode 1
		.amdhsa_fp16_overflow 0
		.amdhsa_workgroup_processor_mode 1
		.amdhsa_memory_ordered 1
		.amdhsa_forward_progress 1
		.amdhsa_shared_vgpr_count 0
		.amdhsa_exception_fp_ieee_invalid_op 0
		.amdhsa_exception_fp_denorm_src 0
		.amdhsa_exception_fp_ieee_div_zero 0
		.amdhsa_exception_fp_ieee_overflow 0
		.amdhsa_exception_fp_ieee_underflow 0
		.amdhsa_exception_fp_ieee_inexact 0
		.amdhsa_exception_int_div_zero 0
	.end_amdhsa_kernel
	.section	.text._ZN7rocprim17ROCPRIM_400000_NS6detail17trampoline_kernelINS0_14default_configENS1_35radix_sort_onesweep_config_selectorIiNS0_10empty_typeEEEZNS1_34radix_sort_onesweep_global_offsetsIS3_Lb1EN6thrust23THRUST_200600_302600_NS6detail15normal_iteratorINS9_10device_ptrIiEEEEPS5_jNS0_19identity_decomposerEEE10hipError_tT1_T2_PT3_SK_jT4_jjP12ihipStream_tbEUlT_E0_NS1_11comp_targetILNS1_3genE0ELNS1_11target_archE4294967295ELNS1_3gpuE0ELNS1_3repE0EEENS1_52radix_sort_onesweep_histogram_config_static_selectorELNS0_4arch9wavefront6targetE0EEEvSI_,"axG",@progbits,_ZN7rocprim17ROCPRIM_400000_NS6detail17trampoline_kernelINS0_14default_configENS1_35radix_sort_onesweep_config_selectorIiNS0_10empty_typeEEEZNS1_34radix_sort_onesweep_global_offsetsIS3_Lb1EN6thrust23THRUST_200600_302600_NS6detail15normal_iteratorINS9_10device_ptrIiEEEEPS5_jNS0_19identity_decomposerEEE10hipError_tT1_T2_PT3_SK_jT4_jjP12ihipStream_tbEUlT_E0_NS1_11comp_targetILNS1_3genE0ELNS1_11target_archE4294967295ELNS1_3gpuE0ELNS1_3repE0EEENS1_52radix_sort_onesweep_histogram_config_static_selectorELNS0_4arch9wavefront6targetE0EEEvSI_,comdat
.Lfunc_end327:
	.size	_ZN7rocprim17ROCPRIM_400000_NS6detail17trampoline_kernelINS0_14default_configENS1_35radix_sort_onesweep_config_selectorIiNS0_10empty_typeEEEZNS1_34radix_sort_onesweep_global_offsetsIS3_Lb1EN6thrust23THRUST_200600_302600_NS6detail15normal_iteratorINS9_10device_ptrIiEEEEPS5_jNS0_19identity_decomposerEEE10hipError_tT1_T2_PT3_SK_jT4_jjP12ihipStream_tbEUlT_E0_NS1_11comp_targetILNS1_3genE0ELNS1_11target_archE4294967295ELNS1_3gpuE0ELNS1_3repE0EEENS1_52radix_sort_onesweep_histogram_config_static_selectorELNS0_4arch9wavefront6targetE0EEEvSI_, .Lfunc_end327-_ZN7rocprim17ROCPRIM_400000_NS6detail17trampoline_kernelINS0_14default_configENS1_35radix_sort_onesweep_config_selectorIiNS0_10empty_typeEEEZNS1_34radix_sort_onesweep_global_offsetsIS3_Lb1EN6thrust23THRUST_200600_302600_NS6detail15normal_iteratorINS9_10device_ptrIiEEEEPS5_jNS0_19identity_decomposerEEE10hipError_tT1_T2_PT3_SK_jT4_jjP12ihipStream_tbEUlT_E0_NS1_11comp_targetILNS1_3genE0ELNS1_11target_archE4294967295ELNS1_3gpuE0ELNS1_3repE0EEENS1_52radix_sort_onesweep_histogram_config_static_selectorELNS0_4arch9wavefront6targetE0EEEvSI_
                                        ; -- End function
	.set _ZN7rocprim17ROCPRIM_400000_NS6detail17trampoline_kernelINS0_14default_configENS1_35radix_sort_onesweep_config_selectorIiNS0_10empty_typeEEEZNS1_34radix_sort_onesweep_global_offsetsIS3_Lb1EN6thrust23THRUST_200600_302600_NS6detail15normal_iteratorINS9_10device_ptrIiEEEEPS5_jNS0_19identity_decomposerEEE10hipError_tT1_T2_PT3_SK_jT4_jjP12ihipStream_tbEUlT_E0_NS1_11comp_targetILNS1_3genE0ELNS1_11target_archE4294967295ELNS1_3gpuE0ELNS1_3repE0EEENS1_52radix_sort_onesweep_histogram_config_static_selectorELNS0_4arch9wavefront6targetE0EEEvSI_.num_vgpr, 0
	.set _ZN7rocprim17ROCPRIM_400000_NS6detail17trampoline_kernelINS0_14default_configENS1_35radix_sort_onesweep_config_selectorIiNS0_10empty_typeEEEZNS1_34radix_sort_onesweep_global_offsetsIS3_Lb1EN6thrust23THRUST_200600_302600_NS6detail15normal_iteratorINS9_10device_ptrIiEEEEPS5_jNS0_19identity_decomposerEEE10hipError_tT1_T2_PT3_SK_jT4_jjP12ihipStream_tbEUlT_E0_NS1_11comp_targetILNS1_3genE0ELNS1_11target_archE4294967295ELNS1_3gpuE0ELNS1_3repE0EEENS1_52radix_sort_onesweep_histogram_config_static_selectorELNS0_4arch9wavefront6targetE0EEEvSI_.num_agpr, 0
	.set _ZN7rocprim17ROCPRIM_400000_NS6detail17trampoline_kernelINS0_14default_configENS1_35radix_sort_onesweep_config_selectorIiNS0_10empty_typeEEEZNS1_34radix_sort_onesweep_global_offsetsIS3_Lb1EN6thrust23THRUST_200600_302600_NS6detail15normal_iteratorINS9_10device_ptrIiEEEEPS5_jNS0_19identity_decomposerEEE10hipError_tT1_T2_PT3_SK_jT4_jjP12ihipStream_tbEUlT_E0_NS1_11comp_targetILNS1_3genE0ELNS1_11target_archE4294967295ELNS1_3gpuE0ELNS1_3repE0EEENS1_52radix_sort_onesweep_histogram_config_static_selectorELNS0_4arch9wavefront6targetE0EEEvSI_.numbered_sgpr, 0
	.set _ZN7rocprim17ROCPRIM_400000_NS6detail17trampoline_kernelINS0_14default_configENS1_35radix_sort_onesweep_config_selectorIiNS0_10empty_typeEEEZNS1_34radix_sort_onesweep_global_offsetsIS3_Lb1EN6thrust23THRUST_200600_302600_NS6detail15normal_iteratorINS9_10device_ptrIiEEEEPS5_jNS0_19identity_decomposerEEE10hipError_tT1_T2_PT3_SK_jT4_jjP12ihipStream_tbEUlT_E0_NS1_11comp_targetILNS1_3genE0ELNS1_11target_archE4294967295ELNS1_3gpuE0ELNS1_3repE0EEENS1_52radix_sort_onesweep_histogram_config_static_selectorELNS0_4arch9wavefront6targetE0EEEvSI_.num_named_barrier, 0
	.set _ZN7rocprim17ROCPRIM_400000_NS6detail17trampoline_kernelINS0_14default_configENS1_35radix_sort_onesweep_config_selectorIiNS0_10empty_typeEEEZNS1_34radix_sort_onesweep_global_offsetsIS3_Lb1EN6thrust23THRUST_200600_302600_NS6detail15normal_iteratorINS9_10device_ptrIiEEEEPS5_jNS0_19identity_decomposerEEE10hipError_tT1_T2_PT3_SK_jT4_jjP12ihipStream_tbEUlT_E0_NS1_11comp_targetILNS1_3genE0ELNS1_11target_archE4294967295ELNS1_3gpuE0ELNS1_3repE0EEENS1_52radix_sort_onesweep_histogram_config_static_selectorELNS0_4arch9wavefront6targetE0EEEvSI_.private_seg_size, 0
	.set _ZN7rocprim17ROCPRIM_400000_NS6detail17trampoline_kernelINS0_14default_configENS1_35radix_sort_onesweep_config_selectorIiNS0_10empty_typeEEEZNS1_34radix_sort_onesweep_global_offsetsIS3_Lb1EN6thrust23THRUST_200600_302600_NS6detail15normal_iteratorINS9_10device_ptrIiEEEEPS5_jNS0_19identity_decomposerEEE10hipError_tT1_T2_PT3_SK_jT4_jjP12ihipStream_tbEUlT_E0_NS1_11comp_targetILNS1_3genE0ELNS1_11target_archE4294967295ELNS1_3gpuE0ELNS1_3repE0EEENS1_52radix_sort_onesweep_histogram_config_static_selectorELNS0_4arch9wavefront6targetE0EEEvSI_.uses_vcc, 0
	.set _ZN7rocprim17ROCPRIM_400000_NS6detail17trampoline_kernelINS0_14default_configENS1_35radix_sort_onesweep_config_selectorIiNS0_10empty_typeEEEZNS1_34radix_sort_onesweep_global_offsetsIS3_Lb1EN6thrust23THRUST_200600_302600_NS6detail15normal_iteratorINS9_10device_ptrIiEEEEPS5_jNS0_19identity_decomposerEEE10hipError_tT1_T2_PT3_SK_jT4_jjP12ihipStream_tbEUlT_E0_NS1_11comp_targetILNS1_3genE0ELNS1_11target_archE4294967295ELNS1_3gpuE0ELNS1_3repE0EEENS1_52radix_sort_onesweep_histogram_config_static_selectorELNS0_4arch9wavefront6targetE0EEEvSI_.uses_flat_scratch, 0
	.set _ZN7rocprim17ROCPRIM_400000_NS6detail17trampoline_kernelINS0_14default_configENS1_35radix_sort_onesweep_config_selectorIiNS0_10empty_typeEEEZNS1_34radix_sort_onesweep_global_offsetsIS3_Lb1EN6thrust23THRUST_200600_302600_NS6detail15normal_iteratorINS9_10device_ptrIiEEEEPS5_jNS0_19identity_decomposerEEE10hipError_tT1_T2_PT3_SK_jT4_jjP12ihipStream_tbEUlT_E0_NS1_11comp_targetILNS1_3genE0ELNS1_11target_archE4294967295ELNS1_3gpuE0ELNS1_3repE0EEENS1_52radix_sort_onesweep_histogram_config_static_selectorELNS0_4arch9wavefront6targetE0EEEvSI_.has_dyn_sized_stack, 0
	.set _ZN7rocprim17ROCPRIM_400000_NS6detail17trampoline_kernelINS0_14default_configENS1_35radix_sort_onesweep_config_selectorIiNS0_10empty_typeEEEZNS1_34radix_sort_onesweep_global_offsetsIS3_Lb1EN6thrust23THRUST_200600_302600_NS6detail15normal_iteratorINS9_10device_ptrIiEEEEPS5_jNS0_19identity_decomposerEEE10hipError_tT1_T2_PT3_SK_jT4_jjP12ihipStream_tbEUlT_E0_NS1_11comp_targetILNS1_3genE0ELNS1_11target_archE4294967295ELNS1_3gpuE0ELNS1_3repE0EEENS1_52radix_sort_onesweep_histogram_config_static_selectorELNS0_4arch9wavefront6targetE0EEEvSI_.has_recursion, 0
	.set _ZN7rocprim17ROCPRIM_400000_NS6detail17trampoline_kernelINS0_14default_configENS1_35radix_sort_onesweep_config_selectorIiNS0_10empty_typeEEEZNS1_34radix_sort_onesweep_global_offsetsIS3_Lb1EN6thrust23THRUST_200600_302600_NS6detail15normal_iteratorINS9_10device_ptrIiEEEEPS5_jNS0_19identity_decomposerEEE10hipError_tT1_T2_PT3_SK_jT4_jjP12ihipStream_tbEUlT_E0_NS1_11comp_targetILNS1_3genE0ELNS1_11target_archE4294967295ELNS1_3gpuE0ELNS1_3repE0EEENS1_52radix_sort_onesweep_histogram_config_static_selectorELNS0_4arch9wavefront6targetE0EEEvSI_.has_indirect_call, 0
	.section	.AMDGPU.csdata,"",@progbits
; Kernel info:
; codeLenInByte = 0
; TotalNumSgprs: 0
; NumVgprs: 0
; ScratchSize: 0
; MemoryBound: 0
; FloatMode: 240
; IeeeMode: 1
; LDSByteSize: 0 bytes/workgroup (compile time only)
; SGPRBlocks: 0
; VGPRBlocks: 0
; NumSGPRsForWavesPerEU: 1
; NumVGPRsForWavesPerEU: 1
; Occupancy: 16
; WaveLimiterHint : 0
; COMPUTE_PGM_RSRC2:SCRATCH_EN: 0
; COMPUTE_PGM_RSRC2:USER_SGPR: 6
; COMPUTE_PGM_RSRC2:TRAP_HANDLER: 0
; COMPUTE_PGM_RSRC2:TGID_X_EN: 1
; COMPUTE_PGM_RSRC2:TGID_Y_EN: 0
; COMPUTE_PGM_RSRC2:TGID_Z_EN: 0
; COMPUTE_PGM_RSRC2:TIDIG_COMP_CNT: 0
	.section	.text._ZN7rocprim17ROCPRIM_400000_NS6detail17trampoline_kernelINS0_14default_configENS1_35radix_sort_onesweep_config_selectorIiNS0_10empty_typeEEEZNS1_34radix_sort_onesweep_global_offsetsIS3_Lb1EN6thrust23THRUST_200600_302600_NS6detail15normal_iteratorINS9_10device_ptrIiEEEEPS5_jNS0_19identity_decomposerEEE10hipError_tT1_T2_PT3_SK_jT4_jjP12ihipStream_tbEUlT_E0_NS1_11comp_targetILNS1_3genE6ELNS1_11target_archE950ELNS1_3gpuE13ELNS1_3repE0EEENS1_52radix_sort_onesweep_histogram_config_static_selectorELNS0_4arch9wavefront6targetE0EEEvSI_,"axG",@progbits,_ZN7rocprim17ROCPRIM_400000_NS6detail17trampoline_kernelINS0_14default_configENS1_35radix_sort_onesweep_config_selectorIiNS0_10empty_typeEEEZNS1_34radix_sort_onesweep_global_offsetsIS3_Lb1EN6thrust23THRUST_200600_302600_NS6detail15normal_iteratorINS9_10device_ptrIiEEEEPS5_jNS0_19identity_decomposerEEE10hipError_tT1_T2_PT3_SK_jT4_jjP12ihipStream_tbEUlT_E0_NS1_11comp_targetILNS1_3genE6ELNS1_11target_archE950ELNS1_3gpuE13ELNS1_3repE0EEENS1_52radix_sort_onesweep_histogram_config_static_selectorELNS0_4arch9wavefront6targetE0EEEvSI_,comdat
	.protected	_ZN7rocprim17ROCPRIM_400000_NS6detail17trampoline_kernelINS0_14default_configENS1_35radix_sort_onesweep_config_selectorIiNS0_10empty_typeEEEZNS1_34radix_sort_onesweep_global_offsetsIS3_Lb1EN6thrust23THRUST_200600_302600_NS6detail15normal_iteratorINS9_10device_ptrIiEEEEPS5_jNS0_19identity_decomposerEEE10hipError_tT1_T2_PT3_SK_jT4_jjP12ihipStream_tbEUlT_E0_NS1_11comp_targetILNS1_3genE6ELNS1_11target_archE950ELNS1_3gpuE13ELNS1_3repE0EEENS1_52radix_sort_onesweep_histogram_config_static_selectorELNS0_4arch9wavefront6targetE0EEEvSI_ ; -- Begin function _ZN7rocprim17ROCPRIM_400000_NS6detail17trampoline_kernelINS0_14default_configENS1_35radix_sort_onesweep_config_selectorIiNS0_10empty_typeEEEZNS1_34radix_sort_onesweep_global_offsetsIS3_Lb1EN6thrust23THRUST_200600_302600_NS6detail15normal_iteratorINS9_10device_ptrIiEEEEPS5_jNS0_19identity_decomposerEEE10hipError_tT1_T2_PT3_SK_jT4_jjP12ihipStream_tbEUlT_E0_NS1_11comp_targetILNS1_3genE6ELNS1_11target_archE950ELNS1_3gpuE13ELNS1_3repE0EEENS1_52radix_sort_onesweep_histogram_config_static_selectorELNS0_4arch9wavefront6targetE0EEEvSI_
	.globl	_ZN7rocprim17ROCPRIM_400000_NS6detail17trampoline_kernelINS0_14default_configENS1_35radix_sort_onesweep_config_selectorIiNS0_10empty_typeEEEZNS1_34radix_sort_onesweep_global_offsetsIS3_Lb1EN6thrust23THRUST_200600_302600_NS6detail15normal_iteratorINS9_10device_ptrIiEEEEPS5_jNS0_19identity_decomposerEEE10hipError_tT1_T2_PT3_SK_jT4_jjP12ihipStream_tbEUlT_E0_NS1_11comp_targetILNS1_3genE6ELNS1_11target_archE950ELNS1_3gpuE13ELNS1_3repE0EEENS1_52radix_sort_onesweep_histogram_config_static_selectorELNS0_4arch9wavefront6targetE0EEEvSI_
	.p2align	8
	.type	_ZN7rocprim17ROCPRIM_400000_NS6detail17trampoline_kernelINS0_14default_configENS1_35radix_sort_onesweep_config_selectorIiNS0_10empty_typeEEEZNS1_34radix_sort_onesweep_global_offsetsIS3_Lb1EN6thrust23THRUST_200600_302600_NS6detail15normal_iteratorINS9_10device_ptrIiEEEEPS5_jNS0_19identity_decomposerEEE10hipError_tT1_T2_PT3_SK_jT4_jjP12ihipStream_tbEUlT_E0_NS1_11comp_targetILNS1_3genE6ELNS1_11target_archE950ELNS1_3gpuE13ELNS1_3repE0EEENS1_52radix_sort_onesweep_histogram_config_static_selectorELNS0_4arch9wavefront6targetE0EEEvSI_,@function
_ZN7rocprim17ROCPRIM_400000_NS6detail17trampoline_kernelINS0_14default_configENS1_35radix_sort_onesweep_config_selectorIiNS0_10empty_typeEEEZNS1_34radix_sort_onesweep_global_offsetsIS3_Lb1EN6thrust23THRUST_200600_302600_NS6detail15normal_iteratorINS9_10device_ptrIiEEEEPS5_jNS0_19identity_decomposerEEE10hipError_tT1_T2_PT3_SK_jT4_jjP12ihipStream_tbEUlT_E0_NS1_11comp_targetILNS1_3genE6ELNS1_11target_archE950ELNS1_3gpuE13ELNS1_3repE0EEENS1_52radix_sort_onesweep_histogram_config_static_selectorELNS0_4arch9wavefront6targetE0EEEvSI_: ; @_ZN7rocprim17ROCPRIM_400000_NS6detail17trampoline_kernelINS0_14default_configENS1_35radix_sort_onesweep_config_selectorIiNS0_10empty_typeEEEZNS1_34radix_sort_onesweep_global_offsetsIS3_Lb1EN6thrust23THRUST_200600_302600_NS6detail15normal_iteratorINS9_10device_ptrIiEEEEPS5_jNS0_19identity_decomposerEEE10hipError_tT1_T2_PT3_SK_jT4_jjP12ihipStream_tbEUlT_E0_NS1_11comp_targetILNS1_3genE6ELNS1_11target_archE950ELNS1_3gpuE13ELNS1_3repE0EEENS1_52radix_sort_onesweep_histogram_config_static_selectorELNS0_4arch9wavefront6targetE0EEEvSI_
; %bb.0:
	.section	.rodata,"a",@progbits
	.p2align	6, 0x0
	.amdhsa_kernel _ZN7rocprim17ROCPRIM_400000_NS6detail17trampoline_kernelINS0_14default_configENS1_35radix_sort_onesweep_config_selectorIiNS0_10empty_typeEEEZNS1_34radix_sort_onesweep_global_offsetsIS3_Lb1EN6thrust23THRUST_200600_302600_NS6detail15normal_iteratorINS9_10device_ptrIiEEEEPS5_jNS0_19identity_decomposerEEE10hipError_tT1_T2_PT3_SK_jT4_jjP12ihipStream_tbEUlT_E0_NS1_11comp_targetILNS1_3genE6ELNS1_11target_archE950ELNS1_3gpuE13ELNS1_3repE0EEENS1_52radix_sort_onesweep_histogram_config_static_selectorELNS0_4arch9wavefront6targetE0EEEvSI_
		.amdhsa_group_segment_fixed_size 0
		.amdhsa_private_segment_fixed_size 0
		.amdhsa_kernarg_size 8
		.amdhsa_user_sgpr_count 6
		.amdhsa_user_sgpr_private_segment_buffer 1
		.amdhsa_user_sgpr_dispatch_ptr 0
		.amdhsa_user_sgpr_queue_ptr 0
		.amdhsa_user_sgpr_kernarg_segment_ptr 1
		.amdhsa_user_sgpr_dispatch_id 0
		.amdhsa_user_sgpr_flat_scratch_init 0
		.amdhsa_user_sgpr_private_segment_size 0
		.amdhsa_wavefront_size32 1
		.amdhsa_uses_dynamic_stack 0
		.amdhsa_system_sgpr_private_segment_wavefront_offset 0
		.amdhsa_system_sgpr_workgroup_id_x 1
		.amdhsa_system_sgpr_workgroup_id_y 0
		.amdhsa_system_sgpr_workgroup_id_z 0
		.amdhsa_system_sgpr_workgroup_info 0
		.amdhsa_system_vgpr_workitem_id 0
		.amdhsa_next_free_vgpr 1
		.amdhsa_next_free_sgpr 1
		.amdhsa_reserve_vcc 0
		.amdhsa_reserve_flat_scratch 0
		.amdhsa_float_round_mode_32 0
		.amdhsa_float_round_mode_16_64 0
		.amdhsa_float_denorm_mode_32 3
		.amdhsa_float_denorm_mode_16_64 3
		.amdhsa_dx10_clamp 1
		.amdhsa_ieee_mode 1
		.amdhsa_fp16_overflow 0
		.amdhsa_workgroup_processor_mode 1
		.amdhsa_memory_ordered 1
		.amdhsa_forward_progress 1
		.amdhsa_shared_vgpr_count 0
		.amdhsa_exception_fp_ieee_invalid_op 0
		.amdhsa_exception_fp_denorm_src 0
		.amdhsa_exception_fp_ieee_div_zero 0
		.amdhsa_exception_fp_ieee_overflow 0
		.amdhsa_exception_fp_ieee_underflow 0
		.amdhsa_exception_fp_ieee_inexact 0
		.amdhsa_exception_int_div_zero 0
	.end_amdhsa_kernel
	.section	.text._ZN7rocprim17ROCPRIM_400000_NS6detail17trampoline_kernelINS0_14default_configENS1_35radix_sort_onesweep_config_selectorIiNS0_10empty_typeEEEZNS1_34radix_sort_onesweep_global_offsetsIS3_Lb1EN6thrust23THRUST_200600_302600_NS6detail15normal_iteratorINS9_10device_ptrIiEEEEPS5_jNS0_19identity_decomposerEEE10hipError_tT1_T2_PT3_SK_jT4_jjP12ihipStream_tbEUlT_E0_NS1_11comp_targetILNS1_3genE6ELNS1_11target_archE950ELNS1_3gpuE13ELNS1_3repE0EEENS1_52radix_sort_onesweep_histogram_config_static_selectorELNS0_4arch9wavefront6targetE0EEEvSI_,"axG",@progbits,_ZN7rocprim17ROCPRIM_400000_NS6detail17trampoline_kernelINS0_14default_configENS1_35radix_sort_onesweep_config_selectorIiNS0_10empty_typeEEEZNS1_34radix_sort_onesweep_global_offsetsIS3_Lb1EN6thrust23THRUST_200600_302600_NS6detail15normal_iteratorINS9_10device_ptrIiEEEEPS5_jNS0_19identity_decomposerEEE10hipError_tT1_T2_PT3_SK_jT4_jjP12ihipStream_tbEUlT_E0_NS1_11comp_targetILNS1_3genE6ELNS1_11target_archE950ELNS1_3gpuE13ELNS1_3repE0EEENS1_52radix_sort_onesweep_histogram_config_static_selectorELNS0_4arch9wavefront6targetE0EEEvSI_,comdat
.Lfunc_end328:
	.size	_ZN7rocprim17ROCPRIM_400000_NS6detail17trampoline_kernelINS0_14default_configENS1_35radix_sort_onesweep_config_selectorIiNS0_10empty_typeEEEZNS1_34radix_sort_onesweep_global_offsetsIS3_Lb1EN6thrust23THRUST_200600_302600_NS6detail15normal_iteratorINS9_10device_ptrIiEEEEPS5_jNS0_19identity_decomposerEEE10hipError_tT1_T2_PT3_SK_jT4_jjP12ihipStream_tbEUlT_E0_NS1_11comp_targetILNS1_3genE6ELNS1_11target_archE950ELNS1_3gpuE13ELNS1_3repE0EEENS1_52radix_sort_onesweep_histogram_config_static_selectorELNS0_4arch9wavefront6targetE0EEEvSI_, .Lfunc_end328-_ZN7rocprim17ROCPRIM_400000_NS6detail17trampoline_kernelINS0_14default_configENS1_35radix_sort_onesweep_config_selectorIiNS0_10empty_typeEEEZNS1_34radix_sort_onesweep_global_offsetsIS3_Lb1EN6thrust23THRUST_200600_302600_NS6detail15normal_iteratorINS9_10device_ptrIiEEEEPS5_jNS0_19identity_decomposerEEE10hipError_tT1_T2_PT3_SK_jT4_jjP12ihipStream_tbEUlT_E0_NS1_11comp_targetILNS1_3genE6ELNS1_11target_archE950ELNS1_3gpuE13ELNS1_3repE0EEENS1_52radix_sort_onesweep_histogram_config_static_selectorELNS0_4arch9wavefront6targetE0EEEvSI_
                                        ; -- End function
	.set _ZN7rocprim17ROCPRIM_400000_NS6detail17trampoline_kernelINS0_14default_configENS1_35radix_sort_onesweep_config_selectorIiNS0_10empty_typeEEEZNS1_34radix_sort_onesweep_global_offsetsIS3_Lb1EN6thrust23THRUST_200600_302600_NS6detail15normal_iteratorINS9_10device_ptrIiEEEEPS5_jNS0_19identity_decomposerEEE10hipError_tT1_T2_PT3_SK_jT4_jjP12ihipStream_tbEUlT_E0_NS1_11comp_targetILNS1_3genE6ELNS1_11target_archE950ELNS1_3gpuE13ELNS1_3repE0EEENS1_52radix_sort_onesweep_histogram_config_static_selectorELNS0_4arch9wavefront6targetE0EEEvSI_.num_vgpr, 0
	.set _ZN7rocprim17ROCPRIM_400000_NS6detail17trampoline_kernelINS0_14default_configENS1_35radix_sort_onesweep_config_selectorIiNS0_10empty_typeEEEZNS1_34radix_sort_onesweep_global_offsetsIS3_Lb1EN6thrust23THRUST_200600_302600_NS6detail15normal_iteratorINS9_10device_ptrIiEEEEPS5_jNS0_19identity_decomposerEEE10hipError_tT1_T2_PT3_SK_jT4_jjP12ihipStream_tbEUlT_E0_NS1_11comp_targetILNS1_3genE6ELNS1_11target_archE950ELNS1_3gpuE13ELNS1_3repE0EEENS1_52radix_sort_onesweep_histogram_config_static_selectorELNS0_4arch9wavefront6targetE0EEEvSI_.num_agpr, 0
	.set _ZN7rocprim17ROCPRIM_400000_NS6detail17trampoline_kernelINS0_14default_configENS1_35radix_sort_onesweep_config_selectorIiNS0_10empty_typeEEEZNS1_34radix_sort_onesweep_global_offsetsIS3_Lb1EN6thrust23THRUST_200600_302600_NS6detail15normal_iteratorINS9_10device_ptrIiEEEEPS5_jNS0_19identity_decomposerEEE10hipError_tT1_T2_PT3_SK_jT4_jjP12ihipStream_tbEUlT_E0_NS1_11comp_targetILNS1_3genE6ELNS1_11target_archE950ELNS1_3gpuE13ELNS1_3repE0EEENS1_52radix_sort_onesweep_histogram_config_static_selectorELNS0_4arch9wavefront6targetE0EEEvSI_.numbered_sgpr, 0
	.set _ZN7rocprim17ROCPRIM_400000_NS6detail17trampoline_kernelINS0_14default_configENS1_35radix_sort_onesweep_config_selectorIiNS0_10empty_typeEEEZNS1_34radix_sort_onesweep_global_offsetsIS3_Lb1EN6thrust23THRUST_200600_302600_NS6detail15normal_iteratorINS9_10device_ptrIiEEEEPS5_jNS0_19identity_decomposerEEE10hipError_tT1_T2_PT3_SK_jT4_jjP12ihipStream_tbEUlT_E0_NS1_11comp_targetILNS1_3genE6ELNS1_11target_archE950ELNS1_3gpuE13ELNS1_3repE0EEENS1_52radix_sort_onesweep_histogram_config_static_selectorELNS0_4arch9wavefront6targetE0EEEvSI_.num_named_barrier, 0
	.set _ZN7rocprim17ROCPRIM_400000_NS6detail17trampoline_kernelINS0_14default_configENS1_35radix_sort_onesweep_config_selectorIiNS0_10empty_typeEEEZNS1_34radix_sort_onesweep_global_offsetsIS3_Lb1EN6thrust23THRUST_200600_302600_NS6detail15normal_iteratorINS9_10device_ptrIiEEEEPS5_jNS0_19identity_decomposerEEE10hipError_tT1_T2_PT3_SK_jT4_jjP12ihipStream_tbEUlT_E0_NS1_11comp_targetILNS1_3genE6ELNS1_11target_archE950ELNS1_3gpuE13ELNS1_3repE0EEENS1_52radix_sort_onesweep_histogram_config_static_selectorELNS0_4arch9wavefront6targetE0EEEvSI_.private_seg_size, 0
	.set _ZN7rocprim17ROCPRIM_400000_NS6detail17trampoline_kernelINS0_14default_configENS1_35radix_sort_onesweep_config_selectorIiNS0_10empty_typeEEEZNS1_34radix_sort_onesweep_global_offsetsIS3_Lb1EN6thrust23THRUST_200600_302600_NS6detail15normal_iteratorINS9_10device_ptrIiEEEEPS5_jNS0_19identity_decomposerEEE10hipError_tT1_T2_PT3_SK_jT4_jjP12ihipStream_tbEUlT_E0_NS1_11comp_targetILNS1_3genE6ELNS1_11target_archE950ELNS1_3gpuE13ELNS1_3repE0EEENS1_52radix_sort_onesweep_histogram_config_static_selectorELNS0_4arch9wavefront6targetE0EEEvSI_.uses_vcc, 0
	.set _ZN7rocprim17ROCPRIM_400000_NS6detail17trampoline_kernelINS0_14default_configENS1_35radix_sort_onesweep_config_selectorIiNS0_10empty_typeEEEZNS1_34radix_sort_onesweep_global_offsetsIS3_Lb1EN6thrust23THRUST_200600_302600_NS6detail15normal_iteratorINS9_10device_ptrIiEEEEPS5_jNS0_19identity_decomposerEEE10hipError_tT1_T2_PT3_SK_jT4_jjP12ihipStream_tbEUlT_E0_NS1_11comp_targetILNS1_3genE6ELNS1_11target_archE950ELNS1_3gpuE13ELNS1_3repE0EEENS1_52radix_sort_onesweep_histogram_config_static_selectorELNS0_4arch9wavefront6targetE0EEEvSI_.uses_flat_scratch, 0
	.set _ZN7rocprim17ROCPRIM_400000_NS6detail17trampoline_kernelINS0_14default_configENS1_35radix_sort_onesweep_config_selectorIiNS0_10empty_typeEEEZNS1_34radix_sort_onesweep_global_offsetsIS3_Lb1EN6thrust23THRUST_200600_302600_NS6detail15normal_iteratorINS9_10device_ptrIiEEEEPS5_jNS0_19identity_decomposerEEE10hipError_tT1_T2_PT3_SK_jT4_jjP12ihipStream_tbEUlT_E0_NS1_11comp_targetILNS1_3genE6ELNS1_11target_archE950ELNS1_3gpuE13ELNS1_3repE0EEENS1_52radix_sort_onesweep_histogram_config_static_selectorELNS0_4arch9wavefront6targetE0EEEvSI_.has_dyn_sized_stack, 0
	.set _ZN7rocprim17ROCPRIM_400000_NS6detail17trampoline_kernelINS0_14default_configENS1_35radix_sort_onesweep_config_selectorIiNS0_10empty_typeEEEZNS1_34radix_sort_onesweep_global_offsetsIS3_Lb1EN6thrust23THRUST_200600_302600_NS6detail15normal_iteratorINS9_10device_ptrIiEEEEPS5_jNS0_19identity_decomposerEEE10hipError_tT1_T2_PT3_SK_jT4_jjP12ihipStream_tbEUlT_E0_NS1_11comp_targetILNS1_3genE6ELNS1_11target_archE950ELNS1_3gpuE13ELNS1_3repE0EEENS1_52radix_sort_onesweep_histogram_config_static_selectorELNS0_4arch9wavefront6targetE0EEEvSI_.has_recursion, 0
	.set _ZN7rocprim17ROCPRIM_400000_NS6detail17trampoline_kernelINS0_14default_configENS1_35radix_sort_onesweep_config_selectorIiNS0_10empty_typeEEEZNS1_34radix_sort_onesweep_global_offsetsIS3_Lb1EN6thrust23THRUST_200600_302600_NS6detail15normal_iteratorINS9_10device_ptrIiEEEEPS5_jNS0_19identity_decomposerEEE10hipError_tT1_T2_PT3_SK_jT4_jjP12ihipStream_tbEUlT_E0_NS1_11comp_targetILNS1_3genE6ELNS1_11target_archE950ELNS1_3gpuE13ELNS1_3repE0EEENS1_52radix_sort_onesweep_histogram_config_static_selectorELNS0_4arch9wavefront6targetE0EEEvSI_.has_indirect_call, 0
	.section	.AMDGPU.csdata,"",@progbits
; Kernel info:
; codeLenInByte = 0
; TotalNumSgprs: 0
; NumVgprs: 0
; ScratchSize: 0
; MemoryBound: 0
; FloatMode: 240
; IeeeMode: 1
; LDSByteSize: 0 bytes/workgroup (compile time only)
; SGPRBlocks: 0
; VGPRBlocks: 0
; NumSGPRsForWavesPerEU: 1
; NumVGPRsForWavesPerEU: 1
; Occupancy: 16
; WaveLimiterHint : 0
; COMPUTE_PGM_RSRC2:SCRATCH_EN: 0
; COMPUTE_PGM_RSRC2:USER_SGPR: 6
; COMPUTE_PGM_RSRC2:TRAP_HANDLER: 0
; COMPUTE_PGM_RSRC2:TGID_X_EN: 1
; COMPUTE_PGM_RSRC2:TGID_Y_EN: 0
; COMPUTE_PGM_RSRC2:TGID_Z_EN: 0
; COMPUTE_PGM_RSRC2:TIDIG_COMP_CNT: 0
	.section	.text._ZN7rocprim17ROCPRIM_400000_NS6detail17trampoline_kernelINS0_14default_configENS1_35radix_sort_onesweep_config_selectorIiNS0_10empty_typeEEEZNS1_34radix_sort_onesweep_global_offsetsIS3_Lb1EN6thrust23THRUST_200600_302600_NS6detail15normal_iteratorINS9_10device_ptrIiEEEEPS5_jNS0_19identity_decomposerEEE10hipError_tT1_T2_PT3_SK_jT4_jjP12ihipStream_tbEUlT_E0_NS1_11comp_targetILNS1_3genE5ELNS1_11target_archE942ELNS1_3gpuE9ELNS1_3repE0EEENS1_52radix_sort_onesweep_histogram_config_static_selectorELNS0_4arch9wavefront6targetE0EEEvSI_,"axG",@progbits,_ZN7rocprim17ROCPRIM_400000_NS6detail17trampoline_kernelINS0_14default_configENS1_35radix_sort_onesweep_config_selectorIiNS0_10empty_typeEEEZNS1_34radix_sort_onesweep_global_offsetsIS3_Lb1EN6thrust23THRUST_200600_302600_NS6detail15normal_iteratorINS9_10device_ptrIiEEEEPS5_jNS0_19identity_decomposerEEE10hipError_tT1_T2_PT3_SK_jT4_jjP12ihipStream_tbEUlT_E0_NS1_11comp_targetILNS1_3genE5ELNS1_11target_archE942ELNS1_3gpuE9ELNS1_3repE0EEENS1_52radix_sort_onesweep_histogram_config_static_selectorELNS0_4arch9wavefront6targetE0EEEvSI_,comdat
	.protected	_ZN7rocprim17ROCPRIM_400000_NS6detail17trampoline_kernelINS0_14default_configENS1_35radix_sort_onesweep_config_selectorIiNS0_10empty_typeEEEZNS1_34radix_sort_onesweep_global_offsetsIS3_Lb1EN6thrust23THRUST_200600_302600_NS6detail15normal_iteratorINS9_10device_ptrIiEEEEPS5_jNS0_19identity_decomposerEEE10hipError_tT1_T2_PT3_SK_jT4_jjP12ihipStream_tbEUlT_E0_NS1_11comp_targetILNS1_3genE5ELNS1_11target_archE942ELNS1_3gpuE9ELNS1_3repE0EEENS1_52radix_sort_onesweep_histogram_config_static_selectorELNS0_4arch9wavefront6targetE0EEEvSI_ ; -- Begin function _ZN7rocprim17ROCPRIM_400000_NS6detail17trampoline_kernelINS0_14default_configENS1_35radix_sort_onesweep_config_selectorIiNS0_10empty_typeEEEZNS1_34radix_sort_onesweep_global_offsetsIS3_Lb1EN6thrust23THRUST_200600_302600_NS6detail15normal_iteratorINS9_10device_ptrIiEEEEPS5_jNS0_19identity_decomposerEEE10hipError_tT1_T2_PT3_SK_jT4_jjP12ihipStream_tbEUlT_E0_NS1_11comp_targetILNS1_3genE5ELNS1_11target_archE942ELNS1_3gpuE9ELNS1_3repE0EEENS1_52radix_sort_onesweep_histogram_config_static_selectorELNS0_4arch9wavefront6targetE0EEEvSI_
	.globl	_ZN7rocprim17ROCPRIM_400000_NS6detail17trampoline_kernelINS0_14default_configENS1_35radix_sort_onesweep_config_selectorIiNS0_10empty_typeEEEZNS1_34radix_sort_onesweep_global_offsetsIS3_Lb1EN6thrust23THRUST_200600_302600_NS6detail15normal_iteratorINS9_10device_ptrIiEEEEPS5_jNS0_19identity_decomposerEEE10hipError_tT1_T2_PT3_SK_jT4_jjP12ihipStream_tbEUlT_E0_NS1_11comp_targetILNS1_3genE5ELNS1_11target_archE942ELNS1_3gpuE9ELNS1_3repE0EEENS1_52radix_sort_onesweep_histogram_config_static_selectorELNS0_4arch9wavefront6targetE0EEEvSI_
	.p2align	8
	.type	_ZN7rocprim17ROCPRIM_400000_NS6detail17trampoline_kernelINS0_14default_configENS1_35radix_sort_onesweep_config_selectorIiNS0_10empty_typeEEEZNS1_34radix_sort_onesweep_global_offsetsIS3_Lb1EN6thrust23THRUST_200600_302600_NS6detail15normal_iteratorINS9_10device_ptrIiEEEEPS5_jNS0_19identity_decomposerEEE10hipError_tT1_T2_PT3_SK_jT4_jjP12ihipStream_tbEUlT_E0_NS1_11comp_targetILNS1_3genE5ELNS1_11target_archE942ELNS1_3gpuE9ELNS1_3repE0EEENS1_52radix_sort_onesweep_histogram_config_static_selectorELNS0_4arch9wavefront6targetE0EEEvSI_,@function
_ZN7rocprim17ROCPRIM_400000_NS6detail17trampoline_kernelINS0_14default_configENS1_35radix_sort_onesweep_config_selectorIiNS0_10empty_typeEEEZNS1_34radix_sort_onesweep_global_offsetsIS3_Lb1EN6thrust23THRUST_200600_302600_NS6detail15normal_iteratorINS9_10device_ptrIiEEEEPS5_jNS0_19identity_decomposerEEE10hipError_tT1_T2_PT3_SK_jT4_jjP12ihipStream_tbEUlT_E0_NS1_11comp_targetILNS1_3genE5ELNS1_11target_archE942ELNS1_3gpuE9ELNS1_3repE0EEENS1_52radix_sort_onesweep_histogram_config_static_selectorELNS0_4arch9wavefront6targetE0EEEvSI_: ; @_ZN7rocprim17ROCPRIM_400000_NS6detail17trampoline_kernelINS0_14default_configENS1_35radix_sort_onesweep_config_selectorIiNS0_10empty_typeEEEZNS1_34radix_sort_onesweep_global_offsetsIS3_Lb1EN6thrust23THRUST_200600_302600_NS6detail15normal_iteratorINS9_10device_ptrIiEEEEPS5_jNS0_19identity_decomposerEEE10hipError_tT1_T2_PT3_SK_jT4_jjP12ihipStream_tbEUlT_E0_NS1_11comp_targetILNS1_3genE5ELNS1_11target_archE942ELNS1_3gpuE9ELNS1_3repE0EEENS1_52radix_sort_onesweep_histogram_config_static_selectorELNS0_4arch9wavefront6targetE0EEEvSI_
; %bb.0:
	.section	.rodata,"a",@progbits
	.p2align	6, 0x0
	.amdhsa_kernel _ZN7rocprim17ROCPRIM_400000_NS6detail17trampoline_kernelINS0_14default_configENS1_35radix_sort_onesweep_config_selectorIiNS0_10empty_typeEEEZNS1_34radix_sort_onesweep_global_offsetsIS3_Lb1EN6thrust23THRUST_200600_302600_NS6detail15normal_iteratorINS9_10device_ptrIiEEEEPS5_jNS0_19identity_decomposerEEE10hipError_tT1_T2_PT3_SK_jT4_jjP12ihipStream_tbEUlT_E0_NS1_11comp_targetILNS1_3genE5ELNS1_11target_archE942ELNS1_3gpuE9ELNS1_3repE0EEENS1_52radix_sort_onesweep_histogram_config_static_selectorELNS0_4arch9wavefront6targetE0EEEvSI_
		.amdhsa_group_segment_fixed_size 0
		.amdhsa_private_segment_fixed_size 0
		.amdhsa_kernarg_size 8
		.amdhsa_user_sgpr_count 6
		.amdhsa_user_sgpr_private_segment_buffer 1
		.amdhsa_user_sgpr_dispatch_ptr 0
		.amdhsa_user_sgpr_queue_ptr 0
		.amdhsa_user_sgpr_kernarg_segment_ptr 1
		.amdhsa_user_sgpr_dispatch_id 0
		.amdhsa_user_sgpr_flat_scratch_init 0
		.amdhsa_user_sgpr_private_segment_size 0
		.amdhsa_wavefront_size32 1
		.amdhsa_uses_dynamic_stack 0
		.amdhsa_system_sgpr_private_segment_wavefront_offset 0
		.amdhsa_system_sgpr_workgroup_id_x 1
		.amdhsa_system_sgpr_workgroup_id_y 0
		.amdhsa_system_sgpr_workgroup_id_z 0
		.amdhsa_system_sgpr_workgroup_info 0
		.amdhsa_system_vgpr_workitem_id 0
		.amdhsa_next_free_vgpr 1
		.amdhsa_next_free_sgpr 1
		.amdhsa_reserve_vcc 0
		.amdhsa_reserve_flat_scratch 0
		.amdhsa_float_round_mode_32 0
		.amdhsa_float_round_mode_16_64 0
		.amdhsa_float_denorm_mode_32 3
		.amdhsa_float_denorm_mode_16_64 3
		.amdhsa_dx10_clamp 1
		.amdhsa_ieee_mode 1
		.amdhsa_fp16_overflow 0
		.amdhsa_workgroup_processor_mode 1
		.amdhsa_memory_ordered 1
		.amdhsa_forward_progress 1
		.amdhsa_shared_vgpr_count 0
		.amdhsa_exception_fp_ieee_invalid_op 0
		.amdhsa_exception_fp_denorm_src 0
		.amdhsa_exception_fp_ieee_div_zero 0
		.amdhsa_exception_fp_ieee_overflow 0
		.amdhsa_exception_fp_ieee_underflow 0
		.amdhsa_exception_fp_ieee_inexact 0
		.amdhsa_exception_int_div_zero 0
	.end_amdhsa_kernel
	.section	.text._ZN7rocprim17ROCPRIM_400000_NS6detail17trampoline_kernelINS0_14default_configENS1_35radix_sort_onesweep_config_selectorIiNS0_10empty_typeEEEZNS1_34radix_sort_onesweep_global_offsetsIS3_Lb1EN6thrust23THRUST_200600_302600_NS6detail15normal_iteratorINS9_10device_ptrIiEEEEPS5_jNS0_19identity_decomposerEEE10hipError_tT1_T2_PT3_SK_jT4_jjP12ihipStream_tbEUlT_E0_NS1_11comp_targetILNS1_3genE5ELNS1_11target_archE942ELNS1_3gpuE9ELNS1_3repE0EEENS1_52radix_sort_onesweep_histogram_config_static_selectorELNS0_4arch9wavefront6targetE0EEEvSI_,"axG",@progbits,_ZN7rocprim17ROCPRIM_400000_NS6detail17trampoline_kernelINS0_14default_configENS1_35radix_sort_onesweep_config_selectorIiNS0_10empty_typeEEEZNS1_34radix_sort_onesweep_global_offsetsIS3_Lb1EN6thrust23THRUST_200600_302600_NS6detail15normal_iteratorINS9_10device_ptrIiEEEEPS5_jNS0_19identity_decomposerEEE10hipError_tT1_T2_PT3_SK_jT4_jjP12ihipStream_tbEUlT_E0_NS1_11comp_targetILNS1_3genE5ELNS1_11target_archE942ELNS1_3gpuE9ELNS1_3repE0EEENS1_52radix_sort_onesweep_histogram_config_static_selectorELNS0_4arch9wavefront6targetE0EEEvSI_,comdat
.Lfunc_end329:
	.size	_ZN7rocprim17ROCPRIM_400000_NS6detail17trampoline_kernelINS0_14default_configENS1_35radix_sort_onesweep_config_selectorIiNS0_10empty_typeEEEZNS1_34radix_sort_onesweep_global_offsetsIS3_Lb1EN6thrust23THRUST_200600_302600_NS6detail15normal_iteratorINS9_10device_ptrIiEEEEPS5_jNS0_19identity_decomposerEEE10hipError_tT1_T2_PT3_SK_jT4_jjP12ihipStream_tbEUlT_E0_NS1_11comp_targetILNS1_3genE5ELNS1_11target_archE942ELNS1_3gpuE9ELNS1_3repE0EEENS1_52radix_sort_onesweep_histogram_config_static_selectorELNS0_4arch9wavefront6targetE0EEEvSI_, .Lfunc_end329-_ZN7rocprim17ROCPRIM_400000_NS6detail17trampoline_kernelINS0_14default_configENS1_35radix_sort_onesweep_config_selectorIiNS0_10empty_typeEEEZNS1_34radix_sort_onesweep_global_offsetsIS3_Lb1EN6thrust23THRUST_200600_302600_NS6detail15normal_iteratorINS9_10device_ptrIiEEEEPS5_jNS0_19identity_decomposerEEE10hipError_tT1_T2_PT3_SK_jT4_jjP12ihipStream_tbEUlT_E0_NS1_11comp_targetILNS1_3genE5ELNS1_11target_archE942ELNS1_3gpuE9ELNS1_3repE0EEENS1_52radix_sort_onesweep_histogram_config_static_selectorELNS0_4arch9wavefront6targetE0EEEvSI_
                                        ; -- End function
	.set _ZN7rocprim17ROCPRIM_400000_NS6detail17trampoline_kernelINS0_14default_configENS1_35radix_sort_onesweep_config_selectorIiNS0_10empty_typeEEEZNS1_34radix_sort_onesweep_global_offsetsIS3_Lb1EN6thrust23THRUST_200600_302600_NS6detail15normal_iteratorINS9_10device_ptrIiEEEEPS5_jNS0_19identity_decomposerEEE10hipError_tT1_T2_PT3_SK_jT4_jjP12ihipStream_tbEUlT_E0_NS1_11comp_targetILNS1_3genE5ELNS1_11target_archE942ELNS1_3gpuE9ELNS1_3repE0EEENS1_52radix_sort_onesweep_histogram_config_static_selectorELNS0_4arch9wavefront6targetE0EEEvSI_.num_vgpr, 0
	.set _ZN7rocprim17ROCPRIM_400000_NS6detail17trampoline_kernelINS0_14default_configENS1_35radix_sort_onesweep_config_selectorIiNS0_10empty_typeEEEZNS1_34radix_sort_onesweep_global_offsetsIS3_Lb1EN6thrust23THRUST_200600_302600_NS6detail15normal_iteratorINS9_10device_ptrIiEEEEPS5_jNS0_19identity_decomposerEEE10hipError_tT1_T2_PT3_SK_jT4_jjP12ihipStream_tbEUlT_E0_NS1_11comp_targetILNS1_3genE5ELNS1_11target_archE942ELNS1_3gpuE9ELNS1_3repE0EEENS1_52radix_sort_onesweep_histogram_config_static_selectorELNS0_4arch9wavefront6targetE0EEEvSI_.num_agpr, 0
	.set _ZN7rocprim17ROCPRIM_400000_NS6detail17trampoline_kernelINS0_14default_configENS1_35radix_sort_onesweep_config_selectorIiNS0_10empty_typeEEEZNS1_34radix_sort_onesweep_global_offsetsIS3_Lb1EN6thrust23THRUST_200600_302600_NS6detail15normal_iteratorINS9_10device_ptrIiEEEEPS5_jNS0_19identity_decomposerEEE10hipError_tT1_T2_PT3_SK_jT4_jjP12ihipStream_tbEUlT_E0_NS1_11comp_targetILNS1_3genE5ELNS1_11target_archE942ELNS1_3gpuE9ELNS1_3repE0EEENS1_52radix_sort_onesweep_histogram_config_static_selectorELNS0_4arch9wavefront6targetE0EEEvSI_.numbered_sgpr, 0
	.set _ZN7rocprim17ROCPRIM_400000_NS6detail17trampoline_kernelINS0_14default_configENS1_35radix_sort_onesweep_config_selectorIiNS0_10empty_typeEEEZNS1_34radix_sort_onesweep_global_offsetsIS3_Lb1EN6thrust23THRUST_200600_302600_NS6detail15normal_iteratorINS9_10device_ptrIiEEEEPS5_jNS0_19identity_decomposerEEE10hipError_tT1_T2_PT3_SK_jT4_jjP12ihipStream_tbEUlT_E0_NS1_11comp_targetILNS1_3genE5ELNS1_11target_archE942ELNS1_3gpuE9ELNS1_3repE0EEENS1_52radix_sort_onesweep_histogram_config_static_selectorELNS0_4arch9wavefront6targetE0EEEvSI_.num_named_barrier, 0
	.set _ZN7rocprim17ROCPRIM_400000_NS6detail17trampoline_kernelINS0_14default_configENS1_35radix_sort_onesweep_config_selectorIiNS0_10empty_typeEEEZNS1_34radix_sort_onesweep_global_offsetsIS3_Lb1EN6thrust23THRUST_200600_302600_NS6detail15normal_iteratorINS9_10device_ptrIiEEEEPS5_jNS0_19identity_decomposerEEE10hipError_tT1_T2_PT3_SK_jT4_jjP12ihipStream_tbEUlT_E0_NS1_11comp_targetILNS1_3genE5ELNS1_11target_archE942ELNS1_3gpuE9ELNS1_3repE0EEENS1_52radix_sort_onesweep_histogram_config_static_selectorELNS0_4arch9wavefront6targetE0EEEvSI_.private_seg_size, 0
	.set _ZN7rocprim17ROCPRIM_400000_NS6detail17trampoline_kernelINS0_14default_configENS1_35radix_sort_onesweep_config_selectorIiNS0_10empty_typeEEEZNS1_34radix_sort_onesweep_global_offsetsIS3_Lb1EN6thrust23THRUST_200600_302600_NS6detail15normal_iteratorINS9_10device_ptrIiEEEEPS5_jNS0_19identity_decomposerEEE10hipError_tT1_T2_PT3_SK_jT4_jjP12ihipStream_tbEUlT_E0_NS1_11comp_targetILNS1_3genE5ELNS1_11target_archE942ELNS1_3gpuE9ELNS1_3repE0EEENS1_52radix_sort_onesweep_histogram_config_static_selectorELNS0_4arch9wavefront6targetE0EEEvSI_.uses_vcc, 0
	.set _ZN7rocprim17ROCPRIM_400000_NS6detail17trampoline_kernelINS0_14default_configENS1_35radix_sort_onesweep_config_selectorIiNS0_10empty_typeEEEZNS1_34radix_sort_onesweep_global_offsetsIS3_Lb1EN6thrust23THRUST_200600_302600_NS6detail15normal_iteratorINS9_10device_ptrIiEEEEPS5_jNS0_19identity_decomposerEEE10hipError_tT1_T2_PT3_SK_jT4_jjP12ihipStream_tbEUlT_E0_NS1_11comp_targetILNS1_3genE5ELNS1_11target_archE942ELNS1_3gpuE9ELNS1_3repE0EEENS1_52radix_sort_onesweep_histogram_config_static_selectorELNS0_4arch9wavefront6targetE0EEEvSI_.uses_flat_scratch, 0
	.set _ZN7rocprim17ROCPRIM_400000_NS6detail17trampoline_kernelINS0_14default_configENS1_35radix_sort_onesweep_config_selectorIiNS0_10empty_typeEEEZNS1_34radix_sort_onesweep_global_offsetsIS3_Lb1EN6thrust23THRUST_200600_302600_NS6detail15normal_iteratorINS9_10device_ptrIiEEEEPS5_jNS0_19identity_decomposerEEE10hipError_tT1_T2_PT3_SK_jT4_jjP12ihipStream_tbEUlT_E0_NS1_11comp_targetILNS1_3genE5ELNS1_11target_archE942ELNS1_3gpuE9ELNS1_3repE0EEENS1_52radix_sort_onesweep_histogram_config_static_selectorELNS0_4arch9wavefront6targetE0EEEvSI_.has_dyn_sized_stack, 0
	.set _ZN7rocprim17ROCPRIM_400000_NS6detail17trampoline_kernelINS0_14default_configENS1_35radix_sort_onesweep_config_selectorIiNS0_10empty_typeEEEZNS1_34radix_sort_onesweep_global_offsetsIS3_Lb1EN6thrust23THRUST_200600_302600_NS6detail15normal_iteratorINS9_10device_ptrIiEEEEPS5_jNS0_19identity_decomposerEEE10hipError_tT1_T2_PT3_SK_jT4_jjP12ihipStream_tbEUlT_E0_NS1_11comp_targetILNS1_3genE5ELNS1_11target_archE942ELNS1_3gpuE9ELNS1_3repE0EEENS1_52radix_sort_onesweep_histogram_config_static_selectorELNS0_4arch9wavefront6targetE0EEEvSI_.has_recursion, 0
	.set _ZN7rocprim17ROCPRIM_400000_NS6detail17trampoline_kernelINS0_14default_configENS1_35radix_sort_onesweep_config_selectorIiNS0_10empty_typeEEEZNS1_34radix_sort_onesweep_global_offsetsIS3_Lb1EN6thrust23THRUST_200600_302600_NS6detail15normal_iteratorINS9_10device_ptrIiEEEEPS5_jNS0_19identity_decomposerEEE10hipError_tT1_T2_PT3_SK_jT4_jjP12ihipStream_tbEUlT_E0_NS1_11comp_targetILNS1_3genE5ELNS1_11target_archE942ELNS1_3gpuE9ELNS1_3repE0EEENS1_52radix_sort_onesweep_histogram_config_static_selectorELNS0_4arch9wavefront6targetE0EEEvSI_.has_indirect_call, 0
	.section	.AMDGPU.csdata,"",@progbits
; Kernel info:
; codeLenInByte = 0
; TotalNumSgprs: 0
; NumVgprs: 0
; ScratchSize: 0
; MemoryBound: 0
; FloatMode: 240
; IeeeMode: 1
; LDSByteSize: 0 bytes/workgroup (compile time only)
; SGPRBlocks: 0
; VGPRBlocks: 0
; NumSGPRsForWavesPerEU: 1
; NumVGPRsForWavesPerEU: 1
; Occupancy: 16
; WaveLimiterHint : 0
; COMPUTE_PGM_RSRC2:SCRATCH_EN: 0
; COMPUTE_PGM_RSRC2:USER_SGPR: 6
; COMPUTE_PGM_RSRC2:TRAP_HANDLER: 0
; COMPUTE_PGM_RSRC2:TGID_X_EN: 1
; COMPUTE_PGM_RSRC2:TGID_Y_EN: 0
; COMPUTE_PGM_RSRC2:TGID_Z_EN: 0
; COMPUTE_PGM_RSRC2:TIDIG_COMP_CNT: 0
	.section	.text._ZN7rocprim17ROCPRIM_400000_NS6detail17trampoline_kernelINS0_14default_configENS1_35radix_sort_onesweep_config_selectorIiNS0_10empty_typeEEEZNS1_34radix_sort_onesweep_global_offsetsIS3_Lb1EN6thrust23THRUST_200600_302600_NS6detail15normal_iteratorINS9_10device_ptrIiEEEEPS5_jNS0_19identity_decomposerEEE10hipError_tT1_T2_PT3_SK_jT4_jjP12ihipStream_tbEUlT_E0_NS1_11comp_targetILNS1_3genE2ELNS1_11target_archE906ELNS1_3gpuE6ELNS1_3repE0EEENS1_52radix_sort_onesweep_histogram_config_static_selectorELNS0_4arch9wavefront6targetE0EEEvSI_,"axG",@progbits,_ZN7rocprim17ROCPRIM_400000_NS6detail17trampoline_kernelINS0_14default_configENS1_35radix_sort_onesweep_config_selectorIiNS0_10empty_typeEEEZNS1_34radix_sort_onesweep_global_offsetsIS3_Lb1EN6thrust23THRUST_200600_302600_NS6detail15normal_iteratorINS9_10device_ptrIiEEEEPS5_jNS0_19identity_decomposerEEE10hipError_tT1_T2_PT3_SK_jT4_jjP12ihipStream_tbEUlT_E0_NS1_11comp_targetILNS1_3genE2ELNS1_11target_archE906ELNS1_3gpuE6ELNS1_3repE0EEENS1_52radix_sort_onesweep_histogram_config_static_selectorELNS0_4arch9wavefront6targetE0EEEvSI_,comdat
	.protected	_ZN7rocprim17ROCPRIM_400000_NS6detail17trampoline_kernelINS0_14default_configENS1_35radix_sort_onesweep_config_selectorIiNS0_10empty_typeEEEZNS1_34radix_sort_onesweep_global_offsetsIS3_Lb1EN6thrust23THRUST_200600_302600_NS6detail15normal_iteratorINS9_10device_ptrIiEEEEPS5_jNS0_19identity_decomposerEEE10hipError_tT1_T2_PT3_SK_jT4_jjP12ihipStream_tbEUlT_E0_NS1_11comp_targetILNS1_3genE2ELNS1_11target_archE906ELNS1_3gpuE6ELNS1_3repE0EEENS1_52radix_sort_onesweep_histogram_config_static_selectorELNS0_4arch9wavefront6targetE0EEEvSI_ ; -- Begin function _ZN7rocprim17ROCPRIM_400000_NS6detail17trampoline_kernelINS0_14default_configENS1_35radix_sort_onesweep_config_selectorIiNS0_10empty_typeEEEZNS1_34radix_sort_onesweep_global_offsetsIS3_Lb1EN6thrust23THRUST_200600_302600_NS6detail15normal_iteratorINS9_10device_ptrIiEEEEPS5_jNS0_19identity_decomposerEEE10hipError_tT1_T2_PT3_SK_jT4_jjP12ihipStream_tbEUlT_E0_NS1_11comp_targetILNS1_3genE2ELNS1_11target_archE906ELNS1_3gpuE6ELNS1_3repE0EEENS1_52radix_sort_onesweep_histogram_config_static_selectorELNS0_4arch9wavefront6targetE0EEEvSI_
	.globl	_ZN7rocprim17ROCPRIM_400000_NS6detail17trampoline_kernelINS0_14default_configENS1_35radix_sort_onesweep_config_selectorIiNS0_10empty_typeEEEZNS1_34radix_sort_onesweep_global_offsetsIS3_Lb1EN6thrust23THRUST_200600_302600_NS6detail15normal_iteratorINS9_10device_ptrIiEEEEPS5_jNS0_19identity_decomposerEEE10hipError_tT1_T2_PT3_SK_jT4_jjP12ihipStream_tbEUlT_E0_NS1_11comp_targetILNS1_3genE2ELNS1_11target_archE906ELNS1_3gpuE6ELNS1_3repE0EEENS1_52radix_sort_onesweep_histogram_config_static_selectorELNS0_4arch9wavefront6targetE0EEEvSI_
	.p2align	8
	.type	_ZN7rocprim17ROCPRIM_400000_NS6detail17trampoline_kernelINS0_14default_configENS1_35radix_sort_onesweep_config_selectorIiNS0_10empty_typeEEEZNS1_34radix_sort_onesweep_global_offsetsIS3_Lb1EN6thrust23THRUST_200600_302600_NS6detail15normal_iteratorINS9_10device_ptrIiEEEEPS5_jNS0_19identity_decomposerEEE10hipError_tT1_T2_PT3_SK_jT4_jjP12ihipStream_tbEUlT_E0_NS1_11comp_targetILNS1_3genE2ELNS1_11target_archE906ELNS1_3gpuE6ELNS1_3repE0EEENS1_52radix_sort_onesweep_histogram_config_static_selectorELNS0_4arch9wavefront6targetE0EEEvSI_,@function
_ZN7rocprim17ROCPRIM_400000_NS6detail17trampoline_kernelINS0_14default_configENS1_35radix_sort_onesweep_config_selectorIiNS0_10empty_typeEEEZNS1_34radix_sort_onesweep_global_offsetsIS3_Lb1EN6thrust23THRUST_200600_302600_NS6detail15normal_iteratorINS9_10device_ptrIiEEEEPS5_jNS0_19identity_decomposerEEE10hipError_tT1_T2_PT3_SK_jT4_jjP12ihipStream_tbEUlT_E0_NS1_11comp_targetILNS1_3genE2ELNS1_11target_archE906ELNS1_3gpuE6ELNS1_3repE0EEENS1_52radix_sort_onesweep_histogram_config_static_selectorELNS0_4arch9wavefront6targetE0EEEvSI_: ; @_ZN7rocprim17ROCPRIM_400000_NS6detail17trampoline_kernelINS0_14default_configENS1_35radix_sort_onesweep_config_selectorIiNS0_10empty_typeEEEZNS1_34radix_sort_onesweep_global_offsetsIS3_Lb1EN6thrust23THRUST_200600_302600_NS6detail15normal_iteratorINS9_10device_ptrIiEEEEPS5_jNS0_19identity_decomposerEEE10hipError_tT1_T2_PT3_SK_jT4_jjP12ihipStream_tbEUlT_E0_NS1_11comp_targetILNS1_3genE2ELNS1_11target_archE906ELNS1_3gpuE6ELNS1_3repE0EEENS1_52radix_sort_onesweep_histogram_config_static_selectorELNS0_4arch9wavefront6targetE0EEEvSI_
; %bb.0:
	.section	.rodata,"a",@progbits
	.p2align	6, 0x0
	.amdhsa_kernel _ZN7rocprim17ROCPRIM_400000_NS6detail17trampoline_kernelINS0_14default_configENS1_35radix_sort_onesweep_config_selectorIiNS0_10empty_typeEEEZNS1_34radix_sort_onesweep_global_offsetsIS3_Lb1EN6thrust23THRUST_200600_302600_NS6detail15normal_iteratorINS9_10device_ptrIiEEEEPS5_jNS0_19identity_decomposerEEE10hipError_tT1_T2_PT3_SK_jT4_jjP12ihipStream_tbEUlT_E0_NS1_11comp_targetILNS1_3genE2ELNS1_11target_archE906ELNS1_3gpuE6ELNS1_3repE0EEENS1_52radix_sort_onesweep_histogram_config_static_selectorELNS0_4arch9wavefront6targetE0EEEvSI_
		.amdhsa_group_segment_fixed_size 0
		.amdhsa_private_segment_fixed_size 0
		.amdhsa_kernarg_size 8
		.amdhsa_user_sgpr_count 6
		.amdhsa_user_sgpr_private_segment_buffer 1
		.amdhsa_user_sgpr_dispatch_ptr 0
		.amdhsa_user_sgpr_queue_ptr 0
		.amdhsa_user_sgpr_kernarg_segment_ptr 1
		.amdhsa_user_sgpr_dispatch_id 0
		.amdhsa_user_sgpr_flat_scratch_init 0
		.amdhsa_user_sgpr_private_segment_size 0
		.amdhsa_wavefront_size32 1
		.amdhsa_uses_dynamic_stack 0
		.amdhsa_system_sgpr_private_segment_wavefront_offset 0
		.amdhsa_system_sgpr_workgroup_id_x 1
		.amdhsa_system_sgpr_workgroup_id_y 0
		.amdhsa_system_sgpr_workgroup_id_z 0
		.amdhsa_system_sgpr_workgroup_info 0
		.amdhsa_system_vgpr_workitem_id 0
		.amdhsa_next_free_vgpr 1
		.amdhsa_next_free_sgpr 1
		.amdhsa_reserve_vcc 0
		.amdhsa_reserve_flat_scratch 0
		.amdhsa_float_round_mode_32 0
		.amdhsa_float_round_mode_16_64 0
		.amdhsa_float_denorm_mode_32 3
		.amdhsa_float_denorm_mode_16_64 3
		.amdhsa_dx10_clamp 1
		.amdhsa_ieee_mode 1
		.amdhsa_fp16_overflow 0
		.amdhsa_workgroup_processor_mode 1
		.amdhsa_memory_ordered 1
		.amdhsa_forward_progress 1
		.amdhsa_shared_vgpr_count 0
		.amdhsa_exception_fp_ieee_invalid_op 0
		.amdhsa_exception_fp_denorm_src 0
		.amdhsa_exception_fp_ieee_div_zero 0
		.amdhsa_exception_fp_ieee_overflow 0
		.amdhsa_exception_fp_ieee_underflow 0
		.amdhsa_exception_fp_ieee_inexact 0
		.amdhsa_exception_int_div_zero 0
	.end_amdhsa_kernel
	.section	.text._ZN7rocprim17ROCPRIM_400000_NS6detail17trampoline_kernelINS0_14default_configENS1_35radix_sort_onesweep_config_selectorIiNS0_10empty_typeEEEZNS1_34radix_sort_onesweep_global_offsetsIS3_Lb1EN6thrust23THRUST_200600_302600_NS6detail15normal_iteratorINS9_10device_ptrIiEEEEPS5_jNS0_19identity_decomposerEEE10hipError_tT1_T2_PT3_SK_jT4_jjP12ihipStream_tbEUlT_E0_NS1_11comp_targetILNS1_3genE2ELNS1_11target_archE906ELNS1_3gpuE6ELNS1_3repE0EEENS1_52radix_sort_onesweep_histogram_config_static_selectorELNS0_4arch9wavefront6targetE0EEEvSI_,"axG",@progbits,_ZN7rocprim17ROCPRIM_400000_NS6detail17trampoline_kernelINS0_14default_configENS1_35radix_sort_onesweep_config_selectorIiNS0_10empty_typeEEEZNS1_34radix_sort_onesweep_global_offsetsIS3_Lb1EN6thrust23THRUST_200600_302600_NS6detail15normal_iteratorINS9_10device_ptrIiEEEEPS5_jNS0_19identity_decomposerEEE10hipError_tT1_T2_PT3_SK_jT4_jjP12ihipStream_tbEUlT_E0_NS1_11comp_targetILNS1_3genE2ELNS1_11target_archE906ELNS1_3gpuE6ELNS1_3repE0EEENS1_52radix_sort_onesweep_histogram_config_static_selectorELNS0_4arch9wavefront6targetE0EEEvSI_,comdat
.Lfunc_end330:
	.size	_ZN7rocprim17ROCPRIM_400000_NS6detail17trampoline_kernelINS0_14default_configENS1_35radix_sort_onesweep_config_selectorIiNS0_10empty_typeEEEZNS1_34radix_sort_onesweep_global_offsetsIS3_Lb1EN6thrust23THRUST_200600_302600_NS6detail15normal_iteratorINS9_10device_ptrIiEEEEPS5_jNS0_19identity_decomposerEEE10hipError_tT1_T2_PT3_SK_jT4_jjP12ihipStream_tbEUlT_E0_NS1_11comp_targetILNS1_3genE2ELNS1_11target_archE906ELNS1_3gpuE6ELNS1_3repE0EEENS1_52radix_sort_onesweep_histogram_config_static_selectorELNS0_4arch9wavefront6targetE0EEEvSI_, .Lfunc_end330-_ZN7rocprim17ROCPRIM_400000_NS6detail17trampoline_kernelINS0_14default_configENS1_35radix_sort_onesweep_config_selectorIiNS0_10empty_typeEEEZNS1_34radix_sort_onesweep_global_offsetsIS3_Lb1EN6thrust23THRUST_200600_302600_NS6detail15normal_iteratorINS9_10device_ptrIiEEEEPS5_jNS0_19identity_decomposerEEE10hipError_tT1_T2_PT3_SK_jT4_jjP12ihipStream_tbEUlT_E0_NS1_11comp_targetILNS1_3genE2ELNS1_11target_archE906ELNS1_3gpuE6ELNS1_3repE0EEENS1_52radix_sort_onesweep_histogram_config_static_selectorELNS0_4arch9wavefront6targetE0EEEvSI_
                                        ; -- End function
	.set _ZN7rocprim17ROCPRIM_400000_NS6detail17trampoline_kernelINS0_14default_configENS1_35radix_sort_onesweep_config_selectorIiNS0_10empty_typeEEEZNS1_34radix_sort_onesweep_global_offsetsIS3_Lb1EN6thrust23THRUST_200600_302600_NS6detail15normal_iteratorINS9_10device_ptrIiEEEEPS5_jNS0_19identity_decomposerEEE10hipError_tT1_T2_PT3_SK_jT4_jjP12ihipStream_tbEUlT_E0_NS1_11comp_targetILNS1_3genE2ELNS1_11target_archE906ELNS1_3gpuE6ELNS1_3repE0EEENS1_52radix_sort_onesweep_histogram_config_static_selectorELNS0_4arch9wavefront6targetE0EEEvSI_.num_vgpr, 0
	.set _ZN7rocprim17ROCPRIM_400000_NS6detail17trampoline_kernelINS0_14default_configENS1_35radix_sort_onesweep_config_selectorIiNS0_10empty_typeEEEZNS1_34radix_sort_onesweep_global_offsetsIS3_Lb1EN6thrust23THRUST_200600_302600_NS6detail15normal_iteratorINS9_10device_ptrIiEEEEPS5_jNS0_19identity_decomposerEEE10hipError_tT1_T2_PT3_SK_jT4_jjP12ihipStream_tbEUlT_E0_NS1_11comp_targetILNS1_3genE2ELNS1_11target_archE906ELNS1_3gpuE6ELNS1_3repE0EEENS1_52radix_sort_onesweep_histogram_config_static_selectorELNS0_4arch9wavefront6targetE0EEEvSI_.num_agpr, 0
	.set _ZN7rocprim17ROCPRIM_400000_NS6detail17trampoline_kernelINS0_14default_configENS1_35radix_sort_onesweep_config_selectorIiNS0_10empty_typeEEEZNS1_34radix_sort_onesweep_global_offsetsIS3_Lb1EN6thrust23THRUST_200600_302600_NS6detail15normal_iteratorINS9_10device_ptrIiEEEEPS5_jNS0_19identity_decomposerEEE10hipError_tT1_T2_PT3_SK_jT4_jjP12ihipStream_tbEUlT_E0_NS1_11comp_targetILNS1_3genE2ELNS1_11target_archE906ELNS1_3gpuE6ELNS1_3repE0EEENS1_52radix_sort_onesweep_histogram_config_static_selectorELNS0_4arch9wavefront6targetE0EEEvSI_.numbered_sgpr, 0
	.set _ZN7rocprim17ROCPRIM_400000_NS6detail17trampoline_kernelINS0_14default_configENS1_35radix_sort_onesweep_config_selectorIiNS0_10empty_typeEEEZNS1_34radix_sort_onesweep_global_offsetsIS3_Lb1EN6thrust23THRUST_200600_302600_NS6detail15normal_iteratorINS9_10device_ptrIiEEEEPS5_jNS0_19identity_decomposerEEE10hipError_tT1_T2_PT3_SK_jT4_jjP12ihipStream_tbEUlT_E0_NS1_11comp_targetILNS1_3genE2ELNS1_11target_archE906ELNS1_3gpuE6ELNS1_3repE0EEENS1_52radix_sort_onesweep_histogram_config_static_selectorELNS0_4arch9wavefront6targetE0EEEvSI_.num_named_barrier, 0
	.set _ZN7rocprim17ROCPRIM_400000_NS6detail17trampoline_kernelINS0_14default_configENS1_35radix_sort_onesweep_config_selectorIiNS0_10empty_typeEEEZNS1_34radix_sort_onesweep_global_offsetsIS3_Lb1EN6thrust23THRUST_200600_302600_NS6detail15normal_iteratorINS9_10device_ptrIiEEEEPS5_jNS0_19identity_decomposerEEE10hipError_tT1_T2_PT3_SK_jT4_jjP12ihipStream_tbEUlT_E0_NS1_11comp_targetILNS1_3genE2ELNS1_11target_archE906ELNS1_3gpuE6ELNS1_3repE0EEENS1_52radix_sort_onesweep_histogram_config_static_selectorELNS0_4arch9wavefront6targetE0EEEvSI_.private_seg_size, 0
	.set _ZN7rocprim17ROCPRIM_400000_NS6detail17trampoline_kernelINS0_14default_configENS1_35radix_sort_onesweep_config_selectorIiNS0_10empty_typeEEEZNS1_34radix_sort_onesweep_global_offsetsIS3_Lb1EN6thrust23THRUST_200600_302600_NS6detail15normal_iteratorINS9_10device_ptrIiEEEEPS5_jNS0_19identity_decomposerEEE10hipError_tT1_T2_PT3_SK_jT4_jjP12ihipStream_tbEUlT_E0_NS1_11comp_targetILNS1_3genE2ELNS1_11target_archE906ELNS1_3gpuE6ELNS1_3repE0EEENS1_52radix_sort_onesweep_histogram_config_static_selectorELNS0_4arch9wavefront6targetE0EEEvSI_.uses_vcc, 0
	.set _ZN7rocprim17ROCPRIM_400000_NS6detail17trampoline_kernelINS0_14default_configENS1_35radix_sort_onesweep_config_selectorIiNS0_10empty_typeEEEZNS1_34radix_sort_onesweep_global_offsetsIS3_Lb1EN6thrust23THRUST_200600_302600_NS6detail15normal_iteratorINS9_10device_ptrIiEEEEPS5_jNS0_19identity_decomposerEEE10hipError_tT1_T2_PT3_SK_jT4_jjP12ihipStream_tbEUlT_E0_NS1_11comp_targetILNS1_3genE2ELNS1_11target_archE906ELNS1_3gpuE6ELNS1_3repE0EEENS1_52radix_sort_onesweep_histogram_config_static_selectorELNS0_4arch9wavefront6targetE0EEEvSI_.uses_flat_scratch, 0
	.set _ZN7rocprim17ROCPRIM_400000_NS6detail17trampoline_kernelINS0_14default_configENS1_35radix_sort_onesweep_config_selectorIiNS0_10empty_typeEEEZNS1_34radix_sort_onesweep_global_offsetsIS3_Lb1EN6thrust23THRUST_200600_302600_NS6detail15normal_iteratorINS9_10device_ptrIiEEEEPS5_jNS0_19identity_decomposerEEE10hipError_tT1_T2_PT3_SK_jT4_jjP12ihipStream_tbEUlT_E0_NS1_11comp_targetILNS1_3genE2ELNS1_11target_archE906ELNS1_3gpuE6ELNS1_3repE0EEENS1_52radix_sort_onesweep_histogram_config_static_selectorELNS0_4arch9wavefront6targetE0EEEvSI_.has_dyn_sized_stack, 0
	.set _ZN7rocprim17ROCPRIM_400000_NS6detail17trampoline_kernelINS0_14default_configENS1_35radix_sort_onesweep_config_selectorIiNS0_10empty_typeEEEZNS1_34radix_sort_onesweep_global_offsetsIS3_Lb1EN6thrust23THRUST_200600_302600_NS6detail15normal_iteratorINS9_10device_ptrIiEEEEPS5_jNS0_19identity_decomposerEEE10hipError_tT1_T2_PT3_SK_jT4_jjP12ihipStream_tbEUlT_E0_NS1_11comp_targetILNS1_3genE2ELNS1_11target_archE906ELNS1_3gpuE6ELNS1_3repE0EEENS1_52radix_sort_onesweep_histogram_config_static_selectorELNS0_4arch9wavefront6targetE0EEEvSI_.has_recursion, 0
	.set _ZN7rocprim17ROCPRIM_400000_NS6detail17trampoline_kernelINS0_14default_configENS1_35radix_sort_onesweep_config_selectorIiNS0_10empty_typeEEEZNS1_34radix_sort_onesweep_global_offsetsIS3_Lb1EN6thrust23THRUST_200600_302600_NS6detail15normal_iteratorINS9_10device_ptrIiEEEEPS5_jNS0_19identity_decomposerEEE10hipError_tT1_T2_PT3_SK_jT4_jjP12ihipStream_tbEUlT_E0_NS1_11comp_targetILNS1_3genE2ELNS1_11target_archE906ELNS1_3gpuE6ELNS1_3repE0EEENS1_52radix_sort_onesweep_histogram_config_static_selectorELNS0_4arch9wavefront6targetE0EEEvSI_.has_indirect_call, 0
	.section	.AMDGPU.csdata,"",@progbits
; Kernel info:
; codeLenInByte = 0
; TotalNumSgprs: 0
; NumVgprs: 0
; ScratchSize: 0
; MemoryBound: 0
; FloatMode: 240
; IeeeMode: 1
; LDSByteSize: 0 bytes/workgroup (compile time only)
; SGPRBlocks: 0
; VGPRBlocks: 0
; NumSGPRsForWavesPerEU: 1
; NumVGPRsForWavesPerEU: 1
; Occupancy: 16
; WaveLimiterHint : 0
; COMPUTE_PGM_RSRC2:SCRATCH_EN: 0
; COMPUTE_PGM_RSRC2:USER_SGPR: 6
; COMPUTE_PGM_RSRC2:TRAP_HANDLER: 0
; COMPUTE_PGM_RSRC2:TGID_X_EN: 1
; COMPUTE_PGM_RSRC2:TGID_Y_EN: 0
; COMPUTE_PGM_RSRC2:TGID_Z_EN: 0
; COMPUTE_PGM_RSRC2:TIDIG_COMP_CNT: 0
	.section	.text._ZN7rocprim17ROCPRIM_400000_NS6detail17trampoline_kernelINS0_14default_configENS1_35radix_sort_onesweep_config_selectorIiNS0_10empty_typeEEEZNS1_34radix_sort_onesweep_global_offsetsIS3_Lb1EN6thrust23THRUST_200600_302600_NS6detail15normal_iteratorINS9_10device_ptrIiEEEEPS5_jNS0_19identity_decomposerEEE10hipError_tT1_T2_PT3_SK_jT4_jjP12ihipStream_tbEUlT_E0_NS1_11comp_targetILNS1_3genE4ELNS1_11target_archE910ELNS1_3gpuE8ELNS1_3repE0EEENS1_52radix_sort_onesweep_histogram_config_static_selectorELNS0_4arch9wavefront6targetE0EEEvSI_,"axG",@progbits,_ZN7rocprim17ROCPRIM_400000_NS6detail17trampoline_kernelINS0_14default_configENS1_35radix_sort_onesweep_config_selectorIiNS0_10empty_typeEEEZNS1_34radix_sort_onesweep_global_offsetsIS3_Lb1EN6thrust23THRUST_200600_302600_NS6detail15normal_iteratorINS9_10device_ptrIiEEEEPS5_jNS0_19identity_decomposerEEE10hipError_tT1_T2_PT3_SK_jT4_jjP12ihipStream_tbEUlT_E0_NS1_11comp_targetILNS1_3genE4ELNS1_11target_archE910ELNS1_3gpuE8ELNS1_3repE0EEENS1_52radix_sort_onesweep_histogram_config_static_selectorELNS0_4arch9wavefront6targetE0EEEvSI_,comdat
	.protected	_ZN7rocprim17ROCPRIM_400000_NS6detail17trampoline_kernelINS0_14default_configENS1_35radix_sort_onesweep_config_selectorIiNS0_10empty_typeEEEZNS1_34radix_sort_onesweep_global_offsetsIS3_Lb1EN6thrust23THRUST_200600_302600_NS6detail15normal_iteratorINS9_10device_ptrIiEEEEPS5_jNS0_19identity_decomposerEEE10hipError_tT1_T2_PT3_SK_jT4_jjP12ihipStream_tbEUlT_E0_NS1_11comp_targetILNS1_3genE4ELNS1_11target_archE910ELNS1_3gpuE8ELNS1_3repE0EEENS1_52radix_sort_onesweep_histogram_config_static_selectorELNS0_4arch9wavefront6targetE0EEEvSI_ ; -- Begin function _ZN7rocprim17ROCPRIM_400000_NS6detail17trampoline_kernelINS0_14default_configENS1_35radix_sort_onesweep_config_selectorIiNS0_10empty_typeEEEZNS1_34radix_sort_onesweep_global_offsetsIS3_Lb1EN6thrust23THRUST_200600_302600_NS6detail15normal_iteratorINS9_10device_ptrIiEEEEPS5_jNS0_19identity_decomposerEEE10hipError_tT1_T2_PT3_SK_jT4_jjP12ihipStream_tbEUlT_E0_NS1_11comp_targetILNS1_3genE4ELNS1_11target_archE910ELNS1_3gpuE8ELNS1_3repE0EEENS1_52radix_sort_onesweep_histogram_config_static_selectorELNS0_4arch9wavefront6targetE0EEEvSI_
	.globl	_ZN7rocprim17ROCPRIM_400000_NS6detail17trampoline_kernelINS0_14default_configENS1_35radix_sort_onesweep_config_selectorIiNS0_10empty_typeEEEZNS1_34radix_sort_onesweep_global_offsetsIS3_Lb1EN6thrust23THRUST_200600_302600_NS6detail15normal_iteratorINS9_10device_ptrIiEEEEPS5_jNS0_19identity_decomposerEEE10hipError_tT1_T2_PT3_SK_jT4_jjP12ihipStream_tbEUlT_E0_NS1_11comp_targetILNS1_3genE4ELNS1_11target_archE910ELNS1_3gpuE8ELNS1_3repE0EEENS1_52radix_sort_onesweep_histogram_config_static_selectorELNS0_4arch9wavefront6targetE0EEEvSI_
	.p2align	8
	.type	_ZN7rocprim17ROCPRIM_400000_NS6detail17trampoline_kernelINS0_14default_configENS1_35radix_sort_onesweep_config_selectorIiNS0_10empty_typeEEEZNS1_34radix_sort_onesweep_global_offsetsIS3_Lb1EN6thrust23THRUST_200600_302600_NS6detail15normal_iteratorINS9_10device_ptrIiEEEEPS5_jNS0_19identity_decomposerEEE10hipError_tT1_T2_PT3_SK_jT4_jjP12ihipStream_tbEUlT_E0_NS1_11comp_targetILNS1_3genE4ELNS1_11target_archE910ELNS1_3gpuE8ELNS1_3repE0EEENS1_52radix_sort_onesweep_histogram_config_static_selectorELNS0_4arch9wavefront6targetE0EEEvSI_,@function
_ZN7rocprim17ROCPRIM_400000_NS6detail17trampoline_kernelINS0_14default_configENS1_35radix_sort_onesweep_config_selectorIiNS0_10empty_typeEEEZNS1_34radix_sort_onesweep_global_offsetsIS3_Lb1EN6thrust23THRUST_200600_302600_NS6detail15normal_iteratorINS9_10device_ptrIiEEEEPS5_jNS0_19identity_decomposerEEE10hipError_tT1_T2_PT3_SK_jT4_jjP12ihipStream_tbEUlT_E0_NS1_11comp_targetILNS1_3genE4ELNS1_11target_archE910ELNS1_3gpuE8ELNS1_3repE0EEENS1_52radix_sort_onesweep_histogram_config_static_selectorELNS0_4arch9wavefront6targetE0EEEvSI_: ; @_ZN7rocprim17ROCPRIM_400000_NS6detail17trampoline_kernelINS0_14default_configENS1_35radix_sort_onesweep_config_selectorIiNS0_10empty_typeEEEZNS1_34radix_sort_onesweep_global_offsetsIS3_Lb1EN6thrust23THRUST_200600_302600_NS6detail15normal_iteratorINS9_10device_ptrIiEEEEPS5_jNS0_19identity_decomposerEEE10hipError_tT1_T2_PT3_SK_jT4_jjP12ihipStream_tbEUlT_E0_NS1_11comp_targetILNS1_3genE4ELNS1_11target_archE910ELNS1_3gpuE8ELNS1_3repE0EEENS1_52radix_sort_onesweep_histogram_config_static_selectorELNS0_4arch9wavefront6targetE0EEEvSI_
; %bb.0:
	.section	.rodata,"a",@progbits
	.p2align	6, 0x0
	.amdhsa_kernel _ZN7rocprim17ROCPRIM_400000_NS6detail17trampoline_kernelINS0_14default_configENS1_35radix_sort_onesweep_config_selectorIiNS0_10empty_typeEEEZNS1_34radix_sort_onesweep_global_offsetsIS3_Lb1EN6thrust23THRUST_200600_302600_NS6detail15normal_iteratorINS9_10device_ptrIiEEEEPS5_jNS0_19identity_decomposerEEE10hipError_tT1_T2_PT3_SK_jT4_jjP12ihipStream_tbEUlT_E0_NS1_11comp_targetILNS1_3genE4ELNS1_11target_archE910ELNS1_3gpuE8ELNS1_3repE0EEENS1_52radix_sort_onesweep_histogram_config_static_selectorELNS0_4arch9wavefront6targetE0EEEvSI_
		.amdhsa_group_segment_fixed_size 0
		.amdhsa_private_segment_fixed_size 0
		.amdhsa_kernarg_size 8
		.amdhsa_user_sgpr_count 6
		.amdhsa_user_sgpr_private_segment_buffer 1
		.amdhsa_user_sgpr_dispatch_ptr 0
		.amdhsa_user_sgpr_queue_ptr 0
		.amdhsa_user_sgpr_kernarg_segment_ptr 1
		.amdhsa_user_sgpr_dispatch_id 0
		.amdhsa_user_sgpr_flat_scratch_init 0
		.amdhsa_user_sgpr_private_segment_size 0
		.amdhsa_wavefront_size32 1
		.amdhsa_uses_dynamic_stack 0
		.amdhsa_system_sgpr_private_segment_wavefront_offset 0
		.amdhsa_system_sgpr_workgroup_id_x 1
		.amdhsa_system_sgpr_workgroup_id_y 0
		.amdhsa_system_sgpr_workgroup_id_z 0
		.amdhsa_system_sgpr_workgroup_info 0
		.amdhsa_system_vgpr_workitem_id 0
		.amdhsa_next_free_vgpr 1
		.amdhsa_next_free_sgpr 1
		.amdhsa_reserve_vcc 0
		.amdhsa_reserve_flat_scratch 0
		.amdhsa_float_round_mode_32 0
		.amdhsa_float_round_mode_16_64 0
		.amdhsa_float_denorm_mode_32 3
		.amdhsa_float_denorm_mode_16_64 3
		.amdhsa_dx10_clamp 1
		.amdhsa_ieee_mode 1
		.amdhsa_fp16_overflow 0
		.amdhsa_workgroup_processor_mode 1
		.amdhsa_memory_ordered 1
		.amdhsa_forward_progress 1
		.amdhsa_shared_vgpr_count 0
		.amdhsa_exception_fp_ieee_invalid_op 0
		.amdhsa_exception_fp_denorm_src 0
		.amdhsa_exception_fp_ieee_div_zero 0
		.amdhsa_exception_fp_ieee_overflow 0
		.amdhsa_exception_fp_ieee_underflow 0
		.amdhsa_exception_fp_ieee_inexact 0
		.amdhsa_exception_int_div_zero 0
	.end_amdhsa_kernel
	.section	.text._ZN7rocprim17ROCPRIM_400000_NS6detail17trampoline_kernelINS0_14default_configENS1_35radix_sort_onesweep_config_selectorIiNS0_10empty_typeEEEZNS1_34radix_sort_onesweep_global_offsetsIS3_Lb1EN6thrust23THRUST_200600_302600_NS6detail15normal_iteratorINS9_10device_ptrIiEEEEPS5_jNS0_19identity_decomposerEEE10hipError_tT1_T2_PT3_SK_jT4_jjP12ihipStream_tbEUlT_E0_NS1_11comp_targetILNS1_3genE4ELNS1_11target_archE910ELNS1_3gpuE8ELNS1_3repE0EEENS1_52radix_sort_onesweep_histogram_config_static_selectorELNS0_4arch9wavefront6targetE0EEEvSI_,"axG",@progbits,_ZN7rocprim17ROCPRIM_400000_NS6detail17trampoline_kernelINS0_14default_configENS1_35radix_sort_onesweep_config_selectorIiNS0_10empty_typeEEEZNS1_34radix_sort_onesweep_global_offsetsIS3_Lb1EN6thrust23THRUST_200600_302600_NS6detail15normal_iteratorINS9_10device_ptrIiEEEEPS5_jNS0_19identity_decomposerEEE10hipError_tT1_T2_PT3_SK_jT4_jjP12ihipStream_tbEUlT_E0_NS1_11comp_targetILNS1_3genE4ELNS1_11target_archE910ELNS1_3gpuE8ELNS1_3repE0EEENS1_52radix_sort_onesweep_histogram_config_static_selectorELNS0_4arch9wavefront6targetE0EEEvSI_,comdat
.Lfunc_end331:
	.size	_ZN7rocprim17ROCPRIM_400000_NS6detail17trampoline_kernelINS0_14default_configENS1_35radix_sort_onesweep_config_selectorIiNS0_10empty_typeEEEZNS1_34radix_sort_onesweep_global_offsetsIS3_Lb1EN6thrust23THRUST_200600_302600_NS6detail15normal_iteratorINS9_10device_ptrIiEEEEPS5_jNS0_19identity_decomposerEEE10hipError_tT1_T2_PT3_SK_jT4_jjP12ihipStream_tbEUlT_E0_NS1_11comp_targetILNS1_3genE4ELNS1_11target_archE910ELNS1_3gpuE8ELNS1_3repE0EEENS1_52radix_sort_onesweep_histogram_config_static_selectorELNS0_4arch9wavefront6targetE0EEEvSI_, .Lfunc_end331-_ZN7rocprim17ROCPRIM_400000_NS6detail17trampoline_kernelINS0_14default_configENS1_35radix_sort_onesweep_config_selectorIiNS0_10empty_typeEEEZNS1_34radix_sort_onesweep_global_offsetsIS3_Lb1EN6thrust23THRUST_200600_302600_NS6detail15normal_iteratorINS9_10device_ptrIiEEEEPS5_jNS0_19identity_decomposerEEE10hipError_tT1_T2_PT3_SK_jT4_jjP12ihipStream_tbEUlT_E0_NS1_11comp_targetILNS1_3genE4ELNS1_11target_archE910ELNS1_3gpuE8ELNS1_3repE0EEENS1_52radix_sort_onesweep_histogram_config_static_selectorELNS0_4arch9wavefront6targetE0EEEvSI_
                                        ; -- End function
	.set _ZN7rocprim17ROCPRIM_400000_NS6detail17trampoline_kernelINS0_14default_configENS1_35radix_sort_onesweep_config_selectorIiNS0_10empty_typeEEEZNS1_34radix_sort_onesweep_global_offsetsIS3_Lb1EN6thrust23THRUST_200600_302600_NS6detail15normal_iteratorINS9_10device_ptrIiEEEEPS5_jNS0_19identity_decomposerEEE10hipError_tT1_T2_PT3_SK_jT4_jjP12ihipStream_tbEUlT_E0_NS1_11comp_targetILNS1_3genE4ELNS1_11target_archE910ELNS1_3gpuE8ELNS1_3repE0EEENS1_52radix_sort_onesweep_histogram_config_static_selectorELNS0_4arch9wavefront6targetE0EEEvSI_.num_vgpr, 0
	.set _ZN7rocprim17ROCPRIM_400000_NS6detail17trampoline_kernelINS0_14default_configENS1_35radix_sort_onesweep_config_selectorIiNS0_10empty_typeEEEZNS1_34radix_sort_onesweep_global_offsetsIS3_Lb1EN6thrust23THRUST_200600_302600_NS6detail15normal_iteratorINS9_10device_ptrIiEEEEPS5_jNS0_19identity_decomposerEEE10hipError_tT1_T2_PT3_SK_jT4_jjP12ihipStream_tbEUlT_E0_NS1_11comp_targetILNS1_3genE4ELNS1_11target_archE910ELNS1_3gpuE8ELNS1_3repE0EEENS1_52radix_sort_onesweep_histogram_config_static_selectorELNS0_4arch9wavefront6targetE0EEEvSI_.num_agpr, 0
	.set _ZN7rocprim17ROCPRIM_400000_NS6detail17trampoline_kernelINS0_14default_configENS1_35radix_sort_onesweep_config_selectorIiNS0_10empty_typeEEEZNS1_34radix_sort_onesweep_global_offsetsIS3_Lb1EN6thrust23THRUST_200600_302600_NS6detail15normal_iteratorINS9_10device_ptrIiEEEEPS5_jNS0_19identity_decomposerEEE10hipError_tT1_T2_PT3_SK_jT4_jjP12ihipStream_tbEUlT_E0_NS1_11comp_targetILNS1_3genE4ELNS1_11target_archE910ELNS1_3gpuE8ELNS1_3repE0EEENS1_52radix_sort_onesweep_histogram_config_static_selectorELNS0_4arch9wavefront6targetE0EEEvSI_.numbered_sgpr, 0
	.set _ZN7rocprim17ROCPRIM_400000_NS6detail17trampoline_kernelINS0_14default_configENS1_35radix_sort_onesweep_config_selectorIiNS0_10empty_typeEEEZNS1_34radix_sort_onesweep_global_offsetsIS3_Lb1EN6thrust23THRUST_200600_302600_NS6detail15normal_iteratorINS9_10device_ptrIiEEEEPS5_jNS0_19identity_decomposerEEE10hipError_tT1_T2_PT3_SK_jT4_jjP12ihipStream_tbEUlT_E0_NS1_11comp_targetILNS1_3genE4ELNS1_11target_archE910ELNS1_3gpuE8ELNS1_3repE0EEENS1_52radix_sort_onesweep_histogram_config_static_selectorELNS0_4arch9wavefront6targetE0EEEvSI_.num_named_barrier, 0
	.set _ZN7rocprim17ROCPRIM_400000_NS6detail17trampoline_kernelINS0_14default_configENS1_35radix_sort_onesweep_config_selectorIiNS0_10empty_typeEEEZNS1_34radix_sort_onesweep_global_offsetsIS3_Lb1EN6thrust23THRUST_200600_302600_NS6detail15normal_iteratorINS9_10device_ptrIiEEEEPS5_jNS0_19identity_decomposerEEE10hipError_tT1_T2_PT3_SK_jT4_jjP12ihipStream_tbEUlT_E0_NS1_11comp_targetILNS1_3genE4ELNS1_11target_archE910ELNS1_3gpuE8ELNS1_3repE0EEENS1_52radix_sort_onesweep_histogram_config_static_selectorELNS0_4arch9wavefront6targetE0EEEvSI_.private_seg_size, 0
	.set _ZN7rocprim17ROCPRIM_400000_NS6detail17trampoline_kernelINS0_14default_configENS1_35radix_sort_onesweep_config_selectorIiNS0_10empty_typeEEEZNS1_34radix_sort_onesweep_global_offsetsIS3_Lb1EN6thrust23THRUST_200600_302600_NS6detail15normal_iteratorINS9_10device_ptrIiEEEEPS5_jNS0_19identity_decomposerEEE10hipError_tT1_T2_PT3_SK_jT4_jjP12ihipStream_tbEUlT_E0_NS1_11comp_targetILNS1_3genE4ELNS1_11target_archE910ELNS1_3gpuE8ELNS1_3repE0EEENS1_52radix_sort_onesweep_histogram_config_static_selectorELNS0_4arch9wavefront6targetE0EEEvSI_.uses_vcc, 0
	.set _ZN7rocprim17ROCPRIM_400000_NS6detail17trampoline_kernelINS0_14default_configENS1_35radix_sort_onesweep_config_selectorIiNS0_10empty_typeEEEZNS1_34radix_sort_onesweep_global_offsetsIS3_Lb1EN6thrust23THRUST_200600_302600_NS6detail15normal_iteratorINS9_10device_ptrIiEEEEPS5_jNS0_19identity_decomposerEEE10hipError_tT1_T2_PT3_SK_jT4_jjP12ihipStream_tbEUlT_E0_NS1_11comp_targetILNS1_3genE4ELNS1_11target_archE910ELNS1_3gpuE8ELNS1_3repE0EEENS1_52radix_sort_onesweep_histogram_config_static_selectorELNS0_4arch9wavefront6targetE0EEEvSI_.uses_flat_scratch, 0
	.set _ZN7rocprim17ROCPRIM_400000_NS6detail17trampoline_kernelINS0_14default_configENS1_35radix_sort_onesweep_config_selectorIiNS0_10empty_typeEEEZNS1_34radix_sort_onesweep_global_offsetsIS3_Lb1EN6thrust23THRUST_200600_302600_NS6detail15normal_iteratorINS9_10device_ptrIiEEEEPS5_jNS0_19identity_decomposerEEE10hipError_tT1_T2_PT3_SK_jT4_jjP12ihipStream_tbEUlT_E0_NS1_11comp_targetILNS1_3genE4ELNS1_11target_archE910ELNS1_3gpuE8ELNS1_3repE0EEENS1_52radix_sort_onesweep_histogram_config_static_selectorELNS0_4arch9wavefront6targetE0EEEvSI_.has_dyn_sized_stack, 0
	.set _ZN7rocprim17ROCPRIM_400000_NS6detail17trampoline_kernelINS0_14default_configENS1_35radix_sort_onesweep_config_selectorIiNS0_10empty_typeEEEZNS1_34radix_sort_onesweep_global_offsetsIS3_Lb1EN6thrust23THRUST_200600_302600_NS6detail15normal_iteratorINS9_10device_ptrIiEEEEPS5_jNS0_19identity_decomposerEEE10hipError_tT1_T2_PT3_SK_jT4_jjP12ihipStream_tbEUlT_E0_NS1_11comp_targetILNS1_3genE4ELNS1_11target_archE910ELNS1_3gpuE8ELNS1_3repE0EEENS1_52radix_sort_onesweep_histogram_config_static_selectorELNS0_4arch9wavefront6targetE0EEEvSI_.has_recursion, 0
	.set _ZN7rocprim17ROCPRIM_400000_NS6detail17trampoline_kernelINS0_14default_configENS1_35radix_sort_onesweep_config_selectorIiNS0_10empty_typeEEEZNS1_34radix_sort_onesweep_global_offsetsIS3_Lb1EN6thrust23THRUST_200600_302600_NS6detail15normal_iteratorINS9_10device_ptrIiEEEEPS5_jNS0_19identity_decomposerEEE10hipError_tT1_T2_PT3_SK_jT4_jjP12ihipStream_tbEUlT_E0_NS1_11comp_targetILNS1_3genE4ELNS1_11target_archE910ELNS1_3gpuE8ELNS1_3repE0EEENS1_52radix_sort_onesweep_histogram_config_static_selectorELNS0_4arch9wavefront6targetE0EEEvSI_.has_indirect_call, 0
	.section	.AMDGPU.csdata,"",@progbits
; Kernel info:
; codeLenInByte = 0
; TotalNumSgprs: 0
; NumVgprs: 0
; ScratchSize: 0
; MemoryBound: 0
; FloatMode: 240
; IeeeMode: 1
; LDSByteSize: 0 bytes/workgroup (compile time only)
; SGPRBlocks: 0
; VGPRBlocks: 0
; NumSGPRsForWavesPerEU: 1
; NumVGPRsForWavesPerEU: 1
; Occupancy: 16
; WaveLimiterHint : 0
; COMPUTE_PGM_RSRC2:SCRATCH_EN: 0
; COMPUTE_PGM_RSRC2:USER_SGPR: 6
; COMPUTE_PGM_RSRC2:TRAP_HANDLER: 0
; COMPUTE_PGM_RSRC2:TGID_X_EN: 1
; COMPUTE_PGM_RSRC2:TGID_Y_EN: 0
; COMPUTE_PGM_RSRC2:TGID_Z_EN: 0
; COMPUTE_PGM_RSRC2:TIDIG_COMP_CNT: 0
	.section	.text._ZN7rocprim17ROCPRIM_400000_NS6detail17trampoline_kernelINS0_14default_configENS1_35radix_sort_onesweep_config_selectorIiNS0_10empty_typeEEEZNS1_34radix_sort_onesweep_global_offsetsIS3_Lb1EN6thrust23THRUST_200600_302600_NS6detail15normal_iteratorINS9_10device_ptrIiEEEEPS5_jNS0_19identity_decomposerEEE10hipError_tT1_T2_PT3_SK_jT4_jjP12ihipStream_tbEUlT_E0_NS1_11comp_targetILNS1_3genE3ELNS1_11target_archE908ELNS1_3gpuE7ELNS1_3repE0EEENS1_52radix_sort_onesweep_histogram_config_static_selectorELNS0_4arch9wavefront6targetE0EEEvSI_,"axG",@progbits,_ZN7rocprim17ROCPRIM_400000_NS6detail17trampoline_kernelINS0_14default_configENS1_35radix_sort_onesweep_config_selectorIiNS0_10empty_typeEEEZNS1_34radix_sort_onesweep_global_offsetsIS3_Lb1EN6thrust23THRUST_200600_302600_NS6detail15normal_iteratorINS9_10device_ptrIiEEEEPS5_jNS0_19identity_decomposerEEE10hipError_tT1_T2_PT3_SK_jT4_jjP12ihipStream_tbEUlT_E0_NS1_11comp_targetILNS1_3genE3ELNS1_11target_archE908ELNS1_3gpuE7ELNS1_3repE0EEENS1_52radix_sort_onesweep_histogram_config_static_selectorELNS0_4arch9wavefront6targetE0EEEvSI_,comdat
	.protected	_ZN7rocprim17ROCPRIM_400000_NS6detail17trampoline_kernelINS0_14default_configENS1_35radix_sort_onesweep_config_selectorIiNS0_10empty_typeEEEZNS1_34radix_sort_onesweep_global_offsetsIS3_Lb1EN6thrust23THRUST_200600_302600_NS6detail15normal_iteratorINS9_10device_ptrIiEEEEPS5_jNS0_19identity_decomposerEEE10hipError_tT1_T2_PT3_SK_jT4_jjP12ihipStream_tbEUlT_E0_NS1_11comp_targetILNS1_3genE3ELNS1_11target_archE908ELNS1_3gpuE7ELNS1_3repE0EEENS1_52radix_sort_onesweep_histogram_config_static_selectorELNS0_4arch9wavefront6targetE0EEEvSI_ ; -- Begin function _ZN7rocprim17ROCPRIM_400000_NS6detail17trampoline_kernelINS0_14default_configENS1_35radix_sort_onesweep_config_selectorIiNS0_10empty_typeEEEZNS1_34radix_sort_onesweep_global_offsetsIS3_Lb1EN6thrust23THRUST_200600_302600_NS6detail15normal_iteratorINS9_10device_ptrIiEEEEPS5_jNS0_19identity_decomposerEEE10hipError_tT1_T2_PT3_SK_jT4_jjP12ihipStream_tbEUlT_E0_NS1_11comp_targetILNS1_3genE3ELNS1_11target_archE908ELNS1_3gpuE7ELNS1_3repE0EEENS1_52radix_sort_onesweep_histogram_config_static_selectorELNS0_4arch9wavefront6targetE0EEEvSI_
	.globl	_ZN7rocprim17ROCPRIM_400000_NS6detail17trampoline_kernelINS0_14default_configENS1_35radix_sort_onesweep_config_selectorIiNS0_10empty_typeEEEZNS1_34radix_sort_onesweep_global_offsetsIS3_Lb1EN6thrust23THRUST_200600_302600_NS6detail15normal_iteratorINS9_10device_ptrIiEEEEPS5_jNS0_19identity_decomposerEEE10hipError_tT1_T2_PT3_SK_jT4_jjP12ihipStream_tbEUlT_E0_NS1_11comp_targetILNS1_3genE3ELNS1_11target_archE908ELNS1_3gpuE7ELNS1_3repE0EEENS1_52radix_sort_onesweep_histogram_config_static_selectorELNS0_4arch9wavefront6targetE0EEEvSI_
	.p2align	8
	.type	_ZN7rocprim17ROCPRIM_400000_NS6detail17trampoline_kernelINS0_14default_configENS1_35radix_sort_onesweep_config_selectorIiNS0_10empty_typeEEEZNS1_34radix_sort_onesweep_global_offsetsIS3_Lb1EN6thrust23THRUST_200600_302600_NS6detail15normal_iteratorINS9_10device_ptrIiEEEEPS5_jNS0_19identity_decomposerEEE10hipError_tT1_T2_PT3_SK_jT4_jjP12ihipStream_tbEUlT_E0_NS1_11comp_targetILNS1_3genE3ELNS1_11target_archE908ELNS1_3gpuE7ELNS1_3repE0EEENS1_52radix_sort_onesweep_histogram_config_static_selectorELNS0_4arch9wavefront6targetE0EEEvSI_,@function
_ZN7rocprim17ROCPRIM_400000_NS6detail17trampoline_kernelINS0_14default_configENS1_35radix_sort_onesweep_config_selectorIiNS0_10empty_typeEEEZNS1_34radix_sort_onesweep_global_offsetsIS3_Lb1EN6thrust23THRUST_200600_302600_NS6detail15normal_iteratorINS9_10device_ptrIiEEEEPS5_jNS0_19identity_decomposerEEE10hipError_tT1_T2_PT3_SK_jT4_jjP12ihipStream_tbEUlT_E0_NS1_11comp_targetILNS1_3genE3ELNS1_11target_archE908ELNS1_3gpuE7ELNS1_3repE0EEENS1_52radix_sort_onesweep_histogram_config_static_selectorELNS0_4arch9wavefront6targetE0EEEvSI_: ; @_ZN7rocprim17ROCPRIM_400000_NS6detail17trampoline_kernelINS0_14default_configENS1_35radix_sort_onesweep_config_selectorIiNS0_10empty_typeEEEZNS1_34radix_sort_onesweep_global_offsetsIS3_Lb1EN6thrust23THRUST_200600_302600_NS6detail15normal_iteratorINS9_10device_ptrIiEEEEPS5_jNS0_19identity_decomposerEEE10hipError_tT1_T2_PT3_SK_jT4_jjP12ihipStream_tbEUlT_E0_NS1_11comp_targetILNS1_3genE3ELNS1_11target_archE908ELNS1_3gpuE7ELNS1_3repE0EEENS1_52radix_sort_onesweep_histogram_config_static_selectorELNS0_4arch9wavefront6targetE0EEEvSI_
; %bb.0:
	.section	.rodata,"a",@progbits
	.p2align	6, 0x0
	.amdhsa_kernel _ZN7rocprim17ROCPRIM_400000_NS6detail17trampoline_kernelINS0_14default_configENS1_35radix_sort_onesweep_config_selectorIiNS0_10empty_typeEEEZNS1_34radix_sort_onesweep_global_offsetsIS3_Lb1EN6thrust23THRUST_200600_302600_NS6detail15normal_iteratorINS9_10device_ptrIiEEEEPS5_jNS0_19identity_decomposerEEE10hipError_tT1_T2_PT3_SK_jT4_jjP12ihipStream_tbEUlT_E0_NS1_11comp_targetILNS1_3genE3ELNS1_11target_archE908ELNS1_3gpuE7ELNS1_3repE0EEENS1_52radix_sort_onesweep_histogram_config_static_selectorELNS0_4arch9wavefront6targetE0EEEvSI_
		.amdhsa_group_segment_fixed_size 0
		.amdhsa_private_segment_fixed_size 0
		.amdhsa_kernarg_size 8
		.amdhsa_user_sgpr_count 6
		.amdhsa_user_sgpr_private_segment_buffer 1
		.amdhsa_user_sgpr_dispatch_ptr 0
		.amdhsa_user_sgpr_queue_ptr 0
		.amdhsa_user_sgpr_kernarg_segment_ptr 1
		.amdhsa_user_sgpr_dispatch_id 0
		.amdhsa_user_sgpr_flat_scratch_init 0
		.amdhsa_user_sgpr_private_segment_size 0
		.amdhsa_wavefront_size32 1
		.amdhsa_uses_dynamic_stack 0
		.amdhsa_system_sgpr_private_segment_wavefront_offset 0
		.amdhsa_system_sgpr_workgroup_id_x 1
		.amdhsa_system_sgpr_workgroup_id_y 0
		.amdhsa_system_sgpr_workgroup_id_z 0
		.amdhsa_system_sgpr_workgroup_info 0
		.amdhsa_system_vgpr_workitem_id 0
		.amdhsa_next_free_vgpr 1
		.amdhsa_next_free_sgpr 1
		.amdhsa_reserve_vcc 0
		.amdhsa_reserve_flat_scratch 0
		.amdhsa_float_round_mode_32 0
		.amdhsa_float_round_mode_16_64 0
		.amdhsa_float_denorm_mode_32 3
		.amdhsa_float_denorm_mode_16_64 3
		.amdhsa_dx10_clamp 1
		.amdhsa_ieee_mode 1
		.amdhsa_fp16_overflow 0
		.amdhsa_workgroup_processor_mode 1
		.amdhsa_memory_ordered 1
		.amdhsa_forward_progress 1
		.amdhsa_shared_vgpr_count 0
		.amdhsa_exception_fp_ieee_invalid_op 0
		.amdhsa_exception_fp_denorm_src 0
		.amdhsa_exception_fp_ieee_div_zero 0
		.amdhsa_exception_fp_ieee_overflow 0
		.amdhsa_exception_fp_ieee_underflow 0
		.amdhsa_exception_fp_ieee_inexact 0
		.amdhsa_exception_int_div_zero 0
	.end_amdhsa_kernel
	.section	.text._ZN7rocprim17ROCPRIM_400000_NS6detail17trampoline_kernelINS0_14default_configENS1_35radix_sort_onesweep_config_selectorIiNS0_10empty_typeEEEZNS1_34radix_sort_onesweep_global_offsetsIS3_Lb1EN6thrust23THRUST_200600_302600_NS6detail15normal_iteratorINS9_10device_ptrIiEEEEPS5_jNS0_19identity_decomposerEEE10hipError_tT1_T2_PT3_SK_jT4_jjP12ihipStream_tbEUlT_E0_NS1_11comp_targetILNS1_3genE3ELNS1_11target_archE908ELNS1_3gpuE7ELNS1_3repE0EEENS1_52radix_sort_onesweep_histogram_config_static_selectorELNS0_4arch9wavefront6targetE0EEEvSI_,"axG",@progbits,_ZN7rocprim17ROCPRIM_400000_NS6detail17trampoline_kernelINS0_14default_configENS1_35radix_sort_onesweep_config_selectorIiNS0_10empty_typeEEEZNS1_34radix_sort_onesweep_global_offsetsIS3_Lb1EN6thrust23THRUST_200600_302600_NS6detail15normal_iteratorINS9_10device_ptrIiEEEEPS5_jNS0_19identity_decomposerEEE10hipError_tT1_T2_PT3_SK_jT4_jjP12ihipStream_tbEUlT_E0_NS1_11comp_targetILNS1_3genE3ELNS1_11target_archE908ELNS1_3gpuE7ELNS1_3repE0EEENS1_52radix_sort_onesweep_histogram_config_static_selectorELNS0_4arch9wavefront6targetE0EEEvSI_,comdat
.Lfunc_end332:
	.size	_ZN7rocprim17ROCPRIM_400000_NS6detail17trampoline_kernelINS0_14default_configENS1_35radix_sort_onesweep_config_selectorIiNS0_10empty_typeEEEZNS1_34radix_sort_onesweep_global_offsetsIS3_Lb1EN6thrust23THRUST_200600_302600_NS6detail15normal_iteratorINS9_10device_ptrIiEEEEPS5_jNS0_19identity_decomposerEEE10hipError_tT1_T2_PT3_SK_jT4_jjP12ihipStream_tbEUlT_E0_NS1_11comp_targetILNS1_3genE3ELNS1_11target_archE908ELNS1_3gpuE7ELNS1_3repE0EEENS1_52radix_sort_onesweep_histogram_config_static_selectorELNS0_4arch9wavefront6targetE0EEEvSI_, .Lfunc_end332-_ZN7rocprim17ROCPRIM_400000_NS6detail17trampoline_kernelINS0_14default_configENS1_35radix_sort_onesweep_config_selectorIiNS0_10empty_typeEEEZNS1_34radix_sort_onesweep_global_offsetsIS3_Lb1EN6thrust23THRUST_200600_302600_NS6detail15normal_iteratorINS9_10device_ptrIiEEEEPS5_jNS0_19identity_decomposerEEE10hipError_tT1_T2_PT3_SK_jT4_jjP12ihipStream_tbEUlT_E0_NS1_11comp_targetILNS1_3genE3ELNS1_11target_archE908ELNS1_3gpuE7ELNS1_3repE0EEENS1_52radix_sort_onesweep_histogram_config_static_selectorELNS0_4arch9wavefront6targetE0EEEvSI_
                                        ; -- End function
	.set _ZN7rocprim17ROCPRIM_400000_NS6detail17trampoline_kernelINS0_14default_configENS1_35radix_sort_onesweep_config_selectorIiNS0_10empty_typeEEEZNS1_34radix_sort_onesweep_global_offsetsIS3_Lb1EN6thrust23THRUST_200600_302600_NS6detail15normal_iteratorINS9_10device_ptrIiEEEEPS5_jNS0_19identity_decomposerEEE10hipError_tT1_T2_PT3_SK_jT4_jjP12ihipStream_tbEUlT_E0_NS1_11comp_targetILNS1_3genE3ELNS1_11target_archE908ELNS1_3gpuE7ELNS1_3repE0EEENS1_52radix_sort_onesweep_histogram_config_static_selectorELNS0_4arch9wavefront6targetE0EEEvSI_.num_vgpr, 0
	.set _ZN7rocprim17ROCPRIM_400000_NS6detail17trampoline_kernelINS0_14default_configENS1_35radix_sort_onesweep_config_selectorIiNS0_10empty_typeEEEZNS1_34radix_sort_onesweep_global_offsetsIS3_Lb1EN6thrust23THRUST_200600_302600_NS6detail15normal_iteratorINS9_10device_ptrIiEEEEPS5_jNS0_19identity_decomposerEEE10hipError_tT1_T2_PT3_SK_jT4_jjP12ihipStream_tbEUlT_E0_NS1_11comp_targetILNS1_3genE3ELNS1_11target_archE908ELNS1_3gpuE7ELNS1_3repE0EEENS1_52radix_sort_onesweep_histogram_config_static_selectorELNS0_4arch9wavefront6targetE0EEEvSI_.num_agpr, 0
	.set _ZN7rocprim17ROCPRIM_400000_NS6detail17trampoline_kernelINS0_14default_configENS1_35radix_sort_onesweep_config_selectorIiNS0_10empty_typeEEEZNS1_34radix_sort_onesweep_global_offsetsIS3_Lb1EN6thrust23THRUST_200600_302600_NS6detail15normal_iteratorINS9_10device_ptrIiEEEEPS5_jNS0_19identity_decomposerEEE10hipError_tT1_T2_PT3_SK_jT4_jjP12ihipStream_tbEUlT_E0_NS1_11comp_targetILNS1_3genE3ELNS1_11target_archE908ELNS1_3gpuE7ELNS1_3repE0EEENS1_52radix_sort_onesweep_histogram_config_static_selectorELNS0_4arch9wavefront6targetE0EEEvSI_.numbered_sgpr, 0
	.set _ZN7rocprim17ROCPRIM_400000_NS6detail17trampoline_kernelINS0_14default_configENS1_35radix_sort_onesweep_config_selectorIiNS0_10empty_typeEEEZNS1_34radix_sort_onesweep_global_offsetsIS3_Lb1EN6thrust23THRUST_200600_302600_NS6detail15normal_iteratorINS9_10device_ptrIiEEEEPS5_jNS0_19identity_decomposerEEE10hipError_tT1_T2_PT3_SK_jT4_jjP12ihipStream_tbEUlT_E0_NS1_11comp_targetILNS1_3genE3ELNS1_11target_archE908ELNS1_3gpuE7ELNS1_3repE0EEENS1_52radix_sort_onesweep_histogram_config_static_selectorELNS0_4arch9wavefront6targetE0EEEvSI_.num_named_barrier, 0
	.set _ZN7rocprim17ROCPRIM_400000_NS6detail17trampoline_kernelINS0_14default_configENS1_35radix_sort_onesweep_config_selectorIiNS0_10empty_typeEEEZNS1_34radix_sort_onesweep_global_offsetsIS3_Lb1EN6thrust23THRUST_200600_302600_NS6detail15normal_iteratorINS9_10device_ptrIiEEEEPS5_jNS0_19identity_decomposerEEE10hipError_tT1_T2_PT3_SK_jT4_jjP12ihipStream_tbEUlT_E0_NS1_11comp_targetILNS1_3genE3ELNS1_11target_archE908ELNS1_3gpuE7ELNS1_3repE0EEENS1_52radix_sort_onesweep_histogram_config_static_selectorELNS0_4arch9wavefront6targetE0EEEvSI_.private_seg_size, 0
	.set _ZN7rocprim17ROCPRIM_400000_NS6detail17trampoline_kernelINS0_14default_configENS1_35radix_sort_onesweep_config_selectorIiNS0_10empty_typeEEEZNS1_34radix_sort_onesweep_global_offsetsIS3_Lb1EN6thrust23THRUST_200600_302600_NS6detail15normal_iteratorINS9_10device_ptrIiEEEEPS5_jNS0_19identity_decomposerEEE10hipError_tT1_T2_PT3_SK_jT4_jjP12ihipStream_tbEUlT_E0_NS1_11comp_targetILNS1_3genE3ELNS1_11target_archE908ELNS1_3gpuE7ELNS1_3repE0EEENS1_52radix_sort_onesweep_histogram_config_static_selectorELNS0_4arch9wavefront6targetE0EEEvSI_.uses_vcc, 0
	.set _ZN7rocprim17ROCPRIM_400000_NS6detail17trampoline_kernelINS0_14default_configENS1_35radix_sort_onesweep_config_selectorIiNS0_10empty_typeEEEZNS1_34radix_sort_onesweep_global_offsetsIS3_Lb1EN6thrust23THRUST_200600_302600_NS6detail15normal_iteratorINS9_10device_ptrIiEEEEPS5_jNS0_19identity_decomposerEEE10hipError_tT1_T2_PT3_SK_jT4_jjP12ihipStream_tbEUlT_E0_NS1_11comp_targetILNS1_3genE3ELNS1_11target_archE908ELNS1_3gpuE7ELNS1_3repE0EEENS1_52radix_sort_onesweep_histogram_config_static_selectorELNS0_4arch9wavefront6targetE0EEEvSI_.uses_flat_scratch, 0
	.set _ZN7rocprim17ROCPRIM_400000_NS6detail17trampoline_kernelINS0_14default_configENS1_35radix_sort_onesweep_config_selectorIiNS0_10empty_typeEEEZNS1_34radix_sort_onesweep_global_offsetsIS3_Lb1EN6thrust23THRUST_200600_302600_NS6detail15normal_iteratorINS9_10device_ptrIiEEEEPS5_jNS0_19identity_decomposerEEE10hipError_tT1_T2_PT3_SK_jT4_jjP12ihipStream_tbEUlT_E0_NS1_11comp_targetILNS1_3genE3ELNS1_11target_archE908ELNS1_3gpuE7ELNS1_3repE0EEENS1_52radix_sort_onesweep_histogram_config_static_selectorELNS0_4arch9wavefront6targetE0EEEvSI_.has_dyn_sized_stack, 0
	.set _ZN7rocprim17ROCPRIM_400000_NS6detail17trampoline_kernelINS0_14default_configENS1_35radix_sort_onesweep_config_selectorIiNS0_10empty_typeEEEZNS1_34radix_sort_onesweep_global_offsetsIS3_Lb1EN6thrust23THRUST_200600_302600_NS6detail15normal_iteratorINS9_10device_ptrIiEEEEPS5_jNS0_19identity_decomposerEEE10hipError_tT1_T2_PT3_SK_jT4_jjP12ihipStream_tbEUlT_E0_NS1_11comp_targetILNS1_3genE3ELNS1_11target_archE908ELNS1_3gpuE7ELNS1_3repE0EEENS1_52radix_sort_onesweep_histogram_config_static_selectorELNS0_4arch9wavefront6targetE0EEEvSI_.has_recursion, 0
	.set _ZN7rocprim17ROCPRIM_400000_NS6detail17trampoline_kernelINS0_14default_configENS1_35radix_sort_onesweep_config_selectorIiNS0_10empty_typeEEEZNS1_34radix_sort_onesweep_global_offsetsIS3_Lb1EN6thrust23THRUST_200600_302600_NS6detail15normal_iteratorINS9_10device_ptrIiEEEEPS5_jNS0_19identity_decomposerEEE10hipError_tT1_T2_PT3_SK_jT4_jjP12ihipStream_tbEUlT_E0_NS1_11comp_targetILNS1_3genE3ELNS1_11target_archE908ELNS1_3gpuE7ELNS1_3repE0EEENS1_52radix_sort_onesweep_histogram_config_static_selectorELNS0_4arch9wavefront6targetE0EEEvSI_.has_indirect_call, 0
	.section	.AMDGPU.csdata,"",@progbits
; Kernel info:
; codeLenInByte = 0
; TotalNumSgprs: 0
; NumVgprs: 0
; ScratchSize: 0
; MemoryBound: 0
; FloatMode: 240
; IeeeMode: 1
; LDSByteSize: 0 bytes/workgroup (compile time only)
; SGPRBlocks: 0
; VGPRBlocks: 0
; NumSGPRsForWavesPerEU: 1
; NumVGPRsForWavesPerEU: 1
; Occupancy: 16
; WaveLimiterHint : 0
; COMPUTE_PGM_RSRC2:SCRATCH_EN: 0
; COMPUTE_PGM_RSRC2:USER_SGPR: 6
; COMPUTE_PGM_RSRC2:TRAP_HANDLER: 0
; COMPUTE_PGM_RSRC2:TGID_X_EN: 1
; COMPUTE_PGM_RSRC2:TGID_Y_EN: 0
; COMPUTE_PGM_RSRC2:TGID_Z_EN: 0
; COMPUTE_PGM_RSRC2:TIDIG_COMP_CNT: 0
	.section	.text._ZN7rocprim17ROCPRIM_400000_NS6detail17trampoline_kernelINS0_14default_configENS1_35radix_sort_onesweep_config_selectorIiNS0_10empty_typeEEEZNS1_34radix_sort_onesweep_global_offsetsIS3_Lb1EN6thrust23THRUST_200600_302600_NS6detail15normal_iteratorINS9_10device_ptrIiEEEEPS5_jNS0_19identity_decomposerEEE10hipError_tT1_T2_PT3_SK_jT4_jjP12ihipStream_tbEUlT_E0_NS1_11comp_targetILNS1_3genE10ELNS1_11target_archE1201ELNS1_3gpuE5ELNS1_3repE0EEENS1_52radix_sort_onesweep_histogram_config_static_selectorELNS0_4arch9wavefront6targetE0EEEvSI_,"axG",@progbits,_ZN7rocprim17ROCPRIM_400000_NS6detail17trampoline_kernelINS0_14default_configENS1_35radix_sort_onesweep_config_selectorIiNS0_10empty_typeEEEZNS1_34radix_sort_onesweep_global_offsetsIS3_Lb1EN6thrust23THRUST_200600_302600_NS6detail15normal_iteratorINS9_10device_ptrIiEEEEPS5_jNS0_19identity_decomposerEEE10hipError_tT1_T2_PT3_SK_jT4_jjP12ihipStream_tbEUlT_E0_NS1_11comp_targetILNS1_3genE10ELNS1_11target_archE1201ELNS1_3gpuE5ELNS1_3repE0EEENS1_52radix_sort_onesweep_histogram_config_static_selectorELNS0_4arch9wavefront6targetE0EEEvSI_,comdat
	.protected	_ZN7rocprim17ROCPRIM_400000_NS6detail17trampoline_kernelINS0_14default_configENS1_35radix_sort_onesweep_config_selectorIiNS0_10empty_typeEEEZNS1_34radix_sort_onesweep_global_offsetsIS3_Lb1EN6thrust23THRUST_200600_302600_NS6detail15normal_iteratorINS9_10device_ptrIiEEEEPS5_jNS0_19identity_decomposerEEE10hipError_tT1_T2_PT3_SK_jT4_jjP12ihipStream_tbEUlT_E0_NS1_11comp_targetILNS1_3genE10ELNS1_11target_archE1201ELNS1_3gpuE5ELNS1_3repE0EEENS1_52radix_sort_onesweep_histogram_config_static_selectorELNS0_4arch9wavefront6targetE0EEEvSI_ ; -- Begin function _ZN7rocprim17ROCPRIM_400000_NS6detail17trampoline_kernelINS0_14default_configENS1_35radix_sort_onesweep_config_selectorIiNS0_10empty_typeEEEZNS1_34radix_sort_onesweep_global_offsetsIS3_Lb1EN6thrust23THRUST_200600_302600_NS6detail15normal_iteratorINS9_10device_ptrIiEEEEPS5_jNS0_19identity_decomposerEEE10hipError_tT1_T2_PT3_SK_jT4_jjP12ihipStream_tbEUlT_E0_NS1_11comp_targetILNS1_3genE10ELNS1_11target_archE1201ELNS1_3gpuE5ELNS1_3repE0EEENS1_52radix_sort_onesweep_histogram_config_static_selectorELNS0_4arch9wavefront6targetE0EEEvSI_
	.globl	_ZN7rocprim17ROCPRIM_400000_NS6detail17trampoline_kernelINS0_14default_configENS1_35radix_sort_onesweep_config_selectorIiNS0_10empty_typeEEEZNS1_34radix_sort_onesweep_global_offsetsIS3_Lb1EN6thrust23THRUST_200600_302600_NS6detail15normal_iteratorINS9_10device_ptrIiEEEEPS5_jNS0_19identity_decomposerEEE10hipError_tT1_T2_PT3_SK_jT4_jjP12ihipStream_tbEUlT_E0_NS1_11comp_targetILNS1_3genE10ELNS1_11target_archE1201ELNS1_3gpuE5ELNS1_3repE0EEENS1_52radix_sort_onesweep_histogram_config_static_selectorELNS0_4arch9wavefront6targetE0EEEvSI_
	.p2align	8
	.type	_ZN7rocprim17ROCPRIM_400000_NS6detail17trampoline_kernelINS0_14default_configENS1_35radix_sort_onesweep_config_selectorIiNS0_10empty_typeEEEZNS1_34radix_sort_onesweep_global_offsetsIS3_Lb1EN6thrust23THRUST_200600_302600_NS6detail15normal_iteratorINS9_10device_ptrIiEEEEPS5_jNS0_19identity_decomposerEEE10hipError_tT1_T2_PT3_SK_jT4_jjP12ihipStream_tbEUlT_E0_NS1_11comp_targetILNS1_3genE10ELNS1_11target_archE1201ELNS1_3gpuE5ELNS1_3repE0EEENS1_52radix_sort_onesweep_histogram_config_static_selectorELNS0_4arch9wavefront6targetE0EEEvSI_,@function
_ZN7rocprim17ROCPRIM_400000_NS6detail17trampoline_kernelINS0_14default_configENS1_35radix_sort_onesweep_config_selectorIiNS0_10empty_typeEEEZNS1_34radix_sort_onesweep_global_offsetsIS3_Lb1EN6thrust23THRUST_200600_302600_NS6detail15normal_iteratorINS9_10device_ptrIiEEEEPS5_jNS0_19identity_decomposerEEE10hipError_tT1_T2_PT3_SK_jT4_jjP12ihipStream_tbEUlT_E0_NS1_11comp_targetILNS1_3genE10ELNS1_11target_archE1201ELNS1_3gpuE5ELNS1_3repE0EEENS1_52radix_sort_onesweep_histogram_config_static_selectorELNS0_4arch9wavefront6targetE0EEEvSI_: ; @_ZN7rocprim17ROCPRIM_400000_NS6detail17trampoline_kernelINS0_14default_configENS1_35radix_sort_onesweep_config_selectorIiNS0_10empty_typeEEEZNS1_34radix_sort_onesweep_global_offsetsIS3_Lb1EN6thrust23THRUST_200600_302600_NS6detail15normal_iteratorINS9_10device_ptrIiEEEEPS5_jNS0_19identity_decomposerEEE10hipError_tT1_T2_PT3_SK_jT4_jjP12ihipStream_tbEUlT_E0_NS1_11comp_targetILNS1_3genE10ELNS1_11target_archE1201ELNS1_3gpuE5ELNS1_3repE0EEENS1_52radix_sort_onesweep_histogram_config_static_selectorELNS0_4arch9wavefront6targetE0EEEvSI_
; %bb.0:
	.section	.rodata,"a",@progbits
	.p2align	6, 0x0
	.amdhsa_kernel _ZN7rocprim17ROCPRIM_400000_NS6detail17trampoline_kernelINS0_14default_configENS1_35radix_sort_onesweep_config_selectorIiNS0_10empty_typeEEEZNS1_34radix_sort_onesweep_global_offsetsIS3_Lb1EN6thrust23THRUST_200600_302600_NS6detail15normal_iteratorINS9_10device_ptrIiEEEEPS5_jNS0_19identity_decomposerEEE10hipError_tT1_T2_PT3_SK_jT4_jjP12ihipStream_tbEUlT_E0_NS1_11comp_targetILNS1_3genE10ELNS1_11target_archE1201ELNS1_3gpuE5ELNS1_3repE0EEENS1_52radix_sort_onesweep_histogram_config_static_selectorELNS0_4arch9wavefront6targetE0EEEvSI_
		.amdhsa_group_segment_fixed_size 0
		.amdhsa_private_segment_fixed_size 0
		.amdhsa_kernarg_size 8
		.amdhsa_user_sgpr_count 6
		.amdhsa_user_sgpr_private_segment_buffer 1
		.amdhsa_user_sgpr_dispatch_ptr 0
		.amdhsa_user_sgpr_queue_ptr 0
		.amdhsa_user_sgpr_kernarg_segment_ptr 1
		.amdhsa_user_sgpr_dispatch_id 0
		.amdhsa_user_sgpr_flat_scratch_init 0
		.amdhsa_user_sgpr_private_segment_size 0
		.amdhsa_wavefront_size32 1
		.amdhsa_uses_dynamic_stack 0
		.amdhsa_system_sgpr_private_segment_wavefront_offset 0
		.amdhsa_system_sgpr_workgroup_id_x 1
		.amdhsa_system_sgpr_workgroup_id_y 0
		.amdhsa_system_sgpr_workgroup_id_z 0
		.amdhsa_system_sgpr_workgroup_info 0
		.amdhsa_system_vgpr_workitem_id 0
		.amdhsa_next_free_vgpr 1
		.amdhsa_next_free_sgpr 1
		.amdhsa_reserve_vcc 0
		.amdhsa_reserve_flat_scratch 0
		.amdhsa_float_round_mode_32 0
		.amdhsa_float_round_mode_16_64 0
		.amdhsa_float_denorm_mode_32 3
		.amdhsa_float_denorm_mode_16_64 3
		.amdhsa_dx10_clamp 1
		.amdhsa_ieee_mode 1
		.amdhsa_fp16_overflow 0
		.amdhsa_workgroup_processor_mode 1
		.amdhsa_memory_ordered 1
		.amdhsa_forward_progress 1
		.amdhsa_shared_vgpr_count 0
		.amdhsa_exception_fp_ieee_invalid_op 0
		.amdhsa_exception_fp_denorm_src 0
		.amdhsa_exception_fp_ieee_div_zero 0
		.amdhsa_exception_fp_ieee_overflow 0
		.amdhsa_exception_fp_ieee_underflow 0
		.amdhsa_exception_fp_ieee_inexact 0
		.amdhsa_exception_int_div_zero 0
	.end_amdhsa_kernel
	.section	.text._ZN7rocprim17ROCPRIM_400000_NS6detail17trampoline_kernelINS0_14default_configENS1_35radix_sort_onesweep_config_selectorIiNS0_10empty_typeEEEZNS1_34radix_sort_onesweep_global_offsetsIS3_Lb1EN6thrust23THRUST_200600_302600_NS6detail15normal_iteratorINS9_10device_ptrIiEEEEPS5_jNS0_19identity_decomposerEEE10hipError_tT1_T2_PT3_SK_jT4_jjP12ihipStream_tbEUlT_E0_NS1_11comp_targetILNS1_3genE10ELNS1_11target_archE1201ELNS1_3gpuE5ELNS1_3repE0EEENS1_52radix_sort_onesweep_histogram_config_static_selectorELNS0_4arch9wavefront6targetE0EEEvSI_,"axG",@progbits,_ZN7rocprim17ROCPRIM_400000_NS6detail17trampoline_kernelINS0_14default_configENS1_35radix_sort_onesweep_config_selectorIiNS0_10empty_typeEEEZNS1_34radix_sort_onesweep_global_offsetsIS3_Lb1EN6thrust23THRUST_200600_302600_NS6detail15normal_iteratorINS9_10device_ptrIiEEEEPS5_jNS0_19identity_decomposerEEE10hipError_tT1_T2_PT3_SK_jT4_jjP12ihipStream_tbEUlT_E0_NS1_11comp_targetILNS1_3genE10ELNS1_11target_archE1201ELNS1_3gpuE5ELNS1_3repE0EEENS1_52radix_sort_onesweep_histogram_config_static_selectorELNS0_4arch9wavefront6targetE0EEEvSI_,comdat
.Lfunc_end333:
	.size	_ZN7rocprim17ROCPRIM_400000_NS6detail17trampoline_kernelINS0_14default_configENS1_35radix_sort_onesweep_config_selectorIiNS0_10empty_typeEEEZNS1_34radix_sort_onesweep_global_offsetsIS3_Lb1EN6thrust23THRUST_200600_302600_NS6detail15normal_iteratorINS9_10device_ptrIiEEEEPS5_jNS0_19identity_decomposerEEE10hipError_tT1_T2_PT3_SK_jT4_jjP12ihipStream_tbEUlT_E0_NS1_11comp_targetILNS1_3genE10ELNS1_11target_archE1201ELNS1_3gpuE5ELNS1_3repE0EEENS1_52radix_sort_onesweep_histogram_config_static_selectorELNS0_4arch9wavefront6targetE0EEEvSI_, .Lfunc_end333-_ZN7rocprim17ROCPRIM_400000_NS6detail17trampoline_kernelINS0_14default_configENS1_35radix_sort_onesweep_config_selectorIiNS0_10empty_typeEEEZNS1_34radix_sort_onesweep_global_offsetsIS3_Lb1EN6thrust23THRUST_200600_302600_NS6detail15normal_iteratorINS9_10device_ptrIiEEEEPS5_jNS0_19identity_decomposerEEE10hipError_tT1_T2_PT3_SK_jT4_jjP12ihipStream_tbEUlT_E0_NS1_11comp_targetILNS1_3genE10ELNS1_11target_archE1201ELNS1_3gpuE5ELNS1_3repE0EEENS1_52radix_sort_onesweep_histogram_config_static_selectorELNS0_4arch9wavefront6targetE0EEEvSI_
                                        ; -- End function
	.set _ZN7rocprim17ROCPRIM_400000_NS6detail17trampoline_kernelINS0_14default_configENS1_35radix_sort_onesweep_config_selectorIiNS0_10empty_typeEEEZNS1_34radix_sort_onesweep_global_offsetsIS3_Lb1EN6thrust23THRUST_200600_302600_NS6detail15normal_iteratorINS9_10device_ptrIiEEEEPS5_jNS0_19identity_decomposerEEE10hipError_tT1_T2_PT3_SK_jT4_jjP12ihipStream_tbEUlT_E0_NS1_11comp_targetILNS1_3genE10ELNS1_11target_archE1201ELNS1_3gpuE5ELNS1_3repE0EEENS1_52radix_sort_onesweep_histogram_config_static_selectorELNS0_4arch9wavefront6targetE0EEEvSI_.num_vgpr, 0
	.set _ZN7rocprim17ROCPRIM_400000_NS6detail17trampoline_kernelINS0_14default_configENS1_35radix_sort_onesweep_config_selectorIiNS0_10empty_typeEEEZNS1_34radix_sort_onesweep_global_offsetsIS3_Lb1EN6thrust23THRUST_200600_302600_NS6detail15normal_iteratorINS9_10device_ptrIiEEEEPS5_jNS0_19identity_decomposerEEE10hipError_tT1_T2_PT3_SK_jT4_jjP12ihipStream_tbEUlT_E0_NS1_11comp_targetILNS1_3genE10ELNS1_11target_archE1201ELNS1_3gpuE5ELNS1_3repE0EEENS1_52radix_sort_onesweep_histogram_config_static_selectorELNS0_4arch9wavefront6targetE0EEEvSI_.num_agpr, 0
	.set _ZN7rocprim17ROCPRIM_400000_NS6detail17trampoline_kernelINS0_14default_configENS1_35radix_sort_onesweep_config_selectorIiNS0_10empty_typeEEEZNS1_34radix_sort_onesweep_global_offsetsIS3_Lb1EN6thrust23THRUST_200600_302600_NS6detail15normal_iteratorINS9_10device_ptrIiEEEEPS5_jNS0_19identity_decomposerEEE10hipError_tT1_T2_PT3_SK_jT4_jjP12ihipStream_tbEUlT_E0_NS1_11comp_targetILNS1_3genE10ELNS1_11target_archE1201ELNS1_3gpuE5ELNS1_3repE0EEENS1_52radix_sort_onesweep_histogram_config_static_selectorELNS0_4arch9wavefront6targetE0EEEvSI_.numbered_sgpr, 0
	.set _ZN7rocprim17ROCPRIM_400000_NS6detail17trampoline_kernelINS0_14default_configENS1_35radix_sort_onesweep_config_selectorIiNS0_10empty_typeEEEZNS1_34radix_sort_onesweep_global_offsetsIS3_Lb1EN6thrust23THRUST_200600_302600_NS6detail15normal_iteratorINS9_10device_ptrIiEEEEPS5_jNS0_19identity_decomposerEEE10hipError_tT1_T2_PT3_SK_jT4_jjP12ihipStream_tbEUlT_E0_NS1_11comp_targetILNS1_3genE10ELNS1_11target_archE1201ELNS1_3gpuE5ELNS1_3repE0EEENS1_52radix_sort_onesweep_histogram_config_static_selectorELNS0_4arch9wavefront6targetE0EEEvSI_.num_named_barrier, 0
	.set _ZN7rocprim17ROCPRIM_400000_NS6detail17trampoline_kernelINS0_14default_configENS1_35radix_sort_onesweep_config_selectorIiNS0_10empty_typeEEEZNS1_34radix_sort_onesweep_global_offsetsIS3_Lb1EN6thrust23THRUST_200600_302600_NS6detail15normal_iteratorINS9_10device_ptrIiEEEEPS5_jNS0_19identity_decomposerEEE10hipError_tT1_T2_PT3_SK_jT4_jjP12ihipStream_tbEUlT_E0_NS1_11comp_targetILNS1_3genE10ELNS1_11target_archE1201ELNS1_3gpuE5ELNS1_3repE0EEENS1_52radix_sort_onesweep_histogram_config_static_selectorELNS0_4arch9wavefront6targetE0EEEvSI_.private_seg_size, 0
	.set _ZN7rocprim17ROCPRIM_400000_NS6detail17trampoline_kernelINS0_14default_configENS1_35radix_sort_onesweep_config_selectorIiNS0_10empty_typeEEEZNS1_34radix_sort_onesweep_global_offsetsIS3_Lb1EN6thrust23THRUST_200600_302600_NS6detail15normal_iteratorINS9_10device_ptrIiEEEEPS5_jNS0_19identity_decomposerEEE10hipError_tT1_T2_PT3_SK_jT4_jjP12ihipStream_tbEUlT_E0_NS1_11comp_targetILNS1_3genE10ELNS1_11target_archE1201ELNS1_3gpuE5ELNS1_3repE0EEENS1_52radix_sort_onesweep_histogram_config_static_selectorELNS0_4arch9wavefront6targetE0EEEvSI_.uses_vcc, 0
	.set _ZN7rocprim17ROCPRIM_400000_NS6detail17trampoline_kernelINS0_14default_configENS1_35radix_sort_onesweep_config_selectorIiNS0_10empty_typeEEEZNS1_34radix_sort_onesweep_global_offsetsIS3_Lb1EN6thrust23THRUST_200600_302600_NS6detail15normal_iteratorINS9_10device_ptrIiEEEEPS5_jNS0_19identity_decomposerEEE10hipError_tT1_T2_PT3_SK_jT4_jjP12ihipStream_tbEUlT_E0_NS1_11comp_targetILNS1_3genE10ELNS1_11target_archE1201ELNS1_3gpuE5ELNS1_3repE0EEENS1_52radix_sort_onesweep_histogram_config_static_selectorELNS0_4arch9wavefront6targetE0EEEvSI_.uses_flat_scratch, 0
	.set _ZN7rocprim17ROCPRIM_400000_NS6detail17trampoline_kernelINS0_14default_configENS1_35radix_sort_onesweep_config_selectorIiNS0_10empty_typeEEEZNS1_34radix_sort_onesweep_global_offsetsIS3_Lb1EN6thrust23THRUST_200600_302600_NS6detail15normal_iteratorINS9_10device_ptrIiEEEEPS5_jNS0_19identity_decomposerEEE10hipError_tT1_T2_PT3_SK_jT4_jjP12ihipStream_tbEUlT_E0_NS1_11comp_targetILNS1_3genE10ELNS1_11target_archE1201ELNS1_3gpuE5ELNS1_3repE0EEENS1_52radix_sort_onesweep_histogram_config_static_selectorELNS0_4arch9wavefront6targetE0EEEvSI_.has_dyn_sized_stack, 0
	.set _ZN7rocprim17ROCPRIM_400000_NS6detail17trampoline_kernelINS0_14default_configENS1_35radix_sort_onesweep_config_selectorIiNS0_10empty_typeEEEZNS1_34radix_sort_onesweep_global_offsetsIS3_Lb1EN6thrust23THRUST_200600_302600_NS6detail15normal_iteratorINS9_10device_ptrIiEEEEPS5_jNS0_19identity_decomposerEEE10hipError_tT1_T2_PT3_SK_jT4_jjP12ihipStream_tbEUlT_E0_NS1_11comp_targetILNS1_3genE10ELNS1_11target_archE1201ELNS1_3gpuE5ELNS1_3repE0EEENS1_52radix_sort_onesweep_histogram_config_static_selectorELNS0_4arch9wavefront6targetE0EEEvSI_.has_recursion, 0
	.set _ZN7rocprim17ROCPRIM_400000_NS6detail17trampoline_kernelINS0_14default_configENS1_35radix_sort_onesweep_config_selectorIiNS0_10empty_typeEEEZNS1_34radix_sort_onesweep_global_offsetsIS3_Lb1EN6thrust23THRUST_200600_302600_NS6detail15normal_iteratorINS9_10device_ptrIiEEEEPS5_jNS0_19identity_decomposerEEE10hipError_tT1_T2_PT3_SK_jT4_jjP12ihipStream_tbEUlT_E0_NS1_11comp_targetILNS1_3genE10ELNS1_11target_archE1201ELNS1_3gpuE5ELNS1_3repE0EEENS1_52radix_sort_onesweep_histogram_config_static_selectorELNS0_4arch9wavefront6targetE0EEEvSI_.has_indirect_call, 0
	.section	.AMDGPU.csdata,"",@progbits
; Kernel info:
; codeLenInByte = 0
; TotalNumSgprs: 0
; NumVgprs: 0
; ScratchSize: 0
; MemoryBound: 0
; FloatMode: 240
; IeeeMode: 1
; LDSByteSize: 0 bytes/workgroup (compile time only)
; SGPRBlocks: 0
; VGPRBlocks: 0
; NumSGPRsForWavesPerEU: 1
; NumVGPRsForWavesPerEU: 1
; Occupancy: 16
; WaveLimiterHint : 0
; COMPUTE_PGM_RSRC2:SCRATCH_EN: 0
; COMPUTE_PGM_RSRC2:USER_SGPR: 6
; COMPUTE_PGM_RSRC2:TRAP_HANDLER: 0
; COMPUTE_PGM_RSRC2:TGID_X_EN: 1
; COMPUTE_PGM_RSRC2:TGID_Y_EN: 0
; COMPUTE_PGM_RSRC2:TGID_Z_EN: 0
; COMPUTE_PGM_RSRC2:TIDIG_COMP_CNT: 0
	.section	.text._ZN7rocprim17ROCPRIM_400000_NS6detail17trampoline_kernelINS0_14default_configENS1_35radix_sort_onesweep_config_selectorIiNS0_10empty_typeEEEZNS1_34radix_sort_onesweep_global_offsetsIS3_Lb1EN6thrust23THRUST_200600_302600_NS6detail15normal_iteratorINS9_10device_ptrIiEEEEPS5_jNS0_19identity_decomposerEEE10hipError_tT1_T2_PT3_SK_jT4_jjP12ihipStream_tbEUlT_E0_NS1_11comp_targetILNS1_3genE9ELNS1_11target_archE1100ELNS1_3gpuE3ELNS1_3repE0EEENS1_52radix_sort_onesweep_histogram_config_static_selectorELNS0_4arch9wavefront6targetE0EEEvSI_,"axG",@progbits,_ZN7rocprim17ROCPRIM_400000_NS6detail17trampoline_kernelINS0_14default_configENS1_35radix_sort_onesweep_config_selectorIiNS0_10empty_typeEEEZNS1_34radix_sort_onesweep_global_offsetsIS3_Lb1EN6thrust23THRUST_200600_302600_NS6detail15normal_iteratorINS9_10device_ptrIiEEEEPS5_jNS0_19identity_decomposerEEE10hipError_tT1_T2_PT3_SK_jT4_jjP12ihipStream_tbEUlT_E0_NS1_11comp_targetILNS1_3genE9ELNS1_11target_archE1100ELNS1_3gpuE3ELNS1_3repE0EEENS1_52radix_sort_onesweep_histogram_config_static_selectorELNS0_4arch9wavefront6targetE0EEEvSI_,comdat
	.protected	_ZN7rocprim17ROCPRIM_400000_NS6detail17trampoline_kernelINS0_14default_configENS1_35radix_sort_onesweep_config_selectorIiNS0_10empty_typeEEEZNS1_34radix_sort_onesweep_global_offsetsIS3_Lb1EN6thrust23THRUST_200600_302600_NS6detail15normal_iteratorINS9_10device_ptrIiEEEEPS5_jNS0_19identity_decomposerEEE10hipError_tT1_T2_PT3_SK_jT4_jjP12ihipStream_tbEUlT_E0_NS1_11comp_targetILNS1_3genE9ELNS1_11target_archE1100ELNS1_3gpuE3ELNS1_3repE0EEENS1_52radix_sort_onesweep_histogram_config_static_selectorELNS0_4arch9wavefront6targetE0EEEvSI_ ; -- Begin function _ZN7rocprim17ROCPRIM_400000_NS6detail17trampoline_kernelINS0_14default_configENS1_35radix_sort_onesweep_config_selectorIiNS0_10empty_typeEEEZNS1_34radix_sort_onesweep_global_offsetsIS3_Lb1EN6thrust23THRUST_200600_302600_NS6detail15normal_iteratorINS9_10device_ptrIiEEEEPS5_jNS0_19identity_decomposerEEE10hipError_tT1_T2_PT3_SK_jT4_jjP12ihipStream_tbEUlT_E0_NS1_11comp_targetILNS1_3genE9ELNS1_11target_archE1100ELNS1_3gpuE3ELNS1_3repE0EEENS1_52radix_sort_onesweep_histogram_config_static_selectorELNS0_4arch9wavefront6targetE0EEEvSI_
	.globl	_ZN7rocprim17ROCPRIM_400000_NS6detail17trampoline_kernelINS0_14default_configENS1_35radix_sort_onesweep_config_selectorIiNS0_10empty_typeEEEZNS1_34radix_sort_onesweep_global_offsetsIS3_Lb1EN6thrust23THRUST_200600_302600_NS6detail15normal_iteratorINS9_10device_ptrIiEEEEPS5_jNS0_19identity_decomposerEEE10hipError_tT1_T2_PT3_SK_jT4_jjP12ihipStream_tbEUlT_E0_NS1_11comp_targetILNS1_3genE9ELNS1_11target_archE1100ELNS1_3gpuE3ELNS1_3repE0EEENS1_52radix_sort_onesweep_histogram_config_static_selectorELNS0_4arch9wavefront6targetE0EEEvSI_
	.p2align	8
	.type	_ZN7rocprim17ROCPRIM_400000_NS6detail17trampoline_kernelINS0_14default_configENS1_35radix_sort_onesweep_config_selectorIiNS0_10empty_typeEEEZNS1_34radix_sort_onesweep_global_offsetsIS3_Lb1EN6thrust23THRUST_200600_302600_NS6detail15normal_iteratorINS9_10device_ptrIiEEEEPS5_jNS0_19identity_decomposerEEE10hipError_tT1_T2_PT3_SK_jT4_jjP12ihipStream_tbEUlT_E0_NS1_11comp_targetILNS1_3genE9ELNS1_11target_archE1100ELNS1_3gpuE3ELNS1_3repE0EEENS1_52radix_sort_onesweep_histogram_config_static_selectorELNS0_4arch9wavefront6targetE0EEEvSI_,@function
_ZN7rocprim17ROCPRIM_400000_NS6detail17trampoline_kernelINS0_14default_configENS1_35radix_sort_onesweep_config_selectorIiNS0_10empty_typeEEEZNS1_34radix_sort_onesweep_global_offsetsIS3_Lb1EN6thrust23THRUST_200600_302600_NS6detail15normal_iteratorINS9_10device_ptrIiEEEEPS5_jNS0_19identity_decomposerEEE10hipError_tT1_T2_PT3_SK_jT4_jjP12ihipStream_tbEUlT_E0_NS1_11comp_targetILNS1_3genE9ELNS1_11target_archE1100ELNS1_3gpuE3ELNS1_3repE0EEENS1_52radix_sort_onesweep_histogram_config_static_selectorELNS0_4arch9wavefront6targetE0EEEvSI_: ; @_ZN7rocprim17ROCPRIM_400000_NS6detail17trampoline_kernelINS0_14default_configENS1_35radix_sort_onesweep_config_selectorIiNS0_10empty_typeEEEZNS1_34radix_sort_onesweep_global_offsetsIS3_Lb1EN6thrust23THRUST_200600_302600_NS6detail15normal_iteratorINS9_10device_ptrIiEEEEPS5_jNS0_19identity_decomposerEEE10hipError_tT1_T2_PT3_SK_jT4_jjP12ihipStream_tbEUlT_E0_NS1_11comp_targetILNS1_3genE9ELNS1_11target_archE1100ELNS1_3gpuE3ELNS1_3repE0EEENS1_52radix_sort_onesweep_histogram_config_static_selectorELNS0_4arch9wavefront6targetE0EEEvSI_
; %bb.0:
	.section	.rodata,"a",@progbits
	.p2align	6, 0x0
	.amdhsa_kernel _ZN7rocprim17ROCPRIM_400000_NS6detail17trampoline_kernelINS0_14default_configENS1_35radix_sort_onesweep_config_selectorIiNS0_10empty_typeEEEZNS1_34radix_sort_onesweep_global_offsetsIS3_Lb1EN6thrust23THRUST_200600_302600_NS6detail15normal_iteratorINS9_10device_ptrIiEEEEPS5_jNS0_19identity_decomposerEEE10hipError_tT1_T2_PT3_SK_jT4_jjP12ihipStream_tbEUlT_E0_NS1_11comp_targetILNS1_3genE9ELNS1_11target_archE1100ELNS1_3gpuE3ELNS1_3repE0EEENS1_52radix_sort_onesweep_histogram_config_static_selectorELNS0_4arch9wavefront6targetE0EEEvSI_
		.amdhsa_group_segment_fixed_size 0
		.amdhsa_private_segment_fixed_size 0
		.amdhsa_kernarg_size 8
		.amdhsa_user_sgpr_count 6
		.amdhsa_user_sgpr_private_segment_buffer 1
		.amdhsa_user_sgpr_dispatch_ptr 0
		.amdhsa_user_sgpr_queue_ptr 0
		.amdhsa_user_sgpr_kernarg_segment_ptr 1
		.amdhsa_user_sgpr_dispatch_id 0
		.amdhsa_user_sgpr_flat_scratch_init 0
		.amdhsa_user_sgpr_private_segment_size 0
		.amdhsa_wavefront_size32 1
		.amdhsa_uses_dynamic_stack 0
		.amdhsa_system_sgpr_private_segment_wavefront_offset 0
		.amdhsa_system_sgpr_workgroup_id_x 1
		.amdhsa_system_sgpr_workgroup_id_y 0
		.amdhsa_system_sgpr_workgroup_id_z 0
		.amdhsa_system_sgpr_workgroup_info 0
		.amdhsa_system_vgpr_workitem_id 0
		.amdhsa_next_free_vgpr 1
		.amdhsa_next_free_sgpr 1
		.amdhsa_reserve_vcc 0
		.amdhsa_reserve_flat_scratch 0
		.amdhsa_float_round_mode_32 0
		.amdhsa_float_round_mode_16_64 0
		.amdhsa_float_denorm_mode_32 3
		.amdhsa_float_denorm_mode_16_64 3
		.amdhsa_dx10_clamp 1
		.amdhsa_ieee_mode 1
		.amdhsa_fp16_overflow 0
		.amdhsa_workgroup_processor_mode 1
		.amdhsa_memory_ordered 1
		.amdhsa_forward_progress 1
		.amdhsa_shared_vgpr_count 0
		.amdhsa_exception_fp_ieee_invalid_op 0
		.amdhsa_exception_fp_denorm_src 0
		.amdhsa_exception_fp_ieee_div_zero 0
		.amdhsa_exception_fp_ieee_overflow 0
		.amdhsa_exception_fp_ieee_underflow 0
		.amdhsa_exception_fp_ieee_inexact 0
		.amdhsa_exception_int_div_zero 0
	.end_amdhsa_kernel
	.section	.text._ZN7rocprim17ROCPRIM_400000_NS6detail17trampoline_kernelINS0_14default_configENS1_35radix_sort_onesweep_config_selectorIiNS0_10empty_typeEEEZNS1_34radix_sort_onesweep_global_offsetsIS3_Lb1EN6thrust23THRUST_200600_302600_NS6detail15normal_iteratorINS9_10device_ptrIiEEEEPS5_jNS0_19identity_decomposerEEE10hipError_tT1_T2_PT3_SK_jT4_jjP12ihipStream_tbEUlT_E0_NS1_11comp_targetILNS1_3genE9ELNS1_11target_archE1100ELNS1_3gpuE3ELNS1_3repE0EEENS1_52radix_sort_onesweep_histogram_config_static_selectorELNS0_4arch9wavefront6targetE0EEEvSI_,"axG",@progbits,_ZN7rocprim17ROCPRIM_400000_NS6detail17trampoline_kernelINS0_14default_configENS1_35radix_sort_onesweep_config_selectorIiNS0_10empty_typeEEEZNS1_34radix_sort_onesweep_global_offsetsIS3_Lb1EN6thrust23THRUST_200600_302600_NS6detail15normal_iteratorINS9_10device_ptrIiEEEEPS5_jNS0_19identity_decomposerEEE10hipError_tT1_T2_PT3_SK_jT4_jjP12ihipStream_tbEUlT_E0_NS1_11comp_targetILNS1_3genE9ELNS1_11target_archE1100ELNS1_3gpuE3ELNS1_3repE0EEENS1_52radix_sort_onesweep_histogram_config_static_selectorELNS0_4arch9wavefront6targetE0EEEvSI_,comdat
.Lfunc_end334:
	.size	_ZN7rocprim17ROCPRIM_400000_NS6detail17trampoline_kernelINS0_14default_configENS1_35radix_sort_onesweep_config_selectorIiNS0_10empty_typeEEEZNS1_34radix_sort_onesweep_global_offsetsIS3_Lb1EN6thrust23THRUST_200600_302600_NS6detail15normal_iteratorINS9_10device_ptrIiEEEEPS5_jNS0_19identity_decomposerEEE10hipError_tT1_T2_PT3_SK_jT4_jjP12ihipStream_tbEUlT_E0_NS1_11comp_targetILNS1_3genE9ELNS1_11target_archE1100ELNS1_3gpuE3ELNS1_3repE0EEENS1_52radix_sort_onesweep_histogram_config_static_selectorELNS0_4arch9wavefront6targetE0EEEvSI_, .Lfunc_end334-_ZN7rocprim17ROCPRIM_400000_NS6detail17trampoline_kernelINS0_14default_configENS1_35radix_sort_onesweep_config_selectorIiNS0_10empty_typeEEEZNS1_34radix_sort_onesweep_global_offsetsIS3_Lb1EN6thrust23THRUST_200600_302600_NS6detail15normal_iteratorINS9_10device_ptrIiEEEEPS5_jNS0_19identity_decomposerEEE10hipError_tT1_T2_PT3_SK_jT4_jjP12ihipStream_tbEUlT_E0_NS1_11comp_targetILNS1_3genE9ELNS1_11target_archE1100ELNS1_3gpuE3ELNS1_3repE0EEENS1_52radix_sort_onesweep_histogram_config_static_selectorELNS0_4arch9wavefront6targetE0EEEvSI_
                                        ; -- End function
	.set _ZN7rocprim17ROCPRIM_400000_NS6detail17trampoline_kernelINS0_14default_configENS1_35radix_sort_onesweep_config_selectorIiNS0_10empty_typeEEEZNS1_34radix_sort_onesweep_global_offsetsIS3_Lb1EN6thrust23THRUST_200600_302600_NS6detail15normal_iteratorINS9_10device_ptrIiEEEEPS5_jNS0_19identity_decomposerEEE10hipError_tT1_T2_PT3_SK_jT4_jjP12ihipStream_tbEUlT_E0_NS1_11comp_targetILNS1_3genE9ELNS1_11target_archE1100ELNS1_3gpuE3ELNS1_3repE0EEENS1_52radix_sort_onesweep_histogram_config_static_selectorELNS0_4arch9wavefront6targetE0EEEvSI_.num_vgpr, 0
	.set _ZN7rocprim17ROCPRIM_400000_NS6detail17trampoline_kernelINS0_14default_configENS1_35radix_sort_onesweep_config_selectorIiNS0_10empty_typeEEEZNS1_34radix_sort_onesweep_global_offsetsIS3_Lb1EN6thrust23THRUST_200600_302600_NS6detail15normal_iteratorINS9_10device_ptrIiEEEEPS5_jNS0_19identity_decomposerEEE10hipError_tT1_T2_PT3_SK_jT4_jjP12ihipStream_tbEUlT_E0_NS1_11comp_targetILNS1_3genE9ELNS1_11target_archE1100ELNS1_3gpuE3ELNS1_3repE0EEENS1_52radix_sort_onesweep_histogram_config_static_selectorELNS0_4arch9wavefront6targetE0EEEvSI_.num_agpr, 0
	.set _ZN7rocprim17ROCPRIM_400000_NS6detail17trampoline_kernelINS0_14default_configENS1_35radix_sort_onesweep_config_selectorIiNS0_10empty_typeEEEZNS1_34radix_sort_onesweep_global_offsetsIS3_Lb1EN6thrust23THRUST_200600_302600_NS6detail15normal_iteratorINS9_10device_ptrIiEEEEPS5_jNS0_19identity_decomposerEEE10hipError_tT1_T2_PT3_SK_jT4_jjP12ihipStream_tbEUlT_E0_NS1_11comp_targetILNS1_3genE9ELNS1_11target_archE1100ELNS1_3gpuE3ELNS1_3repE0EEENS1_52radix_sort_onesweep_histogram_config_static_selectorELNS0_4arch9wavefront6targetE0EEEvSI_.numbered_sgpr, 0
	.set _ZN7rocprim17ROCPRIM_400000_NS6detail17trampoline_kernelINS0_14default_configENS1_35radix_sort_onesweep_config_selectorIiNS0_10empty_typeEEEZNS1_34radix_sort_onesweep_global_offsetsIS3_Lb1EN6thrust23THRUST_200600_302600_NS6detail15normal_iteratorINS9_10device_ptrIiEEEEPS5_jNS0_19identity_decomposerEEE10hipError_tT1_T2_PT3_SK_jT4_jjP12ihipStream_tbEUlT_E0_NS1_11comp_targetILNS1_3genE9ELNS1_11target_archE1100ELNS1_3gpuE3ELNS1_3repE0EEENS1_52radix_sort_onesweep_histogram_config_static_selectorELNS0_4arch9wavefront6targetE0EEEvSI_.num_named_barrier, 0
	.set _ZN7rocprim17ROCPRIM_400000_NS6detail17trampoline_kernelINS0_14default_configENS1_35radix_sort_onesweep_config_selectorIiNS0_10empty_typeEEEZNS1_34radix_sort_onesweep_global_offsetsIS3_Lb1EN6thrust23THRUST_200600_302600_NS6detail15normal_iteratorINS9_10device_ptrIiEEEEPS5_jNS0_19identity_decomposerEEE10hipError_tT1_T2_PT3_SK_jT4_jjP12ihipStream_tbEUlT_E0_NS1_11comp_targetILNS1_3genE9ELNS1_11target_archE1100ELNS1_3gpuE3ELNS1_3repE0EEENS1_52radix_sort_onesweep_histogram_config_static_selectorELNS0_4arch9wavefront6targetE0EEEvSI_.private_seg_size, 0
	.set _ZN7rocprim17ROCPRIM_400000_NS6detail17trampoline_kernelINS0_14default_configENS1_35radix_sort_onesweep_config_selectorIiNS0_10empty_typeEEEZNS1_34radix_sort_onesweep_global_offsetsIS3_Lb1EN6thrust23THRUST_200600_302600_NS6detail15normal_iteratorINS9_10device_ptrIiEEEEPS5_jNS0_19identity_decomposerEEE10hipError_tT1_T2_PT3_SK_jT4_jjP12ihipStream_tbEUlT_E0_NS1_11comp_targetILNS1_3genE9ELNS1_11target_archE1100ELNS1_3gpuE3ELNS1_3repE0EEENS1_52radix_sort_onesweep_histogram_config_static_selectorELNS0_4arch9wavefront6targetE0EEEvSI_.uses_vcc, 0
	.set _ZN7rocprim17ROCPRIM_400000_NS6detail17trampoline_kernelINS0_14default_configENS1_35radix_sort_onesweep_config_selectorIiNS0_10empty_typeEEEZNS1_34radix_sort_onesweep_global_offsetsIS3_Lb1EN6thrust23THRUST_200600_302600_NS6detail15normal_iteratorINS9_10device_ptrIiEEEEPS5_jNS0_19identity_decomposerEEE10hipError_tT1_T2_PT3_SK_jT4_jjP12ihipStream_tbEUlT_E0_NS1_11comp_targetILNS1_3genE9ELNS1_11target_archE1100ELNS1_3gpuE3ELNS1_3repE0EEENS1_52radix_sort_onesweep_histogram_config_static_selectorELNS0_4arch9wavefront6targetE0EEEvSI_.uses_flat_scratch, 0
	.set _ZN7rocprim17ROCPRIM_400000_NS6detail17trampoline_kernelINS0_14default_configENS1_35radix_sort_onesweep_config_selectorIiNS0_10empty_typeEEEZNS1_34radix_sort_onesweep_global_offsetsIS3_Lb1EN6thrust23THRUST_200600_302600_NS6detail15normal_iteratorINS9_10device_ptrIiEEEEPS5_jNS0_19identity_decomposerEEE10hipError_tT1_T2_PT3_SK_jT4_jjP12ihipStream_tbEUlT_E0_NS1_11comp_targetILNS1_3genE9ELNS1_11target_archE1100ELNS1_3gpuE3ELNS1_3repE0EEENS1_52radix_sort_onesweep_histogram_config_static_selectorELNS0_4arch9wavefront6targetE0EEEvSI_.has_dyn_sized_stack, 0
	.set _ZN7rocprim17ROCPRIM_400000_NS6detail17trampoline_kernelINS0_14default_configENS1_35radix_sort_onesweep_config_selectorIiNS0_10empty_typeEEEZNS1_34radix_sort_onesweep_global_offsetsIS3_Lb1EN6thrust23THRUST_200600_302600_NS6detail15normal_iteratorINS9_10device_ptrIiEEEEPS5_jNS0_19identity_decomposerEEE10hipError_tT1_T2_PT3_SK_jT4_jjP12ihipStream_tbEUlT_E0_NS1_11comp_targetILNS1_3genE9ELNS1_11target_archE1100ELNS1_3gpuE3ELNS1_3repE0EEENS1_52radix_sort_onesweep_histogram_config_static_selectorELNS0_4arch9wavefront6targetE0EEEvSI_.has_recursion, 0
	.set _ZN7rocprim17ROCPRIM_400000_NS6detail17trampoline_kernelINS0_14default_configENS1_35radix_sort_onesweep_config_selectorIiNS0_10empty_typeEEEZNS1_34radix_sort_onesweep_global_offsetsIS3_Lb1EN6thrust23THRUST_200600_302600_NS6detail15normal_iteratorINS9_10device_ptrIiEEEEPS5_jNS0_19identity_decomposerEEE10hipError_tT1_T2_PT3_SK_jT4_jjP12ihipStream_tbEUlT_E0_NS1_11comp_targetILNS1_3genE9ELNS1_11target_archE1100ELNS1_3gpuE3ELNS1_3repE0EEENS1_52radix_sort_onesweep_histogram_config_static_selectorELNS0_4arch9wavefront6targetE0EEEvSI_.has_indirect_call, 0
	.section	.AMDGPU.csdata,"",@progbits
; Kernel info:
; codeLenInByte = 0
; TotalNumSgprs: 0
; NumVgprs: 0
; ScratchSize: 0
; MemoryBound: 0
; FloatMode: 240
; IeeeMode: 1
; LDSByteSize: 0 bytes/workgroup (compile time only)
; SGPRBlocks: 0
; VGPRBlocks: 0
; NumSGPRsForWavesPerEU: 1
; NumVGPRsForWavesPerEU: 1
; Occupancy: 16
; WaveLimiterHint : 0
; COMPUTE_PGM_RSRC2:SCRATCH_EN: 0
; COMPUTE_PGM_RSRC2:USER_SGPR: 6
; COMPUTE_PGM_RSRC2:TRAP_HANDLER: 0
; COMPUTE_PGM_RSRC2:TGID_X_EN: 1
; COMPUTE_PGM_RSRC2:TGID_Y_EN: 0
; COMPUTE_PGM_RSRC2:TGID_Z_EN: 0
; COMPUTE_PGM_RSRC2:TIDIG_COMP_CNT: 0
	.section	.text._ZN7rocprim17ROCPRIM_400000_NS6detail17trampoline_kernelINS0_14default_configENS1_35radix_sort_onesweep_config_selectorIiNS0_10empty_typeEEEZNS1_34radix_sort_onesweep_global_offsetsIS3_Lb1EN6thrust23THRUST_200600_302600_NS6detail15normal_iteratorINS9_10device_ptrIiEEEEPS5_jNS0_19identity_decomposerEEE10hipError_tT1_T2_PT3_SK_jT4_jjP12ihipStream_tbEUlT_E0_NS1_11comp_targetILNS1_3genE8ELNS1_11target_archE1030ELNS1_3gpuE2ELNS1_3repE0EEENS1_52radix_sort_onesweep_histogram_config_static_selectorELNS0_4arch9wavefront6targetE0EEEvSI_,"axG",@progbits,_ZN7rocprim17ROCPRIM_400000_NS6detail17trampoline_kernelINS0_14default_configENS1_35radix_sort_onesweep_config_selectorIiNS0_10empty_typeEEEZNS1_34radix_sort_onesweep_global_offsetsIS3_Lb1EN6thrust23THRUST_200600_302600_NS6detail15normal_iteratorINS9_10device_ptrIiEEEEPS5_jNS0_19identity_decomposerEEE10hipError_tT1_T2_PT3_SK_jT4_jjP12ihipStream_tbEUlT_E0_NS1_11comp_targetILNS1_3genE8ELNS1_11target_archE1030ELNS1_3gpuE2ELNS1_3repE0EEENS1_52radix_sort_onesweep_histogram_config_static_selectorELNS0_4arch9wavefront6targetE0EEEvSI_,comdat
	.protected	_ZN7rocprim17ROCPRIM_400000_NS6detail17trampoline_kernelINS0_14default_configENS1_35radix_sort_onesweep_config_selectorIiNS0_10empty_typeEEEZNS1_34radix_sort_onesweep_global_offsetsIS3_Lb1EN6thrust23THRUST_200600_302600_NS6detail15normal_iteratorINS9_10device_ptrIiEEEEPS5_jNS0_19identity_decomposerEEE10hipError_tT1_T2_PT3_SK_jT4_jjP12ihipStream_tbEUlT_E0_NS1_11comp_targetILNS1_3genE8ELNS1_11target_archE1030ELNS1_3gpuE2ELNS1_3repE0EEENS1_52radix_sort_onesweep_histogram_config_static_selectorELNS0_4arch9wavefront6targetE0EEEvSI_ ; -- Begin function _ZN7rocprim17ROCPRIM_400000_NS6detail17trampoline_kernelINS0_14default_configENS1_35radix_sort_onesweep_config_selectorIiNS0_10empty_typeEEEZNS1_34radix_sort_onesweep_global_offsetsIS3_Lb1EN6thrust23THRUST_200600_302600_NS6detail15normal_iteratorINS9_10device_ptrIiEEEEPS5_jNS0_19identity_decomposerEEE10hipError_tT1_T2_PT3_SK_jT4_jjP12ihipStream_tbEUlT_E0_NS1_11comp_targetILNS1_3genE8ELNS1_11target_archE1030ELNS1_3gpuE2ELNS1_3repE0EEENS1_52radix_sort_onesweep_histogram_config_static_selectorELNS0_4arch9wavefront6targetE0EEEvSI_
	.globl	_ZN7rocprim17ROCPRIM_400000_NS6detail17trampoline_kernelINS0_14default_configENS1_35radix_sort_onesweep_config_selectorIiNS0_10empty_typeEEEZNS1_34radix_sort_onesweep_global_offsetsIS3_Lb1EN6thrust23THRUST_200600_302600_NS6detail15normal_iteratorINS9_10device_ptrIiEEEEPS5_jNS0_19identity_decomposerEEE10hipError_tT1_T2_PT3_SK_jT4_jjP12ihipStream_tbEUlT_E0_NS1_11comp_targetILNS1_3genE8ELNS1_11target_archE1030ELNS1_3gpuE2ELNS1_3repE0EEENS1_52radix_sort_onesweep_histogram_config_static_selectorELNS0_4arch9wavefront6targetE0EEEvSI_
	.p2align	8
	.type	_ZN7rocprim17ROCPRIM_400000_NS6detail17trampoline_kernelINS0_14default_configENS1_35radix_sort_onesweep_config_selectorIiNS0_10empty_typeEEEZNS1_34radix_sort_onesweep_global_offsetsIS3_Lb1EN6thrust23THRUST_200600_302600_NS6detail15normal_iteratorINS9_10device_ptrIiEEEEPS5_jNS0_19identity_decomposerEEE10hipError_tT1_T2_PT3_SK_jT4_jjP12ihipStream_tbEUlT_E0_NS1_11comp_targetILNS1_3genE8ELNS1_11target_archE1030ELNS1_3gpuE2ELNS1_3repE0EEENS1_52radix_sort_onesweep_histogram_config_static_selectorELNS0_4arch9wavefront6targetE0EEEvSI_,@function
_ZN7rocprim17ROCPRIM_400000_NS6detail17trampoline_kernelINS0_14default_configENS1_35radix_sort_onesweep_config_selectorIiNS0_10empty_typeEEEZNS1_34radix_sort_onesweep_global_offsetsIS3_Lb1EN6thrust23THRUST_200600_302600_NS6detail15normal_iteratorINS9_10device_ptrIiEEEEPS5_jNS0_19identity_decomposerEEE10hipError_tT1_T2_PT3_SK_jT4_jjP12ihipStream_tbEUlT_E0_NS1_11comp_targetILNS1_3genE8ELNS1_11target_archE1030ELNS1_3gpuE2ELNS1_3repE0EEENS1_52radix_sort_onesweep_histogram_config_static_selectorELNS0_4arch9wavefront6targetE0EEEvSI_: ; @_ZN7rocprim17ROCPRIM_400000_NS6detail17trampoline_kernelINS0_14default_configENS1_35radix_sort_onesweep_config_selectorIiNS0_10empty_typeEEEZNS1_34radix_sort_onesweep_global_offsetsIS3_Lb1EN6thrust23THRUST_200600_302600_NS6detail15normal_iteratorINS9_10device_ptrIiEEEEPS5_jNS0_19identity_decomposerEEE10hipError_tT1_T2_PT3_SK_jT4_jjP12ihipStream_tbEUlT_E0_NS1_11comp_targetILNS1_3genE8ELNS1_11target_archE1030ELNS1_3gpuE2ELNS1_3repE0EEENS1_52radix_sort_onesweep_histogram_config_static_selectorELNS0_4arch9wavefront6targetE0EEEvSI_
; %bb.0:
	s_load_dwordx2 s[0:1], s[4:5], 0x0
	s_lshl_b32 s2, s6, 8
	s_mov_b32 s3, 0
	v_cmp_gt_u32_e32 vcc_lo, 0x100, v0
	s_lshl_b64 s[2:3], s[2:3], 2
	v_lshlrev_b32_e32 v1, 2, v0
                                        ; implicit-def: $vgpr3
	s_waitcnt lgkmcnt(0)
	s_add_u32 s8, s0, s2
	s_addc_u32 s9, s1, s3
	s_and_saveexec_b32 s0, vcc_lo
	s_cbranch_execz .LBB335_2
; %bb.1:
	global_load_dword v3, v1, s[8:9]
.LBB335_2:
	s_or_b32 exec_lo, exec_lo, s0
	v_mbcnt_lo_u32_b32 v2, -1, 0
	s_waitcnt vmcnt(0)
	v_mov_b32_dpp v5, v3 row_shr:1 row_mask:0xf bank_mask:0xf
	v_and_b32_e32 v7, 31, v0
	s_mov_b32 s6, exec_lo
	v_and_b32_e32 v4, 15, v2
	v_and_b32_e32 v6, 16, v2
	v_cmp_eq_u32_e64 s0, 0, v4
	v_cmp_lt_u32_e64 s1, 1, v4
	v_cmp_lt_u32_e64 s2, 3, v4
	v_cmp_lt_u32_e64 s3, 7, v4
	v_cmp_eq_u32_e64 s4, 0, v6
	v_cndmask_b32_e64 v5, v5, 0, s0
	v_add_nc_u32_e32 v3, v5, v3
	v_mov_b32_dpp v5, v3 row_shr:2 row_mask:0xf bank_mask:0xf
	v_cndmask_b32_e64 v5, 0, v5, s1
	v_add_nc_u32_e32 v3, v3, v5
	v_mov_b32_dpp v5, v3 row_shr:4 row_mask:0xf bank_mask:0xf
	;; [unrolled: 3-line block ×3, first 2 shown]
	v_cndmask_b32_e64 v4, 0, v5, s3
	v_bfe_i32 v5, v2, 4, 1
	v_add_nc_u32_e32 v3, v3, v4
	ds_swizzle_b32 v4, v3 offset:swizzle(BROADCAST,32,15)
	s_waitcnt lgkmcnt(0)
	v_and_b32_e32 v5, v5, v4
	v_lshrrev_b32_e32 v4, 5, v0
	v_add_nc_u32_e32 v3, v3, v5
	v_cmpx_eq_u32_e32 31, v7
; %bb.3:
	v_lshlrev_b32_e32 v5, 2, v4
	ds_write_b32 v5, v3
; %bb.4:
	s_or_b32 exec_lo, exec_lo, s6
	v_cmp_lt_u32_e64 s5, 31, v0
	s_mov_b32 s7, exec_lo
	s_waitcnt lgkmcnt(0)
	s_barrier
	buffer_gl0_inv
	v_cmpx_gt_u32_e32 32, v0
	s_cbranch_execz .LBB335_6
; %bb.5:
	ds_read_b32 v0, v1
	s_waitcnt lgkmcnt(0)
	v_mov_b32_dpp v5, v0 row_shr:1 row_mask:0xf bank_mask:0xf
	v_cndmask_b32_e64 v5, v5, 0, s0
	v_add_nc_u32_e32 v0, v5, v0
	v_mov_b32_dpp v5, v0 row_shr:2 row_mask:0xf bank_mask:0xf
	v_cndmask_b32_e64 v5, 0, v5, s1
	v_add_nc_u32_e32 v0, v0, v5
	;; [unrolled: 3-line block ×4, first 2 shown]
	ds_swizzle_b32 v5, v0 offset:swizzle(BROADCAST,32,15)
	s_waitcnt lgkmcnt(0)
	v_cndmask_b32_e64 v5, v5, 0, s4
	v_add_nc_u32_e32 v0, v0, v5
	ds_write_b32 v1, v0
.LBB335_6:
	s_or_b32 exec_lo, exec_lo, s7
	v_mov_b32_e32 v0, 0
	s_waitcnt lgkmcnt(0)
	s_barrier
	buffer_gl0_inv
	s_and_saveexec_b32 s0, s5
; %bb.7:
	v_lshl_add_u32 v0, v4, 2, -4
	ds_read_b32 v0, v0
; %bb.8:
	s_or_b32 exec_lo, exec_lo, s0
	v_add_nc_u32_e32 v4, -1, v2
	s_waitcnt lgkmcnt(0)
	v_add_nc_u32_e32 v3, v0, v3
	v_cmp_gt_i32_e64 s0, 0, v4
	v_cndmask_b32_e64 v4, v4, v2, s0
	v_lshlrev_b32_e32 v4, 2, v4
	ds_bpermute_b32 v3, v4, v3
	s_and_saveexec_b32 s0, vcc_lo
	s_cbranch_execz .LBB335_10
; %bb.9:
	v_cmp_eq_u32_e32 vcc_lo, 0, v2
	s_waitcnt lgkmcnt(0)
	v_cndmask_b32_e32 v0, v3, v0, vcc_lo
	global_store_dword v1, v0, s[8:9]
.LBB335_10:
	s_endpgm
	.section	.rodata,"a",@progbits
	.p2align	6, 0x0
	.amdhsa_kernel _ZN7rocprim17ROCPRIM_400000_NS6detail17trampoline_kernelINS0_14default_configENS1_35radix_sort_onesweep_config_selectorIiNS0_10empty_typeEEEZNS1_34radix_sort_onesweep_global_offsetsIS3_Lb1EN6thrust23THRUST_200600_302600_NS6detail15normal_iteratorINS9_10device_ptrIiEEEEPS5_jNS0_19identity_decomposerEEE10hipError_tT1_T2_PT3_SK_jT4_jjP12ihipStream_tbEUlT_E0_NS1_11comp_targetILNS1_3genE8ELNS1_11target_archE1030ELNS1_3gpuE2ELNS1_3repE0EEENS1_52radix_sort_onesweep_histogram_config_static_selectorELNS0_4arch9wavefront6targetE0EEEvSI_
		.amdhsa_group_segment_fixed_size 128
		.amdhsa_private_segment_fixed_size 0
		.amdhsa_kernarg_size 8
		.amdhsa_user_sgpr_count 6
		.amdhsa_user_sgpr_private_segment_buffer 1
		.amdhsa_user_sgpr_dispatch_ptr 0
		.amdhsa_user_sgpr_queue_ptr 0
		.amdhsa_user_sgpr_kernarg_segment_ptr 1
		.amdhsa_user_sgpr_dispatch_id 0
		.amdhsa_user_sgpr_flat_scratch_init 0
		.amdhsa_user_sgpr_private_segment_size 0
		.amdhsa_wavefront_size32 1
		.amdhsa_uses_dynamic_stack 0
		.amdhsa_system_sgpr_private_segment_wavefront_offset 0
		.amdhsa_system_sgpr_workgroup_id_x 1
		.amdhsa_system_sgpr_workgroup_id_y 0
		.amdhsa_system_sgpr_workgroup_id_z 0
		.amdhsa_system_sgpr_workgroup_info 0
		.amdhsa_system_vgpr_workitem_id 0
		.amdhsa_next_free_vgpr 8
		.amdhsa_next_free_sgpr 10
		.amdhsa_reserve_vcc 1
		.amdhsa_reserve_flat_scratch 0
		.amdhsa_float_round_mode_32 0
		.amdhsa_float_round_mode_16_64 0
		.amdhsa_float_denorm_mode_32 3
		.amdhsa_float_denorm_mode_16_64 3
		.amdhsa_dx10_clamp 1
		.amdhsa_ieee_mode 1
		.amdhsa_fp16_overflow 0
		.amdhsa_workgroup_processor_mode 1
		.amdhsa_memory_ordered 1
		.amdhsa_forward_progress 1
		.amdhsa_shared_vgpr_count 0
		.amdhsa_exception_fp_ieee_invalid_op 0
		.amdhsa_exception_fp_denorm_src 0
		.amdhsa_exception_fp_ieee_div_zero 0
		.amdhsa_exception_fp_ieee_overflow 0
		.amdhsa_exception_fp_ieee_underflow 0
		.amdhsa_exception_fp_ieee_inexact 0
		.amdhsa_exception_int_div_zero 0
	.end_amdhsa_kernel
	.section	.text._ZN7rocprim17ROCPRIM_400000_NS6detail17trampoline_kernelINS0_14default_configENS1_35radix_sort_onesweep_config_selectorIiNS0_10empty_typeEEEZNS1_34radix_sort_onesweep_global_offsetsIS3_Lb1EN6thrust23THRUST_200600_302600_NS6detail15normal_iteratorINS9_10device_ptrIiEEEEPS5_jNS0_19identity_decomposerEEE10hipError_tT1_T2_PT3_SK_jT4_jjP12ihipStream_tbEUlT_E0_NS1_11comp_targetILNS1_3genE8ELNS1_11target_archE1030ELNS1_3gpuE2ELNS1_3repE0EEENS1_52radix_sort_onesweep_histogram_config_static_selectorELNS0_4arch9wavefront6targetE0EEEvSI_,"axG",@progbits,_ZN7rocprim17ROCPRIM_400000_NS6detail17trampoline_kernelINS0_14default_configENS1_35radix_sort_onesweep_config_selectorIiNS0_10empty_typeEEEZNS1_34radix_sort_onesweep_global_offsetsIS3_Lb1EN6thrust23THRUST_200600_302600_NS6detail15normal_iteratorINS9_10device_ptrIiEEEEPS5_jNS0_19identity_decomposerEEE10hipError_tT1_T2_PT3_SK_jT4_jjP12ihipStream_tbEUlT_E0_NS1_11comp_targetILNS1_3genE8ELNS1_11target_archE1030ELNS1_3gpuE2ELNS1_3repE0EEENS1_52radix_sort_onesweep_histogram_config_static_selectorELNS0_4arch9wavefront6targetE0EEEvSI_,comdat
.Lfunc_end335:
	.size	_ZN7rocprim17ROCPRIM_400000_NS6detail17trampoline_kernelINS0_14default_configENS1_35radix_sort_onesweep_config_selectorIiNS0_10empty_typeEEEZNS1_34radix_sort_onesweep_global_offsetsIS3_Lb1EN6thrust23THRUST_200600_302600_NS6detail15normal_iteratorINS9_10device_ptrIiEEEEPS5_jNS0_19identity_decomposerEEE10hipError_tT1_T2_PT3_SK_jT4_jjP12ihipStream_tbEUlT_E0_NS1_11comp_targetILNS1_3genE8ELNS1_11target_archE1030ELNS1_3gpuE2ELNS1_3repE0EEENS1_52radix_sort_onesweep_histogram_config_static_selectorELNS0_4arch9wavefront6targetE0EEEvSI_, .Lfunc_end335-_ZN7rocprim17ROCPRIM_400000_NS6detail17trampoline_kernelINS0_14default_configENS1_35radix_sort_onesweep_config_selectorIiNS0_10empty_typeEEEZNS1_34radix_sort_onesweep_global_offsetsIS3_Lb1EN6thrust23THRUST_200600_302600_NS6detail15normal_iteratorINS9_10device_ptrIiEEEEPS5_jNS0_19identity_decomposerEEE10hipError_tT1_T2_PT3_SK_jT4_jjP12ihipStream_tbEUlT_E0_NS1_11comp_targetILNS1_3genE8ELNS1_11target_archE1030ELNS1_3gpuE2ELNS1_3repE0EEENS1_52radix_sort_onesweep_histogram_config_static_selectorELNS0_4arch9wavefront6targetE0EEEvSI_
                                        ; -- End function
	.set _ZN7rocprim17ROCPRIM_400000_NS6detail17trampoline_kernelINS0_14default_configENS1_35radix_sort_onesweep_config_selectorIiNS0_10empty_typeEEEZNS1_34radix_sort_onesweep_global_offsetsIS3_Lb1EN6thrust23THRUST_200600_302600_NS6detail15normal_iteratorINS9_10device_ptrIiEEEEPS5_jNS0_19identity_decomposerEEE10hipError_tT1_T2_PT3_SK_jT4_jjP12ihipStream_tbEUlT_E0_NS1_11comp_targetILNS1_3genE8ELNS1_11target_archE1030ELNS1_3gpuE2ELNS1_3repE0EEENS1_52radix_sort_onesweep_histogram_config_static_selectorELNS0_4arch9wavefront6targetE0EEEvSI_.num_vgpr, 8
	.set _ZN7rocprim17ROCPRIM_400000_NS6detail17trampoline_kernelINS0_14default_configENS1_35radix_sort_onesweep_config_selectorIiNS0_10empty_typeEEEZNS1_34radix_sort_onesweep_global_offsetsIS3_Lb1EN6thrust23THRUST_200600_302600_NS6detail15normal_iteratorINS9_10device_ptrIiEEEEPS5_jNS0_19identity_decomposerEEE10hipError_tT1_T2_PT3_SK_jT4_jjP12ihipStream_tbEUlT_E0_NS1_11comp_targetILNS1_3genE8ELNS1_11target_archE1030ELNS1_3gpuE2ELNS1_3repE0EEENS1_52radix_sort_onesweep_histogram_config_static_selectorELNS0_4arch9wavefront6targetE0EEEvSI_.num_agpr, 0
	.set _ZN7rocprim17ROCPRIM_400000_NS6detail17trampoline_kernelINS0_14default_configENS1_35radix_sort_onesweep_config_selectorIiNS0_10empty_typeEEEZNS1_34radix_sort_onesweep_global_offsetsIS3_Lb1EN6thrust23THRUST_200600_302600_NS6detail15normal_iteratorINS9_10device_ptrIiEEEEPS5_jNS0_19identity_decomposerEEE10hipError_tT1_T2_PT3_SK_jT4_jjP12ihipStream_tbEUlT_E0_NS1_11comp_targetILNS1_3genE8ELNS1_11target_archE1030ELNS1_3gpuE2ELNS1_3repE0EEENS1_52radix_sort_onesweep_histogram_config_static_selectorELNS0_4arch9wavefront6targetE0EEEvSI_.numbered_sgpr, 10
	.set _ZN7rocprim17ROCPRIM_400000_NS6detail17trampoline_kernelINS0_14default_configENS1_35radix_sort_onesweep_config_selectorIiNS0_10empty_typeEEEZNS1_34radix_sort_onesweep_global_offsetsIS3_Lb1EN6thrust23THRUST_200600_302600_NS6detail15normal_iteratorINS9_10device_ptrIiEEEEPS5_jNS0_19identity_decomposerEEE10hipError_tT1_T2_PT3_SK_jT4_jjP12ihipStream_tbEUlT_E0_NS1_11comp_targetILNS1_3genE8ELNS1_11target_archE1030ELNS1_3gpuE2ELNS1_3repE0EEENS1_52radix_sort_onesweep_histogram_config_static_selectorELNS0_4arch9wavefront6targetE0EEEvSI_.num_named_barrier, 0
	.set _ZN7rocprim17ROCPRIM_400000_NS6detail17trampoline_kernelINS0_14default_configENS1_35radix_sort_onesweep_config_selectorIiNS0_10empty_typeEEEZNS1_34radix_sort_onesweep_global_offsetsIS3_Lb1EN6thrust23THRUST_200600_302600_NS6detail15normal_iteratorINS9_10device_ptrIiEEEEPS5_jNS0_19identity_decomposerEEE10hipError_tT1_T2_PT3_SK_jT4_jjP12ihipStream_tbEUlT_E0_NS1_11comp_targetILNS1_3genE8ELNS1_11target_archE1030ELNS1_3gpuE2ELNS1_3repE0EEENS1_52radix_sort_onesweep_histogram_config_static_selectorELNS0_4arch9wavefront6targetE0EEEvSI_.private_seg_size, 0
	.set _ZN7rocprim17ROCPRIM_400000_NS6detail17trampoline_kernelINS0_14default_configENS1_35radix_sort_onesweep_config_selectorIiNS0_10empty_typeEEEZNS1_34radix_sort_onesweep_global_offsetsIS3_Lb1EN6thrust23THRUST_200600_302600_NS6detail15normal_iteratorINS9_10device_ptrIiEEEEPS5_jNS0_19identity_decomposerEEE10hipError_tT1_T2_PT3_SK_jT4_jjP12ihipStream_tbEUlT_E0_NS1_11comp_targetILNS1_3genE8ELNS1_11target_archE1030ELNS1_3gpuE2ELNS1_3repE0EEENS1_52radix_sort_onesweep_histogram_config_static_selectorELNS0_4arch9wavefront6targetE0EEEvSI_.uses_vcc, 1
	.set _ZN7rocprim17ROCPRIM_400000_NS6detail17trampoline_kernelINS0_14default_configENS1_35radix_sort_onesweep_config_selectorIiNS0_10empty_typeEEEZNS1_34radix_sort_onesweep_global_offsetsIS3_Lb1EN6thrust23THRUST_200600_302600_NS6detail15normal_iteratorINS9_10device_ptrIiEEEEPS5_jNS0_19identity_decomposerEEE10hipError_tT1_T2_PT3_SK_jT4_jjP12ihipStream_tbEUlT_E0_NS1_11comp_targetILNS1_3genE8ELNS1_11target_archE1030ELNS1_3gpuE2ELNS1_3repE0EEENS1_52radix_sort_onesweep_histogram_config_static_selectorELNS0_4arch9wavefront6targetE0EEEvSI_.uses_flat_scratch, 0
	.set _ZN7rocprim17ROCPRIM_400000_NS6detail17trampoline_kernelINS0_14default_configENS1_35radix_sort_onesweep_config_selectorIiNS0_10empty_typeEEEZNS1_34radix_sort_onesweep_global_offsetsIS3_Lb1EN6thrust23THRUST_200600_302600_NS6detail15normal_iteratorINS9_10device_ptrIiEEEEPS5_jNS0_19identity_decomposerEEE10hipError_tT1_T2_PT3_SK_jT4_jjP12ihipStream_tbEUlT_E0_NS1_11comp_targetILNS1_3genE8ELNS1_11target_archE1030ELNS1_3gpuE2ELNS1_3repE0EEENS1_52radix_sort_onesweep_histogram_config_static_selectorELNS0_4arch9wavefront6targetE0EEEvSI_.has_dyn_sized_stack, 0
	.set _ZN7rocprim17ROCPRIM_400000_NS6detail17trampoline_kernelINS0_14default_configENS1_35radix_sort_onesweep_config_selectorIiNS0_10empty_typeEEEZNS1_34radix_sort_onesweep_global_offsetsIS3_Lb1EN6thrust23THRUST_200600_302600_NS6detail15normal_iteratorINS9_10device_ptrIiEEEEPS5_jNS0_19identity_decomposerEEE10hipError_tT1_T2_PT3_SK_jT4_jjP12ihipStream_tbEUlT_E0_NS1_11comp_targetILNS1_3genE8ELNS1_11target_archE1030ELNS1_3gpuE2ELNS1_3repE0EEENS1_52radix_sort_onesweep_histogram_config_static_selectorELNS0_4arch9wavefront6targetE0EEEvSI_.has_recursion, 0
	.set _ZN7rocprim17ROCPRIM_400000_NS6detail17trampoline_kernelINS0_14default_configENS1_35radix_sort_onesweep_config_selectorIiNS0_10empty_typeEEEZNS1_34radix_sort_onesweep_global_offsetsIS3_Lb1EN6thrust23THRUST_200600_302600_NS6detail15normal_iteratorINS9_10device_ptrIiEEEEPS5_jNS0_19identity_decomposerEEE10hipError_tT1_T2_PT3_SK_jT4_jjP12ihipStream_tbEUlT_E0_NS1_11comp_targetILNS1_3genE8ELNS1_11target_archE1030ELNS1_3gpuE2ELNS1_3repE0EEENS1_52radix_sort_onesweep_histogram_config_static_selectorELNS0_4arch9wavefront6targetE0EEEvSI_.has_indirect_call, 0
	.section	.AMDGPU.csdata,"",@progbits
; Kernel info:
; codeLenInByte = 544
; TotalNumSgprs: 12
; NumVgprs: 8
; ScratchSize: 0
; MemoryBound: 0
; FloatMode: 240
; IeeeMode: 1
; LDSByteSize: 128 bytes/workgroup (compile time only)
; SGPRBlocks: 0
; VGPRBlocks: 0
; NumSGPRsForWavesPerEU: 12
; NumVGPRsForWavesPerEU: 8
; Occupancy: 16
; WaveLimiterHint : 0
; COMPUTE_PGM_RSRC2:SCRATCH_EN: 0
; COMPUTE_PGM_RSRC2:USER_SGPR: 6
; COMPUTE_PGM_RSRC2:TRAP_HANDLER: 0
; COMPUTE_PGM_RSRC2:TGID_X_EN: 1
; COMPUTE_PGM_RSRC2:TGID_Y_EN: 0
; COMPUTE_PGM_RSRC2:TGID_Z_EN: 0
; COMPUTE_PGM_RSRC2:TIDIG_COMP_CNT: 0
	.section	.text._ZN7rocprim17ROCPRIM_400000_NS6detail17trampoline_kernelINS0_14default_configENS1_35radix_sort_onesweep_config_selectorIiNS0_10empty_typeEEEZZNS1_29radix_sort_onesweep_iterationIS3_Lb1EN6thrust23THRUST_200600_302600_NS6detail15normal_iteratorINS9_10device_ptrIiEEEESE_PS5_SF_jNS0_19identity_decomposerENS1_16block_id_wrapperIjLb1EEEEE10hipError_tT1_PNSt15iterator_traitsISK_E10value_typeET2_T3_PNSL_ISQ_E10value_typeET4_T5_PSV_SW_PNS1_23onesweep_lookback_stateEbbT6_jjT7_P12ihipStream_tbENKUlT_T0_SK_SP_E_clISE_SE_SF_SF_EEDaS13_S14_SK_SP_EUlS13_E_NS1_11comp_targetILNS1_3genE0ELNS1_11target_archE4294967295ELNS1_3gpuE0ELNS1_3repE0EEENS1_47radix_sort_onesweep_sort_config_static_selectorELNS0_4arch9wavefront6targetE0EEEvSK_,"axG",@progbits,_ZN7rocprim17ROCPRIM_400000_NS6detail17trampoline_kernelINS0_14default_configENS1_35radix_sort_onesweep_config_selectorIiNS0_10empty_typeEEEZZNS1_29radix_sort_onesweep_iterationIS3_Lb1EN6thrust23THRUST_200600_302600_NS6detail15normal_iteratorINS9_10device_ptrIiEEEESE_PS5_SF_jNS0_19identity_decomposerENS1_16block_id_wrapperIjLb1EEEEE10hipError_tT1_PNSt15iterator_traitsISK_E10value_typeET2_T3_PNSL_ISQ_E10value_typeET4_T5_PSV_SW_PNS1_23onesweep_lookback_stateEbbT6_jjT7_P12ihipStream_tbENKUlT_T0_SK_SP_E_clISE_SE_SF_SF_EEDaS13_S14_SK_SP_EUlS13_E_NS1_11comp_targetILNS1_3genE0ELNS1_11target_archE4294967295ELNS1_3gpuE0ELNS1_3repE0EEENS1_47radix_sort_onesweep_sort_config_static_selectorELNS0_4arch9wavefront6targetE0EEEvSK_,comdat
	.protected	_ZN7rocprim17ROCPRIM_400000_NS6detail17trampoline_kernelINS0_14default_configENS1_35radix_sort_onesweep_config_selectorIiNS0_10empty_typeEEEZZNS1_29radix_sort_onesweep_iterationIS3_Lb1EN6thrust23THRUST_200600_302600_NS6detail15normal_iteratorINS9_10device_ptrIiEEEESE_PS5_SF_jNS0_19identity_decomposerENS1_16block_id_wrapperIjLb1EEEEE10hipError_tT1_PNSt15iterator_traitsISK_E10value_typeET2_T3_PNSL_ISQ_E10value_typeET4_T5_PSV_SW_PNS1_23onesweep_lookback_stateEbbT6_jjT7_P12ihipStream_tbENKUlT_T0_SK_SP_E_clISE_SE_SF_SF_EEDaS13_S14_SK_SP_EUlS13_E_NS1_11comp_targetILNS1_3genE0ELNS1_11target_archE4294967295ELNS1_3gpuE0ELNS1_3repE0EEENS1_47radix_sort_onesweep_sort_config_static_selectorELNS0_4arch9wavefront6targetE0EEEvSK_ ; -- Begin function _ZN7rocprim17ROCPRIM_400000_NS6detail17trampoline_kernelINS0_14default_configENS1_35radix_sort_onesweep_config_selectorIiNS0_10empty_typeEEEZZNS1_29radix_sort_onesweep_iterationIS3_Lb1EN6thrust23THRUST_200600_302600_NS6detail15normal_iteratorINS9_10device_ptrIiEEEESE_PS5_SF_jNS0_19identity_decomposerENS1_16block_id_wrapperIjLb1EEEEE10hipError_tT1_PNSt15iterator_traitsISK_E10value_typeET2_T3_PNSL_ISQ_E10value_typeET4_T5_PSV_SW_PNS1_23onesweep_lookback_stateEbbT6_jjT7_P12ihipStream_tbENKUlT_T0_SK_SP_E_clISE_SE_SF_SF_EEDaS13_S14_SK_SP_EUlS13_E_NS1_11comp_targetILNS1_3genE0ELNS1_11target_archE4294967295ELNS1_3gpuE0ELNS1_3repE0EEENS1_47radix_sort_onesweep_sort_config_static_selectorELNS0_4arch9wavefront6targetE0EEEvSK_
	.globl	_ZN7rocprim17ROCPRIM_400000_NS6detail17trampoline_kernelINS0_14default_configENS1_35radix_sort_onesweep_config_selectorIiNS0_10empty_typeEEEZZNS1_29radix_sort_onesweep_iterationIS3_Lb1EN6thrust23THRUST_200600_302600_NS6detail15normal_iteratorINS9_10device_ptrIiEEEESE_PS5_SF_jNS0_19identity_decomposerENS1_16block_id_wrapperIjLb1EEEEE10hipError_tT1_PNSt15iterator_traitsISK_E10value_typeET2_T3_PNSL_ISQ_E10value_typeET4_T5_PSV_SW_PNS1_23onesweep_lookback_stateEbbT6_jjT7_P12ihipStream_tbENKUlT_T0_SK_SP_E_clISE_SE_SF_SF_EEDaS13_S14_SK_SP_EUlS13_E_NS1_11comp_targetILNS1_3genE0ELNS1_11target_archE4294967295ELNS1_3gpuE0ELNS1_3repE0EEENS1_47radix_sort_onesweep_sort_config_static_selectorELNS0_4arch9wavefront6targetE0EEEvSK_
	.p2align	8
	.type	_ZN7rocprim17ROCPRIM_400000_NS6detail17trampoline_kernelINS0_14default_configENS1_35radix_sort_onesweep_config_selectorIiNS0_10empty_typeEEEZZNS1_29radix_sort_onesweep_iterationIS3_Lb1EN6thrust23THRUST_200600_302600_NS6detail15normal_iteratorINS9_10device_ptrIiEEEESE_PS5_SF_jNS0_19identity_decomposerENS1_16block_id_wrapperIjLb1EEEEE10hipError_tT1_PNSt15iterator_traitsISK_E10value_typeET2_T3_PNSL_ISQ_E10value_typeET4_T5_PSV_SW_PNS1_23onesweep_lookback_stateEbbT6_jjT7_P12ihipStream_tbENKUlT_T0_SK_SP_E_clISE_SE_SF_SF_EEDaS13_S14_SK_SP_EUlS13_E_NS1_11comp_targetILNS1_3genE0ELNS1_11target_archE4294967295ELNS1_3gpuE0ELNS1_3repE0EEENS1_47radix_sort_onesweep_sort_config_static_selectorELNS0_4arch9wavefront6targetE0EEEvSK_,@function
_ZN7rocprim17ROCPRIM_400000_NS6detail17trampoline_kernelINS0_14default_configENS1_35radix_sort_onesweep_config_selectorIiNS0_10empty_typeEEEZZNS1_29radix_sort_onesweep_iterationIS3_Lb1EN6thrust23THRUST_200600_302600_NS6detail15normal_iteratorINS9_10device_ptrIiEEEESE_PS5_SF_jNS0_19identity_decomposerENS1_16block_id_wrapperIjLb1EEEEE10hipError_tT1_PNSt15iterator_traitsISK_E10value_typeET2_T3_PNSL_ISQ_E10value_typeET4_T5_PSV_SW_PNS1_23onesweep_lookback_stateEbbT6_jjT7_P12ihipStream_tbENKUlT_T0_SK_SP_E_clISE_SE_SF_SF_EEDaS13_S14_SK_SP_EUlS13_E_NS1_11comp_targetILNS1_3genE0ELNS1_11target_archE4294967295ELNS1_3gpuE0ELNS1_3repE0EEENS1_47radix_sort_onesweep_sort_config_static_selectorELNS0_4arch9wavefront6targetE0EEEvSK_: ; @_ZN7rocprim17ROCPRIM_400000_NS6detail17trampoline_kernelINS0_14default_configENS1_35radix_sort_onesweep_config_selectorIiNS0_10empty_typeEEEZZNS1_29radix_sort_onesweep_iterationIS3_Lb1EN6thrust23THRUST_200600_302600_NS6detail15normal_iteratorINS9_10device_ptrIiEEEESE_PS5_SF_jNS0_19identity_decomposerENS1_16block_id_wrapperIjLb1EEEEE10hipError_tT1_PNSt15iterator_traitsISK_E10value_typeET2_T3_PNSL_ISQ_E10value_typeET4_T5_PSV_SW_PNS1_23onesweep_lookback_stateEbbT6_jjT7_P12ihipStream_tbENKUlT_T0_SK_SP_E_clISE_SE_SF_SF_EEDaS13_S14_SK_SP_EUlS13_E_NS1_11comp_targetILNS1_3genE0ELNS1_11target_archE4294967295ELNS1_3gpuE0ELNS1_3repE0EEENS1_47radix_sort_onesweep_sort_config_static_selectorELNS0_4arch9wavefront6targetE0EEEvSK_
; %bb.0:
	.section	.rodata,"a",@progbits
	.p2align	6, 0x0
	.amdhsa_kernel _ZN7rocprim17ROCPRIM_400000_NS6detail17trampoline_kernelINS0_14default_configENS1_35radix_sort_onesweep_config_selectorIiNS0_10empty_typeEEEZZNS1_29radix_sort_onesweep_iterationIS3_Lb1EN6thrust23THRUST_200600_302600_NS6detail15normal_iteratorINS9_10device_ptrIiEEEESE_PS5_SF_jNS0_19identity_decomposerENS1_16block_id_wrapperIjLb1EEEEE10hipError_tT1_PNSt15iterator_traitsISK_E10value_typeET2_T3_PNSL_ISQ_E10value_typeET4_T5_PSV_SW_PNS1_23onesweep_lookback_stateEbbT6_jjT7_P12ihipStream_tbENKUlT_T0_SK_SP_E_clISE_SE_SF_SF_EEDaS13_S14_SK_SP_EUlS13_E_NS1_11comp_targetILNS1_3genE0ELNS1_11target_archE4294967295ELNS1_3gpuE0ELNS1_3repE0EEENS1_47radix_sort_onesweep_sort_config_static_selectorELNS0_4arch9wavefront6targetE0EEEvSK_
		.amdhsa_group_segment_fixed_size 0
		.amdhsa_private_segment_fixed_size 0
		.amdhsa_kernarg_size 88
		.amdhsa_user_sgpr_count 6
		.amdhsa_user_sgpr_private_segment_buffer 1
		.amdhsa_user_sgpr_dispatch_ptr 0
		.amdhsa_user_sgpr_queue_ptr 0
		.amdhsa_user_sgpr_kernarg_segment_ptr 1
		.amdhsa_user_sgpr_dispatch_id 0
		.amdhsa_user_sgpr_flat_scratch_init 0
		.amdhsa_user_sgpr_private_segment_size 0
		.amdhsa_wavefront_size32 1
		.amdhsa_uses_dynamic_stack 0
		.amdhsa_system_sgpr_private_segment_wavefront_offset 0
		.amdhsa_system_sgpr_workgroup_id_x 1
		.amdhsa_system_sgpr_workgroup_id_y 0
		.amdhsa_system_sgpr_workgroup_id_z 0
		.amdhsa_system_sgpr_workgroup_info 0
		.amdhsa_system_vgpr_workitem_id 0
		.amdhsa_next_free_vgpr 1
		.amdhsa_next_free_sgpr 1
		.amdhsa_reserve_vcc 0
		.amdhsa_reserve_flat_scratch 0
		.amdhsa_float_round_mode_32 0
		.amdhsa_float_round_mode_16_64 0
		.amdhsa_float_denorm_mode_32 3
		.amdhsa_float_denorm_mode_16_64 3
		.amdhsa_dx10_clamp 1
		.amdhsa_ieee_mode 1
		.amdhsa_fp16_overflow 0
		.amdhsa_workgroup_processor_mode 1
		.amdhsa_memory_ordered 1
		.amdhsa_forward_progress 1
		.amdhsa_shared_vgpr_count 0
		.amdhsa_exception_fp_ieee_invalid_op 0
		.amdhsa_exception_fp_denorm_src 0
		.amdhsa_exception_fp_ieee_div_zero 0
		.amdhsa_exception_fp_ieee_overflow 0
		.amdhsa_exception_fp_ieee_underflow 0
		.amdhsa_exception_fp_ieee_inexact 0
		.amdhsa_exception_int_div_zero 0
	.end_amdhsa_kernel
	.section	.text._ZN7rocprim17ROCPRIM_400000_NS6detail17trampoline_kernelINS0_14default_configENS1_35radix_sort_onesweep_config_selectorIiNS0_10empty_typeEEEZZNS1_29radix_sort_onesweep_iterationIS3_Lb1EN6thrust23THRUST_200600_302600_NS6detail15normal_iteratorINS9_10device_ptrIiEEEESE_PS5_SF_jNS0_19identity_decomposerENS1_16block_id_wrapperIjLb1EEEEE10hipError_tT1_PNSt15iterator_traitsISK_E10value_typeET2_T3_PNSL_ISQ_E10value_typeET4_T5_PSV_SW_PNS1_23onesweep_lookback_stateEbbT6_jjT7_P12ihipStream_tbENKUlT_T0_SK_SP_E_clISE_SE_SF_SF_EEDaS13_S14_SK_SP_EUlS13_E_NS1_11comp_targetILNS1_3genE0ELNS1_11target_archE4294967295ELNS1_3gpuE0ELNS1_3repE0EEENS1_47radix_sort_onesweep_sort_config_static_selectorELNS0_4arch9wavefront6targetE0EEEvSK_,"axG",@progbits,_ZN7rocprim17ROCPRIM_400000_NS6detail17trampoline_kernelINS0_14default_configENS1_35radix_sort_onesweep_config_selectorIiNS0_10empty_typeEEEZZNS1_29radix_sort_onesweep_iterationIS3_Lb1EN6thrust23THRUST_200600_302600_NS6detail15normal_iteratorINS9_10device_ptrIiEEEESE_PS5_SF_jNS0_19identity_decomposerENS1_16block_id_wrapperIjLb1EEEEE10hipError_tT1_PNSt15iterator_traitsISK_E10value_typeET2_T3_PNSL_ISQ_E10value_typeET4_T5_PSV_SW_PNS1_23onesweep_lookback_stateEbbT6_jjT7_P12ihipStream_tbENKUlT_T0_SK_SP_E_clISE_SE_SF_SF_EEDaS13_S14_SK_SP_EUlS13_E_NS1_11comp_targetILNS1_3genE0ELNS1_11target_archE4294967295ELNS1_3gpuE0ELNS1_3repE0EEENS1_47radix_sort_onesweep_sort_config_static_selectorELNS0_4arch9wavefront6targetE0EEEvSK_,comdat
.Lfunc_end336:
	.size	_ZN7rocprim17ROCPRIM_400000_NS6detail17trampoline_kernelINS0_14default_configENS1_35radix_sort_onesweep_config_selectorIiNS0_10empty_typeEEEZZNS1_29radix_sort_onesweep_iterationIS3_Lb1EN6thrust23THRUST_200600_302600_NS6detail15normal_iteratorINS9_10device_ptrIiEEEESE_PS5_SF_jNS0_19identity_decomposerENS1_16block_id_wrapperIjLb1EEEEE10hipError_tT1_PNSt15iterator_traitsISK_E10value_typeET2_T3_PNSL_ISQ_E10value_typeET4_T5_PSV_SW_PNS1_23onesweep_lookback_stateEbbT6_jjT7_P12ihipStream_tbENKUlT_T0_SK_SP_E_clISE_SE_SF_SF_EEDaS13_S14_SK_SP_EUlS13_E_NS1_11comp_targetILNS1_3genE0ELNS1_11target_archE4294967295ELNS1_3gpuE0ELNS1_3repE0EEENS1_47radix_sort_onesweep_sort_config_static_selectorELNS0_4arch9wavefront6targetE0EEEvSK_, .Lfunc_end336-_ZN7rocprim17ROCPRIM_400000_NS6detail17trampoline_kernelINS0_14default_configENS1_35radix_sort_onesweep_config_selectorIiNS0_10empty_typeEEEZZNS1_29radix_sort_onesweep_iterationIS3_Lb1EN6thrust23THRUST_200600_302600_NS6detail15normal_iteratorINS9_10device_ptrIiEEEESE_PS5_SF_jNS0_19identity_decomposerENS1_16block_id_wrapperIjLb1EEEEE10hipError_tT1_PNSt15iterator_traitsISK_E10value_typeET2_T3_PNSL_ISQ_E10value_typeET4_T5_PSV_SW_PNS1_23onesweep_lookback_stateEbbT6_jjT7_P12ihipStream_tbENKUlT_T0_SK_SP_E_clISE_SE_SF_SF_EEDaS13_S14_SK_SP_EUlS13_E_NS1_11comp_targetILNS1_3genE0ELNS1_11target_archE4294967295ELNS1_3gpuE0ELNS1_3repE0EEENS1_47radix_sort_onesweep_sort_config_static_selectorELNS0_4arch9wavefront6targetE0EEEvSK_
                                        ; -- End function
	.set _ZN7rocprim17ROCPRIM_400000_NS6detail17trampoline_kernelINS0_14default_configENS1_35radix_sort_onesweep_config_selectorIiNS0_10empty_typeEEEZZNS1_29radix_sort_onesweep_iterationIS3_Lb1EN6thrust23THRUST_200600_302600_NS6detail15normal_iteratorINS9_10device_ptrIiEEEESE_PS5_SF_jNS0_19identity_decomposerENS1_16block_id_wrapperIjLb1EEEEE10hipError_tT1_PNSt15iterator_traitsISK_E10value_typeET2_T3_PNSL_ISQ_E10value_typeET4_T5_PSV_SW_PNS1_23onesweep_lookback_stateEbbT6_jjT7_P12ihipStream_tbENKUlT_T0_SK_SP_E_clISE_SE_SF_SF_EEDaS13_S14_SK_SP_EUlS13_E_NS1_11comp_targetILNS1_3genE0ELNS1_11target_archE4294967295ELNS1_3gpuE0ELNS1_3repE0EEENS1_47radix_sort_onesweep_sort_config_static_selectorELNS0_4arch9wavefront6targetE0EEEvSK_.num_vgpr, 0
	.set _ZN7rocprim17ROCPRIM_400000_NS6detail17trampoline_kernelINS0_14default_configENS1_35radix_sort_onesweep_config_selectorIiNS0_10empty_typeEEEZZNS1_29radix_sort_onesweep_iterationIS3_Lb1EN6thrust23THRUST_200600_302600_NS6detail15normal_iteratorINS9_10device_ptrIiEEEESE_PS5_SF_jNS0_19identity_decomposerENS1_16block_id_wrapperIjLb1EEEEE10hipError_tT1_PNSt15iterator_traitsISK_E10value_typeET2_T3_PNSL_ISQ_E10value_typeET4_T5_PSV_SW_PNS1_23onesweep_lookback_stateEbbT6_jjT7_P12ihipStream_tbENKUlT_T0_SK_SP_E_clISE_SE_SF_SF_EEDaS13_S14_SK_SP_EUlS13_E_NS1_11comp_targetILNS1_3genE0ELNS1_11target_archE4294967295ELNS1_3gpuE0ELNS1_3repE0EEENS1_47radix_sort_onesweep_sort_config_static_selectorELNS0_4arch9wavefront6targetE0EEEvSK_.num_agpr, 0
	.set _ZN7rocprim17ROCPRIM_400000_NS6detail17trampoline_kernelINS0_14default_configENS1_35radix_sort_onesweep_config_selectorIiNS0_10empty_typeEEEZZNS1_29radix_sort_onesweep_iterationIS3_Lb1EN6thrust23THRUST_200600_302600_NS6detail15normal_iteratorINS9_10device_ptrIiEEEESE_PS5_SF_jNS0_19identity_decomposerENS1_16block_id_wrapperIjLb1EEEEE10hipError_tT1_PNSt15iterator_traitsISK_E10value_typeET2_T3_PNSL_ISQ_E10value_typeET4_T5_PSV_SW_PNS1_23onesweep_lookback_stateEbbT6_jjT7_P12ihipStream_tbENKUlT_T0_SK_SP_E_clISE_SE_SF_SF_EEDaS13_S14_SK_SP_EUlS13_E_NS1_11comp_targetILNS1_3genE0ELNS1_11target_archE4294967295ELNS1_3gpuE0ELNS1_3repE0EEENS1_47radix_sort_onesweep_sort_config_static_selectorELNS0_4arch9wavefront6targetE0EEEvSK_.numbered_sgpr, 0
	.set _ZN7rocprim17ROCPRIM_400000_NS6detail17trampoline_kernelINS0_14default_configENS1_35radix_sort_onesweep_config_selectorIiNS0_10empty_typeEEEZZNS1_29radix_sort_onesweep_iterationIS3_Lb1EN6thrust23THRUST_200600_302600_NS6detail15normal_iteratorINS9_10device_ptrIiEEEESE_PS5_SF_jNS0_19identity_decomposerENS1_16block_id_wrapperIjLb1EEEEE10hipError_tT1_PNSt15iterator_traitsISK_E10value_typeET2_T3_PNSL_ISQ_E10value_typeET4_T5_PSV_SW_PNS1_23onesweep_lookback_stateEbbT6_jjT7_P12ihipStream_tbENKUlT_T0_SK_SP_E_clISE_SE_SF_SF_EEDaS13_S14_SK_SP_EUlS13_E_NS1_11comp_targetILNS1_3genE0ELNS1_11target_archE4294967295ELNS1_3gpuE0ELNS1_3repE0EEENS1_47radix_sort_onesweep_sort_config_static_selectorELNS0_4arch9wavefront6targetE0EEEvSK_.num_named_barrier, 0
	.set _ZN7rocprim17ROCPRIM_400000_NS6detail17trampoline_kernelINS0_14default_configENS1_35radix_sort_onesweep_config_selectorIiNS0_10empty_typeEEEZZNS1_29radix_sort_onesweep_iterationIS3_Lb1EN6thrust23THRUST_200600_302600_NS6detail15normal_iteratorINS9_10device_ptrIiEEEESE_PS5_SF_jNS0_19identity_decomposerENS1_16block_id_wrapperIjLb1EEEEE10hipError_tT1_PNSt15iterator_traitsISK_E10value_typeET2_T3_PNSL_ISQ_E10value_typeET4_T5_PSV_SW_PNS1_23onesweep_lookback_stateEbbT6_jjT7_P12ihipStream_tbENKUlT_T0_SK_SP_E_clISE_SE_SF_SF_EEDaS13_S14_SK_SP_EUlS13_E_NS1_11comp_targetILNS1_3genE0ELNS1_11target_archE4294967295ELNS1_3gpuE0ELNS1_3repE0EEENS1_47radix_sort_onesweep_sort_config_static_selectorELNS0_4arch9wavefront6targetE0EEEvSK_.private_seg_size, 0
	.set _ZN7rocprim17ROCPRIM_400000_NS6detail17trampoline_kernelINS0_14default_configENS1_35radix_sort_onesweep_config_selectorIiNS0_10empty_typeEEEZZNS1_29radix_sort_onesweep_iterationIS3_Lb1EN6thrust23THRUST_200600_302600_NS6detail15normal_iteratorINS9_10device_ptrIiEEEESE_PS5_SF_jNS0_19identity_decomposerENS1_16block_id_wrapperIjLb1EEEEE10hipError_tT1_PNSt15iterator_traitsISK_E10value_typeET2_T3_PNSL_ISQ_E10value_typeET4_T5_PSV_SW_PNS1_23onesweep_lookback_stateEbbT6_jjT7_P12ihipStream_tbENKUlT_T0_SK_SP_E_clISE_SE_SF_SF_EEDaS13_S14_SK_SP_EUlS13_E_NS1_11comp_targetILNS1_3genE0ELNS1_11target_archE4294967295ELNS1_3gpuE0ELNS1_3repE0EEENS1_47radix_sort_onesweep_sort_config_static_selectorELNS0_4arch9wavefront6targetE0EEEvSK_.uses_vcc, 0
	.set _ZN7rocprim17ROCPRIM_400000_NS6detail17trampoline_kernelINS0_14default_configENS1_35radix_sort_onesweep_config_selectorIiNS0_10empty_typeEEEZZNS1_29radix_sort_onesweep_iterationIS3_Lb1EN6thrust23THRUST_200600_302600_NS6detail15normal_iteratorINS9_10device_ptrIiEEEESE_PS5_SF_jNS0_19identity_decomposerENS1_16block_id_wrapperIjLb1EEEEE10hipError_tT1_PNSt15iterator_traitsISK_E10value_typeET2_T3_PNSL_ISQ_E10value_typeET4_T5_PSV_SW_PNS1_23onesweep_lookback_stateEbbT6_jjT7_P12ihipStream_tbENKUlT_T0_SK_SP_E_clISE_SE_SF_SF_EEDaS13_S14_SK_SP_EUlS13_E_NS1_11comp_targetILNS1_3genE0ELNS1_11target_archE4294967295ELNS1_3gpuE0ELNS1_3repE0EEENS1_47radix_sort_onesweep_sort_config_static_selectorELNS0_4arch9wavefront6targetE0EEEvSK_.uses_flat_scratch, 0
	.set _ZN7rocprim17ROCPRIM_400000_NS6detail17trampoline_kernelINS0_14default_configENS1_35radix_sort_onesweep_config_selectorIiNS0_10empty_typeEEEZZNS1_29radix_sort_onesweep_iterationIS3_Lb1EN6thrust23THRUST_200600_302600_NS6detail15normal_iteratorINS9_10device_ptrIiEEEESE_PS5_SF_jNS0_19identity_decomposerENS1_16block_id_wrapperIjLb1EEEEE10hipError_tT1_PNSt15iterator_traitsISK_E10value_typeET2_T3_PNSL_ISQ_E10value_typeET4_T5_PSV_SW_PNS1_23onesweep_lookback_stateEbbT6_jjT7_P12ihipStream_tbENKUlT_T0_SK_SP_E_clISE_SE_SF_SF_EEDaS13_S14_SK_SP_EUlS13_E_NS1_11comp_targetILNS1_3genE0ELNS1_11target_archE4294967295ELNS1_3gpuE0ELNS1_3repE0EEENS1_47radix_sort_onesweep_sort_config_static_selectorELNS0_4arch9wavefront6targetE0EEEvSK_.has_dyn_sized_stack, 0
	.set _ZN7rocprim17ROCPRIM_400000_NS6detail17trampoline_kernelINS0_14default_configENS1_35radix_sort_onesweep_config_selectorIiNS0_10empty_typeEEEZZNS1_29radix_sort_onesweep_iterationIS3_Lb1EN6thrust23THRUST_200600_302600_NS6detail15normal_iteratorINS9_10device_ptrIiEEEESE_PS5_SF_jNS0_19identity_decomposerENS1_16block_id_wrapperIjLb1EEEEE10hipError_tT1_PNSt15iterator_traitsISK_E10value_typeET2_T3_PNSL_ISQ_E10value_typeET4_T5_PSV_SW_PNS1_23onesweep_lookback_stateEbbT6_jjT7_P12ihipStream_tbENKUlT_T0_SK_SP_E_clISE_SE_SF_SF_EEDaS13_S14_SK_SP_EUlS13_E_NS1_11comp_targetILNS1_3genE0ELNS1_11target_archE4294967295ELNS1_3gpuE0ELNS1_3repE0EEENS1_47radix_sort_onesweep_sort_config_static_selectorELNS0_4arch9wavefront6targetE0EEEvSK_.has_recursion, 0
	.set _ZN7rocprim17ROCPRIM_400000_NS6detail17trampoline_kernelINS0_14default_configENS1_35radix_sort_onesweep_config_selectorIiNS0_10empty_typeEEEZZNS1_29radix_sort_onesweep_iterationIS3_Lb1EN6thrust23THRUST_200600_302600_NS6detail15normal_iteratorINS9_10device_ptrIiEEEESE_PS5_SF_jNS0_19identity_decomposerENS1_16block_id_wrapperIjLb1EEEEE10hipError_tT1_PNSt15iterator_traitsISK_E10value_typeET2_T3_PNSL_ISQ_E10value_typeET4_T5_PSV_SW_PNS1_23onesweep_lookback_stateEbbT6_jjT7_P12ihipStream_tbENKUlT_T0_SK_SP_E_clISE_SE_SF_SF_EEDaS13_S14_SK_SP_EUlS13_E_NS1_11comp_targetILNS1_3genE0ELNS1_11target_archE4294967295ELNS1_3gpuE0ELNS1_3repE0EEENS1_47radix_sort_onesweep_sort_config_static_selectorELNS0_4arch9wavefront6targetE0EEEvSK_.has_indirect_call, 0
	.section	.AMDGPU.csdata,"",@progbits
; Kernel info:
; codeLenInByte = 0
; TotalNumSgprs: 0
; NumVgprs: 0
; ScratchSize: 0
; MemoryBound: 0
; FloatMode: 240
; IeeeMode: 1
; LDSByteSize: 0 bytes/workgroup (compile time only)
; SGPRBlocks: 0
; VGPRBlocks: 0
; NumSGPRsForWavesPerEU: 1
; NumVGPRsForWavesPerEU: 1
; Occupancy: 16
; WaveLimiterHint : 0
; COMPUTE_PGM_RSRC2:SCRATCH_EN: 0
; COMPUTE_PGM_RSRC2:USER_SGPR: 6
; COMPUTE_PGM_RSRC2:TRAP_HANDLER: 0
; COMPUTE_PGM_RSRC2:TGID_X_EN: 1
; COMPUTE_PGM_RSRC2:TGID_Y_EN: 0
; COMPUTE_PGM_RSRC2:TGID_Z_EN: 0
; COMPUTE_PGM_RSRC2:TIDIG_COMP_CNT: 0
	.section	.text._ZN7rocprim17ROCPRIM_400000_NS6detail17trampoline_kernelINS0_14default_configENS1_35radix_sort_onesweep_config_selectorIiNS0_10empty_typeEEEZZNS1_29radix_sort_onesweep_iterationIS3_Lb1EN6thrust23THRUST_200600_302600_NS6detail15normal_iteratorINS9_10device_ptrIiEEEESE_PS5_SF_jNS0_19identity_decomposerENS1_16block_id_wrapperIjLb1EEEEE10hipError_tT1_PNSt15iterator_traitsISK_E10value_typeET2_T3_PNSL_ISQ_E10value_typeET4_T5_PSV_SW_PNS1_23onesweep_lookback_stateEbbT6_jjT7_P12ihipStream_tbENKUlT_T0_SK_SP_E_clISE_SE_SF_SF_EEDaS13_S14_SK_SP_EUlS13_E_NS1_11comp_targetILNS1_3genE6ELNS1_11target_archE950ELNS1_3gpuE13ELNS1_3repE0EEENS1_47radix_sort_onesweep_sort_config_static_selectorELNS0_4arch9wavefront6targetE0EEEvSK_,"axG",@progbits,_ZN7rocprim17ROCPRIM_400000_NS6detail17trampoline_kernelINS0_14default_configENS1_35radix_sort_onesweep_config_selectorIiNS0_10empty_typeEEEZZNS1_29radix_sort_onesweep_iterationIS3_Lb1EN6thrust23THRUST_200600_302600_NS6detail15normal_iteratorINS9_10device_ptrIiEEEESE_PS5_SF_jNS0_19identity_decomposerENS1_16block_id_wrapperIjLb1EEEEE10hipError_tT1_PNSt15iterator_traitsISK_E10value_typeET2_T3_PNSL_ISQ_E10value_typeET4_T5_PSV_SW_PNS1_23onesweep_lookback_stateEbbT6_jjT7_P12ihipStream_tbENKUlT_T0_SK_SP_E_clISE_SE_SF_SF_EEDaS13_S14_SK_SP_EUlS13_E_NS1_11comp_targetILNS1_3genE6ELNS1_11target_archE950ELNS1_3gpuE13ELNS1_3repE0EEENS1_47radix_sort_onesweep_sort_config_static_selectorELNS0_4arch9wavefront6targetE0EEEvSK_,comdat
	.protected	_ZN7rocprim17ROCPRIM_400000_NS6detail17trampoline_kernelINS0_14default_configENS1_35radix_sort_onesweep_config_selectorIiNS0_10empty_typeEEEZZNS1_29radix_sort_onesweep_iterationIS3_Lb1EN6thrust23THRUST_200600_302600_NS6detail15normal_iteratorINS9_10device_ptrIiEEEESE_PS5_SF_jNS0_19identity_decomposerENS1_16block_id_wrapperIjLb1EEEEE10hipError_tT1_PNSt15iterator_traitsISK_E10value_typeET2_T3_PNSL_ISQ_E10value_typeET4_T5_PSV_SW_PNS1_23onesweep_lookback_stateEbbT6_jjT7_P12ihipStream_tbENKUlT_T0_SK_SP_E_clISE_SE_SF_SF_EEDaS13_S14_SK_SP_EUlS13_E_NS1_11comp_targetILNS1_3genE6ELNS1_11target_archE950ELNS1_3gpuE13ELNS1_3repE0EEENS1_47radix_sort_onesweep_sort_config_static_selectorELNS0_4arch9wavefront6targetE0EEEvSK_ ; -- Begin function _ZN7rocprim17ROCPRIM_400000_NS6detail17trampoline_kernelINS0_14default_configENS1_35radix_sort_onesweep_config_selectorIiNS0_10empty_typeEEEZZNS1_29radix_sort_onesweep_iterationIS3_Lb1EN6thrust23THRUST_200600_302600_NS6detail15normal_iteratorINS9_10device_ptrIiEEEESE_PS5_SF_jNS0_19identity_decomposerENS1_16block_id_wrapperIjLb1EEEEE10hipError_tT1_PNSt15iterator_traitsISK_E10value_typeET2_T3_PNSL_ISQ_E10value_typeET4_T5_PSV_SW_PNS1_23onesweep_lookback_stateEbbT6_jjT7_P12ihipStream_tbENKUlT_T0_SK_SP_E_clISE_SE_SF_SF_EEDaS13_S14_SK_SP_EUlS13_E_NS1_11comp_targetILNS1_3genE6ELNS1_11target_archE950ELNS1_3gpuE13ELNS1_3repE0EEENS1_47radix_sort_onesweep_sort_config_static_selectorELNS0_4arch9wavefront6targetE0EEEvSK_
	.globl	_ZN7rocprim17ROCPRIM_400000_NS6detail17trampoline_kernelINS0_14default_configENS1_35radix_sort_onesweep_config_selectorIiNS0_10empty_typeEEEZZNS1_29radix_sort_onesweep_iterationIS3_Lb1EN6thrust23THRUST_200600_302600_NS6detail15normal_iteratorINS9_10device_ptrIiEEEESE_PS5_SF_jNS0_19identity_decomposerENS1_16block_id_wrapperIjLb1EEEEE10hipError_tT1_PNSt15iterator_traitsISK_E10value_typeET2_T3_PNSL_ISQ_E10value_typeET4_T5_PSV_SW_PNS1_23onesweep_lookback_stateEbbT6_jjT7_P12ihipStream_tbENKUlT_T0_SK_SP_E_clISE_SE_SF_SF_EEDaS13_S14_SK_SP_EUlS13_E_NS1_11comp_targetILNS1_3genE6ELNS1_11target_archE950ELNS1_3gpuE13ELNS1_3repE0EEENS1_47radix_sort_onesweep_sort_config_static_selectorELNS0_4arch9wavefront6targetE0EEEvSK_
	.p2align	8
	.type	_ZN7rocprim17ROCPRIM_400000_NS6detail17trampoline_kernelINS0_14default_configENS1_35radix_sort_onesweep_config_selectorIiNS0_10empty_typeEEEZZNS1_29radix_sort_onesweep_iterationIS3_Lb1EN6thrust23THRUST_200600_302600_NS6detail15normal_iteratorINS9_10device_ptrIiEEEESE_PS5_SF_jNS0_19identity_decomposerENS1_16block_id_wrapperIjLb1EEEEE10hipError_tT1_PNSt15iterator_traitsISK_E10value_typeET2_T3_PNSL_ISQ_E10value_typeET4_T5_PSV_SW_PNS1_23onesweep_lookback_stateEbbT6_jjT7_P12ihipStream_tbENKUlT_T0_SK_SP_E_clISE_SE_SF_SF_EEDaS13_S14_SK_SP_EUlS13_E_NS1_11comp_targetILNS1_3genE6ELNS1_11target_archE950ELNS1_3gpuE13ELNS1_3repE0EEENS1_47radix_sort_onesweep_sort_config_static_selectorELNS0_4arch9wavefront6targetE0EEEvSK_,@function
_ZN7rocprim17ROCPRIM_400000_NS6detail17trampoline_kernelINS0_14default_configENS1_35radix_sort_onesweep_config_selectorIiNS0_10empty_typeEEEZZNS1_29radix_sort_onesweep_iterationIS3_Lb1EN6thrust23THRUST_200600_302600_NS6detail15normal_iteratorINS9_10device_ptrIiEEEESE_PS5_SF_jNS0_19identity_decomposerENS1_16block_id_wrapperIjLb1EEEEE10hipError_tT1_PNSt15iterator_traitsISK_E10value_typeET2_T3_PNSL_ISQ_E10value_typeET4_T5_PSV_SW_PNS1_23onesweep_lookback_stateEbbT6_jjT7_P12ihipStream_tbENKUlT_T0_SK_SP_E_clISE_SE_SF_SF_EEDaS13_S14_SK_SP_EUlS13_E_NS1_11comp_targetILNS1_3genE6ELNS1_11target_archE950ELNS1_3gpuE13ELNS1_3repE0EEENS1_47radix_sort_onesweep_sort_config_static_selectorELNS0_4arch9wavefront6targetE0EEEvSK_: ; @_ZN7rocprim17ROCPRIM_400000_NS6detail17trampoline_kernelINS0_14default_configENS1_35radix_sort_onesweep_config_selectorIiNS0_10empty_typeEEEZZNS1_29radix_sort_onesweep_iterationIS3_Lb1EN6thrust23THRUST_200600_302600_NS6detail15normal_iteratorINS9_10device_ptrIiEEEESE_PS5_SF_jNS0_19identity_decomposerENS1_16block_id_wrapperIjLb1EEEEE10hipError_tT1_PNSt15iterator_traitsISK_E10value_typeET2_T3_PNSL_ISQ_E10value_typeET4_T5_PSV_SW_PNS1_23onesweep_lookback_stateEbbT6_jjT7_P12ihipStream_tbENKUlT_T0_SK_SP_E_clISE_SE_SF_SF_EEDaS13_S14_SK_SP_EUlS13_E_NS1_11comp_targetILNS1_3genE6ELNS1_11target_archE950ELNS1_3gpuE13ELNS1_3repE0EEENS1_47radix_sort_onesweep_sort_config_static_selectorELNS0_4arch9wavefront6targetE0EEEvSK_
; %bb.0:
	.section	.rodata,"a",@progbits
	.p2align	6, 0x0
	.amdhsa_kernel _ZN7rocprim17ROCPRIM_400000_NS6detail17trampoline_kernelINS0_14default_configENS1_35radix_sort_onesweep_config_selectorIiNS0_10empty_typeEEEZZNS1_29radix_sort_onesweep_iterationIS3_Lb1EN6thrust23THRUST_200600_302600_NS6detail15normal_iteratorINS9_10device_ptrIiEEEESE_PS5_SF_jNS0_19identity_decomposerENS1_16block_id_wrapperIjLb1EEEEE10hipError_tT1_PNSt15iterator_traitsISK_E10value_typeET2_T3_PNSL_ISQ_E10value_typeET4_T5_PSV_SW_PNS1_23onesweep_lookback_stateEbbT6_jjT7_P12ihipStream_tbENKUlT_T0_SK_SP_E_clISE_SE_SF_SF_EEDaS13_S14_SK_SP_EUlS13_E_NS1_11comp_targetILNS1_3genE6ELNS1_11target_archE950ELNS1_3gpuE13ELNS1_3repE0EEENS1_47radix_sort_onesweep_sort_config_static_selectorELNS0_4arch9wavefront6targetE0EEEvSK_
		.amdhsa_group_segment_fixed_size 0
		.amdhsa_private_segment_fixed_size 0
		.amdhsa_kernarg_size 88
		.amdhsa_user_sgpr_count 6
		.amdhsa_user_sgpr_private_segment_buffer 1
		.amdhsa_user_sgpr_dispatch_ptr 0
		.amdhsa_user_sgpr_queue_ptr 0
		.amdhsa_user_sgpr_kernarg_segment_ptr 1
		.amdhsa_user_sgpr_dispatch_id 0
		.amdhsa_user_sgpr_flat_scratch_init 0
		.amdhsa_user_sgpr_private_segment_size 0
		.amdhsa_wavefront_size32 1
		.amdhsa_uses_dynamic_stack 0
		.amdhsa_system_sgpr_private_segment_wavefront_offset 0
		.amdhsa_system_sgpr_workgroup_id_x 1
		.amdhsa_system_sgpr_workgroup_id_y 0
		.amdhsa_system_sgpr_workgroup_id_z 0
		.amdhsa_system_sgpr_workgroup_info 0
		.amdhsa_system_vgpr_workitem_id 0
		.amdhsa_next_free_vgpr 1
		.amdhsa_next_free_sgpr 1
		.amdhsa_reserve_vcc 0
		.amdhsa_reserve_flat_scratch 0
		.amdhsa_float_round_mode_32 0
		.amdhsa_float_round_mode_16_64 0
		.amdhsa_float_denorm_mode_32 3
		.amdhsa_float_denorm_mode_16_64 3
		.amdhsa_dx10_clamp 1
		.amdhsa_ieee_mode 1
		.amdhsa_fp16_overflow 0
		.amdhsa_workgroup_processor_mode 1
		.amdhsa_memory_ordered 1
		.amdhsa_forward_progress 1
		.amdhsa_shared_vgpr_count 0
		.amdhsa_exception_fp_ieee_invalid_op 0
		.amdhsa_exception_fp_denorm_src 0
		.amdhsa_exception_fp_ieee_div_zero 0
		.amdhsa_exception_fp_ieee_overflow 0
		.amdhsa_exception_fp_ieee_underflow 0
		.amdhsa_exception_fp_ieee_inexact 0
		.amdhsa_exception_int_div_zero 0
	.end_amdhsa_kernel
	.section	.text._ZN7rocprim17ROCPRIM_400000_NS6detail17trampoline_kernelINS0_14default_configENS1_35radix_sort_onesweep_config_selectorIiNS0_10empty_typeEEEZZNS1_29radix_sort_onesweep_iterationIS3_Lb1EN6thrust23THRUST_200600_302600_NS6detail15normal_iteratorINS9_10device_ptrIiEEEESE_PS5_SF_jNS0_19identity_decomposerENS1_16block_id_wrapperIjLb1EEEEE10hipError_tT1_PNSt15iterator_traitsISK_E10value_typeET2_T3_PNSL_ISQ_E10value_typeET4_T5_PSV_SW_PNS1_23onesweep_lookback_stateEbbT6_jjT7_P12ihipStream_tbENKUlT_T0_SK_SP_E_clISE_SE_SF_SF_EEDaS13_S14_SK_SP_EUlS13_E_NS1_11comp_targetILNS1_3genE6ELNS1_11target_archE950ELNS1_3gpuE13ELNS1_3repE0EEENS1_47radix_sort_onesweep_sort_config_static_selectorELNS0_4arch9wavefront6targetE0EEEvSK_,"axG",@progbits,_ZN7rocprim17ROCPRIM_400000_NS6detail17trampoline_kernelINS0_14default_configENS1_35radix_sort_onesweep_config_selectorIiNS0_10empty_typeEEEZZNS1_29radix_sort_onesweep_iterationIS3_Lb1EN6thrust23THRUST_200600_302600_NS6detail15normal_iteratorINS9_10device_ptrIiEEEESE_PS5_SF_jNS0_19identity_decomposerENS1_16block_id_wrapperIjLb1EEEEE10hipError_tT1_PNSt15iterator_traitsISK_E10value_typeET2_T3_PNSL_ISQ_E10value_typeET4_T5_PSV_SW_PNS1_23onesweep_lookback_stateEbbT6_jjT7_P12ihipStream_tbENKUlT_T0_SK_SP_E_clISE_SE_SF_SF_EEDaS13_S14_SK_SP_EUlS13_E_NS1_11comp_targetILNS1_3genE6ELNS1_11target_archE950ELNS1_3gpuE13ELNS1_3repE0EEENS1_47radix_sort_onesweep_sort_config_static_selectorELNS0_4arch9wavefront6targetE0EEEvSK_,comdat
.Lfunc_end337:
	.size	_ZN7rocprim17ROCPRIM_400000_NS6detail17trampoline_kernelINS0_14default_configENS1_35radix_sort_onesweep_config_selectorIiNS0_10empty_typeEEEZZNS1_29radix_sort_onesweep_iterationIS3_Lb1EN6thrust23THRUST_200600_302600_NS6detail15normal_iteratorINS9_10device_ptrIiEEEESE_PS5_SF_jNS0_19identity_decomposerENS1_16block_id_wrapperIjLb1EEEEE10hipError_tT1_PNSt15iterator_traitsISK_E10value_typeET2_T3_PNSL_ISQ_E10value_typeET4_T5_PSV_SW_PNS1_23onesweep_lookback_stateEbbT6_jjT7_P12ihipStream_tbENKUlT_T0_SK_SP_E_clISE_SE_SF_SF_EEDaS13_S14_SK_SP_EUlS13_E_NS1_11comp_targetILNS1_3genE6ELNS1_11target_archE950ELNS1_3gpuE13ELNS1_3repE0EEENS1_47radix_sort_onesweep_sort_config_static_selectorELNS0_4arch9wavefront6targetE0EEEvSK_, .Lfunc_end337-_ZN7rocprim17ROCPRIM_400000_NS6detail17trampoline_kernelINS0_14default_configENS1_35radix_sort_onesweep_config_selectorIiNS0_10empty_typeEEEZZNS1_29radix_sort_onesweep_iterationIS3_Lb1EN6thrust23THRUST_200600_302600_NS6detail15normal_iteratorINS9_10device_ptrIiEEEESE_PS5_SF_jNS0_19identity_decomposerENS1_16block_id_wrapperIjLb1EEEEE10hipError_tT1_PNSt15iterator_traitsISK_E10value_typeET2_T3_PNSL_ISQ_E10value_typeET4_T5_PSV_SW_PNS1_23onesweep_lookback_stateEbbT6_jjT7_P12ihipStream_tbENKUlT_T0_SK_SP_E_clISE_SE_SF_SF_EEDaS13_S14_SK_SP_EUlS13_E_NS1_11comp_targetILNS1_3genE6ELNS1_11target_archE950ELNS1_3gpuE13ELNS1_3repE0EEENS1_47radix_sort_onesweep_sort_config_static_selectorELNS0_4arch9wavefront6targetE0EEEvSK_
                                        ; -- End function
	.set _ZN7rocprim17ROCPRIM_400000_NS6detail17trampoline_kernelINS0_14default_configENS1_35radix_sort_onesweep_config_selectorIiNS0_10empty_typeEEEZZNS1_29radix_sort_onesweep_iterationIS3_Lb1EN6thrust23THRUST_200600_302600_NS6detail15normal_iteratorINS9_10device_ptrIiEEEESE_PS5_SF_jNS0_19identity_decomposerENS1_16block_id_wrapperIjLb1EEEEE10hipError_tT1_PNSt15iterator_traitsISK_E10value_typeET2_T3_PNSL_ISQ_E10value_typeET4_T5_PSV_SW_PNS1_23onesweep_lookback_stateEbbT6_jjT7_P12ihipStream_tbENKUlT_T0_SK_SP_E_clISE_SE_SF_SF_EEDaS13_S14_SK_SP_EUlS13_E_NS1_11comp_targetILNS1_3genE6ELNS1_11target_archE950ELNS1_3gpuE13ELNS1_3repE0EEENS1_47radix_sort_onesweep_sort_config_static_selectorELNS0_4arch9wavefront6targetE0EEEvSK_.num_vgpr, 0
	.set _ZN7rocprim17ROCPRIM_400000_NS6detail17trampoline_kernelINS0_14default_configENS1_35radix_sort_onesweep_config_selectorIiNS0_10empty_typeEEEZZNS1_29radix_sort_onesweep_iterationIS3_Lb1EN6thrust23THRUST_200600_302600_NS6detail15normal_iteratorINS9_10device_ptrIiEEEESE_PS5_SF_jNS0_19identity_decomposerENS1_16block_id_wrapperIjLb1EEEEE10hipError_tT1_PNSt15iterator_traitsISK_E10value_typeET2_T3_PNSL_ISQ_E10value_typeET4_T5_PSV_SW_PNS1_23onesweep_lookback_stateEbbT6_jjT7_P12ihipStream_tbENKUlT_T0_SK_SP_E_clISE_SE_SF_SF_EEDaS13_S14_SK_SP_EUlS13_E_NS1_11comp_targetILNS1_3genE6ELNS1_11target_archE950ELNS1_3gpuE13ELNS1_3repE0EEENS1_47radix_sort_onesweep_sort_config_static_selectorELNS0_4arch9wavefront6targetE0EEEvSK_.num_agpr, 0
	.set _ZN7rocprim17ROCPRIM_400000_NS6detail17trampoline_kernelINS0_14default_configENS1_35radix_sort_onesweep_config_selectorIiNS0_10empty_typeEEEZZNS1_29radix_sort_onesweep_iterationIS3_Lb1EN6thrust23THRUST_200600_302600_NS6detail15normal_iteratorINS9_10device_ptrIiEEEESE_PS5_SF_jNS0_19identity_decomposerENS1_16block_id_wrapperIjLb1EEEEE10hipError_tT1_PNSt15iterator_traitsISK_E10value_typeET2_T3_PNSL_ISQ_E10value_typeET4_T5_PSV_SW_PNS1_23onesweep_lookback_stateEbbT6_jjT7_P12ihipStream_tbENKUlT_T0_SK_SP_E_clISE_SE_SF_SF_EEDaS13_S14_SK_SP_EUlS13_E_NS1_11comp_targetILNS1_3genE6ELNS1_11target_archE950ELNS1_3gpuE13ELNS1_3repE0EEENS1_47radix_sort_onesweep_sort_config_static_selectorELNS0_4arch9wavefront6targetE0EEEvSK_.numbered_sgpr, 0
	.set _ZN7rocprim17ROCPRIM_400000_NS6detail17trampoline_kernelINS0_14default_configENS1_35radix_sort_onesweep_config_selectorIiNS0_10empty_typeEEEZZNS1_29radix_sort_onesweep_iterationIS3_Lb1EN6thrust23THRUST_200600_302600_NS6detail15normal_iteratorINS9_10device_ptrIiEEEESE_PS5_SF_jNS0_19identity_decomposerENS1_16block_id_wrapperIjLb1EEEEE10hipError_tT1_PNSt15iterator_traitsISK_E10value_typeET2_T3_PNSL_ISQ_E10value_typeET4_T5_PSV_SW_PNS1_23onesweep_lookback_stateEbbT6_jjT7_P12ihipStream_tbENKUlT_T0_SK_SP_E_clISE_SE_SF_SF_EEDaS13_S14_SK_SP_EUlS13_E_NS1_11comp_targetILNS1_3genE6ELNS1_11target_archE950ELNS1_3gpuE13ELNS1_3repE0EEENS1_47radix_sort_onesweep_sort_config_static_selectorELNS0_4arch9wavefront6targetE0EEEvSK_.num_named_barrier, 0
	.set _ZN7rocprim17ROCPRIM_400000_NS6detail17trampoline_kernelINS0_14default_configENS1_35radix_sort_onesweep_config_selectorIiNS0_10empty_typeEEEZZNS1_29radix_sort_onesweep_iterationIS3_Lb1EN6thrust23THRUST_200600_302600_NS6detail15normal_iteratorINS9_10device_ptrIiEEEESE_PS5_SF_jNS0_19identity_decomposerENS1_16block_id_wrapperIjLb1EEEEE10hipError_tT1_PNSt15iterator_traitsISK_E10value_typeET2_T3_PNSL_ISQ_E10value_typeET4_T5_PSV_SW_PNS1_23onesweep_lookback_stateEbbT6_jjT7_P12ihipStream_tbENKUlT_T0_SK_SP_E_clISE_SE_SF_SF_EEDaS13_S14_SK_SP_EUlS13_E_NS1_11comp_targetILNS1_3genE6ELNS1_11target_archE950ELNS1_3gpuE13ELNS1_3repE0EEENS1_47radix_sort_onesweep_sort_config_static_selectorELNS0_4arch9wavefront6targetE0EEEvSK_.private_seg_size, 0
	.set _ZN7rocprim17ROCPRIM_400000_NS6detail17trampoline_kernelINS0_14default_configENS1_35radix_sort_onesweep_config_selectorIiNS0_10empty_typeEEEZZNS1_29radix_sort_onesweep_iterationIS3_Lb1EN6thrust23THRUST_200600_302600_NS6detail15normal_iteratorINS9_10device_ptrIiEEEESE_PS5_SF_jNS0_19identity_decomposerENS1_16block_id_wrapperIjLb1EEEEE10hipError_tT1_PNSt15iterator_traitsISK_E10value_typeET2_T3_PNSL_ISQ_E10value_typeET4_T5_PSV_SW_PNS1_23onesweep_lookback_stateEbbT6_jjT7_P12ihipStream_tbENKUlT_T0_SK_SP_E_clISE_SE_SF_SF_EEDaS13_S14_SK_SP_EUlS13_E_NS1_11comp_targetILNS1_3genE6ELNS1_11target_archE950ELNS1_3gpuE13ELNS1_3repE0EEENS1_47radix_sort_onesweep_sort_config_static_selectorELNS0_4arch9wavefront6targetE0EEEvSK_.uses_vcc, 0
	.set _ZN7rocprim17ROCPRIM_400000_NS6detail17trampoline_kernelINS0_14default_configENS1_35radix_sort_onesweep_config_selectorIiNS0_10empty_typeEEEZZNS1_29radix_sort_onesweep_iterationIS3_Lb1EN6thrust23THRUST_200600_302600_NS6detail15normal_iteratorINS9_10device_ptrIiEEEESE_PS5_SF_jNS0_19identity_decomposerENS1_16block_id_wrapperIjLb1EEEEE10hipError_tT1_PNSt15iterator_traitsISK_E10value_typeET2_T3_PNSL_ISQ_E10value_typeET4_T5_PSV_SW_PNS1_23onesweep_lookback_stateEbbT6_jjT7_P12ihipStream_tbENKUlT_T0_SK_SP_E_clISE_SE_SF_SF_EEDaS13_S14_SK_SP_EUlS13_E_NS1_11comp_targetILNS1_3genE6ELNS1_11target_archE950ELNS1_3gpuE13ELNS1_3repE0EEENS1_47radix_sort_onesweep_sort_config_static_selectorELNS0_4arch9wavefront6targetE0EEEvSK_.uses_flat_scratch, 0
	.set _ZN7rocprim17ROCPRIM_400000_NS6detail17trampoline_kernelINS0_14default_configENS1_35radix_sort_onesweep_config_selectorIiNS0_10empty_typeEEEZZNS1_29radix_sort_onesweep_iterationIS3_Lb1EN6thrust23THRUST_200600_302600_NS6detail15normal_iteratorINS9_10device_ptrIiEEEESE_PS5_SF_jNS0_19identity_decomposerENS1_16block_id_wrapperIjLb1EEEEE10hipError_tT1_PNSt15iterator_traitsISK_E10value_typeET2_T3_PNSL_ISQ_E10value_typeET4_T5_PSV_SW_PNS1_23onesweep_lookback_stateEbbT6_jjT7_P12ihipStream_tbENKUlT_T0_SK_SP_E_clISE_SE_SF_SF_EEDaS13_S14_SK_SP_EUlS13_E_NS1_11comp_targetILNS1_3genE6ELNS1_11target_archE950ELNS1_3gpuE13ELNS1_3repE0EEENS1_47radix_sort_onesweep_sort_config_static_selectorELNS0_4arch9wavefront6targetE0EEEvSK_.has_dyn_sized_stack, 0
	.set _ZN7rocprim17ROCPRIM_400000_NS6detail17trampoline_kernelINS0_14default_configENS1_35radix_sort_onesweep_config_selectorIiNS0_10empty_typeEEEZZNS1_29radix_sort_onesweep_iterationIS3_Lb1EN6thrust23THRUST_200600_302600_NS6detail15normal_iteratorINS9_10device_ptrIiEEEESE_PS5_SF_jNS0_19identity_decomposerENS1_16block_id_wrapperIjLb1EEEEE10hipError_tT1_PNSt15iterator_traitsISK_E10value_typeET2_T3_PNSL_ISQ_E10value_typeET4_T5_PSV_SW_PNS1_23onesweep_lookback_stateEbbT6_jjT7_P12ihipStream_tbENKUlT_T0_SK_SP_E_clISE_SE_SF_SF_EEDaS13_S14_SK_SP_EUlS13_E_NS1_11comp_targetILNS1_3genE6ELNS1_11target_archE950ELNS1_3gpuE13ELNS1_3repE0EEENS1_47radix_sort_onesweep_sort_config_static_selectorELNS0_4arch9wavefront6targetE0EEEvSK_.has_recursion, 0
	.set _ZN7rocprim17ROCPRIM_400000_NS6detail17trampoline_kernelINS0_14default_configENS1_35radix_sort_onesweep_config_selectorIiNS0_10empty_typeEEEZZNS1_29radix_sort_onesweep_iterationIS3_Lb1EN6thrust23THRUST_200600_302600_NS6detail15normal_iteratorINS9_10device_ptrIiEEEESE_PS5_SF_jNS0_19identity_decomposerENS1_16block_id_wrapperIjLb1EEEEE10hipError_tT1_PNSt15iterator_traitsISK_E10value_typeET2_T3_PNSL_ISQ_E10value_typeET4_T5_PSV_SW_PNS1_23onesweep_lookback_stateEbbT6_jjT7_P12ihipStream_tbENKUlT_T0_SK_SP_E_clISE_SE_SF_SF_EEDaS13_S14_SK_SP_EUlS13_E_NS1_11comp_targetILNS1_3genE6ELNS1_11target_archE950ELNS1_3gpuE13ELNS1_3repE0EEENS1_47radix_sort_onesweep_sort_config_static_selectorELNS0_4arch9wavefront6targetE0EEEvSK_.has_indirect_call, 0
	.section	.AMDGPU.csdata,"",@progbits
; Kernel info:
; codeLenInByte = 0
; TotalNumSgprs: 0
; NumVgprs: 0
; ScratchSize: 0
; MemoryBound: 0
; FloatMode: 240
; IeeeMode: 1
; LDSByteSize: 0 bytes/workgroup (compile time only)
; SGPRBlocks: 0
; VGPRBlocks: 0
; NumSGPRsForWavesPerEU: 1
; NumVGPRsForWavesPerEU: 1
; Occupancy: 16
; WaveLimiterHint : 0
; COMPUTE_PGM_RSRC2:SCRATCH_EN: 0
; COMPUTE_PGM_RSRC2:USER_SGPR: 6
; COMPUTE_PGM_RSRC2:TRAP_HANDLER: 0
; COMPUTE_PGM_RSRC2:TGID_X_EN: 1
; COMPUTE_PGM_RSRC2:TGID_Y_EN: 0
; COMPUTE_PGM_RSRC2:TGID_Z_EN: 0
; COMPUTE_PGM_RSRC2:TIDIG_COMP_CNT: 0
	.section	.text._ZN7rocprim17ROCPRIM_400000_NS6detail17trampoline_kernelINS0_14default_configENS1_35radix_sort_onesweep_config_selectorIiNS0_10empty_typeEEEZZNS1_29radix_sort_onesweep_iterationIS3_Lb1EN6thrust23THRUST_200600_302600_NS6detail15normal_iteratorINS9_10device_ptrIiEEEESE_PS5_SF_jNS0_19identity_decomposerENS1_16block_id_wrapperIjLb1EEEEE10hipError_tT1_PNSt15iterator_traitsISK_E10value_typeET2_T3_PNSL_ISQ_E10value_typeET4_T5_PSV_SW_PNS1_23onesweep_lookback_stateEbbT6_jjT7_P12ihipStream_tbENKUlT_T0_SK_SP_E_clISE_SE_SF_SF_EEDaS13_S14_SK_SP_EUlS13_E_NS1_11comp_targetILNS1_3genE5ELNS1_11target_archE942ELNS1_3gpuE9ELNS1_3repE0EEENS1_47radix_sort_onesweep_sort_config_static_selectorELNS0_4arch9wavefront6targetE0EEEvSK_,"axG",@progbits,_ZN7rocprim17ROCPRIM_400000_NS6detail17trampoline_kernelINS0_14default_configENS1_35radix_sort_onesweep_config_selectorIiNS0_10empty_typeEEEZZNS1_29radix_sort_onesweep_iterationIS3_Lb1EN6thrust23THRUST_200600_302600_NS6detail15normal_iteratorINS9_10device_ptrIiEEEESE_PS5_SF_jNS0_19identity_decomposerENS1_16block_id_wrapperIjLb1EEEEE10hipError_tT1_PNSt15iterator_traitsISK_E10value_typeET2_T3_PNSL_ISQ_E10value_typeET4_T5_PSV_SW_PNS1_23onesweep_lookback_stateEbbT6_jjT7_P12ihipStream_tbENKUlT_T0_SK_SP_E_clISE_SE_SF_SF_EEDaS13_S14_SK_SP_EUlS13_E_NS1_11comp_targetILNS1_3genE5ELNS1_11target_archE942ELNS1_3gpuE9ELNS1_3repE0EEENS1_47radix_sort_onesweep_sort_config_static_selectorELNS0_4arch9wavefront6targetE0EEEvSK_,comdat
	.protected	_ZN7rocprim17ROCPRIM_400000_NS6detail17trampoline_kernelINS0_14default_configENS1_35radix_sort_onesweep_config_selectorIiNS0_10empty_typeEEEZZNS1_29radix_sort_onesweep_iterationIS3_Lb1EN6thrust23THRUST_200600_302600_NS6detail15normal_iteratorINS9_10device_ptrIiEEEESE_PS5_SF_jNS0_19identity_decomposerENS1_16block_id_wrapperIjLb1EEEEE10hipError_tT1_PNSt15iterator_traitsISK_E10value_typeET2_T3_PNSL_ISQ_E10value_typeET4_T5_PSV_SW_PNS1_23onesweep_lookback_stateEbbT6_jjT7_P12ihipStream_tbENKUlT_T0_SK_SP_E_clISE_SE_SF_SF_EEDaS13_S14_SK_SP_EUlS13_E_NS1_11comp_targetILNS1_3genE5ELNS1_11target_archE942ELNS1_3gpuE9ELNS1_3repE0EEENS1_47radix_sort_onesweep_sort_config_static_selectorELNS0_4arch9wavefront6targetE0EEEvSK_ ; -- Begin function _ZN7rocprim17ROCPRIM_400000_NS6detail17trampoline_kernelINS0_14default_configENS1_35radix_sort_onesweep_config_selectorIiNS0_10empty_typeEEEZZNS1_29radix_sort_onesweep_iterationIS3_Lb1EN6thrust23THRUST_200600_302600_NS6detail15normal_iteratorINS9_10device_ptrIiEEEESE_PS5_SF_jNS0_19identity_decomposerENS1_16block_id_wrapperIjLb1EEEEE10hipError_tT1_PNSt15iterator_traitsISK_E10value_typeET2_T3_PNSL_ISQ_E10value_typeET4_T5_PSV_SW_PNS1_23onesweep_lookback_stateEbbT6_jjT7_P12ihipStream_tbENKUlT_T0_SK_SP_E_clISE_SE_SF_SF_EEDaS13_S14_SK_SP_EUlS13_E_NS1_11comp_targetILNS1_3genE5ELNS1_11target_archE942ELNS1_3gpuE9ELNS1_3repE0EEENS1_47radix_sort_onesweep_sort_config_static_selectorELNS0_4arch9wavefront6targetE0EEEvSK_
	.globl	_ZN7rocprim17ROCPRIM_400000_NS6detail17trampoline_kernelINS0_14default_configENS1_35radix_sort_onesweep_config_selectorIiNS0_10empty_typeEEEZZNS1_29radix_sort_onesweep_iterationIS3_Lb1EN6thrust23THRUST_200600_302600_NS6detail15normal_iteratorINS9_10device_ptrIiEEEESE_PS5_SF_jNS0_19identity_decomposerENS1_16block_id_wrapperIjLb1EEEEE10hipError_tT1_PNSt15iterator_traitsISK_E10value_typeET2_T3_PNSL_ISQ_E10value_typeET4_T5_PSV_SW_PNS1_23onesweep_lookback_stateEbbT6_jjT7_P12ihipStream_tbENKUlT_T0_SK_SP_E_clISE_SE_SF_SF_EEDaS13_S14_SK_SP_EUlS13_E_NS1_11comp_targetILNS1_3genE5ELNS1_11target_archE942ELNS1_3gpuE9ELNS1_3repE0EEENS1_47radix_sort_onesweep_sort_config_static_selectorELNS0_4arch9wavefront6targetE0EEEvSK_
	.p2align	8
	.type	_ZN7rocprim17ROCPRIM_400000_NS6detail17trampoline_kernelINS0_14default_configENS1_35radix_sort_onesweep_config_selectorIiNS0_10empty_typeEEEZZNS1_29radix_sort_onesweep_iterationIS3_Lb1EN6thrust23THRUST_200600_302600_NS6detail15normal_iteratorINS9_10device_ptrIiEEEESE_PS5_SF_jNS0_19identity_decomposerENS1_16block_id_wrapperIjLb1EEEEE10hipError_tT1_PNSt15iterator_traitsISK_E10value_typeET2_T3_PNSL_ISQ_E10value_typeET4_T5_PSV_SW_PNS1_23onesweep_lookback_stateEbbT6_jjT7_P12ihipStream_tbENKUlT_T0_SK_SP_E_clISE_SE_SF_SF_EEDaS13_S14_SK_SP_EUlS13_E_NS1_11comp_targetILNS1_3genE5ELNS1_11target_archE942ELNS1_3gpuE9ELNS1_3repE0EEENS1_47radix_sort_onesweep_sort_config_static_selectorELNS0_4arch9wavefront6targetE0EEEvSK_,@function
_ZN7rocprim17ROCPRIM_400000_NS6detail17trampoline_kernelINS0_14default_configENS1_35radix_sort_onesweep_config_selectorIiNS0_10empty_typeEEEZZNS1_29radix_sort_onesweep_iterationIS3_Lb1EN6thrust23THRUST_200600_302600_NS6detail15normal_iteratorINS9_10device_ptrIiEEEESE_PS5_SF_jNS0_19identity_decomposerENS1_16block_id_wrapperIjLb1EEEEE10hipError_tT1_PNSt15iterator_traitsISK_E10value_typeET2_T3_PNSL_ISQ_E10value_typeET4_T5_PSV_SW_PNS1_23onesweep_lookback_stateEbbT6_jjT7_P12ihipStream_tbENKUlT_T0_SK_SP_E_clISE_SE_SF_SF_EEDaS13_S14_SK_SP_EUlS13_E_NS1_11comp_targetILNS1_3genE5ELNS1_11target_archE942ELNS1_3gpuE9ELNS1_3repE0EEENS1_47radix_sort_onesweep_sort_config_static_selectorELNS0_4arch9wavefront6targetE0EEEvSK_: ; @_ZN7rocprim17ROCPRIM_400000_NS6detail17trampoline_kernelINS0_14default_configENS1_35radix_sort_onesweep_config_selectorIiNS0_10empty_typeEEEZZNS1_29radix_sort_onesweep_iterationIS3_Lb1EN6thrust23THRUST_200600_302600_NS6detail15normal_iteratorINS9_10device_ptrIiEEEESE_PS5_SF_jNS0_19identity_decomposerENS1_16block_id_wrapperIjLb1EEEEE10hipError_tT1_PNSt15iterator_traitsISK_E10value_typeET2_T3_PNSL_ISQ_E10value_typeET4_T5_PSV_SW_PNS1_23onesweep_lookback_stateEbbT6_jjT7_P12ihipStream_tbENKUlT_T0_SK_SP_E_clISE_SE_SF_SF_EEDaS13_S14_SK_SP_EUlS13_E_NS1_11comp_targetILNS1_3genE5ELNS1_11target_archE942ELNS1_3gpuE9ELNS1_3repE0EEENS1_47radix_sort_onesweep_sort_config_static_selectorELNS0_4arch9wavefront6targetE0EEEvSK_
; %bb.0:
	.section	.rodata,"a",@progbits
	.p2align	6, 0x0
	.amdhsa_kernel _ZN7rocprim17ROCPRIM_400000_NS6detail17trampoline_kernelINS0_14default_configENS1_35radix_sort_onesweep_config_selectorIiNS0_10empty_typeEEEZZNS1_29radix_sort_onesweep_iterationIS3_Lb1EN6thrust23THRUST_200600_302600_NS6detail15normal_iteratorINS9_10device_ptrIiEEEESE_PS5_SF_jNS0_19identity_decomposerENS1_16block_id_wrapperIjLb1EEEEE10hipError_tT1_PNSt15iterator_traitsISK_E10value_typeET2_T3_PNSL_ISQ_E10value_typeET4_T5_PSV_SW_PNS1_23onesweep_lookback_stateEbbT6_jjT7_P12ihipStream_tbENKUlT_T0_SK_SP_E_clISE_SE_SF_SF_EEDaS13_S14_SK_SP_EUlS13_E_NS1_11comp_targetILNS1_3genE5ELNS1_11target_archE942ELNS1_3gpuE9ELNS1_3repE0EEENS1_47radix_sort_onesweep_sort_config_static_selectorELNS0_4arch9wavefront6targetE0EEEvSK_
		.amdhsa_group_segment_fixed_size 0
		.amdhsa_private_segment_fixed_size 0
		.amdhsa_kernarg_size 88
		.amdhsa_user_sgpr_count 6
		.amdhsa_user_sgpr_private_segment_buffer 1
		.amdhsa_user_sgpr_dispatch_ptr 0
		.amdhsa_user_sgpr_queue_ptr 0
		.amdhsa_user_sgpr_kernarg_segment_ptr 1
		.amdhsa_user_sgpr_dispatch_id 0
		.amdhsa_user_sgpr_flat_scratch_init 0
		.amdhsa_user_sgpr_private_segment_size 0
		.amdhsa_wavefront_size32 1
		.amdhsa_uses_dynamic_stack 0
		.amdhsa_system_sgpr_private_segment_wavefront_offset 0
		.amdhsa_system_sgpr_workgroup_id_x 1
		.amdhsa_system_sgpr_workgroup_id_y 0
		.amdhsa_system_sgpr_workgroup_id_z 0
		.amdhsa_system_sgpr_workgroup_info 0
		.amdhsa_system_vgpr_workitem_id 0
		.amdhsa_next_free_vgpr 1
		.amdhsa_next_free_sgpr 1
		.amdhsa_reserve_vcc 0
		.amdhsa_reserve_flat_scratch 0
		.amdhsa_float_round_mode_32 0
		.amdhsa_float_round_mode_16_64 0
		.amdhsa_float_denorm_mode_32 3
		.amdhsa_float_denorm_mode_16_64 3
		.amdhsa_dx10_clamp 1
		.amdhsa_ieee_mode 1
		.amdhsa_fp16_overflow 0
		.amdhsa_workgroup_processor_mode 1
		.amdhsa_memory_ordered 1
		.amdhsa_forward_progress 1
		.amdhsa_shared_vgpr_count 0
		.amdhsa_exception_fp_ieee_invalid_op 0
		.amdhsa_exception_fp_denorm_src 0
		.amdhsa_exception_fp_ieee_div_zero 0
		.amdhsa_exception_fp_ieee_overflow 0
		.amdhsa_exception_fp_ieee_underflow 0
		.amdhsa_exception_fp_ieee_inexact 0
		.amdhsa_exception_int_div_zero 0
	.end_amdhsa_kernel
	.section	.text._ZN7rocprim17ROCPRIM_400000_NS6detail17trampoline_kernelINS0_14default_configENS1_35radix_sort_onesweep_config_selectorIiNS0_10empty_typeEEEZZNS1_29radix_sort_onesweep_iterationIS3_Lb1EN6thrust23THRUST_200600_302600_NS6detail15normal_iteratorINS9_10device_ptrIiEEEESE_PS5_SF_jNS0_19identity_decomposerENS1_16block_id_wrapperIjLb1EEEEE10hipError_tT1_PNSt15iterator_traitsISK_E10value_typeET2_T3_PNSL_ISQ_E10value_typeET4_T5_PSV_SW_PNS1_23onesweep_lookback_stateEbbT6_jjT7_P12ihipStream_tbENKUlT_T0_SK_SP_E_clISE_SE_SF_SF_EEDaS13_S14_SK_SP_EUlS13_E_NS1_11comp_targetILNS1_3genE5ELNS1_11target_archE942ELNS1_3gpuE9ELNS1_3repE0EEENS1_47radix_sort_onesweep_sort_config_static_selectorELNS0_4arch9wavefront6targetE0EEEvSK_,"axG",@progbits,_ZN7rocprim17ROCPRIM_400000_NS6detail17trampoline_kernelINS0_14default_configENS1_35radix_sort_onesweep_config_selectorIiNS0_10empty_typeEEEZZNS1_29radix_sort_onesweep_iterationIS3_Lb1EN6thrust23THRUST_200600_302600_NS6detail15normal_iteratorINS9_10device_ptrIiEEEESE_PS5_SF_jNS0_19identity_decomposerENS1_16block_id_wrapperIjLb1EEEEE10hipError_tT1_PNSt15iterator_traitsISK_E10value_typeET2_T3_PNSL_ISQ_E10value_typeET4_T5_PSV_SW_PNS1_23onesweep_lookback_stateEbbT6_jjT7_P12ihipStream_tbENKUlT_T0_SK_SP_E_clISE_SE_SF_SF_EEDaS13_S14_SK_SP_EUlS13_E_NS1_11comp_targetILNS1_3genE5ELNS1_11target_archE942ELNS1_3gpuE9ELNS1_3repE0EEENS1_47radix_sort_onesweep_sort_config_static_selectorELNS0_4arch9wavefront6targetE0EEEvSK_,comdat
.Lfunc_end338:
	.size	_ZN7rocprim17ROCPRIM_400000_NS6detail17trampoline_kernelINS0_14default_configENS1_35radix_sort_onesweep_config_selectorIiNS0_10empty_typeEEEZZNS1_29radix_sort_onesweep_iterationIS3_Lb1EN6thrust23THRUST_200600_302600_NS6detail15normal_iteratorINS9_10device_ptrIiEEEESE_PS5_SF_jNS0_19identity_decomposerENS1_16block_id_wrapperIjLb1EEEEE10hipError_tT1_PNSt15iterator_traitsISK_E10value_typeET2_T3_PNSL_ISQ_E10value_typeET4_T5_PSV_SW_PNS1_23onesweep_lookback_stateEbbT6_jjT7_P12ihipStream_tbENKUlT_T0_SK_SP_E_clISE_SE_SF_SF_EEDaS13_S14_SK_SP_EUlS13_E_NS1_11comp_targetILNS1_3genE5ELNS1_11target_archE942ELNS1_3gpuE9ELNS1_3repE0EEENS1_47radix_sort_onesweep_sort_config_static_selectorELNS0_4arch9wavefront6targetE0EEEvSK_, .Lfunc_end338-_ZN7rocprim17ROCPRIM_400000_NS6detail17trampoline_kernelINS0_14default_configENS1_35radix_sort_onesweep_config_selectorIiNS0_10empty_typeEEEZZNS1_29radix_sort_onesweep_iterationIS3_Lb1EN6thrust23THRUST_200600_302600_NS6detail15normal_iteratorINS9_10device_ptrIiEEEESE_PS5_SF_jNS0_19identity_decomposerENS1_16block_id_wrapperIjLb1EEEEE10hipError_tT1_PNSt15iterator_traitsISK_E10value_typeET2_T3_PNSL_ISQ_E10value_typeET4_T5_PSV_SW_PNS1_23onesweep_lookback_stateEbbT6_jjT7_P12ihipStream_tbENKUlT_T0_SK_SP_E_clISE_SE_SF_SF_EEDaS13_S14_SK_SP_EUlS13_E_NS1_11comp_targetILNS1_3genE5ELNS1_11target_archE942ELNS1_3gpuE9ELNS1_3repE0EEENS1_47radix_sort_onesweep_sort_config_static_selectorELNS0_4arch9wavefront6targetE0EEEvSK_
                                        ; -- End function
	.set _ZN7rocprim17ROCPRIM_400000_NS6detail17trampoline_kernelINS0_14default_configENS1_35radix_sort_onesweep_config_selectorIiNS0_10empty_typeEEEZZNS1_29radix_sort_onesweep_iterationIS3_Lb1EN6thrust23THRUST_200600_302600_NS6detail15normal_iteratorINS9_10device_ptrIiEEEESE_PS5_SF_jNS0_19identity_decomposerENS1_16block_id_wrapperIjLb1EEEEE10hipError_tT1_PNSt15iterator_traitsISK_E10value_typeET2_T3_PNSL_ISQ_E10value_typeET4_T5_PSV_SW_PNS1_23onesweep_lookback_stateEbbT6_jjT7_P12ihipStream_tbENKUlT_T0_SK_SP_E_clISE_SE_SF_SF_EEDaS13_S14_SK_SP_EUlS13_E_NS1_11comp_targetILNS1_3genE5ELNS1_11target_archE942ELNS1_3gpuE9ELNS1_3repE0EEENS1_47radix_sort_onesweep_sort_config_static_selectorELNS0_4arch9wavefront6targetE0EEEvSK_.num_vgpr, 0
	.set _ZN7rocprim17ROCPRIM_400000_NS6detail17trampoline_kernelINS0_14default_configENS1_35radix_sort_onesweep_config_selectorIiNS0_10empty_typeEEEZZNS1_29radix_sort_onesweep_iterationIS3_Lb1EN6thrust23THRUST_200600_302600_NS6detail15normal_iteratorINS9_10device_ptrIiEEEESE_PS5_SF_jNS0_19identity_decomposerENS1_16block_id_wrapperIjLb1EEEEE10hipError_tT1_PNSt15iterator_traitsISK_E10value_typeET2_T3_PNSL_ISQ_E10value_typeET4_T5_PSV_SW_PNS1_23onesweep_lookback_stateEbbT6_jjT7_P12ihipStream_tbENKUlT_T0_SK_SP_E_clISE_SE_SF_SF_EEDaS13_S14_SK_SP_EUlS13_E_NS1_11comp_targetILNS1_3genE5ELNS1_11target_archE942ELNS1_3gpuE9ELNS1_3repE0EEENS1_47radix_sort_onesweep_sort_config_static_selectorELNS0_4arch9wavefront6targetE0EEEvSK_.num_agpr, 0
	.set _ZN7rocprim17ROCPRIM_400000_NS6detail17trampoline_kernelINS0_14default_configENS1_35radix_sort_onesweep_config_selectorIiNS0_10empty_typeEEEZZNS1_29radix_sort_onesweep_iterationIS3_Lb1EN6thrust23THRUST_200600_302600_NS6detail15normal_iteratorINS9_10device_ptrIiEEEESE_PS5_SF_jNS0_19identity_decomposerENS1_16block_id_wrapperIjLb1EEEEE10hipError_tT1_PNSt15iterator_traitsISK_E10value_typeET2_T3_PNSL_ISQ_E10value_typeET4_T5_PSV_SW_PNS1_23onesweep_lookback_stateEbbT6_jjT7_P12ihipStream_tbENKUlT_T0_SK_SP_E_clISE_SE_SF_SF_EEDaS13_S14_SK_SP_EUlS13_E_NS1_11comp_targetILNS1_3genE5ELNS1_11target_archE942ELNS1_3gpuE9ELNS1_3repE0EEENS1_47radix_sort_onesweep_sort_config_static_selectorELNS0_4arch9wavefront6targetE0EEEvSK_.numbered_sgpr, 0
	.set _ZN7rocprim17ROCPRIM_400000_NS6detail17trampoline_kernelINS0_14default_configENS1_35radix_sort_onesweep_config_selectorIiNS0_10empty_typeEEEZZNS1_29radix_sort_onesweep_iterationIS3_Lb1EN6thrust23THRUST_200600_302600_NS6detail15normal_iteratorINS9_10device_ptrIiEEEESE_PS5_SF_jNS0_19identity_decomposerENS1_16block_id_wrapperIjLb1EEEEE10hipError_tT1_PNSt15iterator_traitsISK_E10value_typeET2_T3_PNSL_ISQ_E10value_typeET4_T5_PSV_SW_PNS1_23onesweep_lookback_stateEbbT6_jjT7_P12ihipStream_tbENKUlT_T0_SK_SP_E_clISE_SE_SF_SF_EEDaS13_S14_SK_SP_EUlS13_E_NS1_11comp_targetILNS1_3genE5ELNS1_11target_archE942ELNS1_3gpuE9ELNS1_3repE0EEENS1_47radix_sort_onesweep_sort_config_static_selectorELNS0_4arch9wavefront6targetE0EEEvSK_.num_named_barrier, 0
	.set _ZN7rocprim17ROCPRIM_400000_NS6detail17trampoline_kernelINS0_14default_configENS1_35radix_sort_onesweep_config_selectorIiNS0_10empty_typeEEEZZNS1_29radix_sort_onesweep_iterationIS3_Lb1EN6thrust23THRUST_200600_302600_NS6detail15normal_iteratorINS9_10device_ptrIiEEEESE_PS5_SF_jNS0_19identity_decomposerENS1_16block_id_wrapperIjLb1EEEEE10hipError_tT1_PNSt15iterator_traitsISK_E10value_typeET2_T3_PNSL_ISQ_E10value_typeET4_T5_PSV_SW_PNS1_23onesweep_lookback_stateEbbT6_jjT7_P12ihipStream_tbENKUlT_T0_SK_SP_E_clISE_SE_SF_SF_EEDaS13_S14_SK_SP_EUlS13_E_NS1_11comp_targetILNS1_3genE5ELNS1_11target_archE942ELNS1_3gpuE9ELNS1_3repE0EEENS1_47radix_sort_onesweep_sort_config_static_selectorELNS0_4arch9wavefront6targetE0EEEvSK_.private_seg_size, 0
	.set _ZN7rocprim17ROCPRIM_400000_NS6detail17trampoline_kernelINS0_14default_configENS1_35radix_sort_onesweep_config_selectorIiNS0_10empty_typeEEEZZNS1_29radix_sort_onesweep_iterationIS3_Lb1EN6thrust23THRUST_200600_302600_NS6detail15normal_iteratorINS9_10device_ptrIiEEEESE_PS5_SF_jNS0_19identity_decomposerENS1_16block_id_wrapperIjLb1EEEEE10hipError_tT1_PNSt15iterator_traitsISK_E10value_typeET2_T3_PNSL_ISQ_E10value_typeET4_T5_PSV_SW_PNS1_23onesweep_lookback_stateEbbT6_jjT7_P12ihipStream_tbENKUlT_T0_SK_SP_E_clISE_SE_SF_SF_EEDaS13_S14_SK_SP_EUlS13_E_NS1_11comp_targetILNS1_3genE5ELNS1_11target_archE942ELNS1_3gpuE9ELNS1_3repE0EEENS1_47radix_sort_onesweep_sort_config_static_selectorELNS0_4arch9wavefront6targetE0EEEvSK_.uses_vcc, 0
	.set _ZN7rocprim17ROCPRIM_400000_NS6detail17trampoline_kernelINS0_14default_configENS1_35radix_sort_onesweep_config_selectorIiNS0_10empty_typeEEEZZNS1_29radix_sort_onesweep_iterationIS3_Lb1EN6thrust23THRUST_200600_302600_NS6detail15normal_iteratorINS9_10device_ptrIiEEEESE_PS5_SF_jNS0_19identity_decomposerENS1_16block_id_wrapperIjLb1EEEEE10hipError_tT1_PNSt15iterator_traitsISK_E10value_typeET2_T3_PNSL_ISQ_E10value_typeET4_T5_PSV_SW_PNS1_23onesweep_lookback_stateEbbT6_jjT7_P12ihipStream_tbENKUlT_T0_SK_SP_E_clISE_SE_SF_SF_EEDaS13_S14_SK_SP_EUlS13_E_NS1_11comp_targetILNS1_3genE5ELNS1_11target_archE942ELNS1_3gpuE9ELNS1_3repE0EEENS1_47radix_sort_onesweep_sort_config_static_selectorELNS0_4arch9wavefront6targetE0EEEvSK_.uses_flat_scratch, 0
	.set _ZN7rocprim17ROCPRIM_400000_NS6detail17trampoline_kernelINS0_14default_configENS1_35radix_sort_onesweep_config_selectorIiNS0_10empty_typeEEEZZNS1_29radix_sort_onesweep_iterationIS3_Lb1EN6thrust23THRUST_200600_302600_NS6detail15normal_iteratorINS9_10device_ptrIiEEEESE_PS5_SF_jNS0_19identity_decomposerENS1_16block_id_wrapperIjLb1EEEEE10hipError_tT1_PNSt15iterator_traitsISK_E10value_typeET2_T3_PNSL_ISQ_E10value_typeET4_T5_PSV_SW_PNS1_23onesweep_lookback_stateEbbT6_jjT7_P12ihipStream_tbENKUlT_T0_SK_SP_E_clISE_SE_SF_SF_EEDaS13_S14_SK_SP_EUlS13_E_NS1_11comp_targetILNS1_3genE5ELNS1_11target_archE942ELNS1_3gpuE9ELNS1_3repE0EEENS1_47radix_sort_onesweep_sort_config_static_selectorELNS0_4arch9wavefront6targetE0EEEvSK_.has_dyn_sized_stack, 0
	.set _ZN7rocprim17ROCPRIM_400000_NS6detail17trampoline_kernelINS0_14default_configENS1_35radix_sort_onesweep_config_selectorIiNS0_10empty_typeEEEZZNS1_29radix_sort_onesweep_iterationIS3_Lb1EN6thrust23THRUST_200600_302600_NS6detail15normal_iteratorINS9_10device_ptrIiEEEESE_PS5_SF_jNS0_19identity_decomposerENS1_16block_id_wrapperIjLb1EEEEE10hipError_tT1_PNSt15iterator_traitsISK_E10value_typeET2_T3_PNSL_ISQ_E10value_typeET4_T5_PSV_SW_PNS1_23onesweep_lookback_stateEbbT6_jjT7_P12ihipStream_tbENKUlT_T0_SK_SP_E_clISE_SE_SF_SF_EEDaS13_S14_SK_SP_EUlS13_E_NS1_11comp_targetILNS1_3genE5ELNS1_11target_archE942ELNS1_3gpuE9ELNS1_3repE0EEENS1_47radix_sort_onesweep_sort_config_static_selectorELNS0_4arch9wavefront6targetE0EEEvSK_.has_recursion, 0
	.set _ZN7rocprim17ROCPRIM_400000_NS6detail17trampoline_kernelINS0_14default_configENS1_35radix_sort_onesweep_config_selectorIiNS0_10empty_typeEEEZZNS1_29radix_sort_onesweep_iterationIS3_Lb1EN6thrust23THRUST_200600_302600_NS6detail15normal_iteratorINS9_10device_ptrIiEEEESE_PS5_SF_jNS0_19identity_decomposerENS1_16block_id_wrapperIjLb1EEEEE10hipError_tT1_PNSt15iterator_traitsISK_E10value_typeET2_T3_PNSL_ISQ_E10value_typeET4_T5_PSV_SW_PNS1_23onesweep_lookback_stateEbbT6_jjT7_P12ihipStream_tbENKUlT_T0_SK_SP_E_clISE_SE_SF_SF_EEDaS13_S14_SK_SP_EUlS13_E_NS1_11comp_targetILNS1_3genE5ELNS1_11target_archE942ELNS1_3gpuE9ELNS1_3repE0EEENS1_47radix_sort_onesweep_sort_config_static_selectorELNS0_4arch9wavefront6targetE0EEEvSK_.has_indirect_call, 0
	.section	.AMDGPU.csdata,"",@progbits
; Kernel info:
; codeLenInByte = 0
; TotalNumSgprs: 0
; NumVgprs: 0
; ScratchSize: 0
; MemoryBound: 0
; FloatMode: 240
; IeeeMode: 1
; LDSByteSize: 0 bytes/workgroup (compile time only)
; SGPRBlocks: 0
; VGPRBlocks: 0
; NumSGPRsForWavesPerEU: 1
; NumVGPRsForWavesPerEU: 1
; Occupancy: 16
; WaveLimiterHint : 0
; COMPUTE_PGM_RSRC2:SCRATCH_EN: 0
; COMPUTE_PGM_RSRC2:USER_SGPR: 6
; COMPUTE_PGM_RSRC2:TRAP_HANDLER: 0
; COMPUTE_PGM_RSRC2:TGID_X_EN: 1
; COMPUTE_PGM_RSRC2:TGID_Y_EN: 0
; COMPUTE_PGM_RSRC2:TGID_Z_EN: 0
; COMPUTE_PGM_RSRC2:TIDIG_COMP_CNT: 0
	.section	.text._ZN7rocprim17ROCPRIM_400000_NS6detail17trampoline_kernelINS0_14default_configENS1_35radix_sort_onesweep_config_selectorIiNS0_10empty_typeEEEZZNS1_29radix_sort_onesweep_iterationIS3_Lb1EN6thrust23THRUST_200600_302600_NS6detail15normal_iteratorINS9_10device_ptrIiEEEESE_PS5_SF_jNS0_19identity_decomposerENS1_16block_id_wrapperIjLb1EEEEE10hipError_tT1_PNSt15iterator_traitsISK_E10value_typeET2_T3_PNSL_ISQ_E10value_typeET4_T5_PSV_SW_PNS1_23onesweep_lookback_stateEbbT6_jjT7_P12ihipStream_tbENKUlT_T0_SK_SP_E_clISE_SE_SF_SF_EEDaS13_S14_SK_SP_EUlS13_E_NS1_11comp_targetILNS1_3genE2ELNS1_11target_archE906ELNS1_3gpuE6ELNS1_3repE0EEENS1_47radix_sort_onesweep_sort_config_static_selectorELNS0_4arch9wavefront6targetE0EEEvSK_,"axG",@progbits,_ZN7rocprim17ROCPRIM_400000_NS6detail17trampoline_kernelINS0_14default_configENS1_35radix_sort_onesweep_config_selectorIiNS0_10empty_typeEEEZZNS1_29radix_sort_onesweep_iterationIS3_Lb1EN6thrust23THRUST_200600_302600_NS6detail15normal_iteratorINS9_10device_ptrIiEEEESE_PS5_SF_jNS0_19identity_decomposerENS1_16block_id_wrapperIjLb1EEEEE10hipError_tT1_PNSt15iterator_traitsISK_E10value_typeET2_T3_PNSL_ISQ_E10value_typeET4_T5_PSV_SW_PNS1_23onesweep_lookback_stateEbbT6_jjT7_P12ihipStream_tbENKUlT_T0_SK_SP_E_clISE_SE_SF_SF_EEDaS13_S14_SK_SP_EUlS13_E_NS1_11comp_targetILNS1_3genE2ELNS1_11target_archE906ELNS1_3gpuE6ELNS1_3repE0EEENS1_47radix_sort_onesweep_sort_config_static_selectorELNS0_4arch9wavefront6targetE0EEEvSK_,comdat
	.protected	_ZN7rocprim17ROCPRIM_400000_NS6detail17trampoline_kernelINS0_14default_configENS1_35radix_sort_onesweep_config_selectorIiNS0_10empty_typeEEEZZNS1_29radix_sort_onesweep_iterationIS3_Lb1EN6thrust23THRUST_200600_302600_NS6detail15normal_iteratorINS9_10device_ptrIiEEEESE_PS5_SF_jNS0_19identity_decomposerENS1_16block_id_wrapperIjLb1EEEEE10hipError_tT1_PNSt15iterator_traitsISK_E10value_typeET2_T3_PNSL_ISQ_E10value_typeET4_T5_PSV_SW_PNS1_23onesweep_lookback_stateEbbT6_jjT7_P12ihipStream_tbENKUlT_T0_SK_SP_E_clISE_SE_SF_SF_EEDaS13_S14_SK_SP_EUlS13_E_NS1_11comp_targetILNS1_3genE2ELNS1_11target_archE906ELNS1_3gpuE6ELNS1_3repE0EEENS1_47radix_sort_onesweep_sort_config_static_selectorELNS0_4arch9wavefront6targetE0EEEvSK_ ; -- Begin function _ZN7rocprim17ROCPRIM_400000_NS6detail17trampoline_kernelINS0_14default_configENS1_35radix_sort_onesweep_config_selectorIiNS0_10empty_typeEEEZZNS1_29radix_sort_onesweep_iterationIS3_Lb1EN6thrust23THRUST_200600_302600_NS6detail15normal_iteratorINS9_10device_ptrIiEEEESE_PS5_SF_jNS0_19identity_decomposerENS1_16block_id_wrapperIjLb1EEEEE10hipError_tT1_PNSt15iterator_traitsISK_E10value_typeET2_T3_PNSL_ISQ_E10value_typeET4_T5_PSV_SW_PNS1_23onesweep_lookback_stateEbbT6_jjT7_P12ihipStream_tbENKUlT_T0_SK_SP_E_clISE_SE_SF_SF_EEDaS13_S14_SK_SP_EUlS13_E_NS1_11comp_targetILNS1_3genE2ELNS1_11target_archE906ELNS1_3gpuE6ELNS1_3repE0EEENS1_47radix_sort_onesweep_sort_config_static_selectorELNS0_4arch9wavefront6targetE0EEEvSK_
	.globl	_ZN7rocprim17ROCPRIM_400000_NS6detail17trampoline_kernelINS0_14default_configENS1_35radix_sort_onesweep_config_selectorIiNS0_10empty_typeEEEZZNS1_29radix_sort_onesweep_iterationIS3_Lb1EN6thrust23THRUST_200600_302600_NS6detail15normal_iteratorINS9_10device_ptrIiEEEESE_PS5_SF_jNS0_19identity_decomposerENS1_16block_id_wrapperIjLb1EEEEE10hipError_tT1_PNSt15iterator_traitsISK_E10value_typeET2_T3_PNSL_ISQ_E10value_typeET4_T5_PSV_SW_PNS1_23onesweep_lookback_stateEbbT6_jjT7_P12ihipStream_tbENKUlT_T0_SK_SP_E_clISE_SE_SF_SF_EEDaS13_S14_SK_SP_EUlS13_E_NS1_11comp_targetILNS1_3genE2ELNS1_11target_archE906ELNS1_3gpuE6ELNS1_3repE0EEENS1_47radix_sort_onesweep_sort_config_static_selectorELNS0_4arch9wavefront6targetE0EEEvSK_
	.p2align	8
	.type	_ZN7rocprim17ROCPRIM_400000_NS6detail17trampoline_kernelINS0_14default_configENS1_35radix_sort_onesweep_config_selectorIiNS0_10empty_typeEEEZZNS1_29radix_sort_onesweep_iterationIS3_Lb1EN6thrust23THRUST_200600_302600_NS6detail15normal_iteratorINS9_10device_ptrIiEEEESE_PS5_SF_jNS0_19identity_decomposerENS1_16block_id_wrapperIjLb1EEEEE10hipError_tT1_PNSt15iterator_traitsISK_E10value_typeET2_T3_PNSL_ISQ_E10value_typeET4_T5_PSV_SW_PNS1_23onesweep_lookback_stateEbbT6_jjT7_P12ihipStream_tbENKUlT_T0_SK_SP_E_clISE_SE_SF_SF_EEDaS13_S14_SK_SP_EUlS13_E_NS1_11comp_targetILNS1_3genE2ELNS1_11target_archE906ELNS1_3gpuE6ELNS1_3repE0EEENS1_47radix_sort_onesweep_sort_config_static_selectorELNS0_4arch9wavefront6targetE0EEEvSK_,@function
_ZN7rocprim17ROCPRIM_400000_NS6detail17trampoline_kernelINS0_14default_configENS1_35radix_sort_onesweep_config_selectorIiNS0_10empty_typeEEEZZNS1_29radix_sort_onesweep_iterationIS3_Lb1EN6thrust23THRUST_200600_302600_NS6detail15normal_iteratorINS9_10device_ptrIiEEEESE_PS5_SF_jNS0_19identity_decomposerENS1_16block_id_wrapperIjLb1EEEEE10hipError_tT1_PNSt15iterator_traitsISK_E10value_typeET2_T3_PNSL_ISQ_E10value_typeET4_T5_PSV_SW_PNS1_23onesweep_lookback_stateEbbT6_jjT7_P12ihipStream_tbENKUlT_T0_SK_SP_E_clISE_SE_SF_SF_EEDaS13_S14_SK_SP_EUlS13_E_NS1_11comp_targetILNS1_3genE2ELNS1_11target_archE906ELNS1_3gpuE6ELNS1_3repE0EEENS1_47radix_sort_onesweep_sort_config_static_selectorELNS0_4arch9wavefront6targetE0EEEvSK_: ; @_ZN7rocprim17ROCPRIM_400000_NS6detail17trampoline_kernelINS0_14default_configENS1_35radix_sort_onesweep_config_selectorIiNS0_10empty_typeEEEZZNS1_29radix_sort_onesweep_iterationIS3_Lb1EN6thrust23THRUST_200600_302600_NS6detail15normal_iteratorINS9_10device_ptrIiEEEESE_PS5_SF_jNS0_19identity_decomposerENS1_16block_id_wrapperIjLb1EEEEE10hipError_tT1_PNSt15iterator_traitsISK_E10value_typeET2_T3_PNSL_ISQ_E10value_typeET4_T5_PSV_SW_PNS1_23onesweep_lookback_stateEbbT6_jjT7_P12ihipStream_tbENKUlT_T0_SK_SP_E_clISE_SE_SF_SF_EEDaS13_S14_SK_SP_EUlS13_E_NS1_11comp_targetILNS1_3genE2ELNS1_11target_archE906ELNS1_3gpuE6ELNS1_3repE0EEENS1_47radix_sort_onesweep_sort_config_static_selectorELNS0_4arch9wavefront6targetE0EEEvSK_
; %bb.0:
	.section	.rodata,"a",@progbits
	.p2align	6, 0x0
	.amdhsa_kernel _ZN7rocprim17ROCPRIM_400000_NS6detail17trampoline_kernelINS0_14default_configENS1_35radix_sort_onesweep_config_selectorIiNS0_10empty_typeEEEZZNS1_29radix_sort_onesweep_iterationIS3_Lb1EN6thrust23THRUST_200600_302600_NS6detail15normal_iteratorINS9_10device_ptrIiEEEESE_PS5_SF_jNS0_19identity_decomposerENS1_16block_id_wrapperIjLb1EEEEE10hipError_tT1_PNSt15iterator_traitsISK_E10value_typeET2_T3_PNSL_ISQ_E10value_typeET4_T5_PSV_SW_PNS1_23onesweep_lookback_stateEbbT6_jjT7_P12ihipStream_tbENKUlT_T0_SK_SP_E_clISE_SE_SF_SF_EEDaS13_S14_SK_SP_EUlS13_E_NS1_11comp_targetILNS1_3genE2ELNS1_11target_archE906ELNS1_3gpuE6ELNS1_3repE0EEENS1_47radix_sort_onesweep_sort_config_static_selectorELNS0_4arch9wavefront6targetE0EEEvSK_
		.amdhsa_group_segment_fixed_size 0
		.amdhsa_private_segment_fixed_size 0
		.amdhsa_kernarg_size 88
		.amdhsa_user_sgpr_count 6
		.amdhsa_user_sgpr_private_segment_buffer 1
		.amdhsa_user_sgpr_dispatch_ptr 0
		.amdhsa_user_sgpr_queue_ptr 0
		.amdhsa_user_sgpr_kernarg_segment_ptr 1
		.amdhsa_user_sgpr_dispatch_id 0
		.amdhsa_user_sgpr_flat_scratch_init 0
		.amdhsa_user_sgpr_private_segment_size 0
		.amdhsa_wavefront_size32 1
		.amdhsa_uses_dynamic_stack 0
		.amdhsa_system_sgpr_private_segment_wavefront_offset 0
		.amdhsa_system_sgpr_workgroup_id_x 1
		.amdhsa_system_sgpr_workgroup_id_y 0
		.amdhsa_system_sgpr_workgroup_id_z 0
		.amdhsa_system_sgpr_workgroup_info 0
		.amdhsa_system_vgpr_workitem_id 0
		.amdhsa_next_free_vgpr 1
		.amdhsa_next_free_sgpr 1
		.amdhsa_reserve_vcc 0
		.amdhsa_reserve_flat_scratch 0
		.amdhsa_float_round_mode_32 0
		.amdhsa_float_round_mode_16_64 0
		.amdhsa_float_denorm_mode_32 3
		.amdhsa_float_denorm_mode_16_64 3
		.amdhsa_dx10_clamp 1
		.amdhsa_ieee_mode 1
		.amdhsa_fp16_overflow 0
		.amdhsa_workgroup_processor_mode 1
		.amdhsa_memory_ordered 1
		.amdhsa_forward_progress 1
		.amdhsa_shared_vgpr_count 0
		.amdhsa_exception_fp_ieee_invalid_op 0
		.amdhsa_exception_fp_denorm_src 0
		.amdhsa_exception_fp_ieee_div_zero 0
		.amdhsa_exception_fp_ieee_overflow 0
		.amdhsa_exception_fp_ieee_underflow 0
		.amdhsa_exception_fp_ieee_inexact 0
		.amdhsa_exception_int_div_zero 0
	.end_amdhsa_kernel
	.section	.text._ZN7rocprim17ROCPRIM_400000_NS6detail17trampoline_kernelINS0_14default_configENS1_35radix_sort_onesweep_config_selectorIiNS0_10empty_typeEEEZZNS1_29radix_sort_onesweep_iterationIS3_Lb1EN6thrust23THRUST_200600_302600_NS6detail15normal_iteratorINS9_10device_ptrIiEEEESE_PS5_SF_jNS0_19identity_decomposerENS1_16block_id_wrapperIjLb1EEEEE10hipError_tT1_PNSt15iterator_traitsISK_E10value_typeET2_T3_PNSL_ISQ_E10value_typeET4_T5_PSV_SW_PNS1_23onesweep_lookback_stateEbbT6_jjT7_P12ihipStream_tbENKUlT_T0_SK_SP_E_clISE_SE_SF_SF_EEDaS13_S14_SK_SP_EUlS13_E_NS1_11comp_targetILNS1_3genE2ELNS1_11target_archE906ELNS1_3gpuE6ELNS1_3repE0EEENS1_47radix_sort_onesweep_sort_config_static_selectorELNS0_4arch9wavefront6targetE0EEEvSK_,"axG",@progbits,_ZN7rocprim17ROCPRIM_400000_NS6detail17trampoline_kernelINS0_14default_configENS1_35radix_sort_onesweep_config_selectorIiNS0_10empty_typeEEEZZNS1_29radix_sort_onesweep_iterationIS3_Lb1EN6thrust23THRUST_200600_302600_NS6detail15normal_iteratorINS9_10device_ptrIiEEEESE_PS5_SF_jNS0_19identity_decomposerENS1_16block_id_wrapperIjLb1EEEEE10hipError_tT1_PNSt15iterator_traitsISK_E10value_typeET2_T3_PNSL_ISQ_E10value_typeET4_T5_PSV_SW_PNS1_23onesweep_lookback_stateEbbT6_jjT7_P12ihipStream_tbENKUlT_T0_SK_SP_E_clISE_SE_SF_SF_EEDaS13_S14_SK_SP_EUlS13_E_NS1_11comp_targetILNS1_3genE2ELNS1_11target_archE906ELNS1_3gpuE6ELNS1_3repE0EEENS1_47radix_sort_onesweep_sort_config_static_selectorELNS0_4arch9wavefront6targetE0EEEvSK_,comdat
.Lfunc_end339:
	.size	_ZN7rocprim17ROCPRIM_400000_NS6detail17trampoline_kernelINS0_14default_configENS1_35radix_sort_onesweep_config_selectorIiNS0_10empty_typeEEEZZNS1_29radix_sort_onesweep_iterationIS3_Lb1EN6thrust23THRUST_200600_302600_NS6detail15normal_iteratorINS9_10device_ptrIiEEEESE_PS5_SF_jNS0_19identity_decomposerENS1_16block_id_wrapperIjLb1EEEEE10hipError_tT1_PNSt15iterator_traitsISK_E10value_typeET2_T3_PNSL_ISQ_E10value_typeET4_T5_PSV_SW_PNS1_23onesweep_lookback_stateEbbT6_jjT7_P12ihipStream_tbENKUlT_T0_SK_SP_E_clISE_SE_SF_SF_EEDaS13_S14_SK_SP_EUlS13_E_NS1_11comp_targetILNS1_3genE2ELNS1_11target_archE906ELNS1_3gpuE6ELNS1_3repE0EEENS1_47radix_sort_onesweep_sort_config_static_selectorELNS0_4arch9wavefront6targetE0EEEvSK_, .Lfunc_end339-_ZN7rocprim17ROCPRIM_400000_NS6detail17trampoline_kernelINS0_14default_configENS1_35radix_sort_onesweep_config_selectorIiNS0_10empty_typeEEEZZNS1_29radix_sort_onesweep_iterationIS3_Lb1EN6thrust23THRUST_200600_302600_NS6detail15normal_iteratorINS9_10device_ptrIiEEEESE_PS5_SF_jNS0_19identity_decomposerENS1_16block_id_wrapperIjLb1EEEEE10hipError_tT1_PNSt15iterator_traitsISK_E10value_typeET2_T3_PNSL_ISQ_E10value_typeET4_T5_PSV_SW_PNS1_23onesweep_lookback_stateEbbT6_jjT7_P12ihipStream_tbENKUlT_T0_SK_SP_E_clISE_SE_SF_SF_EEDaS13_S14_SK_SP_EUlS13_E_NS1_11comp_targetILNS1_3genE2ELNS1_11target_archE906ELNS1_3gpuE6ELNS1_3repE0EEENS1_47radix_sort_onesweep_sort_config_static_selectorELNS0_4arch9wavefront6targetE0EEEvSK_
                                        ; -- End function
	.set _ZN7rocprim17ROCPRIM_400000_NS6detail17trampoline_kernelINS0_14default_configENS1_35radix_sort_onesweep_config_selectorIiNS0_10empty_typeEEEZZNS1_29radix_sort_onesweep_iterationIS3_Lb1EN6thrust23THRUST_200600_302600_NS6detail15normal_iteratorINS9_10device_ptrIiEEEESE_PS5_SF_jNS0_19identity_decomposerENS1_16block_id_wrapperIjLb1EEEEE10hipError_tT1_PNSt15iterator_traitsISK_E10value_typeET2_T3_PNSL_ISQ_E10value_typeET4_T5_PSV_SW_PNS1_23onesweep_lookback_stateEbbT6_jjT7_P12ihipStream_tbENKUlT_T0_SK_SP_E_clISE_SE_SF_SF_EEDaS13_S14_SK_SP_EUlS13_E_NS1_11comp_targetILNS1_3genE2ELNS1_11target_archE906ELNS1_3gpuE6ELNS1_3repE0EEENS1_47radix_sort_onesweep_sort_config_static_selectorELNS0_4arch9wavefront6targetE0EEEvSK_.num_vgpr, 0
	.set _ZN7rocprim17ROCPRIM_400000_NS6detail17trampoline_kernelINS0_14default_configENS1_35radix_sort_onesweep_config_selectorIiNS0_10empty_typeEEEZZNS1_29radix_sort_onesweep_iterationIS3_Lb1EN6thrust23THRUST_200600_302600_NS6detail15normal_iteratorINS9_10device_ptrIiEEEESE_PS5_SF_jNS0_19identity_decomposerENS1_16block_id_wrapperIjLb1EEEEE10hipError_tT1_PNSt15iterator_traitsISK_E10value_typeET2_T3_PNSL_ISQ_E10value_typeET4_T5_PSV_SW_PNS1_23onesweep_lookback_stateEbbT6_jjT7_P12ihipStream_tbENKUlT_T0_SK_SP_E_clISE_SE_SF_SF_EEDaS13_S14_SK_SP_EUlS13_E_NS1_11comp_targetILNS1_3genE2ELNS1_11target_archE906ELNS1_3gpuE6ELNS1_3repE0EEENS1_47radix_sort_onesweep_sort_config_static_selectorELNS0_4arch9wavefront6targetE0EEEvSK_.num_agpr, 0
	.set _ZN7rocprim17ROCPRIM_400000_NS6detail17trampoline_kernelINS0_14default_configENS1_35radix_sort_onesweep_config_selectorIiNS0_10empty_typeEEEZZNS1_29radix_sort_onesweep_iterationIS3_Lb1EN6thrust23THRUST_200600_302600_NS6detail15normal_iteratorINS9_10device_ptrIiEEEESE_PS5_SF_jNS0_19identity_decomposerENS1_16block_id_wrapperIjLb1EEEEE10hipError_tT1_PNSt15iterator_traitsISK_E10value_typeET2_T3_PNSL_ISQ_E10value_typeET4_T5_PSV_SW_PNS1_23onesweep_lookback_stateEbbT6_jjT7_P12ihipStream_tbENKUlT_T0_SK_SP_E_clISE_SE_SF_SF_EEDaS13_S14_SK_SP_EUlS13_E_NS1_11comp_targetILNS1_3genE2ELNS1_11target_archE906ELNS1_3gpuE6ELNS1_3repE0EEENS1_47radix_sort_onesweep_sort_config_static_selectorELNS0_4arch9wavefront6targetE0EEEvSK_.numbered_sgpr, 0
	.set _ZN7rocprim17ROCPRIM_400000_NS6detail17trampoline_kernelINS0_14default_configENS1_35radix_sort_onesweep_config_selectorIiNS0_10empty_typeEEEZZNS1_29radix_sort_onesweep_iterationIS3_Lb1EN6thrust23THRUST_200600_302600_NS6detail15normal_iteratorINS9_10device_ptrIiEEEESE_PS5_SF_jNS0_19identity_decomposerENS1_16block_id_wrapperIjLb1EEEEE10hipError_tT1_PNSt15iterator_traitsISK_E10value_typeET2_T3_PNSL_ISQ_E10value_typeET4_T5_PSV_SW_PNS1_23onesweep_lookback_stateEbbT6_jjT7_P12ihipStream_tbENKUlT_T0_SK_SP_E_clISE_SE_SF_SF_EEDaS13_S14_SK_SP_EUlS13_E_NS1_11comp_targetILNS1_3genE2ELNS1_11target_archE906ELNS1_3gpuE6ELNS1_3repE0EEENS1_47radix_sort_onesweep_sort_config_static_selectorELNS0_4arch9wavefront6targetE0EEEvSK_.num_named_barrier, 0
	.set _ZN7rocprim17ROCPRIM_400000_NS6detail17trampoline_kernelINS0_14default_configENS1_35radix_sort_onesweep_config_selectorIiNS0_10empty_typeEEEZZNS1_29radix_sort_onesweep_iterationIS3_Lb1EN6thrust23THRUST_200600_302600_NS6detail15normal_iteratorINS9_10device_ptrIiEEEESE_PS5_SF_jNS0_19identity_decomposerENS1_16block_id_wrapperIjLb1EEEEE10hipError_tT1_PNSt15iterator_traitsISK_E10value_typeET2_T3_PNSL_ISQ_E10value_typeET4_T5_PSV_SW_PNS1_23onesweep_lookback_stateEbbT6_jjT7_P12ihipStream_tbENKUlT_T0_SK_SP_E_clISE_SE_SF_SF_EEDaS13_S14_SK_SP_EUlS13_E_NS1_11comp_targetILNS1_3genE2ELNS1_11target_archE906ELNS1_3gpuE6ELNS1_3repE0EEENS1_47radix_sort_onesweep_sort_config_static_selectorELNS0_4arch9wavefront6targetE0EEEvSK_.private_seg_size, 0
	.set _ZN7rocprim17ROCPRIM_400000_NS6detail17trampoline_kernelINS0_14default_configENS1_35radix_sort_onesweep_config_selectorIiNS0_10empty_typeEEEZZNS1_29radix_sort_onesweep_iterationIS3_Lb1EN6thrust23THRUST_200600_302600_NS6detail15normal_iteratorINS9_10device_ptrIiEEEESE_PS5_SF_jNS0_19identity_decomposerENS1_16block_id_wrapperIjLb1EEEEE10hipError_tT1_PNSt15iterator_traitsISK_E10value_typeET2_T3_PNSL_ISQ_E10value_typeET4_T5_PSV_SW_PNS1_23onesweep_lookback_stateEbbT6_jjT7_P12ihipStream_tbENKUlT_T0_SK_SP_E_clISE_SE_SF_SF_EEDaS13_S14_SK_SP_EUlS13_E_NS1_11comp_targetILNS1_3genE2ELNS1_11target_archE906ELNS1_3gpuE6ELNS1_3repE0EEENS1_47radix_sort_onesweep_sort_config_static_selectorELNS0_4arch9wavefront6targetE0EEEvSK_.uses_vcc, 0
	.set _ZN7rocprim17ROCPRIM_400000_NS6detail17trampoline_kernelINS0_14default_configENS1_35radix_sort_onesweep_config_selectorIiNS0_10empty_typeEEEZZNS1_29radix_sort_onesweep_iterationIS3_Lb1EN6thrust23THRUST_200600_302600_NS6detail15normal_iteratorINS9_10device_ptrIiEEEESE_PS5_SF_jNS0_19identity_decomposerENS1_16block_id_wrapperIjLb1EEEEE10hipError_tT1_PNSt15iterator_traitsISK_E10value_typeET2_T3_PNSL_ISQ_E10value_typeET4_T5_PSV_SW_PNS1_23onesweep_lookback_stateEbbT6_jjT7_P12ihipStream_tbENKUlT_T0_SK_SP_E_clISE_SE_SF_SF_EEDaS13_S14_SK_SP_EUlS13_E_NS1_11comp_targetILNS1_3genE2ELNS1_11target_archE906ELNS1_3gpuE6ELNS1_3repE0EEENS1_47radix_sort_onesweep_sort_config_static_selectorELNS0_4arch9wavefront6targetE0EEEvSK_.uses_flat_scratch, 0
	.set _ZN7rocprim17ROCPRIM_400000_NS6detail17trampoline_kernelINS0_14default_configENS1_35radix_sort_onesweep_config_selectorIiNS0_10empty_typeEEEZZNS1_29radix_sort_onesweep_iterationIS3_Lb1EN6thrust23THRUST_200600_302600_NS6detail15normal_iteratorINS9_10device_ptrIiEEEESE_PS5_SF_jNS0_19identity_decomposerENS1_16block_id_wrapperIjLb1EEEEE10hipError_tT1_PNSt15iterator_traitsISK_E10value_typeET2_T3_PNSL_ISQ_E10value_typeET4_T5_PSV_SW_PNS1_23onesweep_lookback_stateEbbT6_jjT7_P12ihipStream_tbENKUlT_T0_SK_SP_E_clISE_SE_SF_SF_EEDaS13_S14_SK_SP_EUlS13_E_NS1_11comp_targetILNS1_3genE2ELNS1_11target_archE906ELNS1_3gpuE6ELNS1_3repE0EEENS1_47radix_sort_onesweep_sort_config_static_selectorELNS0_4arch9wavefront6targetE0EEEvSK_.has_dyn_sized_stack, 0
	.set _ZN7rocprim17ROCPRIM_400000_NS6detail17trampoline_kernelINS0_14default_configENS1_35radix_sort_onesweep_config_selectorIiNS0_10empty_typeEEEZZNS1_29radix_sort_onesweep_iterationIS3_Lb1EN6thrust23THRUST_200600_302600_NS6detail15normal_iteratorINS9_10device_ptrIiEEEESE_PS5_SF_jNS0_19identity_decomposerENS1_16block_id_wrapperIjLb1EEEEE10hipError_tT1_PNSt15iterator_traitsISK_E10value_typeET2_T3_PNSL_ISQ_E10value_typeET4_T5_PSV_SW_PNS1_23onesweep_lookback_stateEbbT6_jjT7_P12ihipStream_tbENKUlT_T0_SK_SP_E_clISE_SE_SF_SF_EEDaS13_S14_SK_SP_EUlS13_E_NS1_11comp_targetILNS1_3genE2ELNS1_11target_archE906ELNS1_3gpuE6ELNS1_3repE0EEENS1_47radix_sort_onesweep_sort_config_static_selectorELNS0_4arch9wavefront6targetE0EEEvSK_.has_recursion, 0
	.set _ZN7rocprim17ROCPRIM_400000_NS6detail17trampoline_kernelINS0_14default_configENS1_35radix_sort_onesweep_config_selectorIiNS0_10empty_typeEEEZZNS1_29radix_sort_onesweep_iterationIS3_Lb1EN6thrust23THRUST_200600_302600_NS6detail15normal_iteratorINS9_10device_ptrIiEEEESE_PS5_SF_jNS0_19identity_decomposerENS1_16block_id_wrapperIjLb1EEEEE10hipError_tT1_PNSt15iterator_traitsISK_E10value_typeET2_T3_PNSL_ISQ_E10value_typeET4_T5_PSV_SW_PNS1_23onesweep_lookback_stateEbbT6_jjT7_P12ihipStream_tbENKUlT_T0_SK_SP_E_clISE_SE_SF_SF_EEDaS13_S14_SK_SP_EUlS13_E_NS1_11comp_targetILNS1_3genE2ELNS1_11target_archE906ELNS1_3gpuE6ELNS1_3repE0EEENS1_47radix_sort_onesweep_sort_config_static_selectorELNS0_4arch9wavefront6targetE0EEEvSK_.has_indirect_call, 0
	.section	.AMDGPU.csdata,"",@progbits
; Kernel info:
; codeLenInByte = 0
; TotalNumSgprs: 0
; NumVgprs: 0
; ScratchSize: 0
; MemoryBound: 0
; FloatMode: 240
; IeeeMode: 1
; LDSByteSize: 0 bytes/workgroup (compile time only)
; SGPRBlocks: 0
; VGPRBlocks: 0
; NumSGPRsForWavesPerEU: 1
; NumVGPRsForWavesPerEU: 1
; Occupancy: 16
; WaveLimiterHint : 0
; COMPUTE_PGM_RSRC2:SCRATCH_EN: 0
; COMPUTE_PGM_RSRC2:USER_SGPR: 6
; COMPUTE_PGM_RSRC2:TRAP_HANDLER: 0
; COMPUTE_PGM_RSRC2:TGID_X_EN: 1
; COMPUTE_PGM_RSRC2:TGID_Y_EN: 0
; COMPUTE_PGM_RSRC2:TGID_Z_EN: 0
; COMPUTE_PGM_RSRC2:TIDIG_COMP_CNT: 0
	.section	.text._ZN7rocprim17ROCPRIM_400000_NS6detail17trampoline_kernelINS0_14default_configENS1_35radix_sort_onesweep_config_selectorIiNS0_10empty_typeEEEZZNS1_29radix_sort_onesweep_iterationIS3_Lb1EN6thrust23THRUST_200600_302600_NS6detail15normal_iteratorINS9_10device_ptrIiEEEESE_PS5_SF_jNS0_19identity_decomposerENS1_16block_id_wrapperIjLb1EEEEE10hipError_tT1_PNSt15iterator_traitsISK_E10value_typeET2_T3_PNSL_ISQ_E10value_typeET4_T5_PSV_SW_PNS1_23onesweep_lookback_stateEbbT6_jjT7_P12ihipStream_tbENKUlT_T0_SK_SP_E_clISE_SE_SF_SF_EEDaS13_S14_SK_SP_EUlS13_E_NS1_11comp_targetILNS1_3genE4ELNS1_11target_archE910ELNS1_3gpuE8ELNS1_3repE0EEENS1_47radix_sort_onesweep_sort_config_static_selectorELNS0_4arch9wavefront6targetE0EEEvSK_,"axG",@progbits,_ZN7rocprim17ROCPRIM_400000_NS6detail17trampoline_kernelINS0_14default_configENS1_35radix_sort_onesweep_config_selectorIiNS0_10empty_typeEEEZZNS1_29radix_sort_onesweep_iterationIS3_Lb1EN6thrust23THRUST_200600_302600_NS6detail15normal_iteratorINS9_10device_ptrIiEEEESE_PS5_SF_jNS0_19identity_decomposerENS1_16block_id_wrapperIjLb1EEEEE10hipError_tT1_PNSt15iterator_traitsISK_E10value_typeET2_T3_PNSL_ISQ_E10value_typeET4_T5_PSV_SW_PNS1_23onesweep_lookback_stateEbbT6_jjT7_P12ihipStream_tbENKUlT_T0_SK_SP_E_clISE_SE_SF_SF_EEDaS13_S14_SK_SP_EUlS13_E_NS1_11comp_targetILNS1_3genE4ELNS1_11target_archE910ELNS1_3gpuE8ELNS1_3repE0EEENS1_47radix_sort_onesweep_sort_config_static_selectorELNS0_4arch9wavefront6targetE0EEEvSK_,comdat
	.protected	_ZN7rocprim17ROCPRIM_400000_NS6detail17trampoline_kernelINS0_14default_configENS1_35radix_sort_onesweep_config_selectorIiNS0_10empty_typeEEEZZNS1_29radix_sort_onesweep_iterationIS3_Lb1EN6thrust23THRUST_200600_302600_NS6detail15normal_iteratorINS9_10device_ptrIiEEEESE_PS5_SF_jNS0_19identity_decomposerENS1_16block_id_wrapperIjLb1EEEEE10hipError_tT1_PNSt15iterator_traitsISK_E10value_typeET2_T3_PNSL_ISQ_E10value_typeET4_T5_PSV_SW_PNS1_23onesweep_lookback_stateEbbT6_jjT7_P12ihipStream_tbENKUlT_T0_SK_SP_E_clISE_SE_SF_SF_EEDaS13_S14_SK_SP_EUlS13_E_NS1_11comp_targetILNS1_3genE4ELNS1_11target_archE910ELNS1_3gpuE8ELNS1_3repE0EEENS1_47radix_sort_onesweep_sort_config_static_selectorELNS0_4arch9wavefront6targetE0EEEvSK_ ; -- Begin function _ZN7rocprim17ROCPRIM_400000_NS6detail17trampoline_kernelINS0_14default_configENS1_35radix_sort_onesweep_config_selectorIiNS0_10empty_typeEEEZZNS1_29radix_sort_onesweep_iterationIS3_Lb1EN6thrust23THRUST_200600_302600_NS6detail15normal_iteratorINS9_10device_ptrIiEEEESE_PS5_SF_jNS0_19identity_decomposerENS1_16block_id_wrapperIjLb1EEEEE10hipError_tT1_PNSt15iterator_traitsISK_E10value_typeET2_T3_PNSL_ISQ_E10value_typeET4_T5_PSV_SW_PNS1_23onesweep_lookback_stateEbbT6_jjT7_P12ihipStream_tbENKUlT_T0_SK_SP_E_clISE_SE_SF_SF_EEDaS13_S14_SK_SP_EUlS13_E_NS1_11comp_targetILNS1_3genE4ELNS1_11target_archE910ELNS1_3gpuE8ELNS1_3repE0EEENS1_47radix_sort_onesweep_sort_config_static_selectorELNS0_4arch9wavefront6targetE0EEEvSK_
	.globl	_ZN7rocprim17ROCPRIM_400000_NS6detail17trampoline_kernelINS0_14default_configENS1_35radix_sort_onesweep_config_selectorIiNS0_10empty_typeEEEZZNS1_29radix_sort_onesweep_iterationIS3_Lb1EN6thrust23THRUST_200600_302600_NS6detail15normal_iteratorINS9_10device_ptrIiEEEESE_PS5_SF_jNS0_19identity_decomposerENS1_16block_id_wrapperIjLb1EEEEE10hipError_tT1_PNSt15iterator_traitsISK_E10value_typeET2_T3_PNSL_ISQ_E10value_typeET4_T5_PSV_SW_PNS1_23onesweep_lookback_stateEbbT6_jjT7_P12ihipStream_tbENKUlT_T0_SK_SP_E_clISE_SE_SF_SF_EEDaS13_S14_SK_SP_EUlS13_E_NS1_11comp_targetILNS1_3genE4ELNS1_11target_archE910ELNS1_3gpuE8ELNS1_3repE0EEENS1_47radix_sort_onesweep_sort_config_static_selectorELNS0_4arch9wavefront6targetE0EEEvSK_
	.p2align	8
	.type	_ZN7rocprim17ROCPRIM_400000_NS6detail17trampoline_kernelINS0_14default_configENS1_35radix_sort_onesweep_config_selectorIiNS0_10empty_typeEEEZZNS1_29radix_sort_onesweep_iterationIS3_Lb1EN6thrust23THRUST_200600_302600_NS6detail15normal_iteratorINS9_10device_ptrIiEEEESE_PS5_SF_jNS0_19identity_decomposerENS1_16block_id_wrapperIjLb1EEEEE10hipError_tT1_PNSt15iterator_traitsISK_E10value_typeET2_T3_PNSL_ISQ_E10value_typeET4_T5_PSV_SW_PNS1_23onesweep_lookback_stateEbbT6_jjT7_P12ihipStream_tbENKUlT_T0_SK_SP_E_clISE_SE_SF_SF_EEDaS13_S14_SK_SP_EUlS13_E_NS1_11comp_targetILNS1_3genE4ELNS1_11target_archE910ELNS1_3gpuE8ELNS1_3repE0EEENS1_47radix_sort_onesweep_sort_config_static_selectorELNS0_4arch9wavefront6targetE0EEEvSK_,@function
_ZN7rocprim17ROCPRIM_400000_NS6detail17trampoline_kernelINS0_14default_configENS1_35radix_sort_onesweep_config_selectorIiNS0_10empty_typeEEEZZNS1_29radix_sort_onesweep_iterationIS3_Lb1EN6thrust23THRUST_200600_302600_NS6detail15normal_iteratorINS9_10device_ptrIiEEEESE_PS5_SF_jNS0_19identity_decomposerENS1_16block_id_wrapperIjLb1EEEEE10hipError_tT1_PNSt15iterator_traitsISK_E10value_typeET2_T3_PNSL_ISQ_E10value_typeET4_T5_PSV_SW_PNS1_23onesweep_lookback_stateEbbT6_jjT7_P12ihipStream_tbENKUlT_T0_SK_SP_E_clISE_SE_SF_SF_EEDaS13_S14_SK_SP_EUlS13_E_NS1_11comp_targetILNS1_3genE4ELNS1_11target_archE910ELNS1_3gpuE8ELNS1_3repE0EEENS1_47radix_sort_onesweep_sort_config_static_selectorELNS0_4arch9wavefront6targetE0EEEvSK_: ; @_ZN7rocprim17ROCPRIM_400000_NS6detail17trampoline_kernelINS0_14default_configENS1_35radix_sort_onesweep_config_selectorIiNS0_10empty_typeEEEZZNS1_29radix_sort_onesweep_iterationIS3_Lb1EN6thrust23THRUST_200600_302600_NS6detail15normal_iteratorINS9_10device_ptrIiEEEESE_PS5_SF_jNS0_19identity_decomposerENS1_16block_id_wrapperIjLb1EEEEE10hipError_tT1_PNSt15iterator_traitsISK_E10value_typeET2_T3_PNSL_ISQ_E10value_typeET4_T5_PSV_SW_PNS1_23onesweep_lookback_stateEbbT6_jjT7_P12ihipStream_tbENKUlT_T0_SK_SP_E_clISE_SE_SF_SF_EEDaS13_S14_SK_SP_EUlS13_E_NS1_11comp_targetILNS1_3genE4ELNS1_11target_archE910ELNS1_3gpuE8ELNS1_3repE0EEENS1_47radix_sort_onesweep_sort_config_static_selectorELNS0_4arch9wavefront6targetE0EEEvSK_
; %bb.0:
	.section	.rodata,"a",@progbits
	.p2align	6, 0x0
	.amdhsa_kernel _ZN7rocprim17ROCPRIM_400000_NS6detail17trampoline_kernelINS0_14default_configENS1_35radix_sort_onesweep_config_selectorIiNS0_10empty_typeEEEZZNS1_29radix_sort_onesweep_iterationIS3_Lb1EN6thrust23THRUST_200600_302600_NS6detail15normal_iteratorINS9_10device_ptrIiEEEESE_PS5_SF_jNS0_19identity_decomposerENS1_16block_id_wrapperIjLb1EEEEE10hipError_tT1_PNSt15iterator_traitsISK_E10value_typeET2_T3_PNSL_ISQ_E10value_typeET4_T5_PSV_SW_PNS1_23onesweep_lookback_stateEbbT6_jjT7_P12ihipStream_tbENKUlT_T0_SK_SP_E_clISE_SE_SF_SF_EEDaS13_S14_SK_SP_EUlS13_E_NS1_11comp_targetILNS1_3genE4ELNS1_11target_archE910ELNS1_3gpuE8ELNS1_3repE0EEENS1_47radix_sort_onesweep_sort_config_static_selectorELNS0_4arch9wavefront6targetE0EEEvSK_
		.amdhsa_group_segment_fixed_size 0
		.amdhsa_private_segment_fixed_size 0
		.amdhsa_kernarg_size 88
		.amdhsa_user_sgpr_count 6
		.amdhsa_user_sgpr_private_segment_buffer 1
		.amdhsa_user_sgpr_dispatch_ptr 0
		.amdhsa_user_sgpr_queue_ptr 0
		.amdhsa_user_sgpr_kernarg_segment_ptr 1
		.amdhsa_user_sgpr_dispatch_id 0
		.amdhsa_user_sgpr_flat_scratch_init 0
		.amdhsa_user_sgpr_private_segment_size 0
		.amdhsa_wavefront_size32 1
		.amdhsa_uses_dynamic_stack 0
		.amdhsa_system_sgpr_private_segment_wavefront_offset 0
		.amdhsa_system_sgpr_workgroup_id_x 1
		.amdhsa_system_sgpr_workgroup_id_y 0
		.amdhsa_system_sgpr_workgroup_id_z 0
		.amdhsa_system_sgpr_workgroup_info 0
		.amdhsa_system_vgpr_workitem_id 0
		.amdhsa_next_free_vgpr 1
		.amdhsa_next_free_sgpr 1
		.amdhsa_reserve_vcc 0
		.amdhsa_reserve_flat_scratch 0
		.amdhsa_float_round_mode_32 0
		.amdhsa_float_round_mode_16_64 0
		.amdhsa_float_denorm_mode_32 3
		.amdhsa_float_denorm_mode_16_64 3
		.amdhsa_dx10_clamp 1
		.amdhsa_ieee_mode 1
		.amdhsa_fp16_overflow 0
		.amdhsa_workgroup_processor_mode 1
		.amdhsa_memory_ordered 1
		.amdhsa_forward_progress 1
		.amdhsa_shared_vgpr_count 0
		.amdhsa_exception_fp_ieee_invalid_op 0
		.amdhsa_exception_fp_denorm_src 0
		.amdhsa_exception_fp_ieee_div_zero 0
		.amdhsa_exception_fp_ieee_overflow 0
		.amdhsa_exception_fp_ieee_underflow 0
		.amdhsa_exception_fp_ieee_inexact 0
		.amdhsa_exception_int_div_zero 0
	.end_amdhsa_kernel
	.section	.text._ZN7rocprim17ROCPRIM_400000_NS6detail17trampoline_kernelINS0_14default_configENS1_35radix_sort_onesweep_config_selectorIiNS0_10empty_typeEEEZZNS1_29radix_sort_onesweep_iterationIS3_Lb1EN6thrust23THRUST_200600_302600_NS6detail15normal_iteratorINS9_10device_ptrIiEEEESE_PS5_SF_jNS0_19identity_decomposerENS1_16block_id_wrapperIjLb1EEEEE10hipError_tT1_PNSt15iterator_traitsISK_E10value_typeET2_T3_PNSL_ISQ_E10value_typeET4_T5_PSV_SW_PNS1_23onesweep_lookback_stateEbbT6_jjT7_P12ihipStream_tbENKUlT_T0_SK_SP_E_clISE_SE_SF_SF_EEDaS13_S14_SK_SP_EUlS13_E_NS1_11comp_targetILNS1_3genE4ELNS1_11target_archE910ELNS1_3gpuE8ELNS1_3repE0EEENS1_47radix_sort_onesweep_sort_config_static_selectorELNS0_4arch9wavefront6targetE0EEEvSK_,"axG",@progbits,_ZN7rocprim17ROCPRIM_400000_NS6detail17trampoline_kernelINS0_14default_configENS1_35radix_sort_onesweep_config_selectorIiNS0_10empty_typeEEEZZNS1_29radix_sort_onesweep_iterationIS3_Lb1EN6thrust23THRUST_200600_302600_NS6detail15normal_iteratorINS9_10device_ptrIiEEEESE_PS5_SF_jNS0_19identity_decomposerENS1_16block_id_wrapperIjLb1EEEEE10hipError_tT1_PNSt15iterator_traitsISK_E10value_typeET2_T3_PNSL_ISQ_E10value_typeET4_T5_PSV_SW_PNS1_23onesweep_lookback_stateEbbT6_jjT7_P12ihipStream_tbENKUlT_T0_SK_SP_E_clISE_SE_SF_SF_EEDaS13_S14_SK_SP_EUlS13_E_NS1_11comp_targetILNS1_3genE4ELNS1_11target_archE910ELNS1_3gpuE8ELNS1_3repE0EEENS1_47radix_sort_onesweep_sort_config_static_selectorELNS0_4arch9wavefront6targetE0EEEvSK_,comdat
.Lfunc_end340:
	.size	_ZN7rocprim17ROCPRIM_400000_NS6detail17trampoline_kernelINS0_14default_configENS1_35radix_sort_onesweep_config_selectorIiNS0_10empty_typeEEEZZNS1_29radix_sort_onesweep_iterationIS3_Lb1EN6thrust23THRUST_200600_302600_NS6detail15normal_iteratorINS9_10device_ptrIiEEEESE_PS5_SF_jNS0_19identity_decomposerENS1_16block_id_wrapperIjLb1EEEEE10hipError_tT1_PNSt15iterator_traitsISK_E10value_typeET2_T3_PNSL_ISQ_E10value_typeET4_T5_PSV_SW_PNS1_23onesweep_lookback_stateEbbT6_jjT7_P12ihipStream_tbENKUlT_T0_SK_SP_E_clISE_SE_SF_SF_EEDaS13_S14_SK_SP_EUlS13_E_NS1_11comp_targetILNS1_3genE4ELNS1_11target_archE910ELNS1_3gpuE8ELNS1_3repE0EEENS1_47radix_sort_onesweep_sort_config_static_selectorELNS0_4arch9wavefront6targetE0EEEvSK_, .Lfunc_end340-_ZN7rocprim17ROCPRIM_400000_NS6detail17trampoline_kernelINS0_14default_configENS1_35radix_sort_onesweep_config_selectorIiNS0_10empty_typeEEEZZNS1_29radix_sort_onesweep_iterationIS3_Lb1EN6thrust23THRUST_200600_302600_NS6detail15normal_iteratorINS9_10device_ptrIiEEEESE_PS5_SF_jNS0_19identity_decomposerENS1_16block_id_wrapperIjLb1EEEEE10hipError_tT1_PNSt15iterator_traitsISK_E10value_typeET2_T3_PNSL_ISQ_E10value_typeET4_T5_PSV_SW_PNS1_23onesweep_lookback_stateEbbT6_jjT7_P12ihipStream_tbENKUlT_T0_SK_SP_E_clISE_SE_SF_SF_EEDaS13_S14_SK_SP_EUlS13_E_NS1_11comp_targetILNS1_3genE4ELNS1_11target_archE910ELNS1_3gpuE8ELNS1_3repE0EEENS1_47radix_sort_onesweep_sort_config_static_selectorELNS0_4arch9wavefront6targetE0EEEvSK_
                                        ; -- End function
	.set _ZN7rocprim17ROCPRIM_400000_NS6detail17trampoline_kernelINS0_14default_configENS1_35radix_sort_onesweep_config_selectorIiNS0_10empty_typeEEEZZNS1_29radix_sort_onesweep_iterationIS3_Lb1EN6thrust23THRUST_200600_302600_NS6detail15normal_iteratorINS9_10device_ptrIiEEEESE_PS5_SF_jNS0_19identity_decomposerENS1_16block_id_wrapperIjLb1EEEEE10hipError_tT1_PNSt15iterator_traitsISK_E10value_typeET2_T3_PNSL_ISQ_E10value_typeET4_T5_PSV_SW_PNS1_23onesweep_lookback_stateEbbT6_jjT7_P12ihipStream_tbENKUlT_T0_SK_SP_E_clISE_SE_SF_SF_EEDaS13_S14_SK_SP_EUlS13_E_NS1_11comp_targetILNS1_3genE4ELNS1_11target_archE910ELNS1_3gpuE8ELNS1_3repE0EEENS1_47radix_sort_onesweep_sort_config_static_selectorELNS0_4arch9wavefront6targetE0EEEvSK_.num_vgpr, 0
	.set _ZN7rocprim17ROCPRIM_400000_NS6detail17trampoline_kernelINS0_14default_configENS1_35radix_sort_onesweep_config_selectorIiNS0_10empty_typeEEEZZNS1_29radix_sort_onesweep_iterationIS3_Lb1EN6thrust23THRUST_200600_302600_NS6detail15normal_iteratorINS9_10device_ptrIiEEEESE_PS5_SF_jNS0_19identity_decomposerENS1_16block_id_wrapperIjLb1EEEEE10hipError_tT1_PNSt15iterator_traitsISK_E10value_typeET2_T3_PNSL_ISQ_E10value_typeET4_T5_PSV_SW_PNS1_23onesweep_lookback_stateEbbT6_jjT7_P12ihipStream_tbENKUlT_T0_SK_SP_E_clISE_SE_SF_SF_EEDaS13_S14_SK_SP_EUlS13_E_NS1_11comp_targetILNS1_3genE4ELNS1_11target_archE910ELNS1_3gpuE8ELNS1_3repE0EEENS1_47radix_sort_onesweep_sort_config_static_selectorELNS0_4arch9wavefront6targetE0EEEvSK_.num_agpr, 0
	.set _ZN7rocprim17ROCPRIM_400000_NS6detail17trampoline_kernelINS0_14default_configENS1_35radix_sort_onesweep_config_selectorIiNS0_10empty_typeEEEZZNS1_29radix_sort_onesweep_iterationIS3_Lb1EN6thrust23THRUST_200600_302600_NS6detail15normal_iteratorINS9_10device_ptrIiEEEESE_PS5_SF_jNS0_19identity_decomposerENS1_16block_id_wrapperIjLb1EEEEE10hipError_tT1_PNSt15iterator_traitsISK_E10value_typeET2_T3_PNSL_ISQ_E10value_typeET4_T5_PSV_SW_PNS1_23onesweep_lookback_stateEbbT6_jjT7_P12ihipStream_tbENKUlT_T0_SK_SP_E_clISE_SE_SF_SF_EEDaS13_S14_SK_SP_EUlS13_E_NS1_11comp_targetILNS1_3genE4ELNS1_11target_archE910ELNS1_3gpuE8ELNS1_3repE0EEENS1_47radix_sort_onesweep_sort_config_static_selectorELNS0_4arch9wavefront6targetE0EEEvSK_.numbered_sgpr, 0
	.set _ZN7rocprim17ROCPRIM_400000_NS6detail17trampoline_kernelINS0_14default_configENS1_35radix_sort_onesweep_config_selectorIiNS0_10empty_typeEEEZZNS1_29radix_sort_onesweep_iterationIS3_Lb1EN6thrust23THRUST_200600_302600_NS6detail15normal_iteratorINS9_10device_ptrIiEEEESE_PS5_SF_jNS0_19identity_decomposerENS1_16block_id_wrapperIjLb1EEEEE10hipError_tT1_PNSt15iterator_traitsISK_E10value_typeET2_T3_PNSL_ISQ_E10value_typeET4_T5_PSV_SW_PNS1_23onesweep_lookback_stateEbbT6_jjT7_P12ihipStream_tbENKUlT_T0_SK_SP_E_clISE_SE_SF_SF_EEDaS13_S14_SK_SP_EUlS13_E_NS1_11comp_targetILNS1_3genE4ELNS1_11target_archE910ELNS1_3gpuE8ELNS1_3repE0EEENS1_47radix_sort_onesweep_sort_config_static_selectorELNS0_4arch9wavefront6targetE0EEEvSK_.num_named_barrier, 0
	.set _ZN7rocprim17ROCPRIM_400000_NS6detail17trampoline_kernelINS0_14default_configENS1_35radix_sort_onesweep_config_selectorIiNS0_10empty_typeEEEZZNS1_29radix_sort_onesweep_iterationIS3_Lb1EN6thrust23THRUST_200600_302600_NS6detail15normal_iteratorINS9_10device_ptrIiEEEESE_PS5_SF_jNS0_19identity_decomposerENS1_16block_id_wrapperIjLb1EEEEE10hipError_tT1_PNSt15iterator_traitsISK_E10value_typeET2_T3_PNSL_ISQ_E10value_typeET4_T5_PSV_SW_PNS1_23onesweep_lookback_stateEbbT6_jjT7_P12ihipStream_tbENKUlT_T0_SK_SP_E_clISE_SE_SF_SF_EEDaS13_S14_SK_SP_EUlS13_E_NS1_11comp_targetILNS1_3genE4ELNS1_11target_archE910ELNS1_3gpuE8ELNS1_3repE0EEENS1_47radix_sort_onesweep_sort_config_static_selectorELNS0_4arch9wavefront6targetE0EEEvSK_.private_seg_size, 0
	.set _ZN7rocprim17ROCPRIM_400000_NS6detail17trampoline_kernelINS0_14default_configENS1_35radix_sort_onesweep_config_selectorIiNS0_10empty_typeEEEZZNS1_29radix_sort_onesweep_iterationIS3_Lb1EN6thrust23THRUST_200600_302600_NS6detail15normal_iteratorINS9_10device_ptrIiEEEESE_PS5_SF_jNS0_19identity_decomposerENS1_16block_id_wrapperIjLb1EEEEE10hipError_tT1_PNSt15iterator_traitsISK_E10value_typeET2_T3_PNSL_ISQ_E10value_typeET4_T5_PSV_SW_PNS1_23onesweep_lookback_stateEbbT6_jjT7_P12ihipStream_tbENKUlT_T0_SK_SP_E_clISE_SE_SF_SF_EEDaS13_S14_SK_SP_EUlS13_E_NS1_11comp_targetILNS1_3genE4ELNS1_11target_archE910ELNS1_3gpuE8ELNS1_3repE0EEENS1_47radix_sort_onesweep_sort_config_static_selectorELNS0_4arch9wavefront6targetE0EEEvSK_.uses_vcc, 0
	.set _ZN7rocprim17ROCPRIM_400000_NS6detail17trampoline_kernelINS0_14default_configENS1_35radix_sort_onesweep_config_selectorIiNS0_10empty_typeEEEZZNS1_29radix_sort_onesweep_iterationIS3_Lb1EN6thrust23THRUST_200600_302600_NS6detail15normal_iteratorINS9_10device_ptrIiEEEESE_PS5_SF_jNS0_19identity_decomposerENS1_16block_id_wrapperIjLb1EEEEE10hipError_tT1_PNSt15iterator_traitsISK_E10value_typeET2_T3_PNSL_ISQ_E10value_typeET4_T5_PSV_SW_PNS1_23onesweep_lookback_stateEbbT6_jjT7_P12ihipStream_tbENKUlT_T0_SK_SP_E_clISE_SE_SF_SF_EEDaS13_S14_SK_SP_EUlS13_E_NS1_11comp_targetILNS1_3genE4ELNS1_11target_archE910ELNS1_3gpuE8ELNS1_3repE0EEENS1_47radix_sort_onesweep_sort_config_static_selectorELNS0_4arch9wavefront6targetE0EEEvSK_.uses_flat_scratch, 0
	.set _ZN7rocprim17ROCPRIM_400000_NS6detail17trampoline_kernelINS0_14default_configENS1_35radix_sort_onesweep_config_selectorIiNS0_10empty_typeEEEZZNS1_29radix_sort_onesweep_iterationIS3_Lb1EN6thrust23THRUST_200600_302600_NS6detail15normal_iteratorINS9_10device_ptrIiEEEESE_PS5_SF_jNS0_19identity_decomposerENS1_16block_id_wrapperIjLb1EEEEE10hipError_tT1_PNSt15iterator_traitsISK_E10value_typeET2_T3_PNSL_ISQ_E10value_typeET4_T5_PSV_SW_PNS1_23onesweep_lookback_stateEbbT6_jjT7_P12ihipStream_tbENKUlT_T0_SK_SP_E_clISE_SE_SF_SF_EEDaS13_S14_SK_SP_EUlS13_E_NS1_11comp_targetILNS1_3genE4ELNS1_11target_archE910ELNS1_3gpuE8ELNS1_3repE0EEENS1_47radix_sort_onesweep_sort_config_static_selectorELNS0_4arch9wavefront6targetE0EEEvSK_.has_dyn_sized_stack, 0
	.set _ZN7rocprim17ROCPRIM_400000_NS6detail17trampoline_kernelINS0_14default_configENS1_35radix_sort_onesweep_config_selectorIiNS0_10empty_typeEEEZZNS1_29radix_sort_onesweep_iterationIS3_Lb1EN6thrust23THRUST_200600_302600_NS6detail15normal_iteratorINS9_10device_ptrIiEEEESE_PS5_SF_jNS0_19identity_decomposerENS1_16block_id_wrapperIjLb1EEEEE10hipError_tT1_PNSt15iterator_traitsISK_E10value_typeET2_T3_PNSL_ISQ_E10value_typeET4_T5_PSV_SW_PNS1_23onesweep_lookback_stateEbbT6_jjT7_P12ihipStream_tbENKUlT_T0_SK_SP_E_clISE_SE_SF_SF_EEDaS13_S14_SK_SP_EUlS13_E_NS1_11comp_targetILNS1_3genE4ELNS1_11target_archE910ELNS1_3gpuE8ELNS1_3repE0EEENS1_47radix_sort_onesweep_sort_config_static_selectorELNS0_4arch9wavefront6targetE0EEEvSK_.has_recursion, 0
	.set _ZN7rocprim17ROCPRIM_400000_NS6detail17trampoline_kernelINS0_14default_configENS1_35radix_sort_onesweep_config_selectorIiNS0_10empty_typeEEEZZNS1_29radix_sort_onesweep_iterationIS3_Lb1EN6thrust23THRUST_200600_302600_NS6detail15normal_iteratorINS9_10device_ptrIiEEEESE_PS5_SF_jNS0_19identity_decomposerENS1_16block_id_wrapperIjLb1EEEEE10hipError_tT1_PNSt15iterator_traitsISK_E10value_typeET2_T3_PNSL_ISQ_E10value_typeET4_T5_PSV_SW_PNS1_23onesweep_lookback_stateEbbT6_jjT7_P12ihipStream_tbENKUlT_T0_SK_SP_E_clISE_SE_SF_SF_EEDaS13_S14_SK_SP_EUlS13_E_NS1_11comp_targetILNS1_3genE4ELNS1_11target_archE910ELNS1_3gpuE8ELNS1_3repE0EEENS1_47radix_sort_onesweep_sort_config_static_selectorELNS0_4arch9wavefront6targetE0EEEvSK_.has_indirect_call, 0
	.section	.AMDGPU.csdata,"",@progbits
; Kernel info:
; codeLenInByte = 0
; TotalNumSgprs: 0
; NumVgprs: 0
; ScratchSize: 0
; MemoryBound: 0
; FloatMode: 240
; IeeeMode: 1
; LDSByteSize: 0 bytes/workgroup (compile time only)
; SGPRBlocks: 0
; VGPRBlocks: 0
; NumSGPRsForWavesPerEU: 1
; NumVGPRsForWavesPerEU: 1
; Occupancy: 16
; WaveLimiterHint : 0
; COMPUTE_PGM_RSRC2:SCRATCH_EN: 0
; COMPUTE_PGM_RSRC2:USER_SGPR: 6
; COMPUTE_PGM_RSRC2:TRAP_HANDLER: 0
; COMPUTE_PGM_RSRC2:TGID_X_EN: 1
; COMPUTE_PGM_RSRC2:TGID_Y_EN: 0
; COMPUTE_PGM_RSRC2:TGID_Z_EN: 0
; COMPUTE_PGM_RSRC2:TIDIG_COMP_CNT: 0
	.section	.text._ZN7rocprim17ROCPRIM_400000_NS6detail17trampoline_kernelINS0_14default_configENS1_35radix_sort_onesweep_config_selectorIiNS0_10empty_typeEEEZZNS1_29radix_sort_onesweep_iterationIS3_Lb1EN6thrust23THRUST_200600_302600_NS6detail15normal_iteratorINS9_10device_ptrIiEEEESE_PS5_SF_jNS0_19identity_decomposerENS1_16block_id_wrapperIjLb1EEEEE10hipError_tT1_PNSt15iterator_traitsISK_E10value_typeET2_T3_PNSL_ISQ_E10value_typeET4_T5_PSV_SW_PNS1_23onesweep_lookback_stateEbbT6_jjT7_P12ihipStream_tbENKUlT_T0_SK_SP_E_clISE_SE_SF_SF_EEDaS13_S14_SK_SP_EUlS13_E_NS1_11comp_targetILNS1_3genE3ELNS1_11target_archE908ELNS1_3gpuE7ELNS1_3repE0EEENS1_47radix_sort_onesweep_sort_config_static_selectorELNS0_4arch9wavefront6targetE0EEEvSK_,"axG",@progbits,_ZN7rocprim17ROCPRIM_400000_NS6detail17trampoline_kernelINS0_14default_configENS1_35radix_sort_onesweep_config_selectorIiNS0_10empty_typeEEEZZNS1_29radix_sort_onesweep_iterationIS3_Lb1EN6thrust23THRUST_200600_302600_NS6detail15normal_iteratorINS9_10device_ptrIiEEEESE_PS5_SF_jNS0_19identity_decomposerENS1_16block_id_wrapperIjLb1EEEEE10hipError_tT1_PNSt15iterator_traitsISK_E10value_typeET2_T3_PNSL_ISQ_E10value_typeET4_T5_PSV_SW_PNS1_23onesweep_lookback_stateEbbT6_jjT7_P12ihipStream_tbENKUlT_T0_SK_SP_E_clISE_SE_SF_SF_EEDaS13_S14_SK_SP_EUlS13_E_NS1_11comp_targetILNS1_3genE3ELNS1_11target_archE908ELNS1_3gpuE7ELNS1_3repE0EEENS1_47radix_sort_onesweep_sort_config_static_selectorELNS0_4arch9wavefront6targetE0EEEvSK_,comdat
	.protected	_ZN7rocprim17ROCPRIM_400000_NS6detail17trampoline_kernelINS0_14default_configENS1_35radix_sort_onesweep_config_selectorIiNS0_10empty_typeEEEZZNS1_29radix_sort_onesweep_iterationIS3_Lb1EN6thrust23THRUST_200600_302600_NS6detail15normal_iteratorINS9_10device_ptrIiEEEESE_PS5_SF_jNS0_19identity_decomposerENS1_16block_id_wrapperIjLb1EEEEE10hipError_tT1_PNSt15iterator_traitsISK_E10value_typeET2_T3_PNSL_ISQ_E10value_typeET4_T5_PSV_SW_PNS1_23onesweep_lookback_stateEbbT6_jjT7_P12ihipStream_tbENKUlT_T0_SK_SP_E_clISE_SE_SF_SF_EEDaS13_S14_SK_SP_EUlS13_E_NS1_11comp_targetILNS1_3genE3ELNS1_11target_archE908ELNS1_3gpuE7ELNS1_3repE0EEENS1_47radix_sort_onesweep_sort_config_static_selectorELNS0_4arch9wavefront6targetE0EEEvSK_ ; -- Begin function _ZN7rocprim17ROCPRIM_400000_NS6detail17trampoline_kernelINS0_14default_configENS1_35radix_sort_onesweep_config_selectorIiNS0_10empty_typeEEEZZNS1_29radix_sort_onesweep_iterationIS3_Lb1EN6thrust23THRUST_200600_302600_NS6detail15normal_iteratorINS9_10device_ptrIiEEEESE_PS5_SF_jNS0_19identity_decomposerENS1_16block_id_wrapperIjLb1EEEEE10hipError_tT1_PNSt15iterator_traitsISK_E10value_typeET2_T3_PNSL_ISQ_E10value_typeET4_T5_PSV_SW_PNS1_23onesweep_lookback_stateEbbT6_jjT7_P12ihipStream_tbENKUlT_T0_SK_SP_E_clISE_SE_SF_SF_EEDaS13_S14_SK_SP_EUlS13_E_NS1_11comp_targetILNS1_3genE3ELNS1_11target_archE908ELNS1_3gpuE7ELNS1_3repE0EEENS1_47radix_sort_onesweep_sort_config_static_selectorELNS0_4arch9wavefront6targetE0EEEvSK_
	.globl	_ZN7rocprim17ROCPRIM_400000_NS6detail17trampoline_kernelINS0_14default_configENS1_35radix_sort_onesweep_config_selectorIiNS0_10empty_typeEEEZZNS1_29radix_sort_onesweep_iterationIS3_Lb1EN6thrust23THRUST_200600_302600_NS6detail15normal_iteratorINS9_10device_ptrIiEEEESE_PS5_SF_jNS0_19identity_decomposerENS1_16block_id_wrapperIjLb1EEEEE10hipError_tT1_PNSt15iterator_traitsISK_E10value_typeET2_T3_PNSL_ISQ_E10value_typeET4_T5_PSV_SW_PNS1_23onesweep_lookback_stateEbbT6_jjT7_P12ihipStream_tbENKUlT_T0_SK_SP_E_clISE_SE_SF_SF_EEDaS13_S14_SK_SP_EUlS13_E_NS1_11comp_targetILNS1_3genE3ELNS1_11target_archE908ELNS1_3gpuE7ELNS1_3repE0EEENS1_47radix_sort_onesweep_sort_config_static_selectorELNS0_4arch9wavefront6targetE0EEEvSK_
	.p2align	8
	.type	_ZN7rocprim17ROCPRIM_400000_NS6detail17trampoline_kernelINS0_14default_configENS1_35radix_sort_onesweep_config_selectorIiNS0_10empty_typeEEEZZNS1_29radix_sort_onesweep_iterationIS3_Lb1EN6thrust23THRUST_200600_302600_NS6detail15normal_iteratorINS9_10device_ptrIiEEEESE_PS5_SF_jNS0_19identity_decomposerENS1_16block_id_wrapperIjLb1EEEEE10hipError_tT1_PNSt15iterator_traitsISK_E10value_typeET2_T3_PNSL_ISQ_E10value_typeET4_T5_PSV_SW_PNS1_23onesweep_lookback_stateEbbT6_jjT7_P12ihipStream_tbENKUlT_T0_SK_SP_E_clISE_SE_SF_SF_EEDaS13_S14_SK_SP_EUlS13_E_NS1_11comp_targetILNS1_3genE3ELNS1_11target_archE908ELNS1_3gpuE7ELNS1_3repE0EEENS1_47radix_sort_onesweep_sort_config_static_selectorELNS0_4arch9wavefront6targetE0EEEvSK_,@function
_ZN7rocprim17ROCPRIM_400000_NS6detail17trampoline_kernelINS0_14default_configENS1_35radix_sort_onesweep_config_selectorIiNS0_10empty_typeEEEZZNS1_29radix_sort_onesweep_iterationIS3_Lb1EN6thrust23THRUST_200600_302600_NS6detail15normal_iteratorINS9_10device_ptrIiEEEESE_PS5_SF_jNS0_19identity_decomposerENS1_16block_id_wrapperIjLb1EEEEE10hipError_tT1_PNSt15iterator_traitsISK_E10value_typeET2_T3_PNSL_ISQ_E10value_typeET4_T5_PSV_SW_PNS1_23onesweep_lookback_stateEbbT6_jjT7_P12ihipStream_tbENKUlT_T0_SK_SP_E_clISE_SE_SF_SF_EEDaS13_S14_SK_SP_EUlS13_E_NS1_11comp_targetILNS1_3genE3ELNS1_11target_archE908ELNS1_3gpuE7ELNS1_3repE0EEENS1_47radix_sort_onesweep_sort_config_static_selectorELNS0_4arch9wavefront6targetE0EEEvSK_: ; @_ZN7rocprim17ROCPRIM_400000_NS6detail17trampoline_kernelINS0_14default_configENS1_35radix_sort_onesweep_config_selectorIiNS0_10empty_typeEEEZZNS1_29radix_sort_onesweep_iterationIS3_Lb1EN6thrust23THRUST_200600_302600_NS6detail15normal_iteratorINS9_10device_ptrIiEEEESE_PS5_SF_jNS0_19identity_decomposerENS1_16block_id_wrapperIjLb1EEEEE10hipError_tT1_PNSt15iterator_traitsISK_E10value_typeET2_T3_PNSL_ISQ_E10value_typeET4_T5_PSV_SW_PNS1_23onesweep_lookback_stateEbbT6_jjT7_P12ihipStream_tbENKUlT_T0_SK_SP_E_clISE_SE_SF_SF_EEDaS13_S14_SK_SP_EUlS13_E_NS1_11comp_targetILNS1_3genE3ELNS1_11target_archE908ELNS1_3gpuE7ELNS1_3repE0EEENS1_47radix_sort_onesweep_sort_config_static_selectorELNS0_4arch9wavefront6targetE0EEEvSK_
; %bb.0:
	.section	.rodata,"a",@progbits
	.p2align	6, 0x0
	.amdhsa_kernel _ZN7rocprim17ROCPRIM_400000_NS6detail17trampoline_kernelINS0_14default_configENS1_35radix_sort_onesweep_config_selectorIiNS0_10empty_typeEEEZZNS1_29radix_sort_onesweep_iterationIS3_Lb1EN6thrust23THRUST_200600_302600_NS6detail15normal_iteratorINS9_10device_ptrIiEEEESE_PS5_SF_jNS0_19identity_decomposerENS1_16block_id_wrapperIjLb1EEEEE10hipError_tT1_PNSt15iterator_traitsISK_E10value_typeET2_T3_PNSL_ISQ_E10value_typeET4_T5_PSV_SW_PNS1_23onesweep_lookback_stateEbbT6_jjT7_P12ihipStream_tbENKUlT_T0_SK_SP_E_clISE_SE_SF_SF_EEDaS13_S14_SK_SP_EUlS13_E_NS1_11comp_targetILNS1_3genE3ELNS1_11target_archE908ELNS1_3gpuE7ELNS1_3repE0EEENS1_47radix_sort_onesweep_sort_config_static_selectorELNS0_4arch9wavefront6targetE0EEEvSK_
		.amdhsa_group_segment_fixed_size 0
		.amdhsa_private_segment_fixed_size 0
		.amdhsa_kernarg_size 88
		.amdhsa_user_sgpr_count 6
		.amdhsa_user_sgpr_private_segment_buffer 1
		.amdhsa_user_sgpr_dispatch_ptr 0
		.amdhsa_user_sgpr_queue_ptr 0
		.amdhsa_user_sgpr_kernarg_segment_ptr 1
		.amdhsa_user_sgpr_dispatch_id 0
		.amdhsa_user_sgpr_flat_scratch_init 0
		.amdhsa_user_sgpr_private_segment_size 0
		.amdhsa_wavefront_size32 1
		.amdhsa_uses_dynamic_stack 0
		.amdhsa_system_sgpr_private_segment_wavefront_offset 0
		.amdhsa_system_sgpr_workgroup_id_x 1
		.amdhsa_system_sgpr_workgroup_id_y 0
		.amdhsa_system_sgpr_workgroup_id_z 0
		.amdhsa_system_sgpr_workgroup_info 0
		.amdhsa_system_vgpr_workitem_id 0
		.amdhsa_next_free_vgpr 1
		.amdhsa_next_free_sgpr 1
		.amdhsa_reserve_vcc 0
		.amdhsa_reserve_flat_scratch 0
		.amdhsa_float_round_mode_32 0
		.amdhsa_float_round_mode_16_64 0
		.amdhsa_float_denorm_mode_32 3
		.amdhsa_float_denorm_mode_16_64 3
		.amdhsa_dx10_clamp 1
		.amdhsa_ieee_mode 1
		.amdhsa_fp16_overflow 0
		.amdhsa_workgroup_processor_mode 1
		.amdhsa_memory_ordered 1
		.amdhsa_forward_progress 1
		.amdhsa_shared_vgpr_count 0
		.amdhsa_exception_fp_ieee_invalid_op 0
		.amdhsa_exception_fp_denorm_src 0
		.amdhsa_exception_fp_ieee_div_zero 0
		.amdhsa_exception_fp_ieee_overflow 0
		.amdhsa_exception_fp_ieee_underflow 0
		.amdhsa_exception_fp_ieee_inexact 0
		.amdhsa_exception_int_div_zero 0
	.end_amdhsa_kernel
	.section	.text._ZN7rocprim17ROCPRIM_400000_NS6detail17trampoline_kernelINS0_14default_configENS1_35radix_sort_onesweep_config_selectorIiNS0_10empty_typeEEEZZNS1_29radix_sort_onesweep_iterationIS3_Lb1EN6thrust23THRUST_200600_302600_NS6detail15normal_iteratorINS9_10device_ptrIiEEEESE_PS5_SF_jNS0_19identity_decomposerENS1_16block_id_wrapperIjLb1EEEEE10hipError_tT1_PNSt15iterator_traitsISK_E10value_typeET2_T3_PNSL_ISQ_E10value_typeET4_T5_PSV_SW_PNS1_23onesweep_lookback_stateEbbT6_jjT7_P12ihipStream_tbENKUlT_T0_SK_SP_E_clISE_SE_SF_SF_EEDaS13_S14_SK_SP_EUlS13_E_NS1_11comp_targetILNS1_3genE3ELNS1_11target_archE908ELNS1_3gpuE7ELNS1_3repE0EEENS1_47radix_sort_onesweep_sort_config_static_selectorELNS0_4arch9wavefront6targetE0EEEvSK_,"axG",@progbits,_ZN7rocprim17ROCPRIM_400000_NS6detail17trampoline_kernelINS0_14default_configENS1_35radix_sort_onesweep_config_selectorIiNS0_10empty_typeEEEZZNS1_29radix_sort_onesweep_iterationIS3_Lb1EN6thrust23THRUST_200600_302600_NS6detail15normal_iteratorINS9_10device_ptrIiEEEESE_PS5_SF_jNS0_19identity_decomposerENS1_16block_id_wrapperIjLb1EEEEE10hipError_tT1_PNSt15iterator_traitsISK_E10value_typeET2_T3_PNSL_ISQ_E10value_typeET4_T5_PSV_SW_PNS1_23onesweep_lookback_stateEbbT6_jjT7_P12ihipStream_tbENKUlT_T0_SK_SP_E_clISE_SE_SF_SF_EEDaS13_S14_SK_SP_EUlS13_E_NS1_11comp_targetILNS1_3genE3ELNS1_11target_archE908ELNS1_3gpuE7ELNS1_3repE0EEENS1_47radix_sort_onesweep_sort_config_static_selectorELNS0_4arch9wavefront6targetE0EEEvSK_,comdat
.Lfunc_end341:
	.size	_ZN7rocprim17ROCPRIM_400000_NS6detail17trampoline_kernelINS0_14default_configENS1_35radix_sort_onesweep_config_selectorIiNS0_10empty_typeEEEZZNS1_29radix_sort_onesweep_iterationIS3_Lb1EN6thrust23THRUST_200600_302600_NS6detail15normal_iteratorINS9_10device_ptrIiEEEESE_PS5_SF_jNS0_19identity_decomposerENS1_16block_id_wrapperIjLb1EEEEE10hipError_tT1_PNSt15iterator_traitsISK_E10value_typeET2_T3_PNSL_ISQ_E10value_typeET4_T5_PSV_SW_PNS1_23onesweep_lookback_stateEbbT6_jjT7_P12ihipStream_tbENKUlT_T0_SK_SP_E_clISE_SE_SF_SF_EEDaS13_S14_SK_SP_EUlS13_E_NS1_11comp_targetILNS1_3genE3ELNS1_11target_archE908ELNS1_3gpuE7ELNS1_3repE0EEENS1_47radix_sort_onesweep_sort_config_static_selectorELNS0_4arch9wavefront6targetE0EEEvSK_, .Lfunc_end341-_ZN7rocprim17ROCPRIM_400000_NS6detail17trampoline_kernelINS0_14default_configENS1_35radix_sort_onesweep_config_selectorIiNS0_10empty_typeEEEZZNS1_29radix_sort_onesweep_iterationIS3_Lb1EN6thrust23THRUST_200600_302600_NS6detail15normal_iteratorINS9_10device_ptrIiEEEESE_PS5_SF_jNS0_19identity_decomposerENS1_16block_id_wrapperIjLb1EEEEE10hipError_tT1_PNSt15iterator_traitsISK_E10value_typeET2_T3_PNSL_ISQ_E10value_typeET4_T5_PSV_SW_PNS1_23onesweep_lookback_stateEbbT6_jjT7_P12ihipStream_tbENKUlT_T0_SK_SP_E_clISE_SE_SF_SF_EEDaS13_S14_SK_SP_EUlS13_E_NS1_11comp_targetILNS1_3genE3ELNS1_11target_archE908ELNS1_3gpuE7ELNS1_3repE0EEENS1_47radix_sort_onesweep_sort_config_static_selectorELNS0_4arch9wavefront6targetE0EEEvSK_
                                        ; -- End function
	.set _ZN7rocprim17ROCPRIM_400000_NS6detail17trampoline_kernelINS0_14default_configENS1_35radix_sort_onesweep_config_selectorIiNS0_10empty_typeEEEZZNS1_29radix_sort_onesweep_iterationIS3_Lb1EN6thrust23THRUST_200600_302600_NS6detail15normal_iteratorINS9_10device_ptrIiEEEESE_PS5_SF_jNS0_19identity_decomposerENS1_16block_id_wrapperIjLb1EEEEE10hipError_tT1_PNSt15iterator_traitsISK_E10value_typeET2_T3_PNSL_ISQ_E10value_typeET4_T5_PSV_SW_PNS1_23onesweep_lookback_stateEbbT6_jjT7_P12ihipStream_tbENKUlT_T0_SK_SP_E_clISE_SE_SF_SF_EEDaS13_S14_SK_SP_EUlS13_E_NS1_11comp_targetILNS1_3genE3ELNS1_11target_archE908ELNS1_3gpuE7ELNS1_3repE0EEENS1_47radix_sort_onesweep_sort_config_static_selectorELNS0_4arch9wavefront6targetE0EEEvSK_.num_vgpr, 0
	.set _ZN7rocprim17ROCPRIM_400000_NS6detail17trampoline_kernelINS0_14default_configENS1_35radix_sort_onesweep_config_selectorIiNS0_10empty_typeEEEZZNS1_29radix_sort_onesweep_iterationIS3_Lb1EN6thrust23THRUST_200600_302600_NS6detail15normal_iteratorINS9_10device_ptrIiEEEESE_PS5_SF_jNS0_19identity_decomposerENS1_16block_id_wrapperIjLb1EEEEE10hipError_tT1_PNSt15iterator_traitsISK_E10value_typeET2_T3_PNSL_ISQ_E10value_typeET4_T5_PSV_SW_PNS1_23onesweep_lookback_stateEbbT6_jjT7_P12ihipStream_tbENKUlT_T0_SK_SP_E_clISE_SE_SF_SF_EEDaS13_S14_SK_SP_EUlS13_E_NS1_11comp_targetILNS1_3genE3ELNS1_11target_archE908ELNS1_3gpuE7ELNS1_3repE0EEENS1_47radix_sort_onesweep_sort_config_static_selectorELNS0_4arch9wavefront6targetE0EEEvSK_.num_agpr, 0
	.set _ZN7rocprim17ROCPRIM_400000_NS6detail17trampoline_kernelINS0_14default_configENS1_35radix_sort_onesweep_config_selectorIiNS0_10empty_typeEEEZZNS1_29radix_sort_onesweep_iterationIS3_Lb1EN6thrust23THRUST_200600_302600_NS6detail15normal_iteratorINS9_10device_ptrIiEEEESE_PS5_SF_jNS0_19identity_decomposerENS1_16block_id_wrapperIjLb1EEEEE10hipError_tT1_PNSt15iterator_traitsISK_E10value_typeET2_T3_PNSL_ISQ_E10value_typeET4_T5_PSV_SW_PNS1_23onesweep_lookback_stateEbbT6_jjT7_P12ihipStream_tbENKUlT_T0_SK_SP_E_clISE_SE_SF_SF_EEDaS13_S14_SK_SP_EUlS13_E_NS1_11comp_targetILNS1_3genE3ELNS1_11target_archE908ELNS1_3gpuE7ELNS1_3repE0EEENS1_47radix_sort_onesweep_sort_config_static_selectorELNS0_4arch9wavefront6targetE0EEEvSK_.numbered_sgpr, 0
	.set _ZN7rocprim17ROCPRIM_400000_NS6detail17trampoline_kernelINS0_14default_configENS1_35radix_sort_onesweep_config_selectorIiNS0_10empty_typeEEEZZNS1_29radix_sort_onesweep_iterationIS3_Lb1EN6thrust23THRUST_200600_302600_NS6detail15normal_iteratorINS9_10device_ptrIiEEEESE_PS5_SF_jNS0_19identity_decomposerENS1_16block_id_wrapperIjLb1EEEEE10hipError_tT1_PNSt15iterator_traitsISK_E10value_typeET2_T3_PNSL_ISQ_E10value_typeET4_T5_PSV_SW_PNS1_23onesweep_lookback_stateEbbT6_jjT7_P12ihipStream_tbENKUlT_T0_SK_SP_E_clISE_SE_SF_SF_EEDaS13_S14_SK_SP_EUlS13_E_NS1_11comp_targetILNS1_3genE3ELNS1_11target_archE908ELNS1_3gpuE7ELNS1_3repE0EEENS1_47radix_sort_onesweep_sort_config_static_selectorELNS0_4arch9wavefront6targetE0EEEvSK_.num_named_barrier, 0
	.set _ZN7rocprim17ROCPRIM_400000_NS6detail17trampoline_kernelINS0_14default_configENS1_35radix_sort_onesweep_config_selectorIiNS0_10empty_typeEEEZZNS1_29radix_sort_onesweep_iterationIS3_Lb1EN6thrust23THRUST_200600_302600_NS6detail15normal_iteratorINS9_10device_ptrIiEEEESE_PS5_SF_jNS0_19identity_decomposerENS1_16block_id_wrapperIjLb1EEEEE10hipError_tT1_PNSt15iterator_traitsISK_E10value_typeET2_T3_PNSL_ISQ_E10value_typeET4_T5_PSV_SW_PNS1_23onesweep_lookback_stateEbbT6_jjT7_P12ihipStream_tbENKUlT_T0_SK_SP_E_clISE_SE_SF_SF_EEDaS13_S14_SK_SP_EUlS13_E_NS1_11comp_targetILNS1_3genE3ELNS1_11target_archE908ELNS1_3gpuE7ELNS1_3repE0EEENS1_47radix_sort_onesweep_sort_config_static_selectorELNS0_4arch9wavefront6targetE0EEEvSK_.private_seg_size, 0
	.set _ZN7rocprim17ROCPRIM_400000_NS6detail17trampoline_kernelINS0_14default_configENS1_35radix_sort_onesweep_config_selectorIiNS0_10empty_typeEEEZZNS1_29radix_sort_onesweep_iterationIS3_Lb1EN6thrust23THRUST_200600_302600_NS6detail15normal_iteratorINS9_10device_ptrIiEEEESE_PS5_SF_jNS0_19identity_decomposerENS1_16block_id_wrapperIjLb1EEEEE10hipError_tT1_PNSt15iterator_traitsISK_E10value_typeET2_T3_PNSL_ISQ_E10value_typeET4_T5_PSV_SW_PNS1_23onesweep_lookback_stateEbbT6_jjT7_P12ihipStream_tbENKUlT_T0_SK_SP_E_clISE_SE_SF_SF_EEDaS13_S14_SK_SP_EUlS13_E_NS1_11comp_targetILNS1_3genE3ELNS1_11target_archE908ELNS1_3gpuE7ELNS1_3repE0EEENS1_47radix_sort_onesweep_sort_config_static_selectorELNS0_4arch9wavefront6targetE0EEEvSK_.uses_vcc, 0
	.set _ZN7rocprim17ROCPRIM_400000_NS6detail17trampoline_kernelINS0_14default_configENS1_35radix_sort_onesweep_config_selectorIiNS0_10empty_typeEEEZZNS1_29radix_sort_onesweep_iterationIS3_Lb1EN6thrust23THRUST_200600_302600_NS6detail15normal_iteratorINS9_10device_ptrIiEEEESE_PS5_SF_jNS0_19identity_decomposerENS1_16block_id_wrapperIjLb1EEEEE10hipError_tT1_PNSt15iterator_traitsISK_E10value_typeET2_T3_PNSL_ISQ_E10value_typeET4_T5_PSV_SW_PNS1_23onesweep_lookback_stateEbbT6_jjT7_P12ihipStream_tbENKUlT_T0_SK_SP_E_clISE_SE_SF_SF_EEDaS13_S14_SK_SP_EUlS13_E_NS1_11comp_targetILNS1_3genE3ELNS1_11target_archE908ELNS1_3gpuE7ELNS1_3repE0EEENS1_47radix_sort_onesweep_sort_config_static_selectorELNS0_4arch9wavefront6targetE0EEEvSK_.uses_flat_scratch, 0
	.set _ZN7rocprim17ROCPRIM_400000_NS6detail17trampoline_kernelINS0_14default_configENS1_35radix_sort_onesweep_config_selectorIiNS0_10empty_typeEEEZZNS1_29radix_sort_onesweep_iterationIS3_Lb1EN6thrust23THRUST_200600_302600_NS6detail15normal_iteratorINS9_10device_ptrIiEEEESE_PS5_SF_jNS0_19identity_decomposerENS1_16block_id_wrapperIjLb1EEEEE10hipError_tT1_PNSt15iterator_traitsISK_E10value_typeET2_T3_PNSL_ISQ_E10value_typeET4_T5_PSV_SW_PNS1_23onesweep_lookback_stateEbbT6_jjT7_P12ihipStream_tbENKUlT_T0_SK_SP_E_clISE_SE_SF_SF_EEDaS13_S14_SK_SP_EUlS13_E_NS1_11comp_targetILNS1_3genE3ELNS1_11target_archE908ELNS1_3gpuE7ELNS1_3repE0EEENS1_47radix_sort_onesweep_sort_config_static_selectorELNS0_4arch9wavefront6targetE0EEEvSK_.has_dyn_sized_stack, 0
	.set _ZN7rocprim17ROCPRIM_400000_NS6detail17trampoline_kernelINS0_14default_configENS1_35radix_sort_onesweep_config_selectorIiNS0_10empty_typeEEEZZNS1_29radix_sort_onesweep_iterationIS3_Lb1EN6thrust23THRUST_200600_302600_NS6detail15normal_iteratorINS9_10device_ptrIiEEEESE_PS5_SF_jNS0_19identity_decomposerENS1_16block_id_wrapperIjLb1EEEEE10hipError_tT1_PNSt15iterator_traitsISK_E10value_typeET2_T3_PNSL_ISQ_E10value_typeET4_T5_PSV_SW_PNS1_23onesweep_lookback_stateEbbT6_jjT7_P12ihipStream_tbENKUlT_T0_SK_SP_E_clISE_SE_SF_SF_EEDaS13_S14_SK_SP_EUlS13_E_NS1_11comp_targetILNS1_3genE3ELNS1_11target_archE908ELNS1_3gpuE7ELNS1_3repE0EEENS1_47radix_sort_onesweep_sort_config_static_selectorELNS0_4arch9wavefront6targetE0EEEvSK_.has_recursion, 0
	.set _ZN7rocprim17ROCPRIM_400000_NS6detail17trampoline_kernelINS0_14default_configENS1_35radix_sort_onesweep_config_selectorIiNS0_10empty_typeEEEZZNS1_29radix_sort_onesweep_iterationIS3_Lb1EN6thrust23THRUST_200600_302600_NS6detail15normal_iteratorINS9_10device_ptrIiEEEESE_PS5_SF_jNS0_19identity_decomposerENS1_16block_id_wrapperIjLb1EEEEE10hipError_tT1_PNSt15iterator_traitsISK_E10value_typeET2_T3_PNSL_ISQ_E10value_typeET4_T5_PSV_SW_PNS1_23onesweep_lookback_stateEbbT6_jjT7_P12ihipStream_tbENKUlT_T0_SK_SP_E_clISE_SE_SF_SF_EEDaS13_S14_SK_SP_EUlS13_E_NS1_11comp_targetILNS1_3genE3ELNS1_11target_archE908ELNS1_3gpuE7ELNS1_3repE0EEENS1_47radix_sort_onesweep_sort_config_static_selectorELNS0_4arch9wavefront6targetE0EEEvSK_.has_indirect_call, 0
	.section	.AMDGPU.csdata,"",@progbits
; Kernel info:
; codeLenInByte = 0
; TotalNumSgprs: 0
; NumVgprs: 0
; ScratchSize: 0
; MemoryBound: 0
; FloatMode: 240
; IeeeMode: 1
; LDSByteSize: 0 bytes/workgroup (compile time only)
; SGPRBlocks: 0
; VGPRBlocks: 0
; NumSGPRsForWavesPerEU: 1
; NumVGPRsForWavesPerEU: 1
; Occupancy: 16
; WaveLimiterHint : 0
; COMPUTE_PGM_RSRC2:SCRATCH_EN: 0
; COMPUTE_PGM_RSRC2:USER_SGPR: 6
; COMPUTE_PGM_RSRC2:TRAP_HANDLER: 0
; COMPUTE_PGM_RSRC2:TGID_X_EN: 1
; COMPUTE_PGM_RSRC2:TGID_Y_EN: 0
; COMPUTE_PGM_RSRC2:TGID_Z_EN: 0
; COMPUTE_PGM_RSRC2:TIDIG_COMP_CNT: 0
	.section	.text._ZN7rocprim17ROCPRIM_400000_NS6detail17trampoline_kernelINS0_14default_configENS1_35radix_sort_onesweep_config_selectorIiNS0_10empty_typeEEEZZNS1_29radix_sort_onesweep_iterationIS3_Lb1EN6thrust23THRUST_200600_302600_NS6detail15normal_iteratorINS9_10device_ptrIiEEEESE_PS5_SF_jNS0_19identity_decomposerENS1_16block_id_wrapperIjLb1EEEEE10hipError_tT1_PNSt15iterator_traitsISK_E10value_typeET2_T3_PNSL_ISQ_E10value_typeET4_T5_PSV_SW_PNS1_23onesweep_lookback_stateEbbT6_jjT7_P12ihipStream_tbENKUlT_T0_SK_SP_E_clISE_SE_SF_SF_EEDaS13_S14_SK_SP_EUlS13_E_NS1_11comp_targetILNS1_3genE10ELNS1_11target_archE1201ELNS1_3gpuE5ELNS1_3repE0EEENS1_47radix_sort_onesweep_sort_config_static_selectorELNS0_4arch9wavefront6targetE0EEEvSK_,"axG",@progbits,_ZN7rocprim17ROCPRIM_400000_NS6detail17trampoline_kernelINS0_14default_configENS1_35radix_sort_onesweep_config_selectorIiNS0_10empty_typeEEEZZNS1_29radix_sort_onesweep_iterationIS3_Lb1EN6thrust23THRUST_200600_302600_NS6detail15normal_iteratorINS9_10device_ptrIiEEEESE_PS5_SF_jNS0_19identity_decomposerENS1_16block_id_wrapperIjLb1EEEEE10hipError_tT1_PNSt15iterator_traitsISK_E10value_typeET2_T3_PNSL_ISQ_E10value_typeET4_T5_PSV_SW_PNS1_23onesweep_lookback_stateEbbT6_jjT7_P12ihipStream_tbENKUlT_T0_SK_SP_E_clISE_SE_SF_SF_EEDaS13_S14_SK_SP_EUlS13_E_NS1_11comp_targetILNS1_3genE10ELNS1_11target_archE1201ELNS1_3gpuE5ELNS1_3repE0EEENS1_47radix_sort_onesweep_sort_config_static_selectorELNS0_4arch9wavefront6targetE0EEEvSK_,comdat
	.protected	_ZN7rocprim17ROCPRIM_400000_NS6detail17trampoline_kernelINS0_14default_configENS1_35radix_sort_onesweep_config_selectorIiNS0_10empty_typeEEEZZNS1_29radix_sort_onesweep_iterationIS3_Lb1EN6thrust23THRUST_200600_302600_NS6detail15normal_iteratorINS9_10device_ptrIiEEEESE_PS5_SF_jNS0_19identity_decomposerENS1_16block_id_wrapperIjLb1EEEEE10hipError_tT1_PNSt15iterator_traitsISK_E10value_typeET2_T3_PNSL_ISQ_E10value_typeET4_T5_PSV_SW_PNS1_23onesweep_lookback_stateEbbT6_jjT7_P12ihipStream_tbENKUlT_T0_SK_SP_E_clISE_SE_SF_SF_EEDaS13_S14_SK_SP_EUlS13_E_NS1_11comp_targetILNS1_3genE10ELNS1_11target_archE1201ELNS1_3gpuE5ELNS1_3repE0EEENS1_47radix_sort_onesweep_sort_config_static_selectorELNS0_4arch9wavefront6targetE0EEEvSK_ ; -- Begin function _ZN7rocprim17ROCPRIM_400000_NS6detail17trampoline_kernelINS0_14default_configENS1_35radix_sort_onesweep_config_selectorIiNS0_10empty_typeEEEZZNS1_29radix_sort_onesweep_iterationIS3_Lb1EN6thrust23THRUST_200600_302600_NS6detail15normal_iteratorINS9_10device_ptrIiEEEESE_PS5_SF_jNS0_19identity_decomposerENS1_16block_id_wrapperIjLb1EEEEE10hipError_tT1_PNSt15iterator_traitsISK_E10value_typeET2_T3_PNSL_ISQ_E10value_typeET4_T5_PSV_SW_PNS1_23onesweep_lookback_stateEbbT6_jjT7_P12ihipStream_tbENKUlT_T0_SK_SP_E_clISE_SE_SF_SF_EEDaS13_S14_SK_SP_EUlS13_E_NS1_11comp_targetILNS1_3genE10ELNS1_11target_archE1201ELNS1_3gpuE5ELNS1_3repE0EEENS1_47radix_sort_onesweep_sort_config_static_selectorELNS0_4arch9wavefront6targetE0EEEvSK_
	.globl	_ZN7rocprim17ROCPRIM_400000_NS6detail17trampoline_kernelINS0_14default_configENS1_35radix_sort_onesweep_config_selectorIiNS0_10empty_typeEEEZZNS1_29radix_sort_onesweep_iterationIS3_Lb1EN6thrust23THRUST_200600_302600_NS6detail15normal_iteratorINS9_10device_ptrIiEEEESE_PS5_SF_jNS0_19identity_decomposerENS1_16block_id_wrapperIjLb1EEEEE10hipError_tT1_PNSt15iterator_traitsISK_E10value_typeET2_T3_PNSL_ISQ_E10value_typeET4_T5_PSV_SW_PNS1_23onesweep_lookback_stateEbbT6_jjT7_P12ihipStream_tbENKUlT_T0_SK_SP_E_clISE_SE_SF_SF_EEDaS13_S14_SK_SP_EUlS13_E_NS1_11comp_targetILNS1_3genE10ELNS1_11target_archE1201ELNS1_3gpuE5ELNS1_3repE0EEENS1_47radix_sort_onesweep_sort_config_static_selectorELNS0_4arch9wavefront6targetE0EEEvSK_
	.p2align	8
	.type	_ZN7rocprim17ROCPRIM_400000_NS6detail17trampoline_kernelINS0_14default_configENS1_35radix_sort_onesweep_config_selectorIiNS0_10empty_typeEEEZZNS1_29radix_sort_onesweep_iterationIS3_Lb1EN6thrust23THRUST_200600_302600_NS6detail15normal_iteratorINS9_10device_ptrIiEEEESE_PS5_SF_jNS0_19identity_decomposerENS1_16block_id_wrapperIjLb1EEEEE10hipError_tT1_PNSt15iterator_traitsISK_E10value_typeET2_T3_PNSL_ISQ_E10value_typeET4_T5_PSV_SW_PNS1_23onesweep_lookback_stateEbbT6_jjT7_P12ihipStream_tbENKUlT_T0_SK_SP_E_clISE_SE_SF_SF_EEDaS13_S14_SK_SP_EUlS13_E_NS1_11comp_targetILNS1_3genE10ELNS1_11target_archE1201ELNS1_3gpuE5ELNS1_3repE0EEENS1_47radix_sort_onesweep_sort_config_static_selectorELNS0_4arch9wavefront6targetE0EEEvSK_,@function
_ZN7rocprim17ROCPRIM_400000_NS6detail17trampoline_kernelINS0_14default_configENS1_35radix_sort_onesweep_config_selectorIiNS0_10empty_typeEEEZZNS1_29radix_sort_onesweep_iterationIS3_Lb1EN6thrust23THRUST_200600_302600_NS6detail15normal_iteratorINS9_10device_ptrIiEEEESE_PS5_SF_jNS0_19identity_decomposerENS1_16block_id_wrapperIjLb1EEEEE10hipError_tT1_PNSt15iterator_traitsISK_E10value_typeET2_T3_PNSL_ISQ_E10value_typeET4_T5_PSV_SW_PNS1_23onesweep_lookback_stateEbbT6_jjT7_P12ihipStream_tbENKUlT_T0_SK_SP_E_clISE_SE_SF_SF_EEDaS13_S14_SK_SP_EUlS13_E_NS1_11comp_targetILNS1_3genE10ELNS1_11target_archE1201ELNS1_3gpuE5ELNS1_3repE0EEENS1_47radix_sort_onesweep_sort_config_static_selectorELNS0_4arch9wavefront6targetE0EEEvSK_: ; @_ZN7rocprim17ROCPRIM_400000_NS6detail17trampoline_kernelINS0_14default_configENS1_35radix_sort_onesweep_config_selectorIiNS0_10empty_typeEEEZZNS1_29radix_sort_onesweep_iterationIS3_Lb1EN6thrust23THRUST_200600_302600_NS6detail15normal_iteratorINS9_10device_ptrIiEEEESE_PS5_SF_jNS0_19identity_decomposerENS1_16block_id_wrapperIjLb1EEEEE10hipError_tT1_PNSt15iterator_traitsISK_E10value_typeET2_T3_PNSL_ISQ_E10value_typeET4_T5_PSV_SW_PNS1_23onesweep_lookback_stateEbbT6_jjT7_P12ihipStream_tbENKUlT_T0_SK_SP_E_clISE_SE_SF_SF_EEDaS13_S14_SK_SP_EUlS13_E_NS1_11comp_targetILNS1_3genE10ELNS1_11target_archE1201ELNS1_3gpuE5ELNS1_3repE0EEENS1_47radix_sort_onesweep_sort_config_static_selectorELNS0_4arch9wavefront6targetE0EEEvSK_
; %bb.0:
	.section	.rodata,"a",@progbits
	.p2align	6, 0x0
	.amdhsa_kernel _ZN7rocprim17ROCPRIM_400000_NS6detail17trampoline_kernelINS0_14default_configENS1_35radix_sort_onesweep_config_selectorIiNS0_10empty_typeEEEZZNS1_29radix_sort_onesweep_iterationIS3_Lb1EN6thrust23THRUST_200600_302600_NS6detail15normal_iteratorINS9_10device_ptrIiEEEESE_PS5_SF_jNS0_19identity_decomposerENS1_16block_id_wrapperIjLb1EEEEE10hipError_tT1_PNSt15iterator_traitsISK_E10value_typeET2_T3_PNSL_ISQ_E10value_typeET4_T5_PSV_SW_PNS1_23onesweep_lookback_stateEbbT6_jjT7_P12ihipStream_tbENKUlT_T0_SK_SP_E_clISE_SE_SF_SF_EEDaS13_S14_SK_SP_EUlS13_E_NS1_11comp_targetILNS1_3genE10ELNS1_11target_archE1201ELNS1_3gpuE5ELNS1_3repE0EEENS1_47radix_sort_onesweep_sort_config_static_selectorELNS0_4arch9wavefront6targetE0EEEvSK_
		.amdhsa_group_segment_fixed_size 0
		.amdhsa_private_segment_fixed_size 0
		.amdhsa_kernarg_size 88
		.amdhsa_user_sgpr_count 6
		.amdhsa_user_sgpr_private_segment_buffer 1
		.amdhsa_user_sgpr_dispatch_ptr 0
		.amdhsa_user_sgpr_queue_ptr 0
		.amdhsa_user_sgpr_kernarg_segment_ptr 1
		.amdhsa_user_sgpr_dispatch_id 0
		.amdhsa_user_sgpr_flat_scratch_init 0
		.amdhsa_user_sgpr_private_segment_size 0
		.amdhsa_wavefront_size32 1
		.amdhsa_uses_dynamic_stack 0
		.amdhsa_system_sgpr_private_segment_wavefront_offset 0
		.amdhsa_system_sgpr_workgroup_id_x 1
		.amdhsa_system_sgpr_workgroup_id_y 0
		.amdhsa_system_sgpr_workgroup_id_z 0
		.amdhsa_system_sgpr_workgroup_info 0
		.amdhsa_system_vgpr_workitem_id 0
		.amdhsa_next_free_vgpr 1
		.amdhsa_next_free_sgpr 1
		.amdhsa_reserve_vcc 0
		.amdhsa_reserve_flat_scratch 0
		.amdhsa_float_round_mode_32 0
		.amdhsa_float_round_mode_16_64 0
		.amdhsa_float_denorm_mode_32 3
		.amdhsa_float_denorm_mode_16_64 3
		.amdhsa_dx10_clamp 1
		.amdhsa_ieee_mode 1
		.amdhsa_fp16_overflow 0
		.amdhsa_workgroup_processor_mode 1
		.amdhsa_memory_ordered 1
		.amdhsa_forward_progress 1
		.amdhsa_shared_vgpr_count 0
		.amdhsa_exception_fp_ieee_invalid_op 0
		.amdhsa_exception_fp_denorm_src 0
		.amdhsa_exception_fp_ieee_div_zero 0
		.amdhsa_exception_fp_ieee_overflow 0
		.amdhsa_exception_fp_ieee_underflow 0
		.amdhsa_exception_fp_ieee_inexact 0
		.amdhsa_exception_int_div_zero 0
	.end_amdhsa_kernel
	.section	.text._ZN7rocprim17ROCPRIM_400000_NS6detail17trampoline_kernelINS0_14default_configENS1_35radix_sort_onesweep_config_selectorIiNS0_10empty_typeEEEZZNS1_29radix_sort_onesweep_iterationIS3_Lb1EN6thrust23THRUST_200600_302600_NS6detail15normal_iteratorINS9_10device_ptrIiEEEESE_PS5_SF_jNS0_19identity_decomposerENS1_16block_id_wrapperIjLb1EEEEE10hipError_tT1_PNSt15iterator_traitsISK_E10value_typeET2_T3_PNSL_ISQ_E10value_typeET4_T5_PSV_SW_PNS1_23onesweep_lookback_stateEbbT6_jjT7_P12ihipStream_tbENKUlT_T0_SK_SP_E_clISE_SE_SF_SF_EEDaS13_S14_SK_SP_EUlS13_E_NS1_11comp_targetILNS1_3genE10ELNS1_11target_archE1201ELNS1_3gpuE5ELNS1_3repE0EEENS1_47radix_sort_onesweep_sort_config_static_selectorELNS0_4arch9wavefront6targetE0EEEvSK_,"axG",@progbits,_ZN7rocprim17ROCPRIM_400000_NS6detail17trampoline_kernelINS0_14default_configENS1_35radix_sort_onesweep_config_selectorIiNS0_10empty_typeEEEZZNS1_29radix_sort_onesweep_iterationIS3_Lb1EN6thrust23THRUST_200600_302600_NS6detail15normal_iteratorINS9_10device_ptrIiEEEESE_PS5_SF_jNS0_19identity_decomposerENS1_16block_id_wrapperIjLb1EEEEE10hipError_tT1_PNSt15iterator_traitsISK_E10value_typeET2_T3_PNSL_ISQ_E10value_typeET4_T5_PSV_SW_PNS1_23onesweep_lookback_stateEbbT6_jjT7_P12ihipStream_tbENKUlT_T0_SK_SP_E_clISE_SE_SF_SF_EEDaS13_S14_SK_SP_EUlS13_E_NS1_11comp_targetILNS1_3genE10ELNS1_11target_archE1201ELNS1_3gpuE5ELNS1_3repE0EEENS1_47radix_sort_onesweep_sort_config_static_selectorELNS0_4arch9wavefront6targetE0EEEvSK_,comdat
.Lfunc_end342:
	.size	_ZN7rocprim17ROCPRIM_400000_NS6detail17trampoline_kernelINS0_14default_configENS1_35radix_sort_onesweep_config_selectorIiNS0_10empty_typeEEEZZNS1_29radix_sort_onesweep_iterationIS3_Lb1EN6thrust23THRUST_200600_302600_NS6detail15normal_iteratorINS9_10device_ptrIiEEEESE_PS5_SF_jNS0_19identity_decomposerENS1_16block_id_wrapperIjLb1EEEEE10hipError_tT1_PNSt15iterator_traitsISK_E10value_typeET2_T3_PNSL_ISQ_E10value_typeET4_T5_PSV_SW_PNS1_23onesweep_lookback_stateEbbT6_jjT7_P12ihipStream_tbENKUlT_T0_SK_SP_E_clISE_SE_SF_SF_EEDaS13_S14_SK_SP_EUlS13_E_NS1_11comp_targetILNS1_3genE10ELNS1_11target_archE1201ELNS1_3gpuE5ELNS1_3repE0EEENS1_47radix_sort_onesweep_sort_config_static_selectorELNS0_4arch9wavefront6targetE0EEEvSK_, .Lfunc_end342-_ZN7rocprim17ROCPRIM_400000_NS6detail17trampoline_kernelINS0_14default_configENS1_35radix_sort_onesweep_config_selectorIiNS0_10empty_typeEEEZZNS1_29radix_sort_onesweep_iterationIS3_Lb1EN6thrust23THRUST_200600_302600_NS6detail15normal_iteratorINS9_10device_ptrIiEEEESE_PS5_SF_jNS0_19identity_decomposerENS1_16block_id_wrapperIjLb1EEEEE10hipError_tT1_PNSt15iterator_traitsISK_E10value_typeET2_T3_PNSL_ISQ_E10value_typeET4_T5_PSV_SW_PNS1_23onesweep_lookback_stateEbbT6_jjT7_P12ihipStream_tbENKUlT_T0_SK_SP_E_clISE_SE_SF_SF_EEDaS13_S14_SK_SP_EUlS13_E_NS1_11comp_targetILNS1_3genE10ELNS1_11target_archE1201ELNS1_3gpuE5ELNS1_3repE0EEENS1_47radix_sort_onesweep_sort_config_static_selectorELNS0_4arch9wavefront6targetE0EEEvSK_
                                        ; -- End function
	.set _ZN7rocprim17ROCPRIM_400000_NS6detail17trampoline_kernelINS0_14default_configENS1_35radix_sort_onesweep_config_selectorIiNS0_10empty_typeEEEZZNS1_29radix_sort_onesweep_iterationIS3_Lb1EN6thrust23THRUST_200600_302600_NS6detail15normal_iteratorINS9_10device_ptrIiEEEESE_PS5_SF_jNS0_19identity_decomposerENS1_16block_id_wrapperIjLb1EEEEE10hipError_tT1_PNSt15iterator_traitsISK_E10value_typeET2_T3_PNSL_ISQ_E10value_typeET4_T5_PSV_SW_PNS1_23onesweep_lookback_stateEbbT6_jjT7_P12ihipStream_tbENKUlT_T0_SK_SP_E_clISE_SE_SF_SF_EEDaS13_S14_SK_SP_EUlS13_E_NS1_11comp_targetILNS1_3genE10ELNS1_11target_archE1201ELNS1_3gpuE5ELNS1_3repE0EEENS1_47radix_sort_onesweep_sort_config_static_selectorELNS0_4arch9wavefront6targetE0EEEvSK_.num_vgpr, 0
	.set _ZN7rocprim17ROCPRIM_400000_NS6detail17trampoline_kernelINS0_14default_configENS1_35radix_sort_onesweep_config_selectorIiNS0_10empty_typeEEEZZNS1_29radix_sort_onesweep_iterationIS3_Lb1EN6thrust23THRUST_200600_302600_NS6detail15normal_iteratorINS9_10device_ptrIiEEEESE_PS5_SF_jNS0_19identity_decomposerENS1_16block_id_wrapperIjLb1EEEEE10hipError_tT1_PNSt15iterator_traitsISK_E10value_typeET2_T3_PNSL_ISQ_E10value_typeET4_T5_PSV_SW_PNS1_23onesweep_lookback_stateEbbT6_jjT7_P12ihipStream_tbENKUlT_T0_SK_SP_E_clISE_SE_SF_SF_EEDaS13_S14_SK_SP_EUlS13_E_NS1_11comp_targetILNS1_3genE10ELNS1_11target_archE1201ELNS1_3gpuE5ELNS1_3repE0EEENS1_47radix_sort_onesweep_sort_config_static_selectorELNS0_4arch9wavefront6targetE0EEEvSK_.num_agpr, 0
	.set _ZN7rocprim17ROCPRIM_400000_NS6detail17trampoline_kernelINS0_14default_configENS1_35radix_sort_onesweep_config_selectorIiNS0_10empty_typeEEEZZNS1_29radix_sort_onesweep_iterationIS3_Lb1EN6thrust23THRUST_200600_302600_NS6detail15normal_iteratorINS9_10device_ptrIiEEEESE_PS5_SF_jNS0_19identity_decomposerENS1_16block_id_wrapperIjLb1EEEEE10hipError_tT1_PNSt15iterator_traitsISK_E10value_typeET2_T3_PNSL_ISQ_E10value_typeET4_T5_PSV_SW_PNS1_23onesweep_lookback_stateEbbT6_jjT7_P12ihipStream_tbENKUlT_T0_SK_SP_E_clISE_SE_SF_SF_EEDaS13_S14_SK_SP_EUlS13_E_NS1_11comp_targetILNS1_3genE10ELNS1_11target_archE1201ELNS1_3gpuE5ELNS1_3repE0EEENS1_47radix_sort_onesweep_sort_config_static_selectorELNS0_4arch9wavefront6targetE0EEEvSK_.numbered_sgpr, 0
	.set _ZN7rocprim17ROCPRIM_400000_NS6detail17trampoline_kernelINS0_14default_configENS1_35radix_sort_onesweep_config_selectorIiNS0_10empty_typeEEEZZNS1_29radix_sort_onesweep_iterationIS3_Lb1EN6thrust23THRUST_200600_302600_NS6detail15normal_iteratorINS9_10device_ptrIiEEEESE_PS5_SF_jNS0_19identity_decomposerENS1_16block_id_wrapperIjLb1EEEEE10hipError_tT1_PNSt15iterator_traitsISK_E10value_typeET2_T3_PNSL_ISQ_E10value_typeET4_T5_PSV_SW_PNS1_23onesweep_lookback_stateEbbT6_jjT7_P12ihipStream_tbENKUlT_T0_SK_SP_E_clISE_SE_SF_SF_EEDaS13_S14_SK_SP_EUlS13_E_NS1_11comp_targetILNS1_3genE10ELNS1_11target_archE1201ELNS1_3gpuE5ELNS1_3repE0EEENS1_47radix_sort_onesweep_sort_config_static_selectorELNS0_4arch9wavefront6targetE0EEEvSK_.num_named_barrier, 0
	.set _ZN7rocprim17ROCPRIM_400000_NS6detail17trampoline_kernelINS0_14default_configENS1_35radix_sort_onesweep_config_selectorIiNS0_10empty_typeEEEZZNS1_29radix_sort_onesweep_iterationIS3_Lb1EN6thrust23THRUST_200600_302600_NS6detail15normal_iteratorINS9_10device_ptrIiEEEESE_PS5_SF_jNS0_19identity_decomposerENS1_16block_id_wrapperIjLb1EEEEE10hipError_tT1_PNSt15iterator_traitsISK_E10value_typeET2_T3_PNSL_ISQ_E10value_typeET4_T5_PSV_SW_PNS1_23onesweep_lookback_stateEbbT6_jjT7_P12ihipStream_tbENKUlT_T0_SK_SP_E_clISE_SE_SF_SF_EEDaS13_S14_SK_SP_EUlS13_E_NS1_11comp_targetILNS1_3genE10ELNS1_11target_archE1201ELNS1_3gpuE5ELNS1_3repE0EEENS1_47radix_sort_onesweep_sort_config_static_selectorELNS0_4arch9wavefront6targetE0EEEvSK_.private_seg_size, 0
	.set _ZN7rocprim17ROCPRIM_400000_NS6detail17trampoline_kernelINS0_14default_configENS1_35radix_sort_onesweep_config_selectorIiNS0_10empty_typeEEEZZNS1_29radix_sort_onesweep_iterationIS3_Lb1EN6thrust23THRUST_200600_302600_NS6detail15normal_iteratorINS9_10device_ptrIiEEEESE_PS5_SF_jNS0_19identity_decomposerENS1_16block_id_wrapperIjLb1EEEEE10hipError_tT1_PNSt15iterator_traitsISK_E10value_typeET2_T3_PNSL_ISQ_E10value_typeET4_T5_PSV_SW_PNS1_23onesweep_lookback_stateEbbT6_jjT7_P12ihipStream_tbENKUlT_T0_SK_SP_E_clISE_SE_SF_SF_EEDaS13_S14_SK_SP_EUlS13_E_NS1_11comp_targetILNS1_3genE10ELNS1_11target_archE1201ELNS1_3gpuE5ELNS1_3repE0EEENS1_47radix_sort_onesweep_sort_config_static_selectorELNS0_4arch9wavefront6targetE0EEEvSK_.uses_vcc, 0
	.set _ZN7rocprim17ROCPRIM_400000_NS6detail17trampoline_kernelINS0_14default_configENS1_35radix_sort_onesweep_config_selectorIiNS0_10empty_typeEEEZZNS1_29radix_sort_onesweep_iterationIS3_Lb1EN6thrust23THRUST_200600_302600_NS6detail15normal_iteratorINS9_10device_ptrIiEEEESE_PS5_SF_jNS0_19identity_decomposerENS1_16block_id_wrapperIjLb1EEEEE10hipError_tT1_PNSt15iterator_traitsISK_E10value_typeET2_T3_PNSL_ISQ_E10value_typeET4_T5_PSV_SW_PNS1_23onesweep_lookback_stateEbbT6_jjT7_P12ihipStream_tbENKUlT_T0_SK_SP_E_clISE_SE_SF_SF_EEDaS13_S14_SK_SP_EUlS13_E_NS1_11comp_targetILNS1_3genE10ELNS1_11target_archE1201ELNS1_3gpuE5ELNS1_3repE0EEENS1_47radix_sort_onesweep_sort_config_static_selectorELNS0_4arch9wavefront6targetE0EEEvSK_.uses_flat_scratch, 0
	.set _ZN7rocprim17ROCPRIM_400000_NS6detail17trampoline_kernelINS0_14default_configENS1_35radix_sort_onesweep_config_selectorIiNS0_10empty_typeEEEZZNS1_29radix_sort_onesweep_iterationIS3_Lb1EN6thrust23THRUST_200600_302600_NS6detail15normal_iteratorINS9_10device_ptrIiEEEESE_PS5_SF_jNS0_19identity_decomposerENS1_16block_id_wrapperIjLb1EEEEE10hipError_tT1_PNSt15iterator_traitsISK_E10value_typeET2_T3_PNSL_ISQ_E10value_typeET4_T5_PSV_SW_PNS1_23onesweep_lookback_stateEbbT6_jjT7_P12ihipStream_tbENKUlT_T0_SK_SP_E_clISE_SE_SF_SF_EEDaS13_S14_SK_SP_EUlS13_E_NS1_11comp_targetILNS1_3genE10ELNS1_11target_archE1201ELNS1_3gpuE5ELNS1_3repE0EEENS1_47radix_sort_onesweep_sort_config_static_selectorELNS0_4arch9wavefront6targetE0EEEvSK_.has_dyn_sized_stack, 0
	.set _ZN7rocprim17ROCPRIM_400000_NS6detail17trampoline_kernelINS0_14default_configENS1_35radix_sort_onesweep_config_selectorIiNS0_10empty_typeEEEZZNS1_29radix_sort_onesweep_iterationIS3_Lb1EN6thrust23THRUST_200600_302600_NS6detail15normal_iteratorINS9_10device_ptrIiEEEESE_PS5_SF_jNS0_19identity_decomposerENS1_16block_id_wrapperIjLb1EEEEE10hipError_tT1_PNSt15iterator_traitsISK_E10value_typeET2_T3_PNSL_ISQ_E10value_typeET4_T5_PSV_SW_PNS1_23onesweep_lookback_stateEbbT6_jjT7_P12ihipStream_tbENKUlT_T0_SK_SP_E_clISE_SE_SF_SF_EEDaS13_S14_SK_SP_EUlS13_E_NS1_11comp_targetILNS1_3genE10ELNS1_11target_archE1201ELNS1_3gpuE5ELNS1_3repE0EEENS1_47radix_sort_onesweep_sort_config_static_selectorELNS0_4arch9wavefront6targetE0EEEvSK_.has_recursion, 0
	.set _ZN7rocprim17ROCPRIM_400000_NS6detail17trampoline_kernelINS0_14default_configENS1_35radix_sort_onesweep_config_selectorIiNS0_10empty_typeEEEZZNS1_29radix_sort_onesweep_iterationIS3_Lb1EN6thrust23THRUST_200600_302600_NS6detail15normal_iteratorINS9_10device_ptrIiEEEESE_PS5_SF_jNS0_19identity_decomposerENS1_16block_id_wrapperIjLb1EEEEE10hipError_tT1_PNSt15iterator_traitsISK_E10value_typeET2_T3_PNSL_ISQ_E10value_typeET4_T5_PSV_SW_PNS1_23onesweep_lookback_stateEbbT6_jjT7_P12ihipStream_tbENKUlT_T0_SK_SP_E_clISE_SE_SF_SF_EEDaS13_S14_SK_SP_EUlS13_E_NS1_11comp_targetILNS1_3genE10ELNS1_11target_archE1201ELNS1_3gpuE5ELNS1_3repE0EEENS1_47radix_sort_onesweep_sort_config_static_selectorELNS0_4arch9wavefront6targetE0EEEvSK_.has_indirect_call, 0
	.section	.AMDGPU.csdata,"",@progbits
; Kernel info:
; codeLenInByte = 0
; TotalNumSgprs: 0
; NumVgprs: 0
; ScratchSize: 0
; MemoryBound: 0
; FloatMode: 240
; IeeeMode: 1
; LDSByteSize: 0 bytes/workgroup (compile time only)
; SGPRBlocks: 0
; VGPRBlocks: 0
; NumSGPRsForWavesPerEU: 1
; NumVGPRsForWavesPerEU: 1
; Occupancy: 16
; WaveLimiterHint : 0
; COMPUTE_PGM_RSRC2:SCRATCH_EN: 0
; COMPUTE_PGM_RSRC2:USER_SGPR: 6
; COMPUTE_PGM_RSRC2:TRAP_HANDLER: 0
; COMPUTE_PGM_RSRC2:TGID_X_EN: 1
; COMPUTE_PGM_RSRC2:TGID_Y_EN: 0
; COMPUTE_PGM_RSRC2:TGID_Z_EN: 0
; COMPUTE_PGM_RSRC2:TIDIG_COMP_CNT: 0
	.section	.text._ZN7rocprim17ROCPRIM_400000_NS6detail17trampoline_kernelINS0_14default_configENS1_35radix_sort_onesweep_config_selectorIiNS0_10empty_typeEEEZZNS1_29radix_sort_onesweep_iterationIS3_Lb1EN6thrust23THRUST_200600_302600_NS6detail15normal_iteratorINS9_10device_ptrIiEEEESE_PS5_SF_jNS0_19identity_decomposerENS1_16block_id_wrapperIjLb1EEEEE10hipError_tT1_PNSt15iterator_traitsISK_E10value_typeET2_T3_PNSL_ISQ_E10value_typeET4_T5_PSV_SW_PNS1_23onesweep_lookback_stateEbbT6_jjT7_P12ihipStream_tbENKUlT_T0_SK_SP_E_clISE_SE_SF_SF_EEDaS13_S14_SK_SP_EUlS13_E_NS1_11comp_targetILNS1_3genE9ELNS1_11target_archE1100ELNS1_3gpuE3ELNS1_3repE0EEENS1_47radix_sort_onesweep_sort_config_static_selectorELNS0_4arch9wavefront6targetE0EEEvSK_,"axG",@progbits,_ZN7rocprim17ROCPRIM_400000_NS6detail17trampoline_kernelINS0_14default_configENS1_35radix_sort_onesweep_config_selectorIiNS0_10empty_typeEEEZZNS1_29radix_sort_onesweep_iterationIS3_Lb1EN6thrust23THRUST_200600_302600_NS6detail15normal_iteratorINS9_10device_ptrIiEEEESE_PS5_SF_jNS0_19identity_decomposerENS1_16block_id_wrapperIjLb1EEEEE10hipError_tT1_PNSt15iterator_traitsISK_E10value_typeET2_T3_PNSL_ISQ_E10value_typeET4_T5_PSV_SW_PNS1_23onesweep_lookback_stateEbbT6_jjT7_P12ihipStream_tbENKUlT_T0_SK_SP_E_clISE_SE_SF_SF_EEDaS13_S14_SK_SP_EUlS13_E_NS1_11comp_targetILNS1_3genE9ELNS1_11target_archE1100ELNS1_3gpuE3ELNS1_3repE0EEENS1_47radix_sort_onesweep_sort_config_static_selectorELNS0_4arch9wavefront6targetE0EEEvSK_,comdat
	.protected	_ZN7rocprim17ROCPRIM_400000_NS6detail17trampoline_kernelINS0_14default_configENS1_35radix_sort_onesweep_config_selectorIiNS0_10empty_typeEEEZZNS1_29radix_sort_onesweep_iterationIS3_Lb1EN6thrust23THRUST_200600_302600_NS6detail15normal_iteratorINS9_10device_ptrIiEEEESE_PS5_SF_jNS0_19identity_decomposerENS1_16block_id_wrapperIjLb1EEEEE10hipError_tT1_PNSt15iterator_traitsISK_E10value_typeET2_T3_PNSL_ISQ_E10value_typeET4_T5_PSV_SW_PNS1_23onesweep_lookback_stateEbbT6_jjT7_P12ihipStream_tbENKUlT_T0_SK_SP_E_clISE_SE_SF_SF_EEDaS13_S14_SK_SP_EUlS13_E_NS1_11comp_targetILNS1_3genE9ELNS1_11target_archE1100ELNS1_3gpuE3ELNS1_3repE0EEENS1_47radix_sort_onesweep_sort_config_static_selectorELNS0_4arch9wavefront6targetE0EEEvSK_ ; -- Begin function _ZN7rocprim17ROCPRIM_400000_NS6detail17trampoline_kernelINS0_14default_configENS1_35radix_sort_onesweep_config_selectorIiNS0_10empty_typeEEEZZNS1_29radix_sort_onesweep_iterationIS3_Lb1EN6thrust23THRUST_200600_302600_NS6detail15normal_iteratorINS9_10device_ptrIiEEEESE_PS5_SF_jNS0_19identity_decomposerENS1_16block_id_wrapperIjLb1EEEEE10hipError_tT1_PNSt15iterator_traitsISK_E10value_typeET2_T3_PNSL_ISQ_E10value_typeET4_T5_PSV_SW_PNS1_23onesweep_lookback_stateEbbT6_jjT7_P12ihipStream_tbENKUlT_T0_SK_SP_E_clISE_SE_SF_SF_EEDaS13_S14_SK_SP_EUlS13_E_NS1_11comp_targetILNS1_3genE9ELNS1_11target_archE1100ELNS1_3gpuE3ELNS1_3repE0EEENS1_47radix_sort_onesweep_sort_config_static_selectorELNS0_4arch9wavefront6targetE0EEEvSK_
	.globl	_ZN7rocprim17ROCPRIM_400000_NS6detail17trampoline_kernelINS0_14default_configENS1_35radix_sort_onesweep_config_selectorIiNS0_10empty_typeEEEZZNS1_29radix_sort_onesweep_iterationIS3_Lb1EN6thrust23THRUST_200600_302600_NS6detail15normal_iteratorINS9_10device_ptrIiEEEESE_PS5_SF_jNS0_19identity_decomposerENS1_16block_id_wrapperIjLb1EEEEE10hipError_tT1_PNSt15iterator_traitsISK_E10value_typeET2_T3_PNSL_ISQ_E10value_typeET4_T5_PSV_SW_PNS1_23onesweep_lookback_stateEbbT6_jjT7_P12ihipStream_tbENKUlT_T0_SK_SP_E_clISE_SE_SF_SF_EEDaS13_S14_SK_SP_EUlS13_E_NS1_11comp_targetILNS1_3genE9ELNS1_11target_archE1100ELNS1_3gpuE3ELNS1_3repE0EEENS1_47radix_sort_onesweep_sort_config_static_selectorELNS0_4arch9wavefront6targetE0EEEvSK_
	.p2align	8
	.type	_ZN7rocprim17ROCPRIM_400000_NS6detail17trampoline_kernelINS0_14default_configENS1_35radix_sort_onesweep_config_selectorIiNS0_10empty_typeEEEZZNS1_29radix_sort_onesweep_iterationIS3_Lb1EN6thrust23THRUST_200600_302600_NS6detail15normal_iteratorINS9_10device_ptrIiEEEESE_PS5_SF_jNS0_19identity_decomposerENS1_16block_id_wrapperIjLb1EEEEE10hipError_tT1_PNSt15iterator_traitsISK_E10value_typeET2_T3_PNSL_ISQ_E10value_typeET4_T5_PSV_SW_PNS1_23onesweep_lookback_stateEbbT6_jjT7_P12ihipStream_tbENKUlT_T0_SK_SP_E_clISE_SE_SF_SF_EEDaS13_S14_SK_SP_EUlS13_E_NS1_11comp_targetILNS1_3genE9ELNS1_11target_archE1100ELNS1_3gpuE3ELNS1_3repE0EEENS1_47radix_sort_onesweep_sort_config_static_selectorELNS0_4arch9wavefront6targetE0EEEvSK_,@function
_ZN7rocprim17ROCPRIM_400000_NS6detail17trampoline_kernelINS0_14default_configENS1_35radix_sort_onesweep_config_selectorIiNS0_10empty_typeEEEZZNS1_29radix_sort_onesweep_iterationIS3_Lb1EN6thrust23THRUST_200600_302600_NS6detail15normal_iteratorINS9_10device_ptrIiEEEESE_PS5_SF_jNS0_19identity_decomposerENS1_16block_id_wrapperIjLb1EEEEE10hipError_tT1_PNSt15iterator_traitsISK_E10value_typeET2_T3_PNSL_ISQ_E10value_typeET4_T5_PSV_SW_PNS1_23onesweep_lookback_stateEbbT6_jjT7_P12ihipStream_tbENKUlT_T0_SK_SP_E_clISE_SE_SF_SF_EEDaS13_S14_SK_SP_EUlS13_E_NS1_11comp_targetILNS1_3genE9ELNS1_11target_archE1100ELNS1_3gpuE3ELNS1_3repE0EEENS1_47radix_sort_onesweep_sort_config_static_selectorELNS0_4arch9wavefront6targetE0EEEvSK_: ; @_ZN7rocprim17ROCPRIM_400000_NS6detail17trampoline_kernelINS0_14default_configENS1_35radix_sort_onesweep_config_selectorIiNS0_10empty_typeEEEZZNS1_29radix_sort_onesweep_iterationIS3_Lb1EN6thrust23THRUST_200600_302600_NS6detail15normal_iteratorINS9_10device_ptrIiEEEESE_PS5_SF_jNS0_19identity_decomposerENS1_16block_id_wrapperIjLb1EEEEE10hipError_tT1_PNSt15iterator_traitsISK_E10value_typeET2_T3_PNSL_ISQ_E10value_typeET4_T5_PSV_SW_PNS1_23onesweep_lookback_stateEbbT6_jjT7_P12ihipStream_tbENKUlT_T0_SK_SP_E_clISE_SE_SF_SF_EEDaS13_S14_SK_SP_EUlS13_E_NS1_11comp_targetILNS1_3genE9ELNS1_11target_archE1100ELNS1_3gpuE3ELNS1_3repE0EEENS1_47radix_sort_onesweep_sort_config_static_selectorELNS0_4arch9wavefront6targetE0EEEvSK_
; %bb.0:
	.section	.rodata,"a",@progbits
	.p2align	6, 0x0
	.amdhsa_kernel _ZN7rocprim17ROCPRIM_400000_NS6detail17trampoline_kernelINS0_14default_configENS1_35radix_sort_onesweep_config_selectorIiNS0_10empty_typeEEEZZNS1_29radix_sort_onesweep_iterationIS3_Lb1EN6thrust23THRUST_200600_302600_NS6detail15normal_iteratorINS9_10device_ptrIiEEEESE_PS5_SF_jNS0_19identity_decomposerENS1_16block_id_wrapperIjLb1EEEEE10hipError_tT1_PNSt15iterator_traitsISK_E10value_typeET2_T3_PNSL_ISQ_E10value_typeET4_T5_PSV_SW_PNS1_23onesweep_lookback_stateEbbT6_jjT7_P12ihipStream_tbENKUlT_T0_SK_SP_E_clISE_SE_SF_SF_EEDaS13_S14_SK_SP_EUlS13_E_NS1_11comp_targetILNS1_3genE9ELNS1_11target_archE1100ELNS1_3gpuE3ELNS1_3repE0EEENS1_47radix_sort_onesweep_sort_config_static_selectorELNS0_4arch9wavefront6targetE0EEEvSK_
		.amdhsa_group_segment_fixed_size 0
		.amdhsa_private_segment_fixed_size 0
		.amdhsa_kernarg_size 88
		.amdhsa_user_sgpr_count 6
		.amdhsa_user_sgpr_private_segment_buffer 1
		.amdhsa_user_sgpr_dispatch_ptr 0
		.amdhsa_user_sgpr_queue_ptr 0
		.amdhsa_user_sgpr_kernarg_segment_ptr 1
		.amdhsa_user_sgpr_dispatch_id 0
		.amdhsa_user_sgpr_flat_scratch_init 0
		.amdhsa_user_sgpr_private_segment_size 0
		.amdhsa_wavefront_size32 1
		.amdhsa_uses_dynamic_stack 0
		.amdhsa_system_sgpr_private_segment_wavefront_offset 0
		.amdhsa_system_sgpr_workgroup_id_x 1
		.amdhsa_system_sgpr_workgroup_id_y 0
		.amdhsa_system_sgpr_workgroup_id_z 0
		.amdhsa_system_sgpr_workgroup_info 0
		.amdhsa_system_vgpr_workitem_id 0
		.amdhsa_next_free_vgpr 1
		.amdhsa_next_free_sgpr 1
		.amdhsa_reserve_vcc 0
		.amdhsa_reserve_flat_scratch 0
		.amdhsa_float_round_mode_32 0
		.amdhsa_float_round_mode_16_64 0
		.amdhsa_float_denorm_mode_32 3
		.amdhsa_float_denorm_mode_16_64 3
		.amdhsa_dx10_clamp 1
		.amdhsa_ieee_mode 1
		.amdhsa_fp16_overflow 0
		.amdhsa_workgroup_processor_mode 1
		.amdhsa_memory_ordered 1
		.amdhsa_forward_progress 1
		.amdhsa_shared_vgpr_count 0
		.amdhsa_exception_fp_ieee_invalid_op 0
		.amdhsa_exception_fp_denorm_src 0
		.amdhsa_exception_fp_ieee_div_zero 0
		.amdhsa_exception_fp_ieee_overflow 0
		.amdhsa_exception_fp_ieee_underflow 0
		.amdhsa_exception_fp_ieee_inexact 0
		.amdhsa_exception_int_div_zero 0
	.end_amdhsa_kernel
	.section	.text._ZN7rocprim17ROCPRIM_400000_NS6detail17trampoline_kernelINS0_14default_configENS1_35radix_sort_onesweep_config_selectorIiNS0_10empty_typeEEEZZNS1_29radix_sort_onesweep_iterationIS3_Lb1EN6thrust23THRUST_200600_302600_NS6detail15normal_iteratorINS9_10device_ptrIiEEEESE_PS5_SF_jNS0_19identity_decomposerENS1_16block_id_wrapperIjLb1EEEEE10hipError_tT1_PNSt15iterator_traitsISK_E10value_typeET2_T3_PNSL_ISQ_E10value_typeET4_T5_PSV_SW_PNS1_23onesweep_lookback_stateEbbT6_jjT7_P12ihipStream_tbENKUlT_T0_SK_SP_E_clISE_SE_SF_SF_EEDaS13_S14_SK_SP_EUlS13_E_NS1_11comp_targetILNS1_3genE9ELNS1_11target_archE1100ELNS1_3gpuE3ELNS1_3repE0EEENS1_47radix_sort_onesweep_sort_config_static_selectorELNS0_4arch9wavefront6targetE0EEEvSK_,"axG",@progbits,_ZN7rocprim17ROCPRIM_400000_NS6detail17trampoline_kernelINS0_14default_configENS1_35radix_sort_onesweep_config_selectorIiNS0_10empty_typeEEEZZNS1_29radix_sort_onesweep_iterationIS3_Lb1EN6thrust23THRUST_200600_302600_NS6detail15normal_iteratorINS9_10device_ptrIiEEEESE_PS5_SF_jNS0_19identity_decomposerENS1_16block_id_wrapperIjLb1EEEEE10hipError_tT1_PNSt15iterator_traitsISK_E10value_typeET2_T3_PNSL_ISQ_E10value_typeET4_T5_PSV_SW_PNS1_23onesweep_lookback_stateEbbT6_jjT7_P12ihipStream_tbENKUlT_T0_SK_SP_E_clISE_SE_SF_SF_EEDaS13_S14_SK_SP_EUlS13_E_NS1_11comp_targetILNS1_3genE9ELNS1_11target_archE1100ELNS1_3gpuE3ELNS1_3repE0EEENS1_47radix_sort_onesweep_sort_config_static_selectorELNS0_4arch9wavefront6targetE0EEEvSK_,comdat
.Lfunc_end343:
	.size	_ZN7rocprim17ROCPRIM_400000_NS6detail17trampoline_kernelINS0_14default_configENS1_35radix_sort_onesweep_config_selectorIiNS0_10empty_typeEEEZZNS1_29radix_sort_onesweep_iterationIS3_Lb1EN6thrust23THRUST_200600_302600_NS6detail15normal_iteratorINS9_10device_ptrIiEEEESE_PS5_SF_jNS0_19identity_decomposerENS1_16block_id_wrapperIjLb1EEEEE10hipError_tT1_PNSt15iterator_traitsISK_E10value_typeET2_T3_PNSL_ISQ_E10value_typeET4_T5_PSV_SW_PNS1_23onesweep_lookback_stateEbbT6_jjT7_P12ihipStream_tbENKUlT_T0_SK_SP_E_clISE_SE_SF_SF_EEDaS13_S14_SK_SP_EUlS13_E_NS1_11comp_targetILNS1_3genE9ELNS1_11target_archE1100ELNS1_3gpuE3ELNS1_3repE0EEENS1_47radix_sort_onesweep_sort_config_static_selectorELNS0_4arch9wavefront6targetE0EEEvSK_, .Lfunc_end343-_ZN7rocprim17ROCPRIM_400000_NS6detail17trampoline_kernelINS0_14default_configENS1_35radix_sort_onesweep_config_selectorIiNS0_10empty_typeEEEZZNS1_29radix_sort_onesweep_iterationIS3_Lb1EN6thrust23THRUST_200600_302600_NS6detail15normal_iteratorINS9_10device_ptrIiEEEESE_PS5_SF_jNS0_19identity_decomposerENS1_16block_id_wrapperIjLb1EEEEE10hipError_tT1_PNSt15iterator_traitsISK_E10value_typeET2_T3_PNSL_ISQ_E10value_typeET4_T5_PSV_SW_PNS1_23onesweep_lookback_stateEbbT6_jjT7_P12ihipStream_tbENKUlT_T0_SK_SP_E_clISE_SE_SF_SF_EEDaS13_S14_SK_SP_EUlS13_E_NS1_11comp_targetILNS1_3genE9ELNS1_11target_archE1100ELNS1_3gpuE3ELNS1_3repE0EEENS1_47radix_sort_onesweep_sort_config_static_selectorELNS0_4arch9wavefront6targetE0EEEvSK_
                                        ; -- End function
	.set _ZN7rocprim17ROCPRIM_400000_NS6detail17trampoline_kernelINS0_14default_configENS1_35radix_sort_onesweep_config_selectorIiNS0_10empty_typeEEEZZNS1_29radix_sort_onesweep_iterationIS3_Lb1EN6thrust23THRUST_200600_302600_NS6detail15normal_iteratorINS9_10device_ptrIiEEEESE_PS5_SF_jNS0_19identity_decomposerENS1_16block_id_wrapperIjLb1EEEEE10hipError_tT1_PNSt15iterator_traitsISK_E10value_typeET2_T3_PNSL_ISQ_E10value_typeET4_T5_PSV_SW_PNS1_23onesweep_lookback_stateEbbT6_jjT7_P12ihipStream_tbENKUlT_T0_SK_SP_E_clISE_SE_SF_SF_EEDaS13_S14_SK_SP_EUlS13_E_NS1_11comp_targetILNS1_3genE9ELNS1_11target_archE1100ELNS1_3gpuE3ELNS1_3repE0EEENS1_47radix_sort_onesweep_sort_config_static_selectorELNS0_4arch9wavefront6targetE0EEEvSK_.num_vgpr, 0
	.set _ZN7rocprim17ROCPRIM_400000_NS6detail17trampoline_kernelINS0_14default_configENS1_35radix_sort_onesweep_config_selectorIiNS0_10empty_typeEEEZZNS1_29radix_sort_onesweep_iterationIS3_Lb1EN6thrust23THRUST_200600_302600_NS6detail15normal_iteratorINS9_10device_ptrIiEEEESE_PS5_SF_jNS0_19identity_decomposerENS1_16block_id_wrapperIjLb1EEEEE10hipError_tT1_PNSt15iterator_traitsISK_E10value_typeET2_T3_PNSL_ISQ_E10value_typeET4_T5_PSV_SW_PNS1_23onesweep_lookback_stateEbbT6_jjT7_P12ihipStream_tbENKUlT_T0_SK_SP_E_clISE_SE_SF_SF_EEDaS13_S14_SK_SP_EUlS13_E_NS1_11comp_targetILNS1_3genE9ELNS1_11target_archE1100ELNS1_3gpuE3ELNS1_3repE0EEENS1_47radix_sort_onesweep_sort_config_static_selectorELNS0_4arch9wavefront6targetE0EEEvSK_.num_agpr, 0
	.set _ZN7rocprim17ROCPRIM_400000_NS6detail17trampoline_kernelINS0_14default_configENS1_35radix_sort_onesweep_config_selectorIiNS0_10empty_typeEEEZZNS1_29radix_sort_onesweep_iterationIS3_Lb1EN6thrust23THRUST_200600_302600_NS6detail15normal_iteratorINS9_10device_ptrIiEEEESE_PS5_SF_jNS0_19identity_decomposerENS1_16block_id_wrapperIjLb1EEEEE10hipError_tT1_PNSt15iterator_traitsISK_E10value_typeET2_T3_PNSL_ISQ_E10value_typeET4_T5_PSV_SW_PNS1_23onesweep_lookback_stateEbbT6_jjT7_P12ihipStream_tbENKUlT_T0_SK_SP_E_clISE_SE_SF_SF_EEDaS13_S14_SK_SP_EUlS13_E_NS1_11comp_targetILNS1_3genE9ELNS1_11target_archE1100ELNS1_3gpuE3ELNS1_3repE0EEENS1_47radix_sort_onesweep_sort_config_static_selectorELNS0_4arch9wavefront6targetE0EEEvSK_.numbered_sgpr, 0
	.set _ZN7rocprim17ROCPRIM_400000_NS6detail17trampoline_kernelINS0_14default_configENS1_35radix_sort_onesweep_config_selectorIiNS0_10empty_typeEEEZZNS1_29radix_sort_onesweep_iterationIS3_Lb1EN6thrust23THRUST_200600_302600_NS6detail15normal_iteratorINS9_10device_ptrIiEEEESE_PS5_SF_jNS0_19identity_decomposerENS1_16block_id_wrapperIjLb1EEEEE10hipError_tT1_PNSt15iterator_traitsISK_E10value_typeET2_T3_PNSL_ISQ_E10value_typeET4_T5_PSV_SW_PNS1_23onesweep_lookback_stateEbbT6_jjT7_P12ihipStream_tbENKUlT_T0_SK_SP_E_clISE_SE_SF_SF_EEDaS13_S14_SK_SP_EUlS13_E_NS1_11comp_targetILNS1_3genE9ELNS1_11target_archE1100ELNS1_3gpuE3ELNS1_3repE0EEENS1_47radix_sort_onesweep_sort_config_static_selectorELNS0_4arch9wavefront6targetE0EEEvSK_.num_named_barrier, 0
	.set _ZN7rocprim17ROCPRIM_400000_NS6detail17trampoline_kernelINS0_14default_configENS1_35radix_sort_onesweep_config_selectorIiNS0_10empty_typeEEEZZNS1_29radix_sort_onesweep_iterationIS3_Lb1EN6thrust23THRUST_200600_302600_NS6detail15normal_iteratorINS9_10device_ptrIiEEEESE_PS5_SF_jNS0_19identity_decomposerENS1_16block_id_wrapperIjLb1EEEEE10hipError_tT1_PNSt15iterator_traitsISK_E10value_typeET2_T3_PNSL_ISQ_E10value_typeET4_T5_PSV_SW_PNS1_23onesweep_lookback_stateEbbT6_jjT7_P12ihipStream_tbENKUlT_T0_SK_SP_E_clISE_SE_SF_SF_EEDaS13_S14_SK_SP_EUlS13_E_NS1_11comp_targetILNS1_3genE9ELNS1_11target_archE1100ELNS1_3gpuE3ELNS1_3repE0EEENS1_47radix_sort_onesweep_sort_config_static_selectorELNS0_4arch9wavefront6targetE0EEEvSK_.private_seg_size, 0
	.set _ZN7rocprim17ROCPRIM_400000_NS6detail17trampoline_kernelINS0_14default_configENS1_35radix_sort_onesweep_config_selectorIiNS0_10empty_typeEEEZZNS1_29radix_sort_onesweep_iterationIS3_Lb1EN6thrust23THRUST_200600_302600_NS6detail15normal_iteratorINS9_10device_ptrIiEEEESE_PS5_SF_jNS0_19identity_decomposerENS1_16block_id_wrapperIjLb1EEEEE10hipError_tT1_PNSt15iterator_traitsISK_E10value_typeET2_T3_PNSL_ISQ_E10value_typeET4_T5_PSV_SW_PNS1_23onesweep_lookback_stateEbbT6_jjT7_P12ihipStream_tbENKUlT_T0_SK_SP_E_clISE_SE_SF_SF_EEDaS13_S14_SK_SP_EUlS13_E_NS1_11comp_targetILNS1_3genE9ELNS1_11target_archE1100ELNS1_3gpuE3ELNS1_3repE0EEENS1_47radix_sort_onesweep_sort_config_static_selectorELNS0_4arch9wavefront6targetE0EEEvSK_.uses_vcc, 0
	.set _ZN7rocprim17ROCPRIM_400000_NS6detail17trampoline_kernelINS0_14default_configENS1_35radix_sort_onesweep_config_selectorIiNS0_10empty_typeEEEZZNS1_29radix_sort_onesweep_iterationIS3_Lb1EN6thrust23THRUST_200600_302600_NS6detail15normal_iteratorINS9_10device_ptrIiEEEESE_PS5_SF_jNS0_19identity_decomposerENS1_16block_id_wrapperIjLb1EEEEE10hipError_tT1_PNSt15iterator_traitsISK_E10value_typeET2_T3_PNSL_ISQ_E10value_typeET4_T5_PSV_SW_PNS1_23onesweep_lookback_stateEbbT6_jjT7_P12ihipStream_tbENKUlT_T0_SK_SP_E_clISE_SE_SF_SF_EEDaS13_S14_SK_SP_EUlS13_E_NS1_11comp_targetILNS1_3genE9ELNS1_11target_archE1100ELNS1_3gpuE3ELNS1_3repE0EEENS1_47radix_sort_onesweep_sort_config_static_selectorELNS0_4arch9wavefront6targetE0EEEvSK_.uses_flat_scratch, 0
	.set _ZN7rocprim17ROCPRIM_400000_NS6detail17trampoline_kernelINS0_14default_configENS1_35radix_sort_onesweep_config_selectorIiNS0_10empty_typeEEEZZNS1_29radix_sort_onesweep_iterationIS3_Lb1EN6thrust23THRUST_200600_302600_NS6detail15normal_iteratorINS9_10device_ptrIiEEEESE_PS5_SF_jNS0_19identity_decomposerENS1_16block_id_wrapperIjLb1EEEEE10hipError_tT1_PNSt15iterator_traitsISK_E10value_typeET2_T3_PNSL_ISQ_E10value_typeET4_T5_PSV_SW_PNS1_23onesweep_lookback_stateEbbT6_jjT7_P12ihipStream_tbENKUlT_T0_SK_SP_E_clISE_SE_SF_SF_EEDaS13_S14_SK_SP_EUlS13_E_NS1_11comp_targetILNS1_3genE9ELNS1_11target_archE1100ELNS1_3gpuE3ELNS1_3repE0EEENS1_47radix_sort_onesweep_sort_config_static_selectorELNS0_4arch9wavefront6targetE0EEEvSK_.has_dyn_sized_stack, 0
	.set _ZN7rocprim17ROCPRIM_400000_NS6detail17trampoline_kernelINS0_14default_configENS1_35radix_sort_onesweep_config_selectorIiNS0_10empty_typeEEEZZNS1_29radix_sort_onesweep_iterationIS3_Lb1EN6thrust23THRUST_200600_302600_NS6detail15normal_iteratorINS9_10device_ptrIiEEEESE_PS5_SF_jNS0_19identity_decomposerENS1_16block_id_wrapperIjLb1EEEEE10hipError_tT1_PNSt15iterator_traitsISK_E10value_typeET2_T3_PNSL_ISQ_E10value_typeET4_T5_PSV_SW_PNS1_23onesweep_lookback_stateEbbT6_jjT7_P12ihipStream_tbENKUlT_T0_SK_SP_E_clISE_SE_SF_SF_EEDaS13_S14_SK_SP_EUlS13_E_NS1_11comp_targetILNS1_3genE9ELNS1_11target_archE1100ELNS1_3gpuE3ELNS1_3repE0EEENS1_47radix_sort_onesweep_sort_config_static_selectorELNS0_4arch9wavefront6targetE0EEEvSK_.has_recursion, 0
	.set _ZN7rocprim17ROCPRIM_400000_NS6detail17trampoline_kernelINS0_14default_configENS1_35radix_sort_onesweep_config_selectorIiNS0_10empty_typeEEEZZNS1_29radix_sort_onesweep_iterationIS3_Lb1EN6thrust23THRUST_200600_302600_NS6detail15normal_iteratorINS9_10device_ptrIiEEEESE_PS5_SF_jNS0_19identity_decomposerENS1_16block_id_wrapperIjLb1EEEEE10hipError_tT1_PNSt15iterator_traitsISK_E10value_typeET2_T3_PNSL_ISQ_E10value_typeET4_T5_PSV_SW_PNS1_23onesweep_lookback_stateEbbT6_jjT7_P12ihipStream_tbENKUlT_T0_SK_SP_E_clISE_SE_SF_SF_EEDaS13_S14_SK_SP_EUlS13_E_NS1_11comp_targetILNS1_3genE9ELNS1_11target_archE1100ELNS1_3gpuE3ELNS1_3repE0EEENS1_47radix_sort_onesweep_sort_config_static_selectorELNS0_4arch9wavefront6targetE0EEEvSK_.has_indirect_call, 0
	.section	.AMDGPU.csdata,"",@progbits
; Kernel info:
; codeLenInByte = 0
; TotalNumSgprs: 0
; NumVgprs: 0
; ScratchSize: 0
; MemoryBound: 0
; FloatMode: 240
; IeeeMode: 1
; LDSByteSize: 0 bytes/workgroup (compile time only)
; SGPRBlocks: 0
; VGPRBlocks: 0
; NumSGPRsForWavesPerEU: 1
; NumVGPRsForWavesPerEU: 1
; Occupancy: 16
; WaveLimiterHint : 0
; COMPUTE_PGM_RSRC2:SCRATCH_EN: 0
; COMPUTE_PGM_RSRC2:USER_SGPR: 6
; COMPUTE_PGM_RSRC2:TRAP_HANDLER: 0
; COMPUTE_PGM_RSRC2:TGID_X_EN: 1
; COMPUTE_PGM_RSRC2:TGID_Y_EN: 0
; COMPUTE_PGM_RSRC2:TGID_Z_EN: 0
; COMPUTE_PGM_RSRC2:TIDIG_COMP_CNT: 0
	.section	.text._ZN7rocprim17ROCPRIM_400000_NS6detail17trampoline_kernelINS0_14default_configENS1_35radix_sort_onesweep_config_selectorIiNS0_10empty_typeEEEZZNS1_29radix_sort_onesweep_iterationIS3_Lb1EN6thrust23THRUST_200600_302600_NS6detail15normal_iteratorINS9_10device_ptrIiEEEESE_PS5_SF_jNS0_19identity_decomposerENS1_16block_id_wrapperIjLb1EEEEE10hipError_tT1_PNSt15iterator_traitsISK_E10value_typeET2_T3_PNSL_ISQ_E10value_typeET4_T5_PSV_SW_PNS1_23onesweep_lookback_stateEbbT6_jjT7_P12ihipStream_tbENKUlT_T0_SK_SP_E_clISE_SE_SF_SF_EEDaS13_S14_SK_SP_EUlS13_E_NS1_11comp_targetILNS1_3genE8ELNS1_11target_archE1030ELNS1_3gpuE2ELNS1_3repE0EEENS1_47radix_sort_onesweep_sort_config_static_selectorELNS0_4arch9wavefront6targetE0EEEvSK_,"axG",@progbits,_ZN7rocprim17ROCPRIM_400000_NS6detail17trampoline_kernelINS0_14default_configENS1_35radix_sort_onesweep_config_selectorIiNS0_10empty_typeEEEZZNS1_29radix_sort_onesweep_iterationIS3_Lb1EN6thrust23THRUST_200600_302600_NS6detail15normal_iteratorINS9_10device_ptrIiEEEESE_PS5_SF_jNS0_19identity_decomposerENS1_16block_id_wrapperIjLb1EEEEE10hipError_tT1_PNSt15iterator_traitsISK_E10value_typeET2_T3_PNSL_ISQ_E10value_typeET4_T5_PSV_SW_PNS1_23onesweep_lookback_stateEbbT6_jjT7_P12ihipStream_tbENKUlT_T0_SK_SP_E_clISE_SE_SF_SF_EEDaS13_S14_SK_SP_EUlS13_E_NS1_11comp_targetILNS1_3genE8ELNS1_11target_archE1030ELNS1_3gpuE2ELNS1_3repE0EEENS1_47radix_sort_onesweep_sort_config_static_selectorELNS0_4arch9wavefront6targetE0EEEvSK_,comdat
	.protected	_ZN7rocprim17ROCPRIM_400000_NS6detail17trampoline_kernelINS0_14default_configENS1_35radix_sort_onesweep_config_selectorIiNS0_10empty_typeEEEZZNS1_29radix_sort_onesweep_iterationIS3_Lb1EN6thrust23THRUST_200600_302600_NS6detail15normal_iteratorINS9_10device_ptrIiEEEESE_PS5_SF_jNS0_19identity_decomposerENS1_16block_id_wrapperIjLb1EEEEE10hipError_tT1_PNSt15iterator_traitsISK_E10value_typeET2_T3_PNSL_ISQ_E10value_typeET4_T5_PSV_SW_PNS1_23onesweep_lookback_stateEbbT6_jjT7_P12ihipStream_tbENKUlT_T0_SK_SP_E_clISE_SE_SF_SF_EEDaS13_S14_SK_SP_EUlS13_E_NS1_11comp_targetILNS1_3genE8ELNS1_11target_archE1030ELNS1_3gpuE2ELNS1_3repE0EEENS1_47radix_sort_onesweep_sort_config_static_selectorELNS0_4arch9wavefront6targetE0EEEvSK_ ; -- Begin function _ZN7rocprim17ROCPRIM_400000_NS6detail17trampoline_kernelINS0_14default_configENS1_35radix_sort_onesweep_config_selectorIiNS0_10empty_typeEEEZZNS1_29radix_sort_onesweep_iterationIS3_Lb1EN6thrust23THRUST_200600_302600_NS6detail15normal_iteratorINS9_10device_ptrIiEEEESE_PS5_SF_jNS0_19identity_decomposerENS1_16block_id_wrapperIjLb1EEEEE10hipError_tT1_PNSt15iterator_traitsISK_E10value_typeET2_T3_PNSL_ISQ_E10value_typeET4_T5_PSV_SW_PNS1_23onesweep_lookback_stateEbbT6_jjT7_P12ihipStream_tbENKUlT_T0_SK_SP_E_clISE_SE_SF_SF_EEDaS13_S14_SK_SP_EUlS13_E_NS1_11comp_targetILNS1_3genE8ELNS1_11target_archE1030ELNS1_3gpuE2ELNS1_3repE0EEENS1_47radix_sort_onesweep_sort_config_static_selectorELNS0_4arch9wavefront6targetE0EEEvSK_
	.globl	_ZN7rocprim17ROCPRIM_400000_NS6detail17trampoline_kernelINS0_14default_configENS1_35radix_sort_onesweep_config_selectorIiNS0_10empty_typeEEEZZNS1_29radix_sort_onesweep_iterationIS3_Lb1EN6thrust23THRUST_200600_302600_NS6detail15normal_iteratorINS9_10device_ptrIiEEEESE_PS5_SF_jNS0_19identity_decomposerENS1_16block_id_wrapperIjLb1EEEEE10hipError_tT1_PNSt15iterator_traitsISK_E10value_typeET2_T3_PNSL_ISQ_E10value_typeET4_T5_PSV_SW_PNS1_23onesweep_lookback_stateEbbT6_jjT7_P12ihipStream_tbENKUlT_T0_SK_SP_E_clISE_SE_SF_SF_EEDaS13_S14_SK_SP_EUlS13_E_NS1_11comp_targetILNS1_3genE8ELNS1_11target_archE1030ELNS1_3gpuE2ELNS1_3repE0EEENS1_47radix_sort_onesweep_sort_config_static_selectorELNS0_4arch9wavefront6targetE0EEEvSK_
	.p2align	8
	.type	_ZN7rocprim17ROCPRIM_400000_NS6detail17trampoline_kernelINS0_14default_configENS1_35radix_sort_onesweep_config_selectorIiNS0_10empty_typeEEEZZNS1_29radix_sort_onesweep_iterationIS3_Lb1EN6thrust23THRUST_200600_302600_NS6detail15normal_iteratorINS9_10device_ptrIiEEEESE_PS5_SF_jNS0_19identity_decomposerENS1_16block_id_wrapperIjLb1EEEEE10hipError_tT1_PNSt15iterator_traitsISK_E10value_typeET2_T3_PNSL_ISQ_E10value_typeET4_T5_PSV_SW_PNS1_23onesweep_lookback_stateEbbT6_jjT7_P12ihipStream_tbENKUlT_T0_SK_SP_E_clISE_SE_SF_SF_EEDaS13_S14_SK_SP_EUlS13_E_NS1_11comp_targetILNS1_3genE8ELNS1_11target_archE1030ELNS1_3gpuE2ELNS1_3repE0EEENS1_47radix_sort_onesweep_sort_config_static_selectorELNS0_4arch9wavefront6targetE0EEEvSK_,@function
_ZN7rocprim17ROCPRIM_400000_NS6detail17trampoline_kernelINS0_14default_configENS1_35radix_sort_onesweep_config_selectorIiNS0_10empty_typeEEEZZNS1_29radix_sort_onesweep_iterationIS3_Lb1EN6thrust23THRUST_200600_302600_NS6detail15normal_iteratorINS9_10device_ptrIiEEEESE_PS5_SF_jNS0_19identity_decomposerENS1_16block_id_wrapperIjLb1EEEEE10hipError_tT1_PNSt15iterator_traitsISK_E10value_typeET2_T3_PNSL_ISQ_E10value_typeET4_T5_PSV_SW_PNS1_23onesweep_lookback_stateEbbT6_jjT7_P12ihipStream_tbENKUlT_T0_SK_SP_E_clISE_SE_SF_SF_EEDaS13_S14_SK_SP_EUlS13_E_NS1_11comp_targetILNS1_3genE8ELNS1_11target_archE1030ELNS1_3gpuE2ELNS1_3repE0EEENS1_47radix_sort_onesweep_sort_config_static_selectorELNS0_4arch9wavefront6targetE0EEEvSK_: ; @_ZN7rocprim17ROCPRIM_400000_NS6detail17trampoline_kernelINS0_14default_configENS1_35radix_sort_onesweep_config_selectorIiNS0_10empty_typeEEEZZNS1_29radix_sort_onesweep_iterationIS3_Lb1EN6thrust23THRUST_200600_302600_NS6detail15normal_iteratorINS9_10device_ptrIiEEEESE_PS5_SF_jNS0_19identity_decomposerENS1_16block_id_wrapperIjLb1EEEEE10hipError_tT1_PNSt15iterator_traitsISK_E10value_typeET2_T3_PNSL_ISQ_E10value_typeET4_T5_PSV_SW_PNS1_23onesweep_lookback_stateEbbT6_jjT7_P12ihipStream_tbENKUlT_T0_SK_SP_E_clISE_SE_SF_SF_EEDaS13_S14_SK_SP_EUlS13_E_NS1_11comp_targetILNS1_3genE8ELNS1_11target_archE1030ELNS1_3gpuE2ELNS1_3repE0EEENS1_47radix_sort_onesweep_sort_config_static_selectorELNS0_4arch9wavefront6targetE0EEEvSK_
; %bb.0:
	s_clause 0x2
	s_load_dwordx4 s[12:15], s[4:5], 0x28
	s_load_dwordx2 s[10:11], s[4:5], 0x38
	s_load_dwordx4 s[20:23], s[4:5], 0x44
	v_cmp_eq_u32_e64 s0, 0, v0
	s_and_saveexec_b32 s1, s0
	s_cbranch_execz .LBB344_4
; %bb.1:
	s_mov_b32 s3, exec_lo
	s_mov_b32 s2, exec_lo
	v_mbcnt_lo_u32_b32 v3, s3, 0
                                        ; implicit-def: $vgpr4
	v_cmpx_eq_u32_e32 0, v3
	s_cbranch_execz .LBB344_3
; %bb.2:
	s_load_dwordx2 s[8:9], s[4:5], 0x50
	s_bcnt1_i32_b32 s3, s3
	v_mov_b32_e32 v4, 0
	v_mov_b32_e32 v5, s3
	s_waitcnt lgkmcnt(0)
	global_atomic_add v4, v4, v5, s[8:9] glc
.LBB344_3:
	s_or_b32 exec_lo, exec_lo, s2
	s_waitcnt vmcnt(0)
	v_readfirstlane_b32 s2, v4
	v_mov_b32_e32 v4, 0
	v_add_nc_u32_e32 v3, s2, v3
	ds_write_b32 v4, v3 offset:36992
.LBB344_4:
	s_or_b32 exec_lo, exec_lo, s1
	v_mov_b32_e32 v3, 0
	s_clause 0x1
	s_load_dwordx4 s[16:19], s[4:5], 0x0
	s_load_dword s1, s[4:5], 0x20
	s_waitcnt lgkmcnt(0)
	s_barrier
	buffer_gl0_inv
	ds_read_b32 v3, v3 offset:36992
	v_mbcnt_lo_u32_b32 v12, -1, 0
	v_lshlrev_b32_e32 v11, 2, v0
	s_mov_b32 s2, -1
	s_waitcnt lgkmcnt(0)
	s_barrier
	buffer_gl0_inv
	v_cmp_le_u32_e32 vcc_lo, s22, v3
	v_readfirstlane_b32 s23, v3
	s_cbranch_vccz .LBB344_52
; %bb.5:
	s_lshl_b32 s3, s22, 12
	s_lshl_b32 s2, s23, 12
	s_sub_i32 s22, s1, s3
	s_mov_b32 s3, 0
	v_and_b32_e32 v3, 0xf80, v11
	v_lshlrev_b32_e32 v4, 2, v12
	s_lshl_b64 s[2:3], s[2:3], 2
	s_add_u32 s1, s16, s2
	s_addc_u32 s2, s17, s3
	v_lshlrev_b32_e32 v5, 2, v3
	v_add_co_u32 v4, s1, s1, v4
	v_add_co_ci_u32_e64 v6, null, s2, 0, s1
	v_or_b32_e32 v9, v12, v3
	v_bfrev_b32_e32 v3, 1
	v_add_co_u32 v7, vcc_lo, v4, v5
	v_add_co_ci_u32_e64 v8, null, 0, v6, vcc_lo
	v_mov_b32_e32 v4, v3
	v_mov_b32_e32 v5, v3
	;; [unrolled: 1-line block ×3, first 2 shown]
	s_mov_b32 s1, exec_lo
	v_cmpx_gt_u32_e64 s22, v9
	s_cbranch_execz .LBB344_7
; %bb.6:
	global_load_dword v13, v[7:8], off
	v_mov_b32_e32 v14, v3
	v_mov_b32_e32 v15, v3
	v_mov_b32_e32 v16, v3
	s_waitcnt vmcnt(0)
	v_mov_b32_e32 v3, v13
	v_mov_b32_e32 v4, v14
	v_mov_b32_e32 v5, v15
	v_mov_b32_e32 v6, v16
.LBB344_7:
	s_or_b32 exec_lo, exec_lo, s1
	v_or_b32_e32 v10, 32, v9
	s_mov_b32 s1, exec_lo
	v_cmpx_gt_u32_e64 s22, v10
	s_cbranch_execz .LBB344_9
; %bb.8:
	global_load_dword v4, v[7:8], off offset:128
.LBB344_9:
	s_or_b32 exec_lo, exec_lo, s1
	v_or_b32_e32 v10, 64, v9
	s_mov_b32 s1, exec_lo
	v_cmpx_gt_u32_e64 s22, v10
	s_cbranch_execz .LBB344_11
; %bb.10:
	global_load_dword v5, v[7:8], off offset:256
.LBB344_11:
	;; [unrolled: 8-line block ×3, first 2 shown]
	s_or_b32 exec_lo, exec_lo, s1
	s_clause 0x1
	s_load_dword s1, s[4:5], 0x64
	s_load_dword s24, s[4:5], 0x58
	s_add_u32 s2, s4, 0x58
	s_addc_u32 s3, s5, 0
	v_mov_b32_e32 v10, 0
	v_xor_b32_e32 v13, 0x7fffffff, v3
	v_lshrrev_b32_e32 v3, s20, v13
	s_waitcnt lgkmcnt(0)
	s_lshr_b32 s7, s1, 16
	s_cmp_lt_u32 s6, s24
	s_cselect_b32 s1, 12, 18
	s_add_u32 s2, s2, s1
	s_addc_u32 s3, s3, 0
	s_lshl_b32 s1, -1, s21
	global_load_ushort v7, v10, s[2:3]
	s_not_b32 s25, s1
	v_and_b32_e32 v3, s25, v3
	v_and_b32_e32 v8, 1, v3
	v_lshlrev_b32_e32 v9, 30, v3
	v_lshlrev_b32_e32 v14, 29, v3
	;; [unrolled: 1-line block ×4, first 2 shown]
	v_add_co_u32 v8, s1, v8, -1
	v_cndmask_b32_e64 v15, 0, 1, s1
	v_not_b32_e32 v19, v9
	v_cmp_gt_i32_e64 s1, 0, v9
	v_not_b32_e32 v9, v14
	v_lshlrev_b32_e32 v18, 26, v3
	v_cmp_ne_u32_e32 vcc_lo, 0, v15
	v_ashrrev_i32_e32 v19, 31, v19
	v_lshlrev_b32_e32 v15, 25, v3
	v_ashrrev_i32_e32 v9, 31, v9
	v_xor_b32_e32 v8, vcc_lo, v8
	v_cmp_gt_i32_e32 vcc_lo, 0, v14
	v_not_b32_e32 v14, v16
	v_xor_b32_e32 v19, s1, v19
	v_cmp_gt_i32_e64 s1, 0, v16
	v_and_b32_e32 v8, exec_lo, v8
	v_not_b32_e32 v16, v17
	v_ashrrev_i32_e32 v14, 31, v14
	v_xor_b32_e32 v9, vcc_lo, v9
	v_cmp_gt_i32_e32 vcc_lo, 0, v17
	v_and_b32_e32 v8, v8, v19
	v_not_b32_e32 v17, v18
	v_ashrrev_i32_e32 v16, 31, v16
	v_xor_b32_e32 v14, s1, v14
	v_cmp_gt_i32_e64 s1, 0, v18
	v_and_b32_e32 v8, v8, v9
	v_not_b32_e32 v9, v15
	v_ashrrev_i32_e32 v17, 31, v17
	v_xor_b32_e32 v16, vcc_lo, v16
	v_cmp_gt_i32_e32 vcc_lo, 0, v15
	v_and_b32_e32 v8, v8, v14
	v_lshlrev_b32_e32 v14, 24, v3
	v_ashrrev_i32_e32 v9, 31, v9
	v_xor_b32_e32 v15, s1, v17
	v_and_b32_e32 v8, v8, v16
	v_not_b32_e32 v16, v14
	v_xor_b32_e32 v9, vcc_lo, v9
	v_cmp_gt_i32_e32 vcc_lo, 0, v14
	v_and_b32_e32 v8, v8, v15
	v_mad_u32_u24 v15, v2, s7, v1
	v_ashrrev_i32_e32 v14, 31, v16
	v_mul_u32_u24_e32 v16, 36, v0
	v_and_b32_e32 v17, v8, v9
	ds_write2_b32 v16, v10, v10 offset0:32 offset1:33
	ds_write2_b32 v16, v10, v10 offset0:34 offset1:35
	;; [unrolled: 1-line block ×4, first 2 shown]
	ds_write_b32 v16, v10 offset:160
	s_waitcnt vmcnt(0) lgkmcnt(0)
	s_barrier
	buffer_gl0_inv
	; wave barrier
	v_mad_u64_u32 v[8:9], null, v15, v7, v[0:1]
	v_xor_b32_e32 v7, vcc_lo, v14
	v_mul_lo_u32 v9, 0x84, v3
	v_and_b32_e32 v7, v17, v7
	v_lshrrev_b32_e32 v8, 3, v8
	v_mbcnt_lo_u32_b32 v14, v7, 0
	v_and_b32_e32 v3, 0x1ffffffc, v8
	v_cmp_ne_u32_e64 s1, 0, v7
	v_cmp_eq_u32_e32 vcc_lo, 0, v14
	v_add_nc_u32_e32 v17, v3, v9
	s_and_b32 s2, s1, vcc_lo
	s_and_saveexec_b32 s1, s2
; %bb.14:
	v_bcnt_u32_b32 v7, v7, 0
	ds_write_b32 v17, v7 offset:128
; %bb.15:
	s_or_b32 exec_lo, exec_lo, s1
	v_xor_b32_e32 v15, 0x7fffffff, v4
	; wave barrier
	v_lshrrev_b32_e32 v4, s20, v15
	v_and_b32_e32 v4, s25, v4
	v_and_b32_e32 v8, 1, v4
	v_lshlrev_b32_e32 v9, 30, v4
	v_lshlrev_b32_e32 v10, 29, v4
	;; [unrolled: 1-line block ×4, first 2 shown]
	v_add_co_u32 v8, s1, v8, -1
	v_cndmask_b32_e64 v19, 0, 1, s1
	v_not_b32_e32 v23, v9
	v_cmp_gt_i32_e64 s1, 0, v9
	v_not_b32_e32 v9, v10
	v_lshlrev_b32_e32 v21, 26, v4
	v_cmp_ne_u32_e32 vcc_lo, 0, v19
	v_ashrrev_i32_e32 v19, 31, v23
	v_lshlrev_b32_e32 v22, 25, v4
	v_ashrrev_i32_e32 v9, 31, v9
	v_mul_lo_u32 v7, 0x84, v4
	v_xor_b32_e32 v8, vcc_lo, v8
	v_cmp_gt_i32_e32 vcc_lo, 0, v10
	v_not_b32_e32 v10, v18
	v_xor_b32_e32 v19, s1, v19
	v_cmp_gt_i32_e64 s1, 0, v18
	v_and_b32_e32 v8, exec_lo, v8
	v_not_b32_e32 v18, v20
	v_ashrrev_i32_e32 v10, 31, v10
	v_xor_b32_e32 v9, vcc_lo, v9
	v_cmp_gt_i32_e32 vcc_lo, 0, v20
	v_and_b32_e32 v8, v8, v19
	v_not_b32_e32 v19, v21
	v_ashrrev_i32_e32 v18, 31, v18
	v_xor_b32_e32 v10, s1, v10
	v_lshlrev_b32_e32 v4, 24, v4
	v_and_b32_e32 v8, v8, v9
	v_cmp_gt_i32_e64 s1, 0, v21
	v_not_b32_e32 v9, v22
	v_ashrrev_i32_e32 v19, 31, v19
	v_xor_b32_e32 v18, vcc_lo, v18
	v_and_b32_e32 v8, v8, v10
	v_cmp_gt_i32_e32 vcc_lo, 0, v22
	v_not_b32_e32 v10, v4
	v_ashrrev_i32_e32 v9, 31, v9
	v_xor_b32_e32 v19, s1, v19
	v_and_b32_e32 v8, v8, v18
	v_cmp_gt_i32_e64 s1, 0, v4
	v_ashrrev_i32_e32 v4, 31, v10
	v_xor_b32_e32 v9, vcc_lo, v9
	v_add_nc_u32_e32 v21, v3, v7
	v_and_b32_e32 v8, v8, v19
	v_xor_b32_e32 v4, s1, v4
	ds_read_b32 v18, v21 offset:128
	v_and_b32_e32 v7, v8, v9
	; wave barrier
	v_and_b32_e32 v4, v7, v4
	v_mbcnt_lo_u32_b32 v20, v4, 0
	v_cmp_ne_u32_e64 s1, 0, v4
	v_cmp_eq_u32_e32 vcc_lo, 0, v20
	s_and_b32 s2, s1, vcc_lo
	s_and_saveexec_b32 s1, s2
	s_cbranch_execz .LBB344_17
; %bb.16:
	s_waitcnt lgkmcnt(0)
	v_bcnt_u32_b32 v4, v4, v18
	ds_write_b32 v21, v4 offset:128
.LBB344_17:
	s_or_b32 exec_lo, exec_lo, s1
	v_xor_b32_e32 v19, 0x7fffffff, v5
	; wave barrier
	v_lshrrev_b32_e32 v4, s20, v19
	v_and_b32_e32 v4, s25, v4
	v_and_b32_e32 v7, 1, v4
	v_lshlrev_b32_e32 v8, 30, v4
	v_lshlrev_b32_e32 v9, 29, v4
	;; [unrolled: 1-line block ×4, first 2 shown]
	v_add_co_u32 v7, s1, v7, -1
	v_cndmask_b32_e64 v22, 0, 1, s1
	v_not_b32_e32 v26, v8
	v_cmp_gt_i32_e64 s1, 0, v8
	v_not_b32_e32 v8, v9
	v_lshlrev_b32_e32 v24, 26, v4
	v_cmp_ne_u32_e32 vcc_lo, 0, v22
	v_ashrrev_i32_e32 v22, 31, v26
	v_lshlrev_b32_e32 v25, 25, v4
	v_ashrrev_i32_e32 v8, 31, v8
	v_mul_lo_u32 v5, 0x84, v4
	v_xor_b32_e32 v7, vcc_lo, v7
	v_cmp_gt_i32_e32 vcc_lo, 0, v9
	v_not_b32_e32 v9, v10
	v_xor_b32_e32 v22, s1, v22
	v_cmp_gt_i32_e64 s1, 0, v10
	v_and_b32_e32 v7, exec_lo, v7
	v_not_b32_e32 v10, v23
	v_ashrrev_i32_e32 v9, 31, v9
	v_xor_b32_e32 v8, vcc_lo, v8
	v_cmp_gt_i32_e32 vcc_lo, 0, v23
	v_and_b32_e32 v7, v7, v22
	v_not_b32_e32 v22, v24
	v_ashrrev_i32_e32 v10, 31, v10
	v_xor_b32_e32 v9, s1, v9
	v_lshlrev_b32_e32 v4, 24, v4
	v_and_b32_e32 v7, v7, v8
	v_cmp_gt_i32_e64 s1, 0, v24
	v_not_b32_e32 v8, v25
	v_ashrrev_i32_e32 v22, 31, v22
	v_xor_b32_e32 v10, vcc_lo, v10
	v_and_b32_e32 v7, v7, v9
	v_cmp_gt_i32_e32 vcc_lo, 0, v25
	v_not_b32_e32 v9, v4
	v_ashrrev_i32_e32 v8, 31, v8
	v_xor_b32_e32 v22, s1, v22
	v_and_b32_e32 v7, v7, v10
	v_cmp_gt_i32_e64 s1, 0, v4
	v_ashrrev_i32_e32 v4, 31, v9
	v_xor_b32_e32 v8, vcc_lo, v8
	v_add_nc_u32_e32 v25, v3, v5
	v_and_b32_e32 v7, v7, v22
	v_xor_b32_e32 v4, s1, v4
	ds_read_b32 v22, v25 offset:128
	v_and_b32_e32 v5, v7, v8
	; wave barrier
	v_and_b32_e32 v4, v5, v4
	v_mbcnt_lo_u32_b32 v24, v4, 0
	v_cmp_ne_u32_e64 s1, 0, v4
	v_cmp_eq_u32_e32 vcc_lo, 0, v24
	s_and_b32 s2, s1, vcc_lo
	s_and_saveexec_b32 s1, s2
	s_cbranch_execz .LBB344_19
; %bb.18:
	s_waitcnt lgkmcnt(0)
	v_bcnt_u32_b32 v4, v4, v22
	ds_write_b32 v25, v4 offset:128
.LBB344_19:
	s_or_b32 exec_lo, exec_lo, s1
	v_xor_b32_e32 v23, 0x7fffffff, v6
	; wave barrier
	v_lshrrev_b32_e32 v4, s20, v23
	v_and_b32_e32 v4, s25, v4
	v_and_b32_e32 v6, 1, v4
	v_lshlrev_b32_e32 v7, 30, v4
	v_lshlrev_b32_e32 v8, 29, v4
	;; [unrolled: 1-line block ×4, first 2 shown]
	v_add_co_u32 v6, s1, v6, -1
	v_cndmask_b32_e64 v10, 0, 1, s1
	v_not_b32_e32 v29, v7
	v_cmp_gt_i32_e64 s1, 0, v7
	v_not_b32_e32 v7, v8
	v_lshlrev_b32_e32 v27, 26, v4
	v_cmp_ne_u32_e32 vcc_lo, 0, v10
	v_ashrrev_i32_e32 v10, 31, v29
	v_lshlrev_b32_e32 v28, 25, v4
	v_ashrrev_i32_e32 v7, 31, v7
	v_mul_lo_u32 v5, 0x84, v4
	v_xor_b32_e32 v6, vcc_lo, v6
	v_cmp_gt_i32_e32 vcc_lo, 0, v8
	v_not_b32_e32 v8, v9
	v_xor_b32_e32 v10, s1, v10
	v_cmp_gt_i32_e64 s1, 0, v9
	v_and_b32_e32 v6, exec_lo, v6
	v_not_b32_e32 v9, v26
	v_ashrrev_i32_e32 v8, 31, v8
	v_xor_b32_e32 v7, vcc_lo, v7
	v_cmp_gt_i32_e32 vcc_lo, 0, v26
	v_and_b32_e32 v6, v6, v10
	v_not_b32_e32 v10, v27
	v_ashrrev_i32_e32 v9, 31, v9
	v_xor_b32_e32 v8, s1, v8
	v_lshlrev_b32_e32 v4, 24, v4
	v_and_b32_e32 v6, v6, v7
	v_cmp_gt_i32_e64 s1, 0, v27
	v_not_b32_e32 v7, v28
	v_ashrrev_i32_e32 v10, 31, v10
	v_xor_b32_e32 v9, vcc_lo, v9
	v_and_b32_e32 v6, v6, v8
	v_cmp_gt_i32_e32 vcc_lo, 0, v28
	v_not_b32_e32 v8, v4
	v_ashrrev_i32_e32 v7, 31, v7
	v_xor_b32_e32 v10, s1, v10
	v_and_b32_e32 v6, v6, v9
	v_cmp_gt_i32_e64 s1, 0, v4
	v_ashrrev_i32_e32 v4, 31, v8
	v_xor_b32_e32 v7, vcc_lo, v7
	v_add_nc_u32_e32 v28, v3, v5
	v_and_b32_e32 v6, v6, v10
	v_xor_b32_e32 v3, s1, v4
	ds_read_b32 v26, v28 offset:128
	v_and_b32_e32 v4, v6, v7
	; wave barrier
	v_and_b32_e32 v3, v4, v3
	v_mbcnt_lo_u32_b32 v27, v3, 0
	v_cmp_ne_u32_e64 s1, 0, v3
	v_cmp_eq_u32_e32 vcc_lo, 0, v27
	s_and_b32 s2, s1, vcc_lo
	s_and_saveexec_b32 s1, s2
	s_cbranch_execz .LBB344_21
; %bb.20:
	s_waitcnt lgkmcnt(0)
	v_bcnt_u32_b32 v3, v3, v26
	ds_write_b32 v28, v3 offset:128
.LBB344_21:
	s_or_b32 exec_lo, exec_lo, s1
	; wave barrier
	s_waitcnt lgkmcnt(0)
	s_barrier
	buffer_gl0_inv
	ds_read2_b32 v[9:10], v16 offset0:32 offset1:33
	ds_read2_b32 v[7:8], v16 offset0:34 offset1:35
	;; [unrolled: 1-line block ×4, first 2 shown]
	ds_read_b32 v29, v16 offset:160
	v_and_b32_e32 v32, 16, v12
	v_and_b32_e32 v33, 31, v0
	s_mov_b32 s9, exec_lo
	v_cmp_eq_u32_e64 s7, 0, v32
	s_waitcnt lgkmcnt(3)
	v_add3_u32 v30, v10, v9, v7
	s_waitcnt lgkmcnt(2)
	v_add3_u32 v30, v30, v8, v5
	;; [unrolled: 2-line block ×4, first 2 shown]
	v_and_b32_e32 v30, 15, v12
	v_mov_b32_dpp v31, v29 row_shr:1 row_mask:0xf bank_mask:0xf
	v_cmp_eq_u32_e32 vcc_lo, 0, v30
	v_cmp_lt_u32_e64 s1, 1, v30
	v_cmp_lt_u32_e64 s2, 3, v30
	;; [unrolled: 1-line block ×3, first 2 shown]
	v_cndmask_b32_e64 v31, v31, 0, vcc_lo
	v_add_nc_u32_e32 v29, v31, v29
	v_mov_b32_dpp v31, v29 row_shr:2 row_mask:0xf bank_mask:0xf
	v_cndmask_b32_e64 v31, 0, v31, s1
	v_add_nc_u32_e32 v29, v29, v31
	v_mov_b32_dpp v31, v29 row_shr:4 row_mask:0xf bank_mask:0xf
	v_cndmask_b32_e64 v31, 0, v31, s2
	;; [unrolled: 3-line block ×3, first 2 shown]
	v_bfe_i32 v31, v12, 4, 1
	v_add_nc_u32_e32 v29, v29, v30
	ds_swizzle_b32 v30, v29 offset:swizzle(BROADCAST,32,15)
	s_waitcnt lgkmcnt(0)
	v_and_b32_e32 v31, v31, v30
	v_lshrrev_b32_e32 v30, 5, v0
	v_add_nc_u32_e32 v29, v29, v31
	v_cmpx_eq_u32_e32 31, v33
; %bb.22:
	v_lshlrev_b32_e32 v31, 2, v30
	ds_write_b32 v31, v29
; %bb.23:
	s_or_b32 exec_lo, exec_lo, s9
	v_cmp_lt_u32_e64 s8, 31, v0
	s_mov_b32 s26, exec_lo
	s_waitcnt lgkmcnt(0)
	s_barrier
	buffer_gl0_inv
	v_cmpx_gt_u32_e32 32, v0
	s_cbranch_execz .LBB344_25
; %bb.24:
	ds_read_b32 v31, v11
	s_waitcnt lgkmcnt(0)
	v_mov_b32_dpp v32, v31 row_shr:1 row_mask:0xf bank_mask:0xf
	v_cndmask_b32_e64 v32, v32, 0, vcc_lo
	v_add_nc_u32_e32 v31, v32, v31
	v_mov_b32_dpp v32, v31 row_shr:2 row_mask:0xf bank_mask:0xf
	v_cndmask_b32_e64 v32, 0, v32, s1
	v_add_nc_u32_e32 v31, v31, v32
	v_mov_b32_dpp v32, v31 row_shr:4 row_mask:0xf bank_mask:0xf
	v_cndmask_b32_e64 v32, 0, v32, s2
	;; [unrolled: 3-line block ×3, first 2 shown]
	v_add_nc_u32_e32 v31, v31, v32
	ds_swizzle_b32 v32, v31 offset:swizzle(BROADCAST,32,15)
	s_waitcnt lgkmcnt(0)
	v_cndmask_b32_e64 v32, v32, 0, s7
	v_add_nc_u32_e32 v31, v31, v32
	ds_write_b32 v11, v31
.LBB344_25:
	s_or_b32 exec_lo, exec_lo, s26
	v_mov_b32_e32 v31, 0
	s_waitcnt lgkmcnt(0)
	s_barrier
	buffer_gl0_inv
	s_and_saveexec_b32 s1, s8
; %bb.26:
	v_lshl_add_u32 v30, v30, 2, -4
	ds_read_b32 v31, v30
; %bb.27:
	s_or_b32 exec_lo, exec_lo, s1
	v_sub_co_u32 v30, vcc_lo, v12, 1
	s_waitcnt lgkmcnt(0)
	v_add_nc_u32_e32 v29, v31, v29
	v_cmp_gt_i32_e64 s1, 0, v30
	v_cndmask_b32_e64 v30, v30, v12, s1
	v_cmp_gt_u32_e64 s1, 0x100, v0
	v_lshlrev_b32_e32 v30, 2, v30
	ds_bpermute_b32 v29, v30, v29
	s_waitcnt lgkmcnt(0)
	v_cndmask_b32_e32 v29, v29, v31, vcc_lo
	v_cmp_lt_u32_e32 vcc_lo, 0xff, v0
	v_cndmask_b32_e64 v29, v29, 0, s0
	v_add_nc_u32_e32 v9, v29, v9
	v_add_nc_u32_e32 v10, v9, v10
	;; [unrolled: 1-line block ×8, first 2 shown]
	ds_write2_b32 v16, v29, v9 offset0:32 offset1:33
	ds_write2_b32 v16, v10, v7 offset0:34 offset1:35
	;; [unrolled: 1-line block ×4, first 2 shown]
	ds_write_b32 v16, v4 offset:160
	s_waitcnt lgkmcnt(0)
	s_barrier
	buffer_gl0_inv
	ds_read_b32 v3, v17 offset:128
	ds_read_b32 v6, v21 offset:128
	;; [unrolled: 1-line block ×4, first 2 shown]
                                        ; implicit-def: $vgpr9
                                        ; implicit-def: $vgpr10
	s_and_saveexec_b32 s3, s1
	s_cbranch_execz .LBB344_31
; %bb.28:
	v_mul_u32_u24_e32 v7, 0x84, v0
	v_add_nc_u32_e32 v8, 1, v0
	s_mov_b32 s7, exec_lo
	ds_read_b32 v9, v7 offset:128
	v_mov_b32_e32 v7, 0x1000
	v_cmpx_ne_u32_e32 0x100, v8
; %bb.29:
	v_mul_u32_u24_e32 v7, 0x84, v8
	ds_read_b32 v7, v7 offset:128
; %bb.30:
	s_or_b32 exec_lo, exec_lo, s7
	s_waitcnt lgkmcnt(0)
	v_sub_nc_u32_e32 v10, v7, v9
.LBB344_31:
	s_or_b32 exec_lo, exec_lo, s3
	v_lshlrev_b32_e32 v7, 2, v14
	v_lshlrev_b32_e32 v8, 2, v20
	;; [unrolled: 1-line block ×5, first 2 shown]
	s_waitcnt lgkmcnt(0)
	v_lshlrev_b32_e32 v4, 2, v4
	v_lshlrev_b32_e32 v6, 2, v6
	;; [unrolled: 1-line block ×5, first 2 shown]
	v_lshl_add_u32 v3, v3, 2, v7
	v_add3_u32 v7, v18, v20, v4
	v_mov_b32_e32 v4, 0
	v_add3_u32 v6, v8, v14, v6
	v_add3_u32 v5, v16, v17, v5
	s_barrier
	buffer_gl0_inv
	ds_write_b32 v3, v13 offset:1024
	ds_write_b32 v6, v15 offset:1024
	;; [unrolled: 1-line block ×4, first 2 shown]
	s_and_saveexec_b32 s2, s1
	s_cbranch_execz .LBB344_41
; %bb.32:
	v_lshl_add_u32 v3, s23, 8, v0
	v_mov_b32_e32 v13, 0
	s_mov_b32 s3, 0
	s_mov_b32 s7, s23
	v_lshlrev_b64 v[5:6], 2, v[3:4]
	v_or_b32_e32 v3, 2.0, v10
	v_add_co_u32 v5, s1, s10, v5
	v_add_co_ci_u32_e64 v6, null, s11, v6, s1
                                        ; implicit-def: $sgpr1
	global_store_dword v[5:6], v3, off
	s_branch .LBB344_35
	.p2align	6
.LBB344_33:                             ;   in Loop: Header=BB344_35 Depth=1
	s_or_b32 exec_lo, exec_lo, s9
.LBB344_34:                             ;   in Loop: Header=BB344_35 Depth=1
	s_or_b32 exec_lo, exec_lo, s8
	v_and_b32_e32 v7, 0x3fffffff, v3
	v_cmp_gt_i32_e64 s1, -2.0, v3
	v_add_nc_u32_e32 v13, v7, v13
	s_and_b32 s8, exec_lo, s1
	s_or_b32 s3, s8, s3
	s_andn2_b32 exec_lo, exec_lo, s3
	s_cbranch_execz .LBB344_40
.LBB344_35:                             ; =>This Loop Header: Depth=1
                                        ;     Child Loop BB344_38 Depth 2
	s_or_b32 s1, s1, exec_lo
	s_cmp_eq_u32 s7, 0
	s_cbranch_scc1 .LBB344_39
; %bb.36:                               ;   in Loop: Header=BB344_35 Depth=1
	s_add_i32 s7, s7, -1
	s_mov_b32 s8, exec_lo
	v_lshl_or_b32 v3, s7, 8, v0
	v_lshlrev_b64 v[7:8], 2, v[3:4]
	v_add_co_u32 v7, s1, s10, v7
	v_add_co_ci_u32_e64 v8, null, s11, v8, s1
	global_load_dword v3, v[7:8], off glc dlc
	s_waitcnt vmcnt(0)
	v_cmpx_gt_u32_e32 2.0, v3
	s_cbranch_execz .LBB344_34
; %bb.37:                               ;   in Loop: Header=BB344_35 Depth=1
	s_mov_b32 s9, 0
.LBB344_38:                             ;   Parent Loop BB344_35 Depth=1
                                        ; =>  This Inner Loop Header: Depth=2
	global_load_dword v3, v[7:8], off glc dlc
	s_waitcnt vmcnt(0)
	v_cmp_lt_u32_e64 s1, 0x3fffffff, v3
	s_or_b32 s9, s1, s9
	s_andn2_b32 exec_lo, exec_lo, s9
	s_cbranch_execnz .LBB344_38
	s_branch .LBB344_33
.LBB344_39:                             ;   in Loop: Header=BB344_35 Depth=1
                                        ; implicit-def: $sgpr7
	s_and_b32 s8, exec_lo, s1
	s_or_b32 s3, s8, s3
	s_andn2_b32 exec_lo, exec_lo, s3
	s_cbranch_execnz .LBB344_35
.LBB344_40:
	s_or_b32 exec_lo, exec_lo, s3
	v_add_nc_u32_e32 v3, v13, v10
	v_sub_nc_u32_e32 v4, v13, v9
	v_or_b32_e32 v3, 0x80000000, v3
	global_store_dword v[5:6], v3, off
	global_load_dword v3, v11, s[12:13]
	s_waitcnt vmcnt(0)
	v_add_nc_u32_e32 v3, v4, v3
	ds_write_b32 v11, v3
.LBB344_41:
	s_or_b32 exec_lo, exec_lo, s2
	s_mov_b32 s2, exec_lo
	s_waitcnt lgkmcnt(0)
	s_waitcnt_vscnt null, 0x0
	s_barrier
	buffer_gl0_inv
	v_cmpx_gt_u32_e64 s22, v0
	s_cbranch_execz .LBB344_43
; %bb.42:
	ds_read_b32 v5, v11 offset:1024
	v_mov_b32_e32 v4, 0
	s_waitcnt lgkmcnt(0)
	v_lshrrev_b32_e32 v3, s20, v5
	v_xor_b32_e32 v5, 0x7fffffff, v5
	v_and_b32_e32 v3, s25, v3
	v_lshlrev_b32_e32 v3, 2, v3
	ds_read_b32 v3, v3
	s_waitcnt lgkmcnt(0)
	v_add_nc_u32_e32 v3, v3, v0
	v_lshlrev_b64 v[3:4], 2, v[3:4]
	v_add_co_u32 v3, s1, s18, v3
	v_add_co_ci_u32_e64 v4, null, s19, v4, s1
	global_store_dword v[3:4], v5, off
.LBB344_43:
	s_or_b32 exec_lo, exec_lo, s2
	v_or_b32_e32 v3, 0x400, v0
	s_mov_b32 s2, exec_lo
	v_cmpx_gt_u32_e64 s22, v3
	s_cbranch_execz .LBB344_45
; %bb.44:
	ds_read_b32 v5, v11 offset:5120
	s_waitcnt lgkmcnt(0)
	v_lshrrev_b32_e32 v4, s20, v5
	v_xor_b32_e32 v5, 0x7fffffff, v5
	v_and_b32_e32 v4, s25, v4
	v_lshlrev_b32_e32 v4, 2, v4
	ds_read_b32 v6, v4
	v_mov_b32_e32 v4, 0
	s_waitcnt lgkmcnt(0)
	v_add_nc_u32_e32 v3, v6, v3
	v_lshlrev_b64 v[3:4], 2, v[3:4]
	v_add_co_u32 v3, s1, s18, v3
	v_add_co_ci_u32_e64 v4, null, s19, v4, s1
	global_store_dword v[3:4], v5, off
.LBB344_45:
	s_or_b32 exec_lo, exec_lo, s2
	v_or_b32_e32 v3, 0x800, v0
	s_mov_b32 s2, exec_lo
	v_cmpx_gt_u32_e64 s22, v3
	s_cbranch_execz .LBB344_47
; %bb.46:
	ds_read_b32 v5, v11 offset:9216
	s_waitcnt lgkmcnt(0)
	v_lshrrev_b32_e32 v4, s20, v5
	v_xor_b32_e32 v5, 0x7fffffff, v5
	v_and_b32_e32 v4, s25, v4
	v_lshlrev_b32_e32 v4, 2, v4
	ds_read_b32 v6, v4
	v_mov_b32_e32 v4, 0
	s_waitcnt lgkmcnt(0)
	v_add_nc_u32_e32 v3, v6, v3
	v_lshlrev_b64 v[3:4], 2, v[3:4]
	v_add_co_u32 v3, s1, s18, v3
	v_add_co_ci_u32_e64 v4, null, s19, v4, s1
	global_store_dword v[3:4], v5, off
.LBB344_47:
	;; [unrolled: 21-line block ×3, first 2 shown]
	s_or_b32 exec_lo, exec_lo, s2
	s_add_i32 s24, s24, -1
	s_cmp_eq_u32 s23, s24
	s_cselect_b32 s1, -1, 0
	s_xor_b32 s2, vcc_lo, -1
	s_and_b32 s2, s2, s1
	s_and_saveexec_b32 s1, s2
	s_cbranch_execz .LBB344_51
; %bb.50:
	ds_read_b32 v3, v11
	s_waitcnt lgkmcnt(0)
	v_add3_u32 v3, v9, v10, v3
	global_store_dword v11, v3, s[14:15]
.LBB344_51:
	s_or_b32 exec_lo, exec_lo, s1
	s_mov_b32 s2, 0
.LBB344_52:
	s_and_b32 vcc_lo, exec_lo, s2
	s_cbranch_vccz .LBB344_83
; %bb.53:
	s_lshl_b32 s2, s23, 12
	s_mov_b32 s3, 0
	v_lshlrev_b32_e32 v3, 4, v0
	v_lshlrev_b32_e32 v4, 2, v12
	s_lshl_b64 s[2:3], s[2:3], 2
	v_mov_b32_e32 v13, 0
	s_add_u32 s1, s16, s2
	s_addc_u32 s2, s17, s3
	v_and_b32_e32 v3, 0x3e00, v3
	v_add_co_u32 v4, s1, s1, v4
	v_add_co_ci_u32_e64 v5, null, s2, 0, s1
	s_add_u32 s2, s4, 0x58
	v_add_co_u32 v6, vcc_lo, v4, v3
	v_add_co_ci_u32_e64 v7, null, 0, v5, vcc_lo
	s_addc_u32 s3, s5, 0
	global_load_dword v8, v[6:7], off
	s_clause 0x1
	s_load_dword s1, s[4:5], 0x64
	s_load_dword s7, s[4:5], 0x58
	s_waitcnt lgkmcnt(0)
	s_lshr_b32 s4, s1, 16
	s_cmp_lt_u32 s6, s7
	v_mad_u32_u24 v1, v2, s4, v1
	s_cselect_b32 s1, 12, 18
	s_add_u32 s2, s2, s1
	s_addc_u32 s3, s3, 0
	global_load_ushort v10, v13, s[2:3]
	s_clause 0x2
	global_load_dword v5, v[6:7], off offset:128
	global_load_dword v4, v[6:7], off offset:256
	;; [unrolled: 1-line block ×3, first 2 shown]
	s_lshl_b32 s1, -1, s21
	s_not_b32 s8, s1
	s_waitcnt vmcnt(4)
	v_xor_b32_e32 v9, 0x7fffffff, v8
	v_lshrrev_b32_e32 v6, s20, v9
	v_and_b32_e32 v6, s8, v6
	v_and_b32_e32 v7, 1, v6
	v_lshlrev_b32_e32 v8, 30, v6
	v_lshlrev_b32_e32 v14, 29, v6
	;; [unrolled: 1-line block ×4, first 2 shown]
	v_add_co_u32 v7, s1, v7, -1
	v_cndmask_b32_e64 v16, 0, 1, s1
	v_not_b32_e32 v20, v8
	v_cmp_gt_i32_e64 s1, 0, v8
	v_not_b32_e32 v8, v14
	v_lshlrev_b32_e32 v18, 26, v6
	v_cmp_ne_u32_e32 vcc_lo, 0, v16
	v_ashrrev_i32_e32 v20, 31, v20
	v_lshlrev_b32_e32 v19, 25, v6
	v_ashrrev_i32_e32 v8, 31, v8
	v_lshlrev_b32_e32 v16, 24, v6
	v_xor_b32_e32 v7, vcc_lo, v7
	v_cmp_gt_i32_e32 vcc_lo, 0, v14
	v_not_b32_e32 v14, v15
	v_xor_b32_e32 v20, s1, v20
	v_cmp_gt_i32_e64 s1, 0, v15
	v_and_b32_e32 v7, exec_lo, v7
	v_not_b32_e32 v15, v17
	v_ashrrev_i32_e32 v14, 31, v14
	v_xor_b32_e32 v8, vcc_lo, v8
	v_cmp_gt_i32_e32 vcc_lo, 0, v17
	v_and_b32_e32 v7, v7, v20
	v_not_b32_e32 v17, v18
	v_ashrrev_i32_e32 v15, 31, v15
	v_xor_b32_e32 v14, s1, v14
	v_cmp_gt_i32_e64 s1, 0, v18
	v_and_b32_e32 v7, v7, v8
	v_not_b32_e32 v8, v19
	v_ashrrev_i32_e32 v17, 31, v17
	v_xor_b32_e32 v15, vcc_lo, v15
	v_cmp_gt_i32_e32 vcc_lo, 0, v19
	v_and_b32_e32 v7, v7, v14
	v_not_b32_e32 v14, v16
	v_ashrrev_i32_e32 v8, 31, v8
	v_xor_b32_e32 v17, s1, v17
	v_cmp_gt_i32_e64 s1, 0, v16
	v_and_b32_e32 v7, v7, v15
	v_ashrrev_i32_e32 v15, 31, v14
	v_xor_b32_e32 v8, vcc_lo, v8
	s_waitcnt vmcnt(3)
	v_mad_u64_u32 v[1:2], null, v1, v10, v[0:1]
	v_and_b32_e32 v7, v7, v17
	v_xor_b32_e32 v2, s1, v15
	v_mul_lo_u32 v6, 0x84, v6
	v_mul_u32_u24_e32 v14, 36, v0
	v_and_b32_e32 v7, v7, v8
	v_lshrrev_b32_e32 v1, 3, v1
	ds_write2_b32 v14, v13, v13 offset0:32 offset1:33
	ds_write2_b32 v14, v13, v13 offset0:34 offset1:35
	;; [unrolled: 1-line block ×3, first 2 shown]
	v_and_b32_e32 v2, v7, v2
	v_and_b32_e32 v1, 0x1ffffffc, v1
	ds_write2_b32 v14, v13, v13 offset0:38 offset1:39
	ds_write_b32 v14, v13 offset:160
	s_waitcnt vmcnt(0) lgkmcnt(0)
	s_waitcnt_vscnt null, 0x0
	s_barrier
	v_mbcnt_lo_u32_b32 v10, v2, 0
	v_cmp_ne_u32_e64 s1, 0, v2
	v_add_nc_u32_e32 v15, v1, v6
	buffer_gl0_inv
	v_cmp_eq_u32_e32 vcc_lo, 0, v10
	; wave barrier
	s_and_b32 s2, s1, vcc_lo
	s_and_saveexec_b32 s1, s2
; %bb.54:
	v_bcnt_u32_b32 v2, v2, 0
	ds_write_b32 v15, v2 offset:128
; %bb.55:
	s_or_b32 exec_lo, exec_lo, s1
	v_xor_b32_e32 v13, 0x7fffffff, v5
	; wave barrier
	v_lshrrev_b32_e32 v2, s20, v13
	v_and_b32_e32 v2, s8, v2
	v_and_b32_e32 v6, 1, v2
	v_lshlrev_b32_e32 v7, 30, v2
	v_lshlrev_b32_e32 v8, 29, v2
	;; [unrolled: 1-line block ×4, first 2 shown]
	v_add_co_u32 v6, s1, v6, -1
	v_cndmask_b32_e64 v17, 0, 1, s1
	v_not_b32_e32 v21, v7
	v_cmp_gt_i32_e64 s1, 0, v7
	v_not_b32_e32 v7, v8
	v_lshlrev_b32_e32 v19, 26, v2
	v_cmp_ne_u32_e32 vcc_lo, 0, v17
	v_ashrrev_i32_e32 v17, 31, v21
	v_lshlrev_b32_e32 v20, 25, v2
	v_ashrrev_i32_e32 v7, 31, v7
	v_mul_lo_u32 v5, 0x84, v2
	v_xor_b32_e32 v6, vcc_lo, v6
	v_cmp_gt_i32_e32 vcc_lo, 0, v8
	v_not_b32_e32 v8, v16
	v_xor_b32_e32 v17, s1, v17
	v_cmp_gt_i32_e64 s1, 0, v16
	v_and_b32_e32 v6, exec_lo, v6
	v_not_b32_e32 v16, v18
	v_ashrrev_i32_e32 v8, 31, v8
	v_xor_b32_e32 v7, vcc_lo, v7
	v_cmp_gt_i32_e32 vcc_lo, 0, v18
	v_and_b32_e32 v6, v6, v17
	v_not_b32_e32 v17, v19
	v_ashrrev_i32_e32 v16, 31, v16
	v_xor_b32_e32 v8, s1, v8
	v_lshlrev_b32_e32 v2, 24, v2
	v_and_b32_e32 v6, v6, v7
	v_cmp_gt_i32_e64 s1, 0, v19
	v_not_b32_e32 v7, v20
	v_ashrrev_i32_e32 v17, 31, v17
	v_xor_b32_e32 v16, vcc_lo, v16
	v_and_b32_e32 v6, v6, v8
	v_cmp_gt_i32_e32 vcc_lo, 0, v20
	v_not_b32_e32 v8, v2
	v_ashrrev_i32_e32 v7, 31, v7
	v_xor_b32_e32 v17, s1, v17
	v_and_b32_e32 v6, v6, v16
	v_cmp_gt_i32_e64 s1, 0, v2
	v_ashrrev_i32_e32 v2, 31, v8
	v_xor_b32_e32 v7, vcc_lo, v7
	v_add_nc_u32_e32 v19, v1, v5
	v_and_b32_e32 v6, v6, v17
	v_xor_b32_e32 v2, s1, v2
	ds_read_b32 v16, v19 offset:128
	v_and_b32_e32 v5, v6, v7
	; wave barrier
	v_and_b32_e32 v2, v5, v2
	v_mbcnt_lo_u32_b32 v18, v2, 0
	v_cmp_ne_u32_e64 s1, 0, v2
	v_cmp_eq_u32_e32 vcc_lo, 0, v18
	s_and_b32 s2, s1, vcc_lo
	s_and_saveexec_b32 s1, s2
	s_cbranch_execz .LBB344_57
; %bb.56:
	s_waitcnt lgkmcnt(0)
	v_bcnt_u32_b32 v2, v2, v16
	ds_write_b32 v19, v2 offset:128
.LBB344_57:
	s_or_b32 exec_lo, exec_lo, s1
	v_xor_b32_e32 v17, 0x7fffffff, v4
	; wave barrier
	v_lshrrev_b32_e32 v2, s20, v17
	v_and_b32_e32 v2, s8, v2
	v_and_b32_e32 v5, 1, v2
	v_lshlrev_b32_e32 v6, 30, v2
	v_lshlrev_b32_e32 v7, 29, v2
	;; [unrolled: 1-line block ×4, first 2 shown]
	v_add_co_u32 v5, s1, v5, -1
	v_cndmask_b32_e64 v20, 0, 1, s1
	v_not_b32_e32 v24, v6
	v_cmp_gt_i32_e64 s1, 0, v6
	v_not_b32_e32 v6, v7
	v_lshlrev_b32_e32 v22, 26, v2
	v_cmp_ne_u32_e32 vcc_lo, 0, v20
	v_ashrrev_i32_e32 v20, 31, v24
	v_lshlrev_b32_e32 v23, 25, v2
	v_ashrrev_i32_e32 v6, 31, v6
	v_mul_lo_u32 v4, 0x84, v2
	v_xor_b32_e32 v5, vcc_lo, v5
	v_cmp_gt_i32_e32 vcc_lo, 0, v7
	v_not_b32_e32 v7, v8
	v_xor_b32_e32 v20, s1, v20
	v_cmp_gt_i32_e64 s1, 0, v8
	v_and_b32_e32 v5, exec_lo, v5
	v_not_b32_e32 v8, v21
	v_ashrrev_i32_e32 v7, 31, v7
	v_xor_b32_e32 v6, vcc_lo, v6
	v_cmp_gt_i32_e32 vcc_lo, 0, v21
	v_and_b32_e32 v5, v5, v20
	v_not_b32_e32 v20, v22
	v_ashrrev_i32_e32 v8, 31, v8
	v_xor_b32_e32 v7, s1, v7
	v_lshlrev_b32_e32 v2, 24, v2
	v_and_b32_e32 v5, v5, v6
	v_cmp_gt_i32_e64 s1, 0, v22
	v_not_b32_e32 v6, v23
	v_ashrrev_i32_e32 v20, 31, v20
	v_xor_b32_e32 v8, vcc_lo, v8
	v_and_b32_e32 v5, v5, v7
	v_cmp_gt_i32_e32 vcc_lo, 0, v23
	v_not_b32_e32 v7, v2
	v_ashrrev_i32_e32 v6, 31, v6
	v_xor_b32_e32 v20, s1, v20
	v_and_b32_e32 v5, v5, v8
	v_cmp_gt_i32_e64 s1, 0, v2
	v_ashrrev_i32_e32 v2, 31, v7
	v_xor_b32_e32 v6, vcc_lo, v6
	v_add_nc_u32_e32 v23, v1, v4
	v_and_b32_e32 v5, v5, v20
	v_xor_b32_e32 v2, s1, v2
	ds_read_b32 v20, v23 offset:128
	v_and_b32_e32 v4, v5, v6
	; wave barrier
	v_and_b32_e32 v2, v4, v2
	v_mbcnt_lo_u32_b32 v22, v2, 0
	v_cmp_ne_u32_e64 s1, 0, v2
	v_cmp_eq_u32_e32 vcc_lo, 0, v22
	s_and_b32 s2, s1, vcc_lo
	s_and_saveexec_b32 s1, s2
	s_cbranch_execz .LBB344_59
; %bb.58:
	s_waitcnt lgkmcnt(0)
	v_bcnt_u32_b32 v2, v2, v20
	ds_write_b32 v23, v2 offset:128
.LBB344_59:
	s_or_b32 exec_lo, exec_lo, s1
	v_xor_b32_e32 v21, 0x7fffffff, v3
	; wave barrier
	v_lshrrev_b32_e32 v2, s20, v21
	v_and_b32_e32 v2, s8, v2
	v_and_b32_e32 v4, 1, v2
	v_lshlrev_b32_e32 v5, 30, v2
	v_lshlrev_b32_e32 v6, 29, v2
	;; [unrolled: 1-line block ×4, first 2 shown]
	v_add_co_u32 v4, s1, v4, -1
	v_cndmask_b32_e64 v8, 0, 1, s1
	v_not_b32_e32 v27, v5
	v_cmp_gt_i32_e64 s1, 0, v5
	v_not_b32_e32 v5, v6
	v_lshlrev_b32_e32 v25, 26, v2
	v_cmp_ne_u32_e32 vcc_lo, 0, v8
	v_ashrrev_i32_e32 v8, 31, v27
	v_lshlrev_b32_e32 v26, 25, v2
	v_ashrrev_i32_e32 v5, 31, v5
	v_mul_lo_u32 v3, 0x84, v2
	v_xor_b32_e32 v4, vcc_lo, v4
	v_cmp_gt_i32_e32 vcc_lo, 0, v6
	v_not_b32_e32 v6, v7
	v_xor_b32_e32 v8, s1, v8
	v_cmp_gt_i32_e64 s1, 0, v7
	v_and_b32_e32 v4, exec_lo, v4
	v_not_b32_e32 v7, v24
	v_ashrrev_i32_e32 v6, 31, v6
	v_xor_b32_e32 v5, vcc_lo, v5
	v_cmp_gt_i32_e32 vcc_lo, 0, v24
	v_and_b32_e32 v4, v4, v8
	v_not_b32_e32 v8, v25
	v_ashrrev_i32_e32 v7, 31, v7
	v_xor_b32_e32 v6, s1, v6
	v_lshlrev_b32_e32 v2, 24, v2
	v_and_b32_e32 v4, v4, v5
	v_cmp_gt_i32_e64 s1, 0, v25
	v_not_b32_e32 v5, v26
	v_ashrrev_i32_e32 v8, 31, v8
	v_xor_b32_e32 v7, vcc_lo, v7
	v_and_b32_e32 v4, v4, v6
	v_cmp_gt_i32_e32 vcc_lo, 0, v26
	v_not_b32_e32 v6, v2
	v_ashrrev_i32_e32 v5, 31, v5
	v_xor_b32_e32 v8, s1, v8
	v_and_b32_e32 v4, v4, v7
	v_cmp_gt_i32_e64 s1, 0, v2
	v_ashrrev_i32_e32 v2, 31, v6
	v_xor_b32_e32 v5, vcc_lo, v5
	v_add_nc_u32_e32 v26, v1, v3
	v_and_b32_e32 v4, v4, v8
	v_xor_b32_e32 v1, s1, v2
	ds_read_b32 v24, v26 offset:128
	v_and_b32_e32 v2, v4, v5
	; wave barrier
	v_and_b32_e32 v1, v2, v1
	v_mbcnt_lo_u32_b32 v25, v1, 0
	v_cmp_ne_u32_e64 s1, 0, v1
	v_cmp_eq_u32_e32 vcc_lo, 0, v25
	s_and_b32 s2, s1, vcc_lo
	s_and_saveexec_b32 s1, s2
	s_cbranch_execz .LBB344_61
; %bb.60:
	s_waitcnt lgkmcnt(0)
	v_bcnt_u32_b32 v1, v1, v24
	ds_write_b32 v26, v1 offset:128
.LBB344_61:
	s_or_b32 exec_lo, exec_lo, s1
	; wave barrier
	s_waitcnt lgkmcnt(0)
	s_barrier
	buffer_gl0_inv
	ds_read2_b32 v[7:8], v14 offset0:32 offset1:33
	ds_read2_b32 v[5:6], v14 offset0:34 offset1:35
	;; [unrolled: 1-line block ×4, first 2 shown]
	ds_read_b32 v27, v14 offset:160
	v_and_b32_e32 v30, 16, v12
	v_and_b32_e32 v31, 31, v0
	s_mov_b32 s6, exec_lo
	v_cmp_eq_u32_e64 s4, 0, v30
	s_waitcnt lgkmcnt(3)
	v_add3_u32 v28, v8, v7, v5
	s_waitcnt lgkmcnt(2)
	v_add3_u32 v28, v28, v6, v3
	;; [unrolled: 2-line block ×4, first 2 shown]
	v_and_b32_e32 v28, 15, v12
	v_mov_b32_dpp v29, v27 row_shr:1 row_mask:0xf bank_mask:0xf
	v_cmp_eq_u32_e32 vcc_lo, 0, v28
	v_cmp_lt_u32_e64 s1, 1, v28
	v_cmp_lt_u32_e64 s2, 3, v28
	;; [unrolled: 1-line block ×3, first 2 shown]
	v_cndmask_b32_e64 v29, v29, 0, vcc_lo
	v_add_nc_u32_e32 v27, v29, v27
	v_mov_b32_dpp v29, v27 row_shr:2 row_mask:0xf bank_mask:0xf
	v_cndmask_b32_e64 v29, 0, v29, s1
	v_add_nc_u32_e32 v27, v27, v29
	v_mov_b32_dpp v29, v27 row_shr:4 row_mask:0xf bank_mask:0xf
	v_cndmask_b32_e64 v29, 0, v29, s2
	;; [unrolled: 3-line block ×3, first 2 shown]
	v_bfe_i32 v29, v12, 4, 1
	v_add_nc_u32_e32 v27, v27, v28
	ds_swizzle_b32 v28, v27 offset:swizzle(BROADCAST,32,15)
	s_waitcnt lgkmcnt(0)
	v_and_b32_e32 v29, v29, v28
	v_lshrrev_b32_e32 v28, 5, v0
	v_add_nc_u32_e32 v27, v27, v29
	v_cmpx_eq_u32_e32 31, v31
; %bb.62:
	v_lshlrev_b32_e32 v29, 2, v28
	ds_write_b32 v29, v27
; %bb.63:
	s_or_b32 exec_lo, exec_lo, s6
	v_cmp_lt_u32_e64 s5, 31, v0
	s_mov_b32 s9, exec_lo
	s_waitcnt lgkmcnt(0)
	s_barrier
	buffer_gl0_inv
	v_cmpx_gt_u32_e32 32, v0
	s_cbranch_execz .LBB344_65
; %bb.64:
	ds_read_b32 v29, v11
	s_waitcnt lgkmcnt(0)
	v_mov_b32_dpp v30, v29 row_shr:1 row_mask:0xf bank_mask:0xf
	v_cndmask_b32_e64 v30, v30, 0, vcc_lo
	v_add_nc_u32_e32 v29, v30, v29
	v_mov_b32_dpp v30, v29 row_shr:2 row_mask:0xf bank_mask:0xf
	v_cndmask_b32_e64 v30, 0, v30, s1
	v_add_nc_u32_e32 v29, v29, v30
	v_mov_b32_dpp v30, v29 row_shr:4 row_mask:0xf bank_mask:0xf
	v_cndmask_b32_e64 v30, 0, v30, s2
	;; [unrolled: 3-line block ×3, first 2 shown]
	v_add_nc_u32_e32 v29, v29, v30
	ds_swizzle_b32 v30, v29 offset:swizzle(BROADCAST,32,15)
	s_waitcnt lgkmcnt(0)
	v_cndmask_b32_e64 v30, v30, 0, s4
	v_add_nc_u32_e32 v29, v29, v30
	ds_write_b32 v11, v29
.LBB344_65:
	s_or_b32 exec_lo, exec_lo, s9
	v_mov_b32_e32 v29, 0
	s_waitcnt lgkmcnt(0)
	s_barrier
	buffer_gl0_inv
	s_and_saveexec_b32 s1, s5
; %bb.66:
	v_lshl_add_u32 v28, v28, 2, -4
	ds_read_b32 v29, v28
; %bb.67:
	s_or_b32 exec_lo, exec_lo, s1
	v_sub_co_u32 v28, vcc_lo, v12, 1
	s_waitcnt lgkmcnt(0)
	v_add_nc_u32_e32 v27, v29, v27
	v_cmp_gt_i32_e64 s1, 0, v28
	v_cndmask_b32_e64 v12, v28, v12, s1
	v_lshlrev_b32_e32 v12, 2, v12
	ds_bpermute_b32 v12, v12, v27
	s_waitcnt lgkmcnt(0)
	v_cndmask_b32_e32 v12, v12, v29, vcc_lo
	v_cmp_lt_u32_e32 vcc_lo, 0xff, v0
	v_cndmask_b32_e64 v12, v12, 0, s0
	v_cmp_gt_u32_e64 s0, 0x100, v0
	v_add_nc_u32_e32 v7, v12, v7
	v_add_nc_u32_e32 v8, v7, v8
	;; [unrolled: 1-line block ×8, first 2 shown]
	ds_write2_b32 v14, v12, v7 offset0:32 offset1:33
	ds_write2_b32 v14, v8, v5 offset0:34 offset1:35
	;; [unrolled: 1-line block ×4, first 2 shown]
	ds_write_b32 v14, v2 offset:160
	s_waitcnt lgkmcnt(0)
	s_barrier
	buffer_gl0_inv
	ds_read_b32 v1, v15 offset:128
	ds_read_b32 v4, v19 offset:128
	;; [unrolled: 1-line block ×4, first 2 shown]
                                        ; implicit-def: $vgpr7
                                        ; implicit-def: $vgpr8
	s_and_saveexec_b32 s2, s0
	s_cbranch_execz .LBB344_71
; %bb.68:
	v_mul_u32_u24_e32 v5, 0x84, v0
	v_add_nc_u32_e32 v6, 1, v0
	s_mov_b32 s3, exec_lo
	ds_read_b32 v7, v5 offset:128
	v_mov_b32_e32 v5, 0x1000
	v_cmpx_ne_u32_e32 0x100, v6
; %bb.69:
	v_mul_u32_u24_e32 v5, 0x84, v6
	ds_read_b32 v5, v5 offset:128
; %bb.70:
	s_or_b32 exec_lo, exec_lo, s3
	s_waitcnt lgkmcnt(0)
	v_sub_nc_u32_e32 v8, v5, v7
.LBB344_71:
	s_or_b32 exec_lo, exec_lo, s2
	v_lshlrev_b32_e32 v5, 2, v10
	v_lshlrev_b32_e32 v10, 2, v16
	v_lshlrev_b32_e32 v15, 2, v25
	v_lshlrev_b32_e32 v16, 2, v24
	s_waitcnt lgkmcnt(0)
	v_lshlrev_b32_e32 v2, 2, v2
	v_lshlrev_b32_e32 v6, 2, v18
	;; [unrolled: 1-line block ×6, first 2 shown]
	v_lshl_add_u32 v1, v1, 2, v5
	v_add3_u32 v5, v15, v16, v2
	v_mov_b32_e32 v2, 0
	v_add3_u32 v4, v6, v10, v4
	v_add3_u32 v3, v12, v14, v3
	s_barrier
	buffer_gl0_inv
	ds_write_b32 v1, v9 offset:1024
	ds_write_b32 v4, v13 offset:1024
	;; [unrolled: 1-line block ×4, first 2 shown]
	s_and_saveexec_b32 s1, s0
	s_cbranch_execz .LBB344_81
; %bb.72:
	v_lshl_add_u32 v1, s23, 8, v0
	v_mov_b32_e32 v9, 0
	s_mov_b32 s2, 0
	s_mov_b32 s3, s23
	v_lshlrev_b64 v[3:4], 2, v[1:2]
	v_or_b32_e32 v1, 2.0, v8
	v_add_co_u32 v3, s0, s10, v3
	v_add_co_ci_u32_e64 v4, null, s11, v4, s0
                                        ; implicit-def: $sgpr0
	global_store_dword v[3:4], v1, off
	s_branch .LBB344_75
	.p2align	6
.LBB344_73:                             ;   in Loop: Header=BB344_75 Depth=1
	s_or_b32 exec_lo, exec_lo, s5
.LBB344_74:                             ;   in Loop: Header=BB344_75 Depth=1
	s_or_b32 exec_lo, exec_lo, s4
	v_and_b32_e32 v5, 0x3fffffff, v1
	v_cmp_gt_i32_e64 s0, -2.0, v1
	v_add_nc_u32_e32 v9, v5, v9
	s_and_b32 s4, exec_lo, s0
	s_or_b32 s2, s4, s2
	s_andn2_b32 exec_lo, exec_lo, s2
	s_cbranch_execz .LBB344_80
.LBB344_75:                             ; =>This Loop Header: Depth=1
                                        ;     Child Loop BB344_78 Depth 2
	s_or_b32 s0, s0, exec_lo
	s_cmp_eq_u32 s3, 0
	s_cbranch_scc1 .LBB344_79
; %bb.76:                               ;   in Loop: Header=BB344_75 Depth=1
	s_add_i32 s3, s3, -1
	s_mov_b32 s4, exec_lo
	v_lshl_or_b32 v1, s3, 8, v0
	v_lshlrev_b64 v[5:6], 2, v[1:2]
	v_add_co_u32 v5, s0, s10, v5
	v_add_co_ci_u32_e64 v6, null, s11, v6, s0
	global_load_dword v1, v[5:6], off glc dlc
	s_waitcnt vmcnt(0)
	v_cmpx_gt_u32_e32 2.0, v1
	s_cbranch_execz .LBB344_74
; %bb.77:                               ;   in Loop: Header=BB344_75 Depth=1
	s_mov_b32 s5, 0
.LBB344_78:                             ;   Parent Loop BB344_75 Depth=1
                                        ; =>  This Inner Loop Header: Depth=2
	global_load_dword v1, v[5:6], off glc dlc
	s_waitcnt vmcnt(0)
	v_cmp_lt_u32_e64 s0, 0x3fffffff, v1
	s_or_b32 s5, s0, s5
	s_andn2_b32 exec_lo, exec_lo, s5
	s_cbranch_execnz .LBB344_78
	s_branch .LBB344_73
.LBB344_79:                             ;   in Loop: Header=BB344_75 Depth=1
                                        ; implicit-def: $sgpr3
	s_and_b32 s4, exec_lo, s0
	s_or_b32 s2, s4, s2
	s_andn2_b32 exec_lo, exec_lo, s2
	s_cbranch_execnz .LBB344_75
.LBB344_80:
	s_or_b32 exec_lo, exec_lo, s2
	v_add_nc_u32_e32 v1, v9, v8
	v_sub_nc_u32_e32 v2, v9, v7
	v_or_b32_e32 v1, 0x80000000, v1
	global_store_dword v[3:4], v1, off
	global_load_dword v1, v11, s[12:13]
	s_waitcnt vmcnt(0)
	v_add_nc_u32_e32 v1, v2, v1
	ds_write_b32 v11, v1
.LBB344_81:
	s_or_b32 exec_lo, exec_lo, s1
	s_waitcnt lgkmcnt(0)
	s_waitcnt_vscnt null, 0x0
	s_barrier
	buffer_gl0_inv
	ds_read2st64_b32 v[1:2], v11 offset0:4 offset1:20
	ds_read2st64_b32 v[3:4], v11 offset0:36 offset1:52
	s_add_i32 s7, s7, -1
	s_cmp_eq_u32 s23, s7
	s_waitcnt lgkmcnt(1)
	v_lshrrev_b32_e32 v5, s20, v1
	v_lshrrev_b32_e32 v6, s20, v2
	s_waitcnt lgkmcnt(0)
	v_lshrrev_b32_e32 v9, s20, v3
	v_lshrrev_b32_e32 v10, s20, v4
	v_xor_b32_e32 v15, 0x7fffffff, v1
	v_and_b32_e32 v5, s8, v5
	v_and_b32_e32 v6, s8, v6
	;; [unrolled: 1-line block ×3, first 2 shown]
	v_xor_b32_e32 v16, 0x7fffffff, v2
	v_xor_b32_e32 v4, 0x7fffffff, v4
	v_lshlrev_b32_e32 v5, 2, v5
	v_lshlrev_b32_e32 v6, 2, v6
	ds_read_b32 v5, v5
	ds_read_b32 v12, v6
	v_lshlrev_b32_e32 v6, 2, v9
	v_and_b32_e32 v9, s8, v10
	ds_read_b32 v13, v6
	v_lshlrev_b32_e32 v6, 2, v9
	ds_read_b32 v14, v6
	v_mov_b32_e32 v6, 0
	s_waitcnt lgkmcnt(3)
	v_add_nc_u32_e32 v5, v5, v0
	v_lshlrev_b64 v[9:10], 2, v[5:6]
	s_waitcnt lgkmcnt(2)
	v_add3_u32 v5, v12, v0, 0x400
	v_lshlrev_b64 v[1:2], 2, v[5:6]
	s_waitcnt lgkmcnt(1)
	v_add3_u32 v5, v13, v0, 0x800
	v_add_co_u32 v9, s0, s18, v9
	v_add_co_ci_u32_e64 v10, null, s19, v10, s0
	v_lshlrev_b64 v[12:13], 2, v[5:6]
	s_waitcnt lgkmcnt(0)
	v_add3_u32 v5, v14, v0, 0xc00
	v_add_co_u32 v0, s0, s18, v1
	v_add_co_ci_u32_e64 v1, null, s19, v2, s0
	v_xor_b32_e32 v14, 0x7fffffff, v3
	v_lshlrev_b64 v[2:3], 2, v[5:6]
	global_store_dword v[9:10], v15, off
	global_store_dword v[0:1], v16, off
	v_add_co_u32 v0, s0, s18, v12
	v_add_co_ci_u32_e64 v1, null, s19, v13, s0
	v_add_co_u32 v2, s0, s18, v2
	v_add_co_ci_u32_e64 v3, null, s19, v3, s0
	s_cselect_b32 s0, -1, 0
	s_xor_b32 s1, vcc_lo, -1
	global_store_dword v[0:1], v14, off
	s_and_b32 s0, s1, s0
	global_store_dword v[2:3], v4, off
	s_and_saveexec_b32 s1, s0
	s_cbranch_execz .LBB344_83
; %bb.82:
	ds_read_b32 v0, v11
	s_waitcnt lgkmcnt(0)
	v_add3_u32 v0, v7, v8, v0
	global_store_dword v11, v0, s[14:15]
.LBB344_83:
	s_endpgm
	.section	.rodata,"a",@progbits
	.p2align	6, 0x0
	.amdhsa_kernel _ZN7rocprim17ROCPRIM_400000_NS6detail17trampoline_kernelINS0_14default_configENS1_35radix_sort_onesweep_config_selectorIiNS0_10empty_typeEEEZZNS1_29radix_sort_onesweep_iterationIS3_Lb1EN6thrust23THRUST_200600_302600_NS6detail15normal_iteratorINS9_10device_ptrIiEEEESE_PS5_SF_jNS0_19identity_decomposerENS1_16block_id_wrapperIjLb1EEEEE10hipError_tT1_PNSt15iterator_traitsISK_E10value_typeET2_T3_PNSL_ISQ_E10value_typeET4_T5_PSV_SW_PNS1_23onesweep_lookback_stateEbbT6_jjT7_P12ihipStream_tbENKUlT_T0_SK_SP_E_clISE_SE_SF_SF_EEDaS13_S14_SK_SP_EUlS13_E_NS1_11comp_targetILNS1_3genE8ELNS1_11target_archE1030ELNS1_3gpuE2ELNS1_3repE0EEENS1_47radix_sort_onesweep_sort_config_static_selectorELNS0_4arch9wavefront6targetE0EEEvSK_
		.amdhsa_group_segment_fixed_size 37000
		.amdhsa_private_segment_fixed_size 0
		.amdhsa_kernarg_size 344
		.amdhsa_user_sgpr_count 6
		.amdhsa_user_sgpr_private_segment_buffer 1
		.amdhsa_user_sgpr_dispatch_ptr 0
		.amdhsa_user_sgpr_queue_ptr 0
		.amdhsa_user_sgpr_kernarg_segment_ptr 1
		.amdhsa_user_sgpr_dispatch_id 0
		.amdhsa_user_sgpr_flat_scratch_init 0
		.amdhsa_user_sgpr_private_segment_size 0
		.amdhsa_wavefront_size32 1
		.amdhsa_uses_dynamic_stack 0
		.amdhsa_system_sgpr_private_segment_wavefront_offset 0
		.amdhsa_system_sgpr_workgroup_id_x 1
		.amdhsa_system_sgpr_workgroup_id_y 0
		.amdhsa_system_sgpr_workgroup_id_z 0
		.amdhsa_system_sgpr_workgroup_info 0
		.amdhsa_system_vgpr_workitem_id 2
		.amdhsa_next_free_vgpr 34
		.amdhsa_next_free_sgpr 27
		.amdhsa_reserve_vcc 1
		.amdhsa_reserve_flat_scratch 0
		.amdhsa_float_round_mode_32 0
		.amdhsa_float_round_mode_16_64 0
		.amdhsa_float_denorm_mode_32 3
		.amdhsa_float_denorm_mode_16_64 3
		.amdhsa_dx10_clamp 1
		.amdhsa_ieee_mode 1
		.amdhsa_fp16_overflow 0
		.amdhsa_workgroup_processor_mode 1
		.amdhsa_memory_ordered 1
		.amdhsa_forward_progress 1
		.amdhsa_shared_vgpr_count 0
		.amdhsa_exception_fp_ieee_invalid_op 0
		.amdhsa_exception_fp_denorm_src 0
		.amdhsa_exception_fp_ieee_div_zero 0
		.amdhsa_exception_fp_ieee_overflow 0
		.amdhsa_exception_fp_ieee_underflow 0
		.amdhsa_exception_fp_ieee_inexact 0
		.amdhsa_exception_int_div_zero 0
	.end_amdhsa_kernel
	.section	.text._ZN7rocprim17ROCPRIM_400000_NS6detail17trampoline_kernelINS0_14default_configENS1_35radix_sort_onesweep_config_selectorIiNS0_10empty_typeEEEZZNS1_29radix_sort_onesweep_iterationIS3_Lb1EN6thrust23THRUST_200600_302600_NS6detail15normal_iteratorINS9_10device_ptrIiEEEESE_PS5_SF_jNS0_19identity_decomposerENS1_16block_id_wrapperIjLb1EEEEE10hipError_tT1_PNSt15iterator_traitsISK_E10value_typeET2_T3_PNSL_ISQ_E10value_typeET4_T5_PSV_SW_PNS1_23onesweep_lookback_stateEbbT6_jjT7_P12ihipStream_tbENKUlT_T0_SK_SP_E_clISE_SE_SF_SF_EEDaS13_S14_SK_SP_EUlS13_E_NS1_11comp_targetILNS1_3genE8ELNS1_11target_archE1030ELNS1_3gpuE2ELNS1_3repE0EEENS1_47radix_sort_onesweep_sort_config_static_selectorELNS0_4arch9wavefront6targetE0EEEvSK_,"axG",@progbits,_ZN7rocprim17ROCPRIM_400000_NS6detail17trampoline_kernelINS0_14default_configENS1_35radix_sort_onesweep_config_selectorIiNS0_10empty_typeEEEZZNS1_29radix_sort_onesweep_iterationIS3_Lb1EN6thrust23THRUST_200600_302600_NS6detail15normal_iteratorINS9_10device_ptrIiEEEESE_PS5_SF_jNS0_19identity_decomposerENS1_16block_id_wrapperIjLb1EEEEE10hipError_tT1_PNSt15iterator_traitsISK_E10value_typeET2_T3_PNSL_ISQ_E10value_typeET4_T5_PSV_SW_PNS1_23onesweep_lookback_stateEbbT6_jjT7_P12ihipStream_tbENKUlT_T0_SK_SP_E_clISE_SE_SF_SF_EEDaS13_S14_SK_SP_EUlS13_E_NS1_11comp_targetILNS1_3genE8ELNS1_11target_archE1030ELNS1_3gpuE2ELNS1_3repE0EEENS1_47radix_sort_onesweep_sort_config_static_selectorELNS0_4arch9wavefront6targetE0EEEvSK_,comdat
.Lfunc_end344:
	.size	_ZN7rocprim17ROCPRIM_400000_NS6detail17trampoline_kernelINS0_14default_configENS1_35radix_sort_onesweep_config_selectorIiNS0_10empty_typeEEEZZNS1_29radix_sort_onesweep_iterationIS3_Lb1EN6thrust23THRUST_200600_302600_NS6detail15normal_iteratorINS9_10device_ptrIiEEEESE_PS5_SF_jNS0_19identity_decomposerENS1_16block_id_wrapperIjLb1EEEEE10hipError_tT1_PNSt15iterator_traitsISK_E10value_typeET2_T3_PNSL_ISQ_E10value_typeET4_T5_PSV_SW_PNS1_23onesweep_lookback_stateEbbT6_jjT7_P12ihipStream_tbENKUlT_T0_SK_SP_E_clISE_SE_SF_SF_EEDaS13_S14_SK_SP_EUlS13_E_NS1_11comp_targetILNS1_3genE8ELNS1_11target_archE1030ELNS1_3gpuE2ELNS1_3repE0EEENS1_47radix_sort_onesweep_sort_config_static_selectorELNS0_4arch9wavefront6targetE0EEEvSK_, .Lfunc_end344-_ZN7rocprim17ROCPRIM_400000_NS6detail17trampoline_kernelINS0_14default_configENS1_35radix_sort_onesweep_config_selectorIiNS0_10empty_typeEEEZZNS1_29radix_sort_onesweep_iterationIS3_Lb1EN6thrust23THRUST_200600_302600_NS6detail15normal_iteratorINS9_10device_ptrIiEEEESE_PS5_SF_jNS0_19identity_decomposerENS1_16block_id_wrapperIjLb1EEEEE10hipError_tT1_PNSt15iterator_traitsISK_E10value_typeET2_T3_PNSL_ISQ_E10value_typeET4_T5_PSV_SW_PNS1_23onesweep_lookback_stateEbbT6_jjT7_P12ihipStream_tbENKUlT_T0_SK_SP_E_clISE_SE_SF_SF_EEDaS13_S14_SK_SP_EUlS13_E_NS1_11comp_targetILNS1_3genE8ELNS1_11target_archE1030ELNS1_3gpuE2ELNS1_3repE0EEENS1_47radix_sort_onesweep_sort_config_static_selectorELNS0_4arch9wavefront6targetE0EEEvSK_
                                        ; -- End function
	.set _ZN7rocprim17ROCPRIM_400000_NS6detail17trampoline_kernelINS0_14default_configENS1_35radix_sort_onesweep_config_selectorIiNS0_10empty_typeEEEZZNS1_29radix_sort_onesweep_iterationIS3_Lb1EN6thrust23THRUST_200600_302600_NS6detail15normal_iteratorINS9_10device_ptrIiEEEESE_PS5_SF_jNS0_19identity_decomposerENS1_16block_id_wrapperIjLb1EEEEE10hipError_tT1_PNSt15iterator_traitsISK_E10value_typeET2_T3_PNSL_ISQ_E10value_typeET4_T5_PSV_SW_PNS1_23onesweep_lookback_stateEbbT6_jjT7_P12ihipStream_tbENKUlT_T0_SK_SP_E_clISE_SE_SF_SF_EEDaS13_S14_SK_SP_EUlS13_E_NS1_11comp_targetILNS1_3genE8ELNS1_11target_archE1030ELNS1_3gpuE2ELNS1_3repE0EEENS1_47radix_sort_onesweep_sort_config_static_selectorELNS0_4arch9wavefront6targetE0EEEvSK_.num_vgpr, 34
	.set _ZN7rocprim17ROCPRIM_400000_NS6detail17trampoline_kernelINS0_14default_configENS1_35radix_sort_onesweep_config_selectorIiNS0_10empty_typeEEEZZNS1_29radix_sort_onesweep_iterationIS3_Lb1EN6thrust23THRUST_200600_302600_NS6detail15normal_iteratorINS9_10device_ptrIiEEEESE_PS5_SF_jNS0_19identity_decomposerENS1_16block_id_wrapperIjLb1EEEEE10hipError_tT1_PNSt15iterator_traitsISK_E10value_typeET2_T3_PNSL_ISQ_E10value_typeET4_T5_PSV_SW_PNS1_23onesweep_lookback_stateEbbT6_jjT7_P12ihipStream_tbENKUlT_T0_SK_SP_E_clISE_SE_SF_SF_EEDaS13_S14_SK_SP_EUlS13_E_NS1_11comp_targetILNS1_3genE8ELNS1_11target_archE1030ELNS1_3gpuE2ELNS1_3repE0EEENS1_47radix_sort_onesweep_sort_config_static_selectorELNS0_4arch9wavefront6targetE0EEEvSK_.num_agpr, 0
	.set _ZN7rocprim17ROCPRIM_400000_NS6detail17trampoline_kernelINS0_14default_configENS1_35radix_sort_onesweep_config_selectorIiNS0_10empty_typeEEEZZNS1_29radix_sort_onesweep_iterationIS3_Lb1EN6thrust23THRUST_200600_302600_NS6detail15normal_iteratorINS9_10device_ptrIiEEEESE_PS5_SF_jNS0_19identity_decomposerENS1_16block_id_wrapperIjLb1EEEEE10hipError_tT1_PNSt15iterator_traitsISK_E10value_typeET2_T3_PNSL_ISQ_E10value_typeET4_T5_PSV_SW_PNS1_23onesweep_lookback_stateEbbT6_jjT7_P12ihipStream_tbENKUlT_T0_SK_SP_E_clISE_SE_SF_SF_EEDaS13_S14_SK_SP_EUlS13_E_NS1_11comp_targetILNS1_3genE8ELNS1_11target_archE1030ELNS1_3gpuE2ELNS1_3repE0EEENS1_47radix_sort_onesweep_sort_config_static_selectorELNS0_4arch9wavefront6targetE0EEEvSK_.numbered_sgpr, 27
	.set _ZN7rocprim17ROCPRIM_400000_NS6detail17trampoline_kernelINS0_14default_configENS1_35radix_sort_onesweep_config_selectorIiNS0_10empty_typeEEEZZNS1_29radix_sort_onesweep_iterationIS3_Lb1EN6thrust23THRUST_200600_302600_NS6detail15normal_iteratorINS9_10device_ptrIiEEEESE_PS5_SF_jNS0_19identity_decomposerENS1_16block_id_wrapperIjLb1EEEEE10hipError_tT1_PNSt15iterator_traitsISK_E10value_typeET2_T3_PNSL_ISQ_E10value_typeET4_T5_PSV_SW_PNS1_23onesweep_lookback_stateEbbT6_jjT7_P12ihipStream_tbENKUlT_T0_SK_SP_E_clISE_SE_SF_SF_EEDaS13_S14_SK_SP_EUlS13_E_NS1_11comp_targetILNS1_3genE8ELNS1_11target_archE1030ELNS1_3gpuE2ELNS1_3repE0EEENS1_47radix_sort_onesweep_sort_config_static_selectorELNS0_4arch9wavefront6targetE0EEEvSK_.num_named_barrier, 0
	.set _ZN7rocprim17ROCPRIM_400000_NS6detail17trampoline_kernelINS0_14default_configENS1_35radix_sort_onesweep_config_selectorIiNS0_10empty_typeEEEZZNS1_29radix_sort_onesweep_iterationIS3_Lb1EN6thrust23THRUST_200600_302600_NS6detail15normal_iteratorINS9_10device_ptrIiEEEESE_PS5_SF_jNS0_19identity_decomposerENS1_16block_id_wrapperIjLb1EEEEE10hipError_tT1_PNSt15iterator_traitsISK_E10value_typeET2_T3_PNSL_ISQ_E10value_typeET4_T5_PSV_SW_PNS1_23onesweep_lookback_stateEbbT6_jjT7_P12ihipStream_tbENKUlT_T0_SK_SP_E_clISE_SE_SF_SF_EEDaS13_S14_SK_SP_EUlS13_E_NS1_11comp_targetILNS1_3genE8ELNS1_11target_archE1030ELNS1_3gpuE2ELNS1_3repE0EEENS1_47radix_sort_onesweep_sort_config_static_selectorELNS0_4arch9wavefront6targetE0EEEvSK_.private_seg_size, 0
	.set _ZN7rocprim17ROCPRIM_400000_NS6detail17trampoline_kernelINS0_14default_configENS1_35radix_sort_onesweep_config_selectorIiNS0_10empty_typeEEEZZNS1_29radix_sort_onesweep_iterationIS3_Lb1EN6thrust23THRUST_200600_302600_NS6detail15normal_iteratorINS9_10device_ptrIiEEEESE_PS5_SF_jNS0_19identity_decomposerENS1_16block_id_wrapperIjLb1EEEEE10hipError_tT1_PNSt15iterator_traitsISK_E10value_typeET2_T3_PNSL_ISQ_E10value_typeET4_T5_PSV_SW_PNS1_23onesweep_lookback_stateEbbT6_jjT7_P12ihipStream_tbENKUlT_T0_SK_SP_E_clISE_SE_SF_SF_EEDaS13_S14_SK_SP_EUlS13_E_NS1_11comp_targetILNS1_3genE8ELNS1_11target_archE1030ELNS1_3gpuE2ELNS1_3repE0EEENS1_47radix_sort_onesweep_sort_config_static_selectorELNS0_4arch9wavefront6targetE0EEEvSK_.uses_vcc, 1
	.set _ZN7rocprim17ROCPRIM_400000_NS6detail17trampoline_kernelINS0_14default_configENS1_35radix_sort_onesweep_config_selectorIiNS0_10empty_typeEEEZZNS1_29radix_sort_onesweep_iterationIS3_Lb1EN6thrust23THRUST_200600_302600_NS6detail15normal_iteratorINS9_10device_ptrIiEEEESE_PS5_SF_jNS0_19identity_decomposerENS1_16block_id_wrapperIjLb1EEEEE10hipError_tT1_PNSt15iterator_traitsISK_E10value_typeET2_T3_PNSL_ISQ_E10value_typeET4_T5_PSV_SW_PNS1_23onesweep_lookback_stateEbbT6_jjT7_P12ihipStream_tbENKUlT_T0_SK_SP_E_clISE_SE_SF_SF_EEDaS13_S14_SK_SP_EUlS13_E_NS1_11comp_targetILNS1_3genE8ELNS1_11target_archE1030ELNS1_3gpuE2ELNS1_3repE0EEENS1_47radix_sort_onesweep_sort_config_static_selectorELNS0_4arch9wavefront6targetE0EEEvSK_.uses_flat_scratch, 0
	.set _ZN7rocprim17ROCPRIM_400000_NS6detail17trampoline_kernelINS0_14default_configENS1_35radix_sort_onesweep_config_selectorIiNS0_10empty_typeEEEZZNS1_29radix_sort_onesweep_iterationIS3_Lb1EN6thrust23THRUST_200600_302600_NS6detail15normal_iteratorINS9_10device_ptrIiEEEESE_PS5_SF_jNS0_19identity_decomposerENS1_16block_id_wrapperIjLb1EEEEE10hipError_tT1_PNSt15iterator_traitsISK_E10value_typeET2_T3_PNSL_ISQ_E10value_typeET4_T5_PSV_SW_PNS1_23onesweep_lookback_stateEbbT6_jjT7_P12ihipStream_tbENKUlT_T0_SK_SP_E_clISE_SE_SF_SF_EEDaS13_S14_SK_SP_EUlS13_E_NS1_11comp_targetILNS1_3genE8ELNS1_11target_archE1030ELNS1_3gpuE2ELNS1_3repE0EEENS1_47radix_sort_onesweep_sort_config_static_selectorELNS0_4arch9wavefront6targetE0EEEvSK_.has_dyn_sized_stack, 0
	.set _ZN7rocprim17ROCPRIM_400000_NS6detail17trampoline_kernelINS0_14default_configENS1_35radix_sort_onesweep_config_selectorIiNS0_10empty_typeEEEZZNS1_29radix_sort_onesweep_iterationIS3_Lb1EN6thrust23THRUST_200600_302600_NS6detail15normal_iteratorINS9_10device_ptrIiEEEESE_PS5_SF_jNS0_19identity_decomposerENS1_16block_id_wrapperIjLb1EEEEE10hipError_tT1_PNSt15iterator_traitsISK_E10value_typeET2_T3_PNSL_ISQ_E10value_typeET4_T5_PSV_SW_PNS1_23onesweep_lookback_stateEbbT6_jjT7_P12ihipStream_tbENKUlT_T0_SK_SP_E_clISE_SE_SF_SF_EEDaS13_S14_SK_SP_EUlS13_E_NS1_11comp_targetILNS1_3genE8ELNS1_11target_archE1030ELNS1_3gpuE2ELNS1_3repE0EEENS1_47radix_sort_onesweep_sort_config_static_selectorELNS0_4arch9wavefront6targetE0EEEvSK_.has_recursion, 0
	.set _ZN7rocprim17ROCPRIM_400000_NS6detail17trampoline_kernelINS0_14default_configENS1_35radix_sort_onesweep_config_selectorIiNS0_10empty_typeEEEZZNS1_29radix_sort_onesweep_iterationIS3_Lb1EN6thrust23THRUST_200600_302600_NS6detail15normal_iteratorINS9_10device_ptrIiEEEESE_PS5_SF_jNS0_19identity_decomposerENS1_16block_id_wrapperIjLb1EEEEE10hipError_tT1_PNSt15iterator_traitsISK_E10value_typeET2_T3_PNSL_ISQ_E10value_typeET4_T5_PSV_SW_PNS1_23onesweep_lookback_stateEbbT6_jjT7_P12ihipStream_tbENKUlT_T0_SK_SP_E_clISE_SE_SF_SF_EEDaS13_S14_SK_SP_EUlS13_E_NS1_11comp_targetILNS1_3genE8ELNS1_11target_archE1030ELNS1_3gpuE2ELNS1_3repE0EEENS1_47radix_sort_onesweep_sort_config_static_selectorELNS0_4arch9wavefront6targetE0EEEvSK_.has_indirect_call, 0
	.section	.AMDGPU.csdata,"",@progbits
; Kernel info:
; codeLenInByte = 6780
; TotalNumSgprs: 29
; NumVgprs: 34
; ScratchSize: 0
; MemoryBound: 0
; FloatMode: 240
; IeeeMode: 1
; LDSByteSize: 37000 bytes/workgroup (compile time only)
; SGPRBlocks: 0
; VGPRBlocks: 4
; NumSGPRsForWavesPerEU: 29
; NumVGPRsForWavesPerEU: 34
; Occupancy: 16
; WaveLimiterHint : 1
; COMPUTE_PGM_RSRC2:SCRATCH_EN: 0
; COMPUTE_PGM_RSRC2:USER_SGPR: 6
; COMPUTE_PGM_RSRC2:TRAP_HANDLER: 0
; COMPUTE_PGM_RSRC2:TGID_X_EN: 1
; COMPUTE_PGM_RSRC2:TGID_Y_EN: 0
; COMPUTE_PGM_RSRC2:TGID_Z_EN: 0
; COMPUTE_PGM_RSRC2:TIDIG_COMP_CNT: 2
	.section	.text._ZN7rocprim17ROCPRIM_400000_NS6detail17trampoline_kernelINS0_14default_configENS1_35radix_sort_onesweep_config_selectorIiNS0_10empty_typeEEEZZNS1_29radix_sort_onesweep_iterationIS3_Lb1EN6thrust23THRUST_200600_302600_NS6detail15normal_iteratorINS9_10device_ptrIiEEEESE_PS5_SF_jNS0_19identity_decomposerENS1_16block_id_wrapperIjLb1EEEEE10hipError_tT1_PNSt15iterator_traitsISK_E10value_typeET2_T3_PNSL_ISQ_E10value_typeET4_T5_PSV_SW_PNS1_23onesweep_lookback_stateEbbT6_jjT7_P12ihipStream_tbENKUlT_T0_SK_SP_E_clISE_PiSF_SF_EEDaS13_S14_SK_SP_EUlS13_E_NS1_11comp_targetILNS1_3genE0ELNS1_11target_archE4294967295ELNS1_3gpuE0ELNS1_3repE0EEENS1_47radix_sort_onesweep_sort_config_static_selectorELNS0_4arch9wavefront6targetE0EEEvSK_,"axG",@progbits,_ZN7rocprim17ROCPRIM_400000_NS6detail17trampoline_kernelINS0_14default_configENS1_35radix_sort_onesweep_config_selectorIiNS0_10empty_typeEEEZZNS1_29radix_sort_onesweep_iterationIS3_Lb1EN6thrust23THRUST_200600_302600_NS6detail15normal_iteratorINS9_10device_ptrIiEEEESE_PS5_SF_jNS0_19identity_decomposerENS1_16block_id_wrapperIjLb1EEEEE10hipError_tT1_PNSt15iterator_traitsISK_E10value_typeET2_T3_PNSL_ISQ_E10value_typeET4_T5_PSV_SW_PNS1_23onesweep_lookback_stateEbbT6_jjT7_P12ihipStream_tbENKUlT_T0_SK_SP_E_clISE_PiSF_SF_EEDaS13_S14_SK_SP_EUlS13_E_NS1_11comp_targetILNS1_3genE0ELNS1_11target_archE4294967295ELNS1_3gpuE0ELNS1_3repE0EEENS1_47radix_sort_onesweep_sort_config_static_selectorELNS0_4arch9wavefront6targetE0EEEvSK_,comdat
	.protected	_ZN7rocprim17ROCPRIM_400000_NS6detail17trampoline_kernelINS0_14default_configENS1_35radix_sort_onesweep_config_selectorIiNS0_10empty_typeEEEZZNS1_29radix_sort_onesweep_iterationIS3_Lb1EN6thrust23THRUST_200600_302600_NS6detail15normal_iteratorINS9_10device_ptrIiEEEESE_PS5_SF_jNS0_19identity_decomposerENS1_16block_id_wrapperIjLb1EEEEE10hipError_tT1_PNSt15iterator_traitsISK_E10value_typeET2_T3_PNSL_ISQ_E10value_typeET4_T5_PSV_SW_PNS1_23onesweep_lookback_stateEbbT6_jjT7_P12ihipStream_tbENKUlT_T0_SK_SP_E_clISE_PiSF_SF_EEDaS13_S14_SK_SP_EUlS13_E_NS1_11comp_targetILNS1_3genE0ELNS1_11target_archE4294967295ELNS1_3gpuE0ELNS1_3repE0EEENS1_47radix_sort_onesweep_sort_config_static_selectorELNS0_4arch9wavefront6targetE0EEEvSK_ ; -- Begin function _ZN7rocprim17ROCPRIM_400000_NS6detail17trampoline_kernelINS0_14default_configENS1_35radix_sort_onesweep_config_selectorIiNS0_10empty_typeEEEZZNS1_29radix_sort_onesweep_iterationIS3_Lb1EN6thrust23THRUST_200600_302600_NS6detail15normal_iteratorINS9_10device_ptrIiEEEESE_PS5_SF_jNS0_19identity_decomposerENS1_16block_id_wrapperIjLb1EEEEE10hipError_tT1_PNSt15iterator_traitsISK_E10value_typeET2_T3_PNSL_ISQ_E10value_typeET4_T5_PSV_SW_PNS1_23onesweep_lookback_stateEbbT6_jjT7_P12ihipStream_tbENKUlT_T0_SK_SP_E_clISE_PiSF_SF_EEDaS13_S14_SK_SP_EUlS13_E_NS1_11comp_targetILNS1_3genE0ELNS1_11target_archE4294967295ELNS1_3gpuE0ELNS1_3repE0EEENS1_47radix_sort_onesweep_sort_config_static_selectorELNS0_4arch9wavefront6targetE0EEEvSK_
	.globl	_ZN7rocprim17ROCPRIM_400000_NS6detail17trampoline_kernelINS0_14default_configENS1_35radix_sort_onesweep_config_selectorIiNS0_10empty_typeEEEZZNS1_29radix_sort_onesweep_iterationIS3_Lb1EN6thrust23THRUST_200600_302600_NS6detail15normal_iteratorINS9_10device_ptrIiEEEESE_PS5_SF_jNS0_19identity_decomposerENS1_16block_id_wrapperIjLb1EEEEE10hipError_tT1_PNSt15iterator_traitsISK_E10value_typeET2_T3_PNSL_ISQ_E10value_typeET4_T5_PSV_SW_PNS1_23onesweep_lookback_stateEbbT6_jjT7_P12ihipStream_tbENKUlT_T0_SK_SP_E_clISE_PiSF_SF_EEDaS13_S14_SK_SP_EUlS13_E_NS1_11comp_targetILNS1_3genE0ELNS1_11target_archE4294967295ELNS1_3gpuE0ELNS1_3repE0EEENS1_47radix_sort_onesweep_sort_config_static_selectorELNS0_4arch9wavefront6targetE0EEEvSK_
	.p2align	8
	.type	_ZN7rocprim17ROCPRIM_400000_NS6detail17trampoline_kernelINS0_14default_configENS1_35radix_sort_onesweep_config_selectorIiNS0_10empty_typeEEEZZNS1_29radix_sort_onesweep_iterationIS3_Lb1EN6thrust23THRUST_200600_302600_NS6detail15normal_iteratorINS9_10device_ptrIiEEEESE_PS5_SF_jNS0_19identity_decomposerENS1_16block_id_wrapperIjLb1EEEEE10hipError_tT1_PNSt15iterator_traitsISK_E10value_typeET2_T3_PNSL_ISQ_E10value_typeET4_T5_PSV_SW_PNS1_23onesweep_lookback_stateEbbT6_jjT7_P12ihipStream_tbENKUlT_T0_SK_SP_E_clISE_PiSF_SF_EEDaS13_S14_SK_SP_EUlS13_E_NS1_11comp_targetILNS1_3genE0ELNS1_11target_archE4294967295ELNS1_3gpuE0ELNS1_3repE0EEENS1_47radix_sort_onesweep_sort_config_static_selectorELNS0_4arch9wavefront6targetE0EEEvSK_,@function
_ZN7rocprim17ROCPRIM_400000_NS6detail17trampoline_kernelINS0_14default_configENS1_35radix_sort_onesweep_config_selectorIiNS0_10empty_typeEEEZZNS1_29radix_sort_onesweep_iterationIS3_Lb1EN6thrust23THRUST_200600_302600_NS6detail15normal_iteratorINS9_10device_ptrIiEEEESE_PS5_SF_jNS0_19identity_decomposerENS1_16block_id_wrapperIjLb1EEEEE10hipError_tT1_PNSt15iterator_traitsISK_E10value_typeET2_T3_PNSL_ISQ_E10value_typeET4_T5_PSV_SW_PNS1_23onesweep_lookback_stateEbbT6_jjT7_P12ihipStream_tbENKUlT_T0_SK_SP_E_clISE_PiSF_SF_EEDaS13_S14_SK_SP_EUlS13_E_NS1_11comp_targetILNS1_3genE0ELNS1_11target_archE4294967295ELNS1_3gpuE0ELNS1_3repE0EEENS1_47radix_sort_onesweep_sort_config_static_selectorELNS0_4arch9wavefront6targetE0EEEvSK_: ; @_ZN7rocprim17ROCPRIM_400000_NS6detail17trampoline_kernelINS0_14default_configENS1_35radix_sort_onesweep_config_selectorIiNS0_10empty_typeEEEZZNS1_29radix_sort_onesweep_iterationIS3_Lb1EN6thrust23THRUST_200600_302600_NS6detail15normal_iteratorINS9_10device_ptrIiEEEESE_PS5_SF_jNS0_19identity_decomposerENS1_16block_id_wrapperIjLb1EEEEE10hipError_tT1_PNSt15iterator_traitsISK_E10value_typeET2_T3_PNSL_ISQ_E10value_typeET4_T5_PSV_SW_PNS1_23onesweep_lookback_stateEbbT6_jjT7_P12ihipStream_tbENKUlT_T0_SK_SP_E_clISE_PiSF_SF_EEDaS13_S14_SK_SP_EUlS13_E_NS1_11comp_targetILNS1_3genE0ELNS1_11target_archE4294967295ELNS1_3gpuE0ELNS1_3repE0EEENS1_47radix_sort_onesweep_sort_config_static_selectorELNS0_4arch9wavefront6targetE0EEEvSK_
; %bb.0:
	.section	.rodata,"a",@progbits
	.p2align	6, 0x0
	.amdhsa_kernel _ZN7rocprim17ROCPRIM_400000_NS6detail17trampoline_kernelINS0_14default_configENS1_35radix_sort_onesweep_config_selectorIiNS0_10empty_typeEEEZZNS1_29radix_sort_onesweep_iterationIS3_Lb1EN6thrust23THRUST_200600_302600_NS6detail15normal_iteratorINS9_10device_ptrIiEEEESE_PS5_SF_jNS0_19identity_decomposerENS1_16block_id_wrapperIjLb1EEEEE10hipError_tT1_PNSt15iterator_traitsISK_E10value_typeET2_T3_PNSL_ISQ_E10value_typeET4_T5_PSV_SW_PNS1_23onesweep_lookback_stateEbbT6_jjT7_P12ihipStream_tbENKUlT_T0_SK_SP_E_clISE_PiSF_SF_EEDaS13_S14_SK_SP_EUlS13_E_NS1_11comp_targetILNS1_3genE0ELNS1_11target_archE4294967295ELNS1_3gpuE0ELNS1_3repE0EEENS1_47radix_sort_onesweep_sort_config_static_selectorELNS0_4arch9wavefront6targetE0EEEvSK_
		.amdhsa_group_segment_fixed_size 0
		.amdhsa_private_segment_fixed_size 0
		.amdhsa_kernarg_size 88
		.amdhsa_user_sgpr_count 6
		.amdhsa_user_sgpr_private_segment_buffer 1
		.amdhsa_user_sgpr_dispatch_ptr 0
		.amdhsa_user_sgpr_queue_ptr 0
		.amdhsa_user_sgpr_kernarg_segment_ptr 1
		.amdhsa_user_sgpr_dispatch_id 0
		.amdhsa_user_sgpr_flat_scratch_init 0
		.amdhsa_user_sgpr_private_segment_size 0
		.amdhsa_wavefront_size32 1
		.amdhsa_uses_dynamic_stack 0
		.amdhsa_system_sgpr_private_segment_wavefront_offset 0
		.amdhsa_system_sgpr_workgroup_id_x 1
		.amdhsa_system_sgpr_workgroup_id_y 0
		.amdhsa_system_sgpr_workgroup_id_z 0
		.amdhsa_system_sgpr_workgroup_info 0
		.amdhsa_system_vgpr_workitem_id 0
		.amdhsa_next_free_vgpr 1
		.amdhsa_next_free_sgpr 1
		.amdhsa_reserve_vcc 0
		.amdhsa_reserve_flat_scratch 0
		.amdhsa_float_round_mode_32 0
		.amdhsa_float_round_mode_16_64 0
		.amdhsa_float_denorm_mode_32 3
		.amdhsa_float_denorm_mode_16_64 3
		.amdhsa_dx10_clamp 1
		.amdhsa_ieee_mode 1
		.amdhsa_fp16_overflow 0
		.amdhsa_workgroup_processor_mode 1
		.amdhsa_memory_ordered 1
		.amdhsa_forward_progress 1
		.amdhsa_shared_vgpr_count 0
		.amdhsa_exception_fp_ieee_invalid_op 0
		.amdhsa_exception_fp_denorm_src 0
		.amdhsa_exception_fp_ieee_div_zero 0
		.amdhsa_exception_fp_ieee_overflow 0
		.amdhsa_exception_fp_ieee_underflow 0
		.amdhsa_exception_fp_ieee_inexact 0
		.amdhsa_exception_int_div_zero 0
	.end_amdhsa_kernel
	.section	.text._ZN7rocprim17ROCPRIM_400000_NS6detail17trampoline_kernelINS0_14default_configENS1_35radix_sort_onesweep_config_selectorIiNS0_10empty_typeEEEZZNS1_29radix_sort_onesweep_iterationIS3_Lb1EN6thrust23THRUST_200600_302600_NS6detail15normal_iteratorINS9_10device_ptrIiEEEESE_PS5_SF_jNS0_19identity_decomposerENS1_16block_id_wrapperIjLb1EEEEE10hipError_tT1_PNSt15iterator_traitsISK_E10value_typeET2_T3_PNSL_ISQ_E10value_typeET4_T5_PSV_SW_PNS1_23onesweep_lookback_stateEbbT6_jjT7_P12ihipStream_tbENKUlT_T0_SK_SP_E_clISE_PiSF_SF_EEDaS13_S14_SK_SP_EUlS13_E_NS1_11comp_targetILNS1_3genE0ELNS1_11target_archE4294967295ELNS1_3gpuE0ELNS1_3repE0EEENS1_47radix_sort_onesweep_sort_config_static_selectorELNS0_4arch9wavefront6targetE0EEEvSK_,"axG",@progbits,_ZN7rocprim17ROCPRIM_400000_NS6detail17trampoline_kernelINS0_14default_configENS1_35radix_sort_onesweep_config_selectorIiNS0_10empty_typeEEEZZNS1_29radix_sort_onesweep_iterationIS3_Lb1EN6thrust23THRUST_200600_302600_NS6detail15normal_iteratorINS9_10device_ptrIiEEEESE_PS5_SF_jNS0_19identity_decomposerENS1_16block_id_wrapperIjLb1EEEEE10hipError_tT1_PNSt15iterator_traitsISK_E10value_typeET2_T3_PNSL_ISQ_E10value_typeET4_T5_PSV_SW_PNS1_23onesweep_lookback_stateEbbT6_jjT7_P12ihipStream_tbENKUlT_T0_SK_SP_E_clISE_PiSF_SF_EEDaS13_S14_SK_SP_EUlS13_E_NS1_11comp_targetILNS1_3genE0ELNS1_11target_archE4294967295ELNS1_3gpuE0ELNS1_3repE0EEENS1_47radix_sort_onesweep_sort_config_static_selectorELNS0_4arch9wavefront6targetE0EEEvSK_,comdat
.Lfunc_end345:
	.size	_ZN7rocprim17ROCPRIM_400000_NS6detail17trampoline_kernelINS0_14default_configENS1_35radix_sort_onesweep_config_selectorIiNS0_10empty_typeEEEZZNS1_29radix_sort_onesweep_iterationIS3_Lb1EN6thrust23THRUST_200600_302600_NS6detail15normal_iteratorINS9_10device_ptrIiEEEESE_PS5_SF_jNS0_19identity_decomposerENS1_16block_id_wrapperIjLb1EEEEE10hipError_tT1_PNSt15iterator_traitsISK_E10value_typeET2_T3_PNSL_ISQ_E10value_typeET4_T5_PSV_SW_PNS1_23onesweep_lookback_stateEbbT6_jjT7_P12ihipStream_tbENKUlT_T0_SK_SP_E_clISE_PiSF_SF_EEDaS13_S14_SK_SP_EUlS13_E_NS1_11comp_targetILNS1_3genE0ELNS1_11target_archE4294967295ELNS1_3gpuE0ELNS1_3repE0EEENS1_47radix_sort_onesweep_sort_config_static_selectorELNS0_4arch9wavefront6targetE0EEEvSK_, .Lfunc_end345-_ZN7rocprim17ROCPRIM_400000_NS6detail17trampoline_kernelINS0_14default_configENS1_35radix_sort_onesweep_config_selectorIiNS0_10empty_typeEEEZZNS1_29radix_sort_onesweep_iterationIS3_Lb1EN6thrust23THRUST_200600_302600_NS6detail15normal_iteratorINS9_10device_ptrIiEEEESE_PS5_SF_jNS0_19identity_decomposerENS1_16block_id_wrapperIjLb1EEEEE10hipError_tT1_PNSt15iterator_traitsISK_E10value_typeET2_T3_PNSL_ISQ_E10value_typeET4_T5_PSV_SW_PNS1_23onesweep_lookback_stateEbbT6_jjT7_P12ihipStream_tbENKUlT_T0_SK_SP_E_clISE_PiSF_SF_EEDaS13_S14_SK_SP_EUlS13_E_NS1_11comp_targetILNS1_3genE0ELNS1_11target_archE4294967295ELNS1_3gpuE0ELNS1_3repE0EEENS1_47radix_sort_onesweep_sort_config_static_selectorELNS0_4arch9wavefront6targetE0EEEvSK_
                                        ; -- End function
	.set _ZN7rocprim17ROCPRIM_400000_NS6detail17trampoline_kernelINS0_14default_configENS1_35radix_sort_onesweep_config_selectorIiNS0_10empty_typeEEEZZNS1_29radix_sort_onesweep_iterationIS3_Lb1EN6thrust23THRUST_200600_302600_NS6detail15normal_iteratorINS9_10device_ptrIiEEEESE_PS5_SF_jNS0_19identity_decomposerENS1_16block_id_wrapperIjLb1EEEEE10hipError_tT1_PNSt15iterator_traitsISK_E10value_typeET2_T3_PNSL_ISQ_E10value_typeET4_T5_PSV_SW_PNS1_23onesweep_lookback_stateEbbT6_jjT7_P12ihipStream_tbENKUlT_T0_SK_SP_E_clISE_PiSF_SF_EEDaS13_S14_SK_SP_EUlS13_E_NS1_11comp_targetILNS1_3genE0ELNS1_11target_archE4294967295ELNS1_3gpuE0ELNS1_3repE0EEENS1_47radix_sort_onesweep_sort_config_static_selectorELNS0_4arch9wavefront6targetE0EEEvSK_.num_vgpr, 0
	.set _ZN7rocprim17ROCPRIM_400000_NS6detail17trampoline_kernelINS0_14default_configENS1_35radix_sort_onesweep_config_selectorIiNS0_10empty_typeEEEZZNS1_29radix_sort_onesweep_iterationIS3_Lb1EN6thrust23THRUST_200600_302600_NS6detail15normal_iteratorINS9_10device_ptrIiEEEESE_PS5_SF_jNS0_19identity_decomposerENS1_16block_id_wrapperIjLb1EEEEE10hipError_tT1_PNSt15iterator_traitsISK_E10value_typeET2_T3_PNSL_ISQ_E10value_typeET4_T5_PSV_SW_PNS1_23onesweep_lookback_stateEbbT6_jjT7_P12ihipStream_tbENKUlT_T0_SK_SP_E_clISE_PiSF_SF_EEDaS13_S14_SK_SP_EUlS13_E_NS1_11comp_targetILNS1_3genE0ELNS1_11target_archE4294967295ELNS1_3gpuE0ELNS1_3repE0EEENS1_47radix_sort_onesweep_sort_config_static_selectorELNS0_4arch9wavefront6targetE0EEEvSK_.num_agpr, 0
	.set _ZN7rocprim17ROCPRIM_400000_NS6detail17trampoline_kernelINS0_14default_configENS1_35radix_sort_onesweep_config_selectorIiNS0_10empty_typeEEEZZNS1_29radix_sort_onesweep_iterationIS3_Lb1EN6thrust23THRUST_200600_302600_NS6detail15normal_iteratorINS9_10device_ptrIiEEEESE_PS5_SF_jNS0_19identity_decomposerENS1_16block_id_wrapperIjLb1EEEEE10hipError_tT1_PNSt15iterator_traitsISK_E10value_typeET2_T3_PNSL_ISQ_E10value_typeET4_T5_PSV_SW_PNS1_23onesweep_lookback_stateEbbT6_jjT7_P12ihipStream_tbENKUlT_T0_SK_SP_E_clISE_PiSF_SF_EEDaS13_S14_SK_SP_EUlS13_E_NS1_11comp_targetILNS1_3genE0ELNS1_11target_archE4294967295ELNS1_3gpuE0ELNS1_3repE0EEENS1_47radix_sort_onesweep_sort_config_static_selectorELNS0_4arch9wavefront6targetE0EEEvSK_.numbered_sgpr, 0
	.set _ZN7rocprim17ROCPRIM_400000_NS6detail17trampoline_kernelINS0_14default_configENS1_35radix_sort_onesweep_config_selectorIiNS0_10empty_typeEEEZZNS1_29radix_sort_onesweep_iterationIS3_Lb1EN6thrust23THRUST_200600_302600_NS6detail15normal_iteratorINS9_10device_ptrIiEEEESE_PS5_SF_jNS0_19identity_decomposerENS1_16block_id_wrapperIjLb1EEEEE10hipError_tT1_PNSt15iterator_traitsISK_E10value_typeET2_T3_PNSL_ISQ_E10value_typeET4_T5_PSV_SW_PNS1_23onesweep_lookback_stateEbbT6_jjT7_P12ihipStream_tbENKUlT_T0_SK_SP_E_clISE_PiSF_SF_EEDaS13_S14_SK_SP_EUlS13_E_NS1_11comp_targetILNS1_3genE0ELNS1_11target_archE4294967295ELNS1_3gpuE0ELNS1_3repE0EEENS1_47radix_sort_onesweep_sort_config_static_selectorELNS0_4arch9wavefront6targetE0EEEvSK_.num_named_barrier, 0
	.set _ZN7rocprim17ROCPRIM_400000_NS6detail17trampoline_kernelINS0_14default_configENS1_35radix_sort_onesweep_config_selectorIiNS0_10empty_typeEEEZZNS1_29radix_sort_onesweep_iterationIS3_Lb1EN6thrust23THRUST_200600_302600_NS6detail15normal_iteratorINS9_10device_ptrIiEEEESE_PS5_SF_jNS0_19identity_decomposerENS1_16block_id_wrapperIjLb1EEEEE10hipError_tT1_PNSt15iterator_traitsISK_E10value_typeET2_T3_PNSL_ISQ_E10value_typeET4_T5_PSV_SW_PNS1_23onesweep_lookback_stateEbbT6_jjT7_P12ihipStream_tbENKUlT_T0_SK_SP_E_clISE_PiSF_SF_EEDaS13_S14_SK_SP_EUlS13_E_NS1_11comp_targetILNS1_3genE0ELNS1_11target_archE4294967295ELNS1_3gpuE0ELNS1_3repE0EEENS1_47radix_sort_onesweep_sort_config_static_selectorELNS0_4arch9wavefront6targetE0EEEvSK_.private_seg_size, 0
	.set _ZN7rocprim17ROCPRIM_400000_NS6detail17trampoline_kernelINS0_14default_configENS1_35radix_sort_onesweep_config_selectorIiNS0_10empty_typeEEEZZNS1_29radix_sort_onesweep_iterationIS3_Lb1EN6thrust23THRUST_200600_302600_NS6detail15normal_iteratorINS9_10device_ptrIiEEEESE_PS5_SF_jNS0_19identity_decomposerENS1_16block_id_wrapperIjLb1EEEEE10hipError_tT1_PNSt15iterator_traitsISK_E10value_typeET2_T3_PNSL_ISQ_E10value_typeET4_T5_PSV_SW_PNS1_23onesweep_lookback_stateEbbT6_jjT7_P12ihipStream_tbENKUlT_T0_SK_SP_E_clISE_PiSF_SF_EEDaS13_S14_SK_SP_EUlS13_E_NS1_11comp_targetILNS1_3genE0ELNS1_11target_archE4294967295ELNS1_3gpuE0ELNS1_3repE0EEENS1_47radix_sort_onesweep_sort_config_static_selectorELNS0_4arch9wavefront6targetE0EEEvSK_.uses_vcc, 0
	.set _ZN7rocprim17ROCPRIM_400000_NS6detail17trampoline_kernelINS0_14default_configENS1_35radix_sort_onesweep_config_selectorIiNS0_10empty_typeEEEZZNS1_29radix_sort_onesweep_iterationIS3_Lb1EN6thrust23THRUST_200600_302600_NS6detail15normal_iteratorINS9_10device_ptrIiEEEESE_PS5_SF_jNS0_19identity_decomposerENS1_16block_id_wrapperIjLb1EEEEE10hipError_tT1_PNSt15iterator_traitsISK_E10value_typeET2_T3_PNSL_ISQ_E10value_typeET4_T5_PSV_SW_PNS1_23onesweep_lookback_stateEbbT6_jjT7_P12ihipStream_tbENKUlT_T0_SK_SP_E_clISE_PiSF_SF_EEDaS13_S14_SK_SP_EUlS13_E_NS1_11comp_targetILNS1_3genE0ELNS1_11target_archE4294967295ELNS1_3gpuE0ELNS1_3repE0EEENS1_47radix_sort_onesweep_sort_config_static_selectorELNS0_4arch9wavefront6targetE0EEEvSK_.uses_flat_scratch, 0
	.set _ZN7rocprim17ROCPRIM_400000_NS6detail17trampoline_kernelINS0_14default_configENS1_35radix_sort_onesweep_config_selectorIiNS0_10empty_typeEEEZZNS1_29radix_sort_onesweep_iterationIS3_Lb1EN6thrust23THRUST_200600_302600_NS6detail15normal_iteratorINS9_10device_ptrIiEEEESE_PS5_SF_jNS0_19identity_decomposerENS1_16block_id_wrapperIjLb1EEEEE10hipError_tT1_PNSt15iterator_traitsISK_E10value_typeET2_T3_PNSL_ISQ_E10value_typeET4_T5_PSV_SW_PNS1_23onesweep_lookback_stateEbbT6_jjT7_P12ihipStream_tbENKUlT_T0_SK_SP_E_clISE_PiSF_SF_EEDaS13_S14_SK_SP_EUlS13_E_NS1_11comp_targetILNS1_3genE0ELNS1_11target_archE4294967295ELNS1_3gpuE0ELNS1_3repE0EEENS1_47radix_sort_onesweep_sort_config_static_selectorELNS0_4arch9wavefront6targetE0EEEvSK_.has_dyn_sized_stack, 0
	.set _ZN7rocprim17ROCPRIM_400000_NS6detail17trampoline_kernelINS0_14default_configENS1_35radix_sort_onesweep_config_selectorIiNS0_10empty_typeEEEZZNS1_29radix_sort_onesweep_iterationIS3_Lb1EN6thrust23THRUST_200600_302600_NS6detail15normal_iteratorINS9_10device_ptrIiEEEESE_PS5_SF_jNS0_19identity_decomposerENS1_16block_id_wrapperIjLb1EEEEE10hipError_tT1_PNSt15iterator_traitsISK_E10value_typeET2_T3_PNSL_ISQ_E10value_typeET4_T5_PSV_SW_PNS1_23onesweep_lookback_stateEbbT6_jjT7_P12ihipStream_tbENKUlT_T0_SK_SP_E_clISE_PiSF_SF_EEDaS13_S14_SK_SP_EUlS13_E_NS1_11comp_targetILNS1_3genE0ELNS1_11target_archE4294967295ELNS1_3gpuE0ELNS1_3repE0EEENS1_47radix_sort_onesweep_sort_config_static_selectorELNS0_4arch9wavefront6targetE0EEEvSK_.has_recursion, 0
	.set _ZN7rocprim17ROCPRIM_400000_NS6detail17trampoline_kernelINS0_14default_configENS1_35radix_sort_onesweep_config_selectorIiNS0_10empty_typeEEEZZNS1_29radix_sort_onesweep_iterationIS3_Lb1EN6thrust23THRUST_200600_302600_NS6detail15normal_iteratorINS9_10device_ptrIiEEEESE_PS5_SF_jNS0_19identity_decomposerENS1_16block_id_wrapperIjLb1EEEEE10hipError_tT1_PNSt15iterator_traitsISK_E10value_typeET2_T3_PNSL_ISQ_E10value_typeET4_T5_PSV_SW_PNS1_23onesweep_lookback_stateEbbT6_jjT7_P12ihipStream_tbENKUlT_T0_SK_SP_E_clISE_PiSF_SF_EEDaS13_S14_SK_SP_EUlS13_E_NS1_11comp_targetILNS1_3genE0ELNS1_11target_archE4294967295ELNS1_3gpuE0ELNS1_3repE0EEENS1_47radix_sort_onesweep_sort_config_static_selectorELNS0_4arch9wavefront6targetE0EEEvSK_.has_indirect_call, 0
	.section	.AMDGPU.csdata,"",@progbits
; Kernel info:
; codeLenInByte = 0
; TotalNumSgprs: 0
; NumVgprs: 0
; ScratchSize: 0
; MemoryBound: 0
; FloatMode: 240
; IeeeMode: 1
; LDSByteSize: 0 bytes/workgroup (compile time only)
; SGPRBlocks: 0
; VGPRBlocks: 0
; NumSGPRsForWavesPerEU: 1
; NumVGPRsForWavesPerEU: 1
; Occupancy: 16
; WaveLimiterHint : 0
; COMPUTE_PGM_RSRC2:SCRATCH_EN: 0
; COMPUTE_PGM_RSRC2:USER_SGPR: 6
; COMPUTE_PGM_RSRC2:TRAP_HANDLER: 0
; COMPUTE_PGM_RSRC2:TGID_X_EN: 1
; COMPUTE_PGM_RSRC2:TGID_Y_EN: 0
; COMPUTE_PGM_RSRC2:TGID_Z_EN: 0
; COMPUTE_PGM_RSRC2:TIDIG_COMP_CNT: 0
	.section	.text._ZN7rocprim17ROCPRIM_400000_NS6detail17trampoline_kernelINS0_14default_configENS1_35radix_sort_onesweep_config_selectorIiNS0_10empty_typeEEEZZNS1_29radix_sort_onesweep_iterationIS3_Lb1EN6thrust23THRUST_200600_302600_NS6detail15normal_iteratorINS9_10device_ptrIiEEEESE_PS5_SF_jNS0_19identity_decomposerENS1_16block_id_wrapperIjLb1EEEEE10hipError_tT1_PNSt15iterator_traitsISK_E10value_typeET2_T3_PNSL_ISQ_E10value_typeET4_T5_PSV_SW_PNS1_23onesweep_lookback_stateEbbT6_jjT7_P12ihipStream_tbENKUlT_T0_SK_SP_E_clISE_PiSF_SF_EEDaS13_S14_SK_SP_EUlS13_E_NS1_11comp_targetILNS1_3genE6ELNS1_11target_archE950ELNS1_3gpuE13ELNS1_3repE0EEENS1_47radix_sort_onesweep_sort_config_static_selectorELNS0_4arch9wavefront6targetE0EEEvSK_,"axG",@progbits,_ZN7rocprim17ROCPRIM_400000_NS6detail17trampoline_kernelINS0_14default_configENS1_35radix_sort_onesweep_config_selectorIiNS0_10empty_typeEEEZZNS1_29radix_sort_onesweep_iterationIS3_Lb1EN6thrust23THRUST_200600_302600_NS6detail15normal_iteratorINS9_10device_ptrIiEEEESE_PS5_SF_jNS0_19identity_decomposerENS1_16block_id_wrapperIjLb1EEEEE10hipError_tT1_PNSt15iterator_traitsISK_E10value_typeET2_T3_PNSL_ISQ_E10value_typeET4_T5_PSV_SW_PNS1_23onesweep_lookback_stateEbbT6_jjT7_P12ihipStream_tbENKUlT_T0_SK_SP_E_clISE_PiSF_SF_EEDaS13_S14_SK_SP_EUlS13_E_NS1_11comp_targetILNS1_3genE6ELNS1_11target_archE950ELNS1_3gpuE13ELNS1_3repE0EEENS1_47radix_sort_onesweep_sort_config_static_selectorELNS0_4arch9wavefront6targetE0EEEvSK_,comdat
	.protected	_ZN7rocprim17ROCPRIM_400000_NS6detail17trampoline_kernelINS0_14default_configENS1_35radix_sort_onesweep_config_selectorIiNS0_10empty_typeEEEZZNS1_29radix_sort_onesweep_iterationIS3_Lb1EN6thrust23THRUST_200600_302600_NS6detail15normal_iteratorINS9_10device_ptrIiEEEESE_PS5_SF_jNS0_19identity_decomposerENS1_16block_id_wrapperIjLb1EEEEE10hipError_tT1_PNSt15iterator_traitsISK_E10value_typeET2_T3_PNSL_ISQ_E10value_typeET4_T5_PSV_SW_PNS1_23onesweep_lookback_stateEbbT6_jjT7_P12ihipStream_tbENKUlT_T0_SK_SP_E_clISE_PiSF_SF_EEDaS13_S14_SK_SP_EUlS13_E_NS1_11comp_targetILNS1_3genE6ELNS1_11target_archE950ELNS1_3gpuE13ELNS1_3repE0EEENS1_47radix_sort_onesweep_sort_config_static_selectorELNS0_4arch9wavefront6targetE0EEEvSK_ ; -- Begin function _ZN7rocprim17ROCPRIM_400000_NS6detail17trampoline_kernelINS0_14default_configENS1_35radix_sort_onesweep_config_selectorIiNS0_10empty_typeEEEZZNS1_29radix_sort_onesweep_iterationIS3_Lb1EN6thrust23THRUST_200600_302600_NS6detail15normal_iteratorINS9_10device_ptrIiEEEESE_PS5_SF_jNS0_19identity_decomposerENS1_16block_id_wrapperIjLb1EEEEE10hipError_tT1_PNSt15iterator_traitsISK_E10value_typeET2_T3_PNSL_ISQ_E10value_typeET4_T5_PSV_SW_PNS1_23onesweep_lookback_stateEbbT6_jjT7_P12ihipStream_tbENKUlT_T0_SK_SP_E_clISE_PiSF_SF_EEDaS13_S14_SK_SP_EUlS13_E_NS1_11comp_targetILNS1_3genE6ELNS1_11target_archE950ELNS1_3gpuE13ELNS1_3repE0EEENS1_47radix_sort_onesweep_sort_config_static_selectorELNS0_4arch9wavefront6targetE0EEEvSK_
	.globl	_ZN7rocprim17ROCPRIM_400000_NS6detail17trampoline_kernelINS0_14default_configENS1_35radix_sort_onesweep_config_selectorIiNS0_10empty_typeEEEZZNS1_29radix_sort_onesweep_iterationIS3_Lb1EN6thrust23THRUST_200600_302600_NS6detail15normal_iteratorINS9_10device_ptrIiEEEESE_PS5_SF_jNS0_19identity_decomposerENS1_16block_id_wrapperIjLb1EEEEE10hipError_tT1_PNSt15iterator_traitsISK_E10value_typeET2_T3_PNSL_ISQ_E10value_typeET4_T5_PSV_SW_PNS1_23onesweep_lookback_stateEbbT6_jjT7_P12ihipStream_tbENKUlT_T0_SK_SP_E_clISE_PiSF_SF_EEDaS13_S14_SK_SP_EUlS13_E_NS1_11comp_targetILNS1_3genE6ELNS1_11target_archE950ELNS1_3gpuE13ELNS1_3repE0EEENS1_47radix_sort_onesweep_sort_config_static_selectorELNS0_4arch9wavefront6targetE0EEEvSK_
	.p2align	8
	.type	_ZN7rocprim17ROCPRIM_400000_NS6detail17trampoline_kernelINS0_14default_configENS1_35radix_sort_onesweep_config_selectorIiNS0_10empty_typeEEEZZNS1_29radix_sort_onesweep_iterationIS3_Lb1EN6thrust23THRUST_200600_302600_NS6detail15normal_iteratorINS9_10device_ptrIiEEEESE_PS5_SF_jNS0_19identity_decomposerENS1_16block_id_wrapperIjLb1EEEEE10hipError_tT1_PNSt15iterator_traitsISK_E10value_typeET2_T3_PNSL_ISQ_E10value_typeET4_T5_PSV_SW_PNS1_23onesweep_lookback_stateEbbT6_jjT7_P12ihipStream_tbENKUlT_T0_SK_SP_E_clISE_PiSF_SF_EEDaS13_S14_SK_SP_EUlS13_E_NS1_11comp_targetILNS1_3genE6ELNS1_11target_archE950ELNS1_3gpuE13ELNS1_3repE0EEENS1_47radix_sort_onesweep_sort_config_static_selectorELNS0_4arch9wavefront6targetE0EEEvSK_,@function
_ZN7rocprim17ROCPRIM_400000_NS6detail17trampoline_kernelINS0_14default_configENS1_35radix_sort_onesweep_config_selectorIiNS0_10empty_typeEEEZZNS1_29radix_sort_onesweep_iterationIS3_Lb1EN6thrust23THRUST_200600_302600_NS6detail15normal_iteratorINS9_10device_ptrIiEEEESE_PS5_SF_jNS0_19identity_decomposerENS1_16block_id_wrapperIjLb1EEEEE10hipError_tT1_PNSt15iterator_traitsISK_E10value_typeET2_T3_PNSL_ISQ_E10value_typeET4_T5_PSV_SW_PNS1_23onesweep_lookback_stateEbbT6_jjT7_P12ihipStream_tbENKUlT_T0_SK_SP_E_clISE_PiSF_SF_EEDaS13_S14_SK_SP_EUlS13_E_NS1_11comp_targetILNS1_3genE6ELNS1_11target_archE950ELNS1_3gpuE13ELNS1_3repE0EEENS1_47radix_sort_onesweep_sort_config_static_selectorELNS0_4arch9wavefront6targetE0EEEvSK_: ; @_ZN7rocprim17ROCPRIM_400000_NS6detail17trampoline_kernelINS0_14default_configENS1_35radix_sort_onesweep_config_selectorIiNS0_10empty_typeEEEZZNS1_29radix_sort_onesweep_iterationIS3_Lb1EN6thrust23THRUST_200600_302600_NS6detail15normal_iteratorINS9_10device_ptrIiEEEESE_PS5_SF_jNS0_19identity_decomposerENS1_16block_id_wrapperIjLb1EEEEE10hipError_tT1_PNSt15iterator_traitsISK_E10value_typeET2_T3_PNSL_ISQ_E10value_typeET4_T5_PSV_SW_PNS1_23onesweep_lookback_stateEbbT6_jjT7_P12ihipStream_tbENKUlT_T0_SK_SP_E_clISE_PiSF_SF_EEDaS13_S14_SK_SP_EUlS13_E_NS1_11comp_targetILNS1_3genE6ELNS1_11target_archE950ELNS1_3gpuE13ELNS1_3repE0EEENS1_47radix_sort_onesweep_sort_config_static_selectorELNS0_4arch9wavefront6targetE0EEEvSK_
; %bb.0:
	.section	.rodata,"a",@progbits
	.p2align	6, 0x0
	.amdhsa_kernel _ZN7rocprim17ROCPRIM_400000_NS6detail17trampoline_kernelINS0_14default_configENS1_35radix_sort_onesweep_config_selectorIiNS0_10empty_typeEEEZZNS1_29radix_sort_onesweep_iterationIS3_Lb1EN6thrust23THRUST_200600_302600_NS6detail15normal_iteratorINS9_10device_ptrIiEEEESE_PS5_SF_jNS0_19identity_decomposerENS1_16block_id_wrapperIjLb1EEEEE10hipError_tT1_PNSt15iterator_traitsISK_E10value_typeET2_T3_PNSL_ISQ_E10value_typeET4_T5_PSV_SW_PNS1_23onesweep_lookback_stateEbbT6_jjT7_P12ihipStream_tbENKUlT_T0_SK_SP_E_clISE_PiSF_SF_EEDaS13_S14_SK_SP_EUlS13_E_NS1_11comp_targetILNS1_3genE6ELNS1_11target_archE950ELNS1_3gpuE13ELNS1_3repE0EEENS1_47radix_sort_onesweep_sort_config_static_selectorELNS0_4arch9wavefront6targetE0EEEvSK_
		.amdhsa_group_segment_fixed_size 0
		.amdhsa_private_segment_fixed_size 0
		.amdhsa_kernarg_size 88
		.amdhsa_user_sgpr_count 6
		.amdhsa_user_sgpr_private_segment_buffer 1
		.amdhsa_user_sgpr_dispatch_ptr 0
		.amdhsa_user_sgpr_queue_ptr 0
		.amdhsa_user_sgpr_kernarg_segment_ptr 1
		.amdhsa_user_sgpr_dispatch_id 0
		.amdhsa_user_sgpr_flat_scratch_init 0
		.amdhsa_user_sgpr_private_segment_size 0
		.amdhsa_wavefront_size32 1
		.amdhsa_uses_dynamic_stack 0
		.amdhsa_system_sgpr_private_segment_wavefront_offset 0
		.amdhsa_system_sgpr_workgroup_id_x 1
		.amdhsa_system_sgpr_workgroup_id_y 0
		.amdhsa_system_sgpr_workgroup_id_z 0
		.amdhsa_system_sgpr_workgroup_info 0
		.amdhsa_system_vgpr_workitem_id 0
		.amdhsa_next_free_vgpr 1
		.amdhsa_next_free_sgpr 1
		.amdhsa_reserve_vcc 0
		.amdhsa_reserve_flat_scratch 0
		.amdhsa_float_round_mode_32 0
		.amdhsa_float_round_mode_16_64 0
		.amdhsa_float_denorm_mode_32 3
		.amdhsa_float_denorm_mode_16_64 3
		.amdhsa_dx10_clamp 1
		.amdhsa_ieee_mode 1
		.amdhsa_fp16_overflow 0
		.amdhsa_workgroup_processor_mode 1
		.amdhsa_memory_ordered 1
		.amdhsa_forward_progress 1
		.amdhsa_shared_vgpr_count 0
		.amdhsa_exception_fp_ieee_invalid_op 0
		.amdhsa_exception_fp_denorm_src 0
		.amdhsa_exception_fp_ieee_div_zero 0
		.amdhsa_exception_fp_ieee_overflow 0
		.amdhsa_exception_fp_ieee_underflow 0
		.amdhsa_exception_fp_ieee_inexact 0
		.amdhsa_exception_int_div_zero 0
	.end_amdhsa_kernel
	.section	.text._ZN7rocprim17ROCPRIM_400000_NS6detail17trampoline_kernelINS0_14default_configENS1_35radix_sort_onesweep_config_selectorIiNS0_10empty_typeEEEZZNS1_29radix_sort_onesweep_iterationIS3_Lb1EN6thrust23THRUST_200600_302600_NS6detail15normal_iteratorINS9_10device_ptrIiEEEESE_PS5_SF_jNS0_19identity_decomposerENS1_16block_id_wrapperIjLb1EEEEE10hipError_tT1_PNSt15iterator_traitsISK_E10value_typeET2_T3_PNSL_ISQ_E10value_typeET4_T5_PSV_SW_PNS1_23onesweep_lookback_stateEbbT6_jjT7_P12ihipStream_tbENKUlT_T0_SK_SP_E_clISE_PiSF_SF_EEDaS13_S14_SK_SP_EUlS13_E_NS1_11comp_targetILNS1_3genE6ELNS1_11target_archE950ELNS1_3gpuE13ELNS1_3repE0EEENS1_47radix_sort_onesweep_sort_config_static_selectorELNS0_4arch9wavefront6targetE0EEEvSK_,"axG",@progbits,_ZN7rocprim17ROCPRIM_400000_NS6detail17trampoline_kernelINS0_14default_configENS1_35radix_sort_onesweep_config_selectorIiNS0_10empty_typeEEEZZNS1_29radix_sort_onesweep_iterationIS3_Lb1EN6thrust23THRUST_200600_302600_NS6detail15normal_iteratorINS9_10device_ptrIiEEEESE_PS5_SF_jNS0_19identity_decomposerENS1_16block_id_wrapperIjLb1EEEEE10hipError_tT1_PNSt15iterator_traitsISK_E10value_typeET2_T3_PNSL_ISQ_E10value_typeET4_T5_PSV_SW_PNS1_23onesweep_lookback_stateEbbT6_jjT7_P12ihipStream_tbENKUlT_T0_SK_SP_E_clISE_PiSF_SF_EEDaS13_S14_SK_SP_EUlS13_E_NS1_11comp_targetILNS1_3genE6ELNS1_11target_archE950ELNS1_3gpuE13ELNS1_3repE0EEENS1_47radix_sort_onesweep_sort_config_static_selectorELNS0_4arch9wavefront6targetE0EEEvSK_,comdat
.Lfunc_end346:
	.size	_ZN7rocprim17ROCPRIM_400000_NS6detail17trampoline_kernelINS0_14default_configENS1_35radix_sort_onesweep_config_selectorIiNS0_10empty_typeEEEZZNS1_29radix_sort_onesweep_iterationIS3_Lb1EN6thrust23THRUST_200600_302600_NS6detail15normal_iteratorINS9_10device_ptrIiEEEESE_PS5_SF_jNS0_19identity_decomposerENS1_16block_id_wrapperIjLb1EEEEE10hipError_tT1_PNSt15iterator_traitsISK_E10value_typeET2_T3_PNSL_ISQ_E10value_typeET4_T5_PSV_SW_PNS1_23onesweep_lookback_stateEbbT6_jjT7_P12ihipStream_tbENKUlT_T0_SK_SP_E_clISE_PiSF_SF_EEDaS13_S14_SK_SP_EUlS13_E_NS1_11comp_targetILNS1_3genE6ELNS1_11target_archE950ELNS1_3gpuE13ELNS1_3repE0EEENS1_47radix_sort_onesweep_sort_config_static_selectorELNS0_4arch9wavefront6targetE0EEEvSK_, .Lfunc_end346-_ZN7rocprim17ROCPRIM_400000_NS6detail17trampoline_kernelINS0_14default_configENS1_35radix_sort_onesweep_config_selectorIiNS0_10empty_typeEEEZZNS1_29radix_sort_onesweep_iterationIS3_Lb1EN6thrust23THRUST_200600_302600_NS6detail15normal_iteratorINS9_10device_ptrIiEEEESE_PS5_SF_jNS0_19identity_decomposerENS1_16block_id_wrapperIjLb1EEEEE10hipError_tT1_PNSt15iterator_traitsISK_E10value_typeET2_T3_PNSL_ISQ_E10value_typeET4_T5_PSV_SW_PNS1_23onesweep_lookback_stateEbbT6_jjT7_P12ihipStream_tbENKUlT_T0_SK_SP_E_clISE_PiSF_SF_EEDaS13_S14_SK_SP_EUlS13_E_NS1_11comp_targetILNS1_3genE6ELNS1_11target_archE950ELNS1_3gpuE13ELNS1_3repE0EEENS1_47radix_sort_onesweep_sort_config_static_selectorELNS0_4arch9wavefront6targetE0EEEvSK_
                                        ; -- End function
	.set _ZN7rocprim17ROCPRIM_400000_NS6detail17trampoline_kernelINS0_14default_configENS1_35radix_sort_onesweep_config_selectorIiNS0_10empty_typeEEEZZNS1_29radix_sort_onesweep_iterationIS3_Lb1EN6thrust23THRUST_200600_302600_NS6detail15normal_iteratorINS9_10device_ptrIiEEEESE_PS5_SF_jNS0_19identity_decomposerENS1_16block_id_wrapperIjLb1EEEEE10hipError_tT1_PNSt15iterator_traitsISK_E10value_typeET2_T3_PNSL_ISQ_E10value_typeET4_T5_PSV_SW_PNS1_23onesweep_lookback_stateEbbT6_jjT7_P12ihipStream_tbENKUlT_T0_SK_SP_E_clISE_PiSF_SF_EEDaS13_S14_SK_SP_EUlS13_E_NS1_11comp_targetILNS1_3genE6ELNS1_11target_archE950ELNS1_3gpuE13ELNS1_3repE0EEENS1_47radix_sort_onesweep_sort_config_static_selectorELNS0_4arch9wavefront6targetE0EEEvSK_.num_vgpr, 0
	.set _ZN7rocprim17ROCPRIM_400000_NS6detail17trampoline_kernelINS0_14default_configENS1_35radix_sort_onesweep_config_selectorIiNS0_10empty_typeEEEZZNS1_29radix_sort_onesweep_iterationIS3_Lb1EN6thrust23THRUST_200600_302600_NS6detail15normal_iteratorINS9_10device_ptrIiEEEESE_PS5_SF_jNS0_19identity_decomposerENS1_16block_id_wrapperIjLb1EEEEE10hipError_tT1_PNSt15iterator_traitsISK_E10value_typeET2_T3_PNSL_ISQ_E10value_typeET4_T5_PSV_SW_PNS1_23onesweep_lookback_stateEbbT6_jjT7_P12ihipStream_tbENKUlT_T0_SK_SP_E_clISE_PiSF_SF_EEDaS13_S14_SK_SP_EUlS13_E_NS1_11comp_targetILNS1_3genE6ELNS1_11target_archE950ELNS1_3gpuE13ELNS1_3repE0EEENS1_47radix_sort_onesweep_sort_config_static_selectorELNS0_4arch9wavefront6targetE0EEEvSK_.num_agpr, 0
	.set _ZN7rocprim17ROCPRIM_400000_NS6detail17trampoline_kernelINS0_14default_configENS1_35radix_sort_onesweep_config_selectorIiNS0_10empty_typeEEEZZNS1_29radix_sort_onesweep_iterationIS3_Lb1EN6thrust23THRUST_200600_302600_NS6detail15normal_iteratorINS9_10device_ptrIiEEEESE_PS5_SF_jNS0_19identity_decomposerENS1_16block_id_wrapperIjLb1EEEEE10hipError_tT1_PNSt15iterator_traitsISK_E10value_typeET2_T3_PNSL_ISQ_E10value_typeET4_T5_PSV_SW_PNS1_23onesweep_lookback_stateEbbT6_jjT7_P12ihipStream_tbENKUlT_T0_SK_SP_E_clISE_PiSF_SF_EEDaS13_S14_SK_SP_EUlS13_E_NS1_11comp_targetILNS1_3genE6ELNS1_11target_archE950ELNS1_3gpuE13ELNS1_3repE0EEENS1_47radix_sort_onesweep_sort_config_static_selectorELNS0_4arch9wavefront6targetE0EEEvSK_.numbered_sgpr, 0
	.set _ZN7rocprim17ROCPRIM_400000_NS6detail17trampoline_kernelINS0_14default_configENS1_35radix_sort_onesweep_config_selectorIiNS0_10empty_typeEEEZZNS1_29radix_sort_onesweep_iterationIS3_Lb1EN6thrust23THRUST_200600_302600_NS6detail15normal_iteratorINS9_10device_ptrIiEEEESE_PS5_SF_jNS0_19identity_decomposerENS1_16block_id_wrapperIjLb1EEEEE10hipError_tT1_PNSt15iterator_traitsISK_E10value_typeET2_T3_PNSL_ISQ_E10value_typeET4_T5_PSV_SW_PNS1_23onesweep_lookback_stateEbbT6_jjT7_P12ihipStream_tbENKUlT_T0_SK_SP_E_clISE_PiSF_SF_EEDaS13_S14_SK_SP_EUlS13_E_NS1_11comp_targetILNS1_3genE6ELNS1_11target_archE950ELNS1_3gpuE13ELNS1_3repE0EEENS1_47radix_sort_onesweep_sort_config_static_selectorELNS0_4arch9wavefront6targetE0EEEvSK_.num_named_barrier, 0
	.set _ZN7rocprim17ROCPRIM_400000_NS6detail17trampoline_kernelINS0_14default_configENS1_35radix_sort_onesweep_config_selectorIiNS0_10empty_typeEEEZZNS1_29radix_sort_onesweep_iterationIS3_Lb1EN6thrust23THRUST_200600_302600_NS6detail15normal_iteratorINS9_10device_ptrIiEEEESE_PS5_SF_jNS0_19identity_decomposerENS1_16block_id_wrapperIjLb1EEEEE10hipError_tT1_PNSt15iterator_traitsISK_E10value_typeET2_T3_PNSL_ISQ_E10value_typeET4_T5_PSV_SW_PNS1_23onesweep_lookback_stateEbbT6_jjT7_P12ihipStream_tbENKUlT_T0_SK_SP_E_clISE_PiSF_SF_EEDaS13_S14_SK_SP_EUlS13_E_NS1_11comp_targetILNS1_3genE6ELNS1_11target_archE950ELNS1_3gpuE13ELNS1_3repE0EEENS1_47radix_sort_onesweep_sort_config_static_selectorELNS0_4arch9wavefront6targetE0EEEvSK_.private_seg_size, 0
	.set _ZN7rocprim17ROCPRIM_400000_NS6detail17trampoline_kernelINS0_14default_configENS1_35radix_sort_onesweep_config_selectorIiNS0_10empty_typeEEEZZNS1_29radix_sort_onesweep_iterationIS3_Lb1EN6thrust23THRUST_200600_302600_NS6detail15normal_iteratorINS9_10device_ptrIiEEEESE_PS5_SF_jNS0_19identity_decomposerENS1_16block_id_wrapperIjLb1EEEEE10hipError_tT1_PNSt15iterator_traitsISK_E10value_typeET2_T3_PNSL_ISQ_E10value_typeET4_T5_PSV_SW_PNS1_23onesweep_lookback_stateEbbT6_jjT7_P12ihipStream_tbENKUlT_T0_SK_SP_E_clISE_PiSF_SF_EEDaS13_S14_SK_SP_EUlS13_E_NS1_11comp_targetILNS1_3genE6ELNS1_11target_archE950ELNS1_3gpuE13ELNS1_3repE0EEENS1_47radix_sort_onesweep_sort_config_static_selectorELNS0_4arch9wavefront6targetE0EEEvSK_.uses_vcc, 0
	.set _ZN7rocprim17ROCPRIM_400000_NS6detail17trampoline_kernelINS0_14default_configENS1_35radix_sort_onesweep_config_selectorIiNS0_10empty_typeEEEZZNS1_29radix_sort_onesweep_iterationIS3_Lb1EN6thrust23THRUST_200600_302600_NS6detail15normal_iteratorINS9_10device_ptrIiEEEESE_PS5_SF_jNS0_19identity_decomposerENS1_16block_id_wrapperIjLb1EEEEE10hipError_tT1_PNSt15iterator_traitsISK_E10value_typeET2_T3_PNSL_ISQ_E10value_typeET4_T5_PSV_SW_PNS1_23onesweep_lookback_stateEbbT6_jjT7_P12ihipStream_tbENKUlT_T0_SK_SP_E_clISE_PiSF_SF_EEDaS13_S14_SK_SP_EUlS13_E_NS1_11comp_targetILNS1_3genE6ELNS1_11target_archE950ELNS1_3gpuE13ELNS1_3repE0EEENS1_47radix_sort_onesweep_sort_config_static_selectorELNS0_4arch9wavefront6targetE0EEEvSK_.uses_flat_scratch, 0
	.set _ZN7rocprim17ROCPRIM_400000_NS6detail17trampoline_kernelINS0_14default_configENS1_35radix_sort_onesweep_config_selectorIiNS0_10empty_typeEEEZZNS1_29radix_sort_onesweep_iterationIS3_Lb1EN6thrust23THRUST_200600_302600_NS6detail15normal_iteratorINS9_10device_ptrIiEEEESE_PS5_SF_jNS0_19identity_decomposerENS1_16block_id_wrapperIjLb1EEEEE10hipError_tT1_PNSt15iterator_traitsISK_E10value_typeET2_T3_PNSL_ISQ_E10value_typeET4_T5_PSV_SW_PNS1_23onesweep_lookback_stateEbbT6_jjT7_P12ihipStream_tbENKUlT_T0_SK_SP_E_clISE_PiSF_SF_EEDaS13_S14_SK_SP_EUlS13_E_NS1_11comp_targetILNS1_3genE6ELNS1_11target_archE950ELNS1_3gpuE13ELNS1_3repE0EEENS1_47radix_sort_onesweep_sort_config_static_selectorELNS0_4arch9wavefront6targetE0EEEvSK_.has_dyn_sized_stack, 0
	.set _ZN7rocprim17ROCPRIM_400000_NS6detail17trampoline_kernelINS0_14default_configENS1_35radix_sort_onesweep_config_selectorIiNS0_10empty_typeEEEZZNS1_29radix_sort_onesweep_iterationIS3_Lb1EN6thrust23THRUST_200600_302600_NS6detail15normal_iteratorINS9_10device_ptrIiEEEESE_PS5_SF_jNS0_19identity_decomposerENS1_16block_id_wrapperIjLb1EEEEE10hipError_tT1_PNSt15iterator_traitsISK_E10value_typeET2_T3_PNSL_ISQ_E10value_typeET4_T5_PSV_SW_PNS1_23onesweep_lookback_stateEbbT6_jjT7_P12ihipStream_tbENKUlT_T0_SK_SP_E_clISE_PiSF_SF_EEDaS13_S14_SK_SP_EUlS13_E_NS1_11comp_targetILNS1_3genE6ELNS1_11target_archE950ELNS1_3gpuE13ELNS1_3repE0EEENS1_47radix_sort_onesweep_sort_config_static_selectorELNS0_4arch9wavefront6targetE0EEEvSK_.has_recursion, 0
	.set _ZN7rocprim17ROCPRIM_400000_NS6detail17trampoline_kernelINS0_14default_configENS1_35radix_sort_onesweep_config_selectorIiNS0_10empty_typeEEEZZNS1_29radix_sort_onesweep_iterationIS3_Lb1EN6thrust23THRUST_200600_302600_NS6detail15normal_iteratorINS9_10device_ptrIiEEEESE_PS5_SF_jNS0_19identity_decomposerENS1_16block_id_wrapperIjLb1EEEEE10hipError_tT1_PNSt15iterator_traitsISK_E10value_typeET2_T3_PNSL_ISQ_E10value_typeET4_T5_PSV_SW_PNS1_23onesweep_lookback_stateEbbT6_jjT7_P12ihipStream_tbENKUlT_T0_SK_SP_E_clISE_PiSF_SF_EEDaS13_S14_SK_SP_EUlS13_E_NS1_11comp_targetILNS1_3genE6ELNS1_11target_archE950ELNS1_3gpuE13ELNS1_3repE0EEENS1_47radix_sort_onesweep_sort_config_static_selectorELNS0_4arch9wavefront6targetE0EEEvSK_.has_indirect_call, 0
	.section	.AMDGPU.csdata,"",@progbits
; Kernel info:
; codeLenInByte = 0
; TotalNumSgprs: 0
; NumVgprs: 0
; ScratchSize: 0
; MemoryBound: 0
; FloatMode: 240
; IeeeMode: 1
; LDSByteSize: 0 bytes/workgroup (compile time only)
; SGPRBlocks: 0
; VGPRBlocks: 0
; NumSGPRsForWavesPerEU: 1
; NumVGPRsForWavesPerEU: 1
; Occupancy: 16
; WaveLimiterHint : 0
; COMPUTE_PGM_RSRC2:SCRATCH_EN: 0
; COMPUTE_PGM_RSRC2:USER_SGPR: 6
; COMPUTE_PGM_RSRC2:TRAP_HANDLER: 0
; COMPUTE_PGM_RSRC2:TGID_X_EN: 1
; COMPUTE_PGM_RSRC2:TGID_Y_EN: 0
; COMPUTE_PGM_RSRC2:TGID_Z_EN: 0
; COMPUTE_PGM_RSRC2:TIDIG_COMP_CNT: 0
	.section	.text._ZN7rocprim17ROCPRIM_400000_NS6detail17trampoline_kernelINS0_14default_configENS1_35radix_sort_onesweep_config_selectorIiNS0_10empty_typeEEEZZNS1_29radix_sort_onesweep_iterationIS3_Lb1EN6thrust23THRUST_200600_302600_NS6detail15normal_iteratorINS9_10device_ptrIiEEEESE_PS5_SF_jNS0_19identity_decomposerENS1_16block_id_wrapperIjLb1EEEEE10hipError_tT1_PNSt15iterator_traitsISK_E10value_typeET2_T3_PNSL_ISQ_E10value_typeET4_T5_PSV_SW_PNS1_23onesweep_lookback_stateEbbT6_jjT7_P12ihipStream_tbENKUlT_T0_SK_SP_E_clISE_PiSF_SF_EEDaS13_S14_SK_SP_EUlS13_E_NS1_11comp_targetILNS1_3genE5ELNS1_11target_archE942ELNS1_3gpuE9ELNS1_3repE0EEENS1_47radix_sort_onesweep_sort_config_static_selectorELNS0_4arch9wavefront6targetE0EEEvSK_,"axG",@progbits,_ZN7rocprim17ROCPRIM_400000_NS6detail17trampoline_kernelINS0_14default_configENS1_35radix_sort_onesweep_config_selectorIiNS0_10empty_typeEEEZZNS1_29radix_sort_onesweep_iterationIS3_Lb1EN6thrust23THRUST_200600_302600_NS6detail15normal_iteratorINS9_10device_ptrIiEEEESE_PS5_SF_jNS0_19identity_decomposerENS1_16block_id_wrapperIjLb1EEEEE10hipError_tT1_PNSt15iterator_traitsISK_E10value_typeET2_T3_PNSL_ISQ_E10value_typeET4_T5_PSV_SW_PNS1_23onesweep_lookback_stateEbbT6_jjT7_P12ihipStream_tbENKUlT_T0_SK_SP_E_clISE_PiSF_SF_EEDaS13_S14_SK_SP_EUlS13_E_NS1_11comp_targetILNS1_3genE5ELNS1_11target_archE942ELNS1_3gpuE9ELNS1_3repE0EEENS1_47radix_sort_onesweep_sort_config_static_selectorELNS0_4arch9wavefront6targetE0EEEvSK_,comdat
	.protected	_ZN7rocprim17ROCPRIM_400000_NS6detail17trampoline_kernelINS0_14default_configENS1_35radix_sort_onesweep_config_selectorIiNS0_10empty_typeEEEZZNS1_29radix_sort_onesweep_iterationIS3_Lb1EN6thrust23THRUST_200600_302600_NS6detail15normal_iteratorINS9_10device_ptrIiEEEESE_PS5_SF_jNS0_19identity_decomposerENS1_16block_id_wrapperIjLb1EEEEE10hipError_tT1_PNSt15iterator_traitsISK_E10value_typeET2_T3_PNSL_ISQ_E10value_typeET4_T5_PSV_SW_PNS1_23onesweep_lookback_stateEbbT6_jjT7_P12ihipStream_tbENKUlT_T0_SK_SP_E_clISE_PiSF_SF_EEDaS13_S14_SK_SP_EUlS13_E_NS1_11comp_targetILNS1_3genE5ELNS1_11target_archE942ELNS1_3gpuE9ELNS1_3repE0EEENS1_47radix_sort_onesweep_sort_config_static_selectorELNS0_4arch9wavefront6targetE0EEEvSK_ ; -- Begin function _ZN7rocprim17ROCPRIM_400000_NS6detail17trampoline_kernelINS0_14default_configENS1_35radix_sort_onesweep_config_selectorIiNS0_10empty_typeEEEZZNS1_29radix_sort_onesweep_iterationIS3_Lb1EN6thrust23THRUST_200600_302600_NS6detail15normal_iteratorINS9_10device_ptrIiEEEESE_PS5_SF_jNS0_19identity_decomposerENS1_16block_id_wrapperIjLb1EEEEE10hipError_tT1_PNSt15iterator_traitsISK_E10value_typeET2_T3_PNSL_ISQ_E10value_typeET4_T5_PSV_SW_PNS1_23onesweep_lookback_stateEbbT6_jjT7_P12ihipStream_tbENKUlT_T0_SK_SP_E_clISE_PiSF_SF_EEDaS13_S14_SK_SP_EUlS13_E_NS1_11comp_targetILNS1_3genE5ELNS1_11target_archE942ELNS1_3gpuE9ELNS1_3repE0EEENS1_47radix_sort_onesweep_sort_config_static_selectorELNS0_4arch9wavefront6targetE0EEEvSK_
	.globl	_ZN7rocprim17ROCPRIM_400000_NS6detail17trampoline_kernelINS0_14default_configENS1_35radix_sort_onesweep_config_selectorIiNS0_10empty_typeEEEZZNS1_29radix_sort_onesweep_iterationIS3_Lb1EN6thrust23THRUST_200600_302600_NS6detail15normal_iteratorINS9_10device_ptrIiEEEESE_PS5_SF_jNS0_19identity_decomposerENS1_16block_id_wrapperIjLb1EEEEE10hipError_tT1_PNSt15iterator_traitsISK_E10value_typeET2_T3_PNSL_ISQ_E10value_typeET4_T5_PSV_SW_PNS1_23onesweep_lookback_stateEbbT6_jjT7_P12ihipStream_tbENKUlT_T0_SK_SP_E_clISE_PiSF_SF_EEDaS13_S14_SK_SP_EUlS13_E_NS1_11comp_targetILNS1_3genE5ELNS1_11target_archE942ELNS1_3gpuE9ELNS1_3repE0EEENS1_47radix_sort_onesweep_sort_config_static_selectorELNS0_4arch9wavefront6targetE0EEEvSK_
	.p2align	8
	.type	_ZN7rocprim17ROCPRIM_400000_NS6detail17trampoline_kernelINS0_14default_configENS1_35radix_sort_onesweep_config_selectorIiNS0_10empty_typeEEEZZNS1_29radix_sort_onesweep_iterationIS3_Lb1EN6thrust23THRUST_200600_302600_NS6detail15normal_iteratorINS9_10device_ptrIiEEEESE_PS5_SF_jNS0_19identity_decomposerENS1_16block_id_wrapperIjLb1EEEEE10hipError_tT1_PNSt15iterator_traitsISK_E10value_typeET2_T3_PNSL_ISQ_E10value_typeET4_T5_PSV_SW_PNS1_23onesweep_lookback_stateEbbT6_jjT7_P12ihipStream_tbENKUlT_T0_SK_SP_E_clISE_PiSF_SF_EEDaS13_S14_SK_SP_EUlS13_E_NS1_11comp_targetILNS1_3genE5ELNS1_11target_archE942ELNS1_3gpuE9ELNS1_3repE0EEENS1_47radix_sort_onesweep_sort_config_static_selectorELNS0_4arch9wavefront6targetE0EEEvSK_,@function
_ZN7rocprim17ROCPRIM_400000_NS6detail17trampoline_kernelINS0_14default_configENS1_35radix_sort_onesweep_config_selectorIiNS0_10empty_typeEEEZZNS1_29radix_sort_onesweep_iterationIS3_Lb1EN6thrust23THRUST_200600_302600_NS6detail15normal_iteratorINS9_10device_ptrIiEEEESE_PS5_SF_jNS0_19identity_decomposerENS1_16block_id_wrapperIjLb1EEEEE10hipError_tT1_PNSt15iterator_traitsISK_E10value_typeET2_T3_PNSL_ISQ_E10value_typeET4_T5_PSV_SW_PNS1_23onesweep_lookback_stateEbbT6_jjT7_P12ihipStream_tbENKUlT_T0_SK_SP_E_clISE_PiSF_SF_EEDaS13_S14_SK_SP_EUlS13_E_NS1_11comp_targetILNS1_3genE5ELNS1_11target_archE942ELNS1_3gpuE9ELNS1_3repE0EEENS1_47radix_sort_onesweep_sort_config_static_selectorELNS0_4arch9wavefront6targetE0EEEvSK_: ; @_ZN7rocprim17ROCPRIM_400000_NS6detail17trampoline_kernelINS0_14default_configENS1_35radix_sort_onesweep_config_selectorIiNS0_10empty_typeEEEZZNS1_29radix_sort_onesweep_iterationIS3_Lb1EN6thrust23THRUST_200600_302600_NS6detail15normal_iteratorINS9_10device_ptrIiEEEESE_PS5_SF_jNS0_19identity_decomposerENS1_16block_id_wrapperIjLb1EEEEE10hipError_tT1_PNSt15iterator_traitsISK_E10value_typeET2_T3_PNSL_ISQ_E10value_typeET4_T5_PSV_SW_PNS1_23onesweep_lookback_stateEbbT6_jjT7_P12ihipStream_tbENKUlT_T0_SK_SP_E_clISE_PiSF_SF_EEDaS13_S14_SK_SP_EUlS13_E_NS1_11comp_targetILNS1_3genE5ELNS1_11target_archE942ELNS1_3gpuE9ELNS1_3repE0EEENS1_47radix_sort_onesweep_sort_config_static_selectorELNS0_4arch9wavefront6targetE0EEEvSK_
; %bb.0:
	.section	.rodata,"a",@progbits
	.p2align	6, 0x0
	.amdhsa_kernel _ZN7rocprim17ROCPRIM_400000_NS6detail17trampoline_kernelINS0_14default_configENS1_35radix_sort_onesweep_config_selectorIiNS0_10empty_typeEEEZZNS1_29radix_sort_onesweep_iterationIS3_Lb1EN6thrust23THRUST_200600_302600_NS6detail15normal_iteratorINS9_10device_ptrIiEEEESE_PS5_SF_jNS0_19identity_decomposerENS1_16block_id_wrapperIjLb1EEEEE10hipError_tT1_PNSt15iterator_traitsISK_E10value_typeET2_T3_PNSL_ISQ_E10value_typeET4_T5_PSV_SW_PNS1_23onesweep_lookback_stateEbbT6_jjT7_P12ihipStream_tbENKUlT_T0_SK_SP_E_clISE_PiSF_SF_EEDaS13_S14_SK_SP_EUlS13_E_NS1_11comp_targetILNS1_3genE5ELNS1_11target_archE942ELNS1_3gpuE9ELNS1_3repE0EEENS1_47radix_sort_onesweep_sort_config_static_selectorELNS0_4arch9wavefront6targetE0EEEvSK_
		.amdhsa_group_segment_fixed_size 0
		.amdhsa_private_segment_fixed_size 0
		.amdhsa_kernarg_size 88
		.amdhsa_user_sgpr_count 6
		.amdhsa_user_sgpr_private_segment_buffer 1
		.amdhsa_user_sgpr_dispatch_ptr 0
		.amdhsa_user_sgpr_queue_ptr 0
		.amdhsa_user_sgpr_kernarg_segment_ptr 1
		.amdhsa_user_sgpr_dispatch_id 0
		.amdhsa_user_sgpr_flat_scratch_init 0
		.amdhsa_user_sgpr_private_segment_size 0
		.amdhsa_wavefront_size32 1
		.amdhsa_uses_dynamic_stack 0
		.amdhsa_system_sgpr_private_segment_wavefront_offset 0
		.amdhsa_system_sgpr_workgroup_id_x 1
		.amdhsa_system_sgpr_workgroup_id_y 0
		.amdhsa_system_sgpr_workgroup_id_z 0
		.amdhsa_system_sgpr_workgroup_info 0
		.amdhsa_system_vgpr_workitem_id 0
		.amdhsa_next_free_vgpr 1
		.amdhsa_next_free_sgpr 1
		.amdhsa_reserve_vcc 0
		.amdhsa_reserve_flat_scratch 0
		.amdhsa_float_round_mode_32 0
		.amdhsa_float_round_mode_16_64 0
		.amdhsa_float_denorm_mode_32 3
		.amdhsa_float_denorm_mode_16_64 3
		.amdhsa_dx10_clamp 1
		.amdhsa_ieee_mode 1
		.amdhsa_fp16_overflow 0
		.amdhsa_workgroup_processor_mode 1
		.amdhsa_memory_ordered 1
		.amdhsa_forward_progress 1
		.amdhsa_shared_vgpr_count 0
		.amdhsa_exception_fp_ieee_invalid_op 0
		.amdhsa_exception_fp_denorm_src 0
		.amdhsa_exception_fp_ieee_div_zero 0
		.amdhsa_exception_fp_ieee_overflow 0
		.amdhsa_exception_fp_ieee_underflow 0
		.amdhsa_exception_fp_ieee_inexact 0
		.amdhsa_exception_int_div_zero 0
	.end_amdhsa_kernel
	.section	.text._ZN7rocprim17ROCPRIM_400000_NS6detail17trampoline_kernelINS0_14default_configENS1_35radix_sort_onesweep_config_selectorIiNS0_10empty_typeEEEZZNS1_29radix_sort_onesweep_iterationIS3_Lb1EN6thrust23THRUST_200600_302600_NS6detail15normal_iteratorINS9_10device_ptrIiEEEESE_PS5_SF_jNS0_19identity_decomposerENS1_16block_id_wrapperIjLb1EEEEE10hipError_tT1_PNSt15iterator_traitsISK_E10value_typeET2_T3_PNSL_ISQ_E10value_typeET4_T5_PSV_SW_PNS1_23onesweep_lookback_stateEbbT6_jjT7_P12ihipStream_tbENKUlT_T0_SK_SP_E_clISE_PiSF_SF_EEDaS13_S14_SK_SP_EUlS13_E_NS1_11comp_targetILNS1_3genE5ELNS1_11target_archE942ELNS1_3gpuE9ELNS1_3repE0EEENS1_47radix_sort_onesweep_sort_config_static_selectorELNS0_4arch9wavefront6targetE0EEEvSK_,"axG",@progbits,_ZN7rocprim17ROCPRIM_400000_NS6detail17trampoline_kernelINS0_14default_configENS1_35radix_sort_onesweep_config_selectorIiNS0_10empty_typeEEEZZNS1_29radix_sort_onesweep_iterationIS3_Lb1EN6thrust23THRUST_200600_302600_NS6detail15normal_iteratorINS9_10device_ptrIiEEEESE_PS5_SF_jNS0_19identity_decomposerENS1_16block_id_wrapperIjLb1EEEEE10hipError_tT1_PNSt15iterator_traitsISK_E10value_typeET2_T3_PNSL_ISQ_E10value_typeET4_T5_PSV_SW_PNS1_23onesweep_lookback_stateEbbT6_jjT7_P12ihipStream_tbENKUlT_T0_SK_SP_E_clISE_PiSF_SF_EEDaS13_S14_SK_SP_EUlS13_E_NS1_11comp_targetILNS1_3genE5ELNS1_11target_archE942ELNS1_3gpuE9ELNS1_3repE0EEENS1_47radix_sort_onesweep_sort_config_static_selectorELNS0_4arch9wavefront6targetE0EEEvSK_,comdat
.Lfunc_end347:
	.size	_ZN7rocprim17ROCPRIM_400000_NS6detail17trampoline_kernelINS0_14default_configENS1_35radix_sort_onesweep_config_selectorIiNS0_10empty_typeEEEZZNS1_29radix_sort_onesweep_iterationIS3_Lb1EN6thrust23THRUST_200600_302600_NS6detail15normal_iteratorINS9_10device_ptrIiEEEESE_PS5_SF_jNS0_19identity_decomposerENS1_16block_id_wrapperIjLb1EEEEE10hipError_tT1_PNSt15iterator_traitsISK_E10value_typeET2_T3_PNSL_ISQ_E10value_typeET4_T5_PSV_SW_PNS1_23onesweep_lookback_stateEbbT6_jjT7_P12ihipStream_tbENKUlT_T0_SK_SP_E_clISE_PiSF_SF_EEDaS13_S14_SK_SP_EUlS13_E_NS1_11comp_targetILNS1_3genE5ELNS1_11target_archE942ELNS1_3gpuE9ELNS1_3repE0EEENS1_47radix_sort_onesweep_sort_config_static_selectorELNS0_4arch9wavefront6targetE0EEEvSK_, .Lfunc_end347-_ZN7rocprim17ROCPRIM_400000_NS6detail17trampoline_kernelINS0_14default_configENS1_35radix_sort_onesweep_config_selectorIiNS0_10empty_typeEEEZZNS1_29radix_sort_onesweep_iterationIS3_Lb1EN6thrust23THRUST_200600_302600_NS6detail15normal_iteratorINS9_10device_ptrIiEEEESE_PS5_SF_jNS0_19identity_decomposerENS1_16block_id_wrapperIjLb1EEEEE10hipError_tT1_PNSt15iterator_traitsISK_E10value_typeET2_T3_PNSL_ISQ_E10value_typeET4_T5_PSV_SW_PNS1_23onesweep_lookback_stateEbbT6_jjT7_P12ihipStream_tbENKUlT_T0_SK_SP_E_clISE_PiSF_SF_EEDaS13_S14_SK_SP_EUlS13_E_NS1_11comp_targetILNS1_3genE5ELNS1_11target_archE942ELNS1_3gpuE9ELNS1_3repE0EEENS1_47radix_sort_onesweep_sort_config_static_selectorELNS0_4arch9wavefront6targetE0EEEvSK_
                                        ; -- End function
	.set _ZN7rocprim17ROCPRIM_400000_NS6detail17trampoline_kernelINS0_14default_configENS1_35radix_sort_onesweep_config_selectorIiNS0_10empty_typeEEEZZNS1_29radix_sort_onesweep_iterationIS3_Lb1EN6thrust23THRUST_200600_302600_NS6detail15normal_iteratorINS9_10device_ptrIiEEEESE_PS5_SF_jNS0_19identity_decomposerENS1_16block_id_wrapperIjLb1EEEEE10hipError_tT1_PNSt15iterator_traitsISK_E10value_typeET2_T3_PNSL_ISQ_E10value_typeET4_T5_PSV_SW_PNS1_23onesweep_lookback_stateEbbT6_jjT7_P12ihipStream_tbENKUlT_T0_SK_SP_E_clISE_PiSF_SF_EEDaS13_S14_SK_SP_EUlS13_E_NS1_11comp_targetILNS1_3genE5ELNS1_11target_archE942ELNS1_3gpuE9ELNS1_3repE0EEENS1_47radix_sort_onesweep_sort_config_static_selectorELNS0_4arch9wavefront6targetE0EEEvSK_.num_vgpr, 0
	.set _ZN7rocprim17ROCPRIM_400000_NS6detail17trampoline_kernelINS0_14default_configENS1_35radix_sort_onesweep_config_selectorIiNS0_10empty_typeEEEZZNS1_29radix_sort_onesweep_iterationIS3_Lb1EN6thrust23THRUST_200600_302600_NS6detail15normal_iteratorINS9_10device_ptrIiEEEESE_PS5_SF_jNS0_19identity_decomposerENS1_16block_id_wrapperIjLb1EEEEE10hipError_tT1_PNSt15iterator_traitsISK_E10value_typeET2_T3_PNSL_ISQ_E10value_typeET4_T5_PSV_SW_PNS1_23onesweep_lookback_stateEbbT6_jjT7_P12ihipStream_tbENKUlT_T0_SK_SP_E_clISE_PiSF_SF_EEDaS13_S14_SK_SP_EUlS13_E_NS1_11comp_targetILNS1_3genE5ELNS1_11target_archE942ELNS1_3gpuE9ELNS1_3repE0EEENS1_47radix_sort_onesweep_sort_config_static_selectorELNS0_4arch9wavefront6targetE0EEEvSK_.num_agpr, 0
	.set _ZN7rocprim17ROCPRIM_400000_NS6detail17trampoline_kernelINS0_14default_configENS1_35radix_sort_onesweep_config_selectorIiNS0_10empty_typeEEEZZNS1_29radix_sort_onesweep_iterationIS3_Lb1EN6thrust23THRUST_200600_302600_NS6detail15normal_iteratorINS9_10device_ptrIiEEEESE_PS5_SF_jNS0_19identity_decomposerENS1_16block_id_wrapperIjLb1EEEEE10hipError_tT1_PNSt15iterator_traitsISK_E10value_typeET2_T3_PNSL_ISQ_E10value_typeET4_T5_PSV_SW_PNS1_23onesweep_lookback_stateEbbT6_jjT7_P12ihipStream_tbENKUlT_T0_SK_SP_E_clISE_PiSF_SF_EEDaS13_S14_SK_SP_EUlS13_E_NS1_11comp_targetILNS1_3genE5ELNS1_11target_archE942ELNS1_3gpuE9ELNS1_3repE0EEENS1_47radix_sort_onesweep_sort_config_static_selectorELNS0_4arch9wavefront6targetE0EEEvSK_.numbered_sgpr, 0
	.set _ZN7rocprim17ROCPRIM_400000_NS6detail17trampoline_kernelINS0_14default_configENS1_35radix_sort_onesweep_config_selectorIiNS0_10empty_typeEEEZZNS1_29radix_sort_onesweep_iterationIS3_Lb1EN6thrust23THRUST_200600_302600_NS6detail15normal_iteratorINS9_10device_ptrIiEEEESE_PS5_SF_jNS0_19identity_decomposerENS1_16block_id_wrapperIjLb1EEEEE10hipError_tT1_PNSt15iterator_traitsISK_E10value_typeET2_T3_PNSL_ISQ_E10value_typeET4_T5_PSV_SW_PNS1_23onesweep_lookback_stateEbbT6_jjT7_P12ihipStream_tbENKUlT_T0_SK_SP_E_clISE_PiSF_SF_EEDaS13_S14_SK_SP_EUlS13_E_NS1_11comp_targetILNS1_3genE5ELNS1_11target_archE942ELNS1_3gpuE9ELNS1_3repE0EEENS1_47radix_sort_onesweep_sort_config_static_selectorELNS0_4arch9wavefront6targetE0EEEvSK_.num_named_barrier, 0
	.set _ZN7rocprim17ROCPRIM_400000_NS6detail17trampoline_kernelINS0_14default_configENS1_35radix_sort_onesweep_config_selectorIiNS0_10empty_typeEEEZZNS1_29radix_sort_onesweep_iterationIS3_Lb1EN6thrust23THRUST_200600_302600_NS6detail15normal_iteratorINS9_10device_ptrIiEEEESE_PS5_SF_jNS0_19identity_decomposerENS1_16block_id_wrapperIjLb1EEEEE10hipError_tT1_PNSt15iterator_traitsISK_E10value_typeET2_T3_PNSL_ISQ_E10value_typeET4_T5_PSV_SW_PNS1_23onesweep_lookback_stateEbbT6_jjT7_P12ihipStream_tbENKUlT_T0_SK_SP_E_clISE_PiSF_SF_EEDaS13_S14_SK_SP_EUlS13_E_NS1_11comp_targetILNS1_3genE5ELNS1_11target_archE942ELNS1_3gpuE9ELNS1_3repE0EEENS1_47radix_sort_onesweep_sort_config_static_selectorELNS0_4arch9wavefront6targetE0EEEvSK_.private_seg_size, 0
	.set _ZN7rocprim17ROCPRIM_400000_NS6detail17trampoline_kernelINS0_14default_configENS1_35radix_sort_onesweep_config_selectorIiNS0_10empty_typeEEEZZNS1_29radix_sort_onesweep_iterationIS3_Lb1EN6thrust23THRUST_200600_302600_NS6detail15normal_iteratorINS9_10device_ptrIiEEEESE_PS5_SF_jNS0_19identity_decomposerENS1_16block_id_wrapperIjLb1EEEEE10hipError_tT1_PNSt15iterator_traitsISK_E10value_typeET2_T3_PNSL_ISQ_E10value_typeET4_T5_PSV_SW_PNS1_23onesweep_lookback_stateEbbT6_jjT7_P12ihipStream_tbENKUlT_T0_SK_SP_E_clISE_PiSF_SF_EEDaS13_S14_SK_SP_EUlS13_E_NS1_11comp_targetILNS1_3genE5ELNS1_11target_archE942ELNS1_3gpuE9ELNS1_3repE0EEENS1_47radix_sort_onesweep_sort_config_static_selectorELNS0_4arch9wavefront6targetE0EEEvSK_.uses_vcc, 0
	.set _ZN7rocprim17ROCPRIM_400000_NS6detail17trampoline_kernelINS0_14default_configENS1_35radix_sort_onesweep_config_selectorIiNS0_10empty_typeEEEZZNS1_29radix_sort_onesweep_iterationIS3_Lb1EN6thrust23THRUST_200600_302600_NS6detail15normal_iteratorINS9_10device_ptrIiEEEESE_PS5_SF_jNS0_19identity_decomposerENS1_16block_id_wrapperIjLb1EEEEE10hipError_tT1_PNSt15iterator_traitsISK_E10value_typeET2_T3_PNSL_ISQ_E10value_typeET4_T5_PSV_SW_PNS1_23onesweep_lookback_stateEbbT6_jjT7_P12ihipStream_tbENKUlT_T0_SK_SP_E_clISE_PiSF_SF_EEDaS13_S14_SK_SP_EUlS13_E_NS1_11comp_targetILNS1_3genE5ELNS1_11target_archE942ELNS1_3gpuE9ELNS1_3repE0EEENS1_47radix_sort_onesweep_sort_config_static_selectorELNS0_4arch9wavefront6targetE0EEEvSK_.uses_flat_scratch, 0
	.set _ZN7rocprim17ROCPRIM_400000_NS6detail17trampoline_kernelINS0_14default_configENS1_35radix_sort_onesweep_config_selectorIiNS0_10empty_typeEEEZZNS1_29radix_sort_onesweep_iterationIS3_Lb1EN6thrust23THRUST_200600_302600_NS6detail15normal_iteratorINS9_10device_ptrIiEEEESE_PS5_SF_jNS0_19identity_decomposerENS1_16block_id_wrapperIjLb1EEEEE10hipError_tT1_PNSt15iterator_traitsISK_E10value_typeET2_T3_PNSL_ISQ_E10value_typeET4_T5_PSV_SW_PNS1_23onesweep_lookback_stateEbbT6_jjT7_P12ihipStream_tbENKUlT_T0_SK_SP_E_clISE_PiSF_SF_EEDaS13_S14_SK_SP_EUlS13_E_NS1_11comp_targetILNS1_3genE5ELNS1_11target_archE942ELNS1_3gpuE9ELNS1_3repE0EEENS1_47radix_sort_onesweep_sort_config_static_selectorELNS0_4arch9wavefront6targetE0EEEvSK_.has_dyn_sized_stack, 0
	.set _ZN7rocprim17ROCPRIM_400000_NS6detail17trampoline_kernelINS0_14default_configENS1_35radix_sort_onesweep_config_selectorIiNS0_10empty_typeEEEZZNS1_29radix_sort_onesweep_iterationIS3_Lb1EN6thrust23THRUST_200600_302600_NS6detail15normal_iteratorINS9_10device_ptrIiEEEESE_PS5_SF_jNS0_19identity_decomposerENS1_16block_id_wrapperIjLb1EEEEE10hipError_tT1_PNSt15iterator_traitsISK_E10value_typeET2_T3_PNSL_ISQ_E10value_typeET4_T5_PSV_SW_PNS1_23onesweep_lookback_stateEbbT6_jjT7_P12ihipStream_tbENKUlT_T0_SK_SP_E_clISE_PiSF_SF_EEDaS13_S14_SK_SP_EUlS13_E_NS1_11comp_targetILNS1_3genE5ELNS1_11target_archE942ELNS1_3gpuE9ELNS1_3repE0EEENS1_47radix_sort_onesweep_sort_config_static_selectorELNS0_4arch9wavefront6targetE0EEEvSK_.has_recursion, 0
	.set _ZN7rocprim17ROCPRIM_400000_NS6detail17trampoline_kernelINS0_14default_configENS1_35radix_sort_onesweep_config_selectorIiNS0_10empty_typeEEEZZNS1_29radix_sort_onesweep_iterationIS3_Lb1EN6thrust23THRUST_200600_302600_NS6detail15normal_iteratorINS9_10device_ptrIiEEEESE_PS5_SF_jNS0_19identity_decomposerENS1_16block_id_wrapperIjLb1EEEEE10hipError_tT1_PNSt15iterator_traitsISK_E10value_typeET2_T3_PNSL_ISQ_E10value_typeET4_T5_PSV_SW_PNS1_23onesweep_lookback_stateEbbT6_jjT7_P12ihipStream_tbENKUlT_T0_SK_SP_E_clISE_PiSF_SF_EEDaS13_S14_SK_SP_EUlS13_E_NS1_11comp_targetILNS1_3genE5ELNS1_11target_archE942ELNS1_3gpuE9ELNS1_3repE0EEENS1_47radix_sort_onesweep_sort_config_static_selectorELNS0_4arch9wavefront6targetE0EEEvSK_.has_indirect_call, 0
	.section	.AMDGPU.csdata,"",@progbits
; Kernel info:
; codeLenInByte = 0
; TotalNumSgprs: 0
; NumVgprs: 0
; ScratchSize: 0
; MemoryBound: 0
; FloatMode: 240
; IeeeMode: 1
; LDSByteSize: 0 bytes/workgroup (compile time only)
; SGPRBlocks: 0
; VGPRBlocks: 0
; NumSGPRsForWavesPerEU: 1
; NumVGPRsForWavesPerEU: 1
; Occupancy: 16
; WaveLimiterHint : 0
; COMPUTE_PGM_RSRC2:SCRATCH_EN: 0
; COMPUTE_PGM_RSRC2:USER_SGPR: 6
; COMPUTE_PGM_RSRC2:TRAP_HANDLER: 0
; COMPUTE_PGM_RSRC2:TGID_X_EN: 1
; COMPUTE_PGM_RSRC2:TGID_Y_EN: 0
; COMPUTE_PGM_RSRC2:TGID_Z_EN: 0
; COMPUTE_PGM_RSRC2:TIDIG_COMP_CNT: 0
	.section	.text._ZN7rocprim17ROCPRIM_400000_NS6detail17trampoline_kernelINS0_14default_configENS1_35radix_sort_onesweep_config_selectorIiNS0_10empty_typeEEEZZNS1_29radix_sort_onesweep_iterationIS3_Lb1EN6thrust23THRUST_200600_302600_NS6detail15normal_iteratorINS9_10device_ptrIiEEEESE_PS5_SF_jNS0_19identity_decomposerENS1_16block_id_wrapperIjLb1EEEEE10hipError_tT1_PNSt15iterator_traitsISK_E10value_typeET2_T3_PNSL_ISQ_E10value_typeET4_T5_PSV_SW_PNS1_23onesweep_lookback_stateEbbT6_jjT7_P12ihipStream_tbENKUlT_T0_SK_SP_E_clISE_PiSF_SF_EEDaS13_S14_SK_SP_EUlS13_E_NS1_11comp_targetILNS1_3genE2ELNS1_11target_archE906ELNS1_3gpuE6ELNS1_3repE0EEENS1_47radix_sort_onesweep_sort_config_static_selectorELNS0_4arch9wavefront6targetE0EEEvSK_,"axG",@progbits,_ZN7rocprim17ROCPRIM_400000_NS6detail17trampoline_kernelINS0_14default_configENS1_35radix_sort_onesweep_config_selectorIiNS0_10empty_typeEEEZZNS1_29radix_sort_onesweep_iterationIS3_Lb1EN6thrust23THRUST_200600_302600_NS6detail15normal_iteratorINS9_10device_ptrIiEEEESE_PS5_SF_jNS0_19identity_decomposerENS1_16block_id_wrapperIjLb1EEEEE10hipError_tT1_PNSt15iterator_traitsISK_E10value_typeET2_T3_PNSL_ISQ_E10value_typeET4_T5_PSV_SW_PNS1_23onesweep_lookback_stateEbbT6_jjT7_P12ihipStream_tbENKUlT_T0_SK_SP_E_clISE_PiSF_SF_EEDaS13_S14_SK_SP_EUlS13_E_NS1_11comp_targetILNS1_3genE2ELNS1_11target_archE906ELNS1_3gpuE6ELNS1_3repE0EEENS1_47radix_sort_onesweep_sort_config_static_selectorELNS0_4arch9wavefront6targetE0EEEvSK_,comdat
	.protected	_ZN7rocprim17ROCPRIM_400000_NS6detail17trampoline_kernelINS0_14default_configENS1_35radix_sort_onesweep_config_selectorIiNS0_10empty_typeEEEZZNS1_29radix_sort_onesweep_iterationIS3_Lb1EN6thrust23THRUST_200600_302600_NS6detail15normal_iteratorINS9_10device_ptrIiEEEESE_PS5_SF_jNS0_19identity_decomposerENS1_16block_id_wrapperIjLb1EEEEE10hipError_tT1_PNSt15iterator_traitsISK_E10value_typeET2_T3_PNSL_ISQ_E10value_typeET4_T5_PSV_SW_PNS1_23onesweep_lookback_stateEbbT6_jjT7_P12ihipStream_tbENKUlT_T0_SK_SP_E_clISE_PiSF_SF_EEDaS13_S14_SK_SP_EUlS13_E_NS1_11comp_targetILNS1_3genE2ELNS1_11target_archE906ELNS1_3gpuE6ELNS1_3repE0EEENS1_47radix_sort_onesweep_sort_config_static_selectorELNS0_4arch9wavefront6targetE0EEEvSK_ ; -- Begin function _ZN7rocprim17ROCPRIM_400000_NS6detail17trampoline_kernelINS0_14default_configENS1_35radix_sort_onesweep_config_selectorIiNS0_10empty_typeEEEZZNS1_29radix_sort_onesweep_iterationIS3_Lb1EN6thrust23THRUST_200600_302600_NS6detail15normal_iteratorINS9_10device_ptrIiEEEESE_PS5_SF_jNS0_19identity_decomposerENS1_16block_id_wrapperIjLb1EEEEE10hipError_tT1_PNSt15iterator_traitsISK_E10value_typeET2_T3_PNSL_ISQ_E10value_typeET4_T5_PSV_SW_PNS1_23onesweep_lookback_stateEbbT6_jjT7_P12ihipStream_tbENKUlT_T0_SK_SP_E_clISE_PiSF_SF_EEDaS13_S14_SK_SP_EUlS13_E_NS1_11comp_targetILNS1_3genE2ELNS1_11target_archE906ELNS1_3gpuE6ELNS1_3repE0EEENS1_47radix_sort_onesweep_sort_config_static_selectorELNS0_4arch9wavefront6targetE0EEEvSK_
	.globl	_ZN7rocprim17ROCPRIM_400000_NS6detail17trampoline_kernelINS0_14default_configENS1_35radix_sort_onesweep_config_selectorIiNS0_10empty_typeEEEZZNS1_29radix_sort_onesweep_iterationIS3_Lb1EN6thrust23THRUST_200600_302600_NS6detail15normal_iteratorINS9_10device_ptrIiEEEESE_PS5_SF_jNS0_19identity_decomposerENS1_16block_id_wrapperIjLb1EEEEE10hipError_tT1_PNSt15iterator_traitsISK_E10value_typeET2_T3_PNSL_ISQ_E10value_typeET4_T5_PSV_SW_PNS1_23onesweep_lookback_stateEbbT6_jjT7_P12ihipStream_tbENKUlT_T0_SK_SP_E_clISE_PiSF_SF_EEDaS13_S14_SK_SP_EUlS13_E_NS1_11comp_targetILNS1_3genE2ELNS1_11target_archE906ELNS1_3gpuE6ELNS1_3repE0EEENS1_47radix_sort_onesweep_sort_config_static_selectorELNS0_4arch9wavefront6targetE0EEEvSK_
	.p2align	8
	.type	_ZN7rocprim17ROCPRIM_400000_NS6detail17trampoline_kernelINS0_14default_configENS1_35radix_sort_onesweep_config_selectorIiNS0_10empty_typeEEEZZNS1_29radix_sort_onesweep_iterationIS3_Lb1EN6thrust23THRUST_200600_302600_NS6detail15normal_iteratorINS9_10device_ptrIiEEEESE_PS5_SF_jNS0_19identity_decomposerENS1_16block_id_wrapperIjLb1EEEEE10hipError_tT1_PNSt15iterator_traitsISK_E10value_typeET2_T3_PNSL_ISQ_E10value_typeET4_T5_PSV_SW_PNS1_23onesweep_lookback_stateEbbT6_jjT7_P12ihipStream_tbENKUlT_T0_SK_SP_E_clISE_PiSF_SF_EEDaS13_S14_SK_SP_EUlS13_E_NS1_11comp_targetILNS1_3genE2ELNS1_11target_archE906ELNS1_3gpuE6ELNS1_3repE0EEENS1_47radix_sort_onesweep_sort_config_static_selectorELNS0_4arch9wavefront6targetE0EEEvSK_,@function
_ZN7rocprim17ROCPRIM_400000_NS6detail17trampoline_kernelINS0_14default_configENS1_35radix_sort_onesweep_config_selectorIiNS0_10empty_typeEEEZZNS1_29radix_sort_onesweep_iterationIS3_Lb1EN6thrust23THRUST_200600_302600_NS6detail15normal_iteratorINS9_10device_ptrIiEEEESE_PS5_SF_jNS0_19identity_decomposerENS1_16block_id_wrapperIjLb1EEEEE10hipError_tT1_PNSt15iterator_traitsISK_E10value_typeET2_T3_PNSL_ISQ_E10value_typeET4_T5_PSV_SW_PNS1_23onesweep_lookback_stateEbbT6_jjT7_P12ihipStream_tbENKUlT_T0_SK_SP_E_clISE_PiSF_SF_EEDaS13_S14_SK_SP_EUlS13_E_NS1_11comp_targetILNS1_3genE2ELNS1_11target_archE906ELNS1_3gpuE6ELNS1_3repE0EEENS1_47radix_sort_onesweep_sort_config_static_selectorELNS0_4arch9wavefront6targetE0EEEvSK_: ; @_ZN7rocprim17ROCPRIM_400000_NS6detail17trampoline_kernelINS0_14default_configENS1_35radix_sort_onesweep_config_selectorIiNS0_10empty_typeEEEZZNS1_29radix_sort_onesweep_iterationIS3_Lb1EN6thrust23THRUST_200600_302600_NS6detail15normal_iteratorINS9_10device_ptrIiEEEESE_PS5_SF_jNS0_19identity_decomposerENS1_16block_id_wrapperIjLb1EEEEE10hipError_tT1_PNSt15iterator_traitsISK_E10value_typeET2_T3_PNSL_ISQ_E10value_typeET4_T5_PSV_SW_PNS1_23onesweep_lookback_stateEbbT6_jjT7_P12ihipStream_tbENKUlT_T0_SK_SP_E_clISE_PiSF_SF_EEDaS13_S14_SK_SP_EUlS13_E_NS1_11comp_targetILNS1_3genE2ELNS1_11target_archE906ELNS1_3gpuE6ELNS1_3repE0EEENS1_47radix_sort_onesweep_sort_config_static_selectorELNS0_4arch9wavefront6targetE0EEEvSK_
; %bb.0:
	.section	.rodata,"a",@progbits
	.p2align	6, 0x0
	.amdhsa_kernel _ZN7rocprim17ROCPRIM_400000_NS6detail17trampoline_kernelINS0_14default_configENS1_35radix_sort_onesweep_config_selectorIiNS0_10empty_typeEEEZZNS1_29radix_sort_onesweep_iterationIS3_Lb1EN6thrust23THRUST_200600_302600_NS6detail15normal_iteratorINS9_10device_ptrIiEEEESE_PS5_SF_jNS0_19identity_decomposerENS1_16block_id_wrapperIjLb1EEEEE10hipError_tT1_PNSt15iterator_traitsISK_E10value_typeET2_T3_PNSL_ISQ_E10value_typeET4_T5_PSV_SW_PNS1_23onesweep_lookback_stateEbbT6_jjT7_P12ihipStream_tbENKUlT_T0_SK_SP_E_clISE_PiSF_SF_EEDaS13_S14_SK_SP_EUlS13_E_NS1_11comp_targetILNS1_3genE2ELNS1_11target_archE906ELNS1_3gpuE6ELNS1_3repE0EEENS1_47radix_sort_onesweep_sort_config_static_selectorELNS0_4arch9wavefront6targetE0EEEvSK_
		.amdhsa_group_segment_fixed_size 0
		.amdhsa_private_segment_fixed_size 0
		.amdhsa_kernarg_size 88
		.amdhsa_user_sgpr_count 6
		.amdhsa_user_sgpr_private_segment_buffer 1
		.amdhsa_user_sgpr_dispatch_ptr 0
		.amdhsa_user_sgpr_queue_ptr 0
		.amdhsa_user_sgpr_kernarg_segment_ptr 1
		.amdhsa_user_sgpr_dispatch_id 0
		.amdhsa_user_sgpr_flat_scratch_init 0
		.amdhsa_user_sgpr_private_segment_size 0
		.amdhsa_wavefront_size32 1
		.amdhsa_uses_dynamic_stack 0
		.amdhsa_system_sgpr_private_segment_wavefront_offset 0
		.amdhsa_system_sgpr_workgroup_id_x 1
		.amdhsa_system_sgpr_workgroup_id_y 0
		.amdhsa_system_sgpr_workgroup_id_z 0
		.amdhsa_system_sgpr_workgroup_info 0
		.amdhsa_system_vgpr_workitem_id 0
		.amdhsa_next_free_vgpr 1
		.amdhsa_next_free_sgpr 1
		.amdhsa_reserve_vcc 0
		.amdhsa_reserve_flat_scratch 0
		.amdhsa_float_round_mode_32 0
		.amdhsa_float_round_mode_16_64 0
		.amdhsa_float_denorm_mode_32 3
		.amdhsa_float_denorm_mode_16_64 3
		.amdhsa_dx10_clamp 1
		.amdhsa_ieee_mode 1
		.amdhsa_fp16_overflow 0
		.amdhsa_workgroup_processor_mode 1
		.amdhsa_memory_ordered 1
		.amdhsa_forward_progress 1
		.amdhsa_shared_vgpr_count 0
		.amdhsa_exception_fp_ieee_invalid_op 0
		.amdhsa_exception_fp_denorm_src 0
		.amdhsa_exception_fp_ieee_div_zero 0
		.amdhsa_exception_fp_ieee_overflow 0
		.amdhsa_exception_fp_ieee_underflow 0
		.amdhsa_exception_fp_ieee_inexact 0
		.amdhsa_exception_int_div_zero 0
	.end_amdhsa_kernel
	.section	.text._ZN7rocprim17ROCPRIM_400000_NS6detail17trampoline_kernelINS0_14default_configENS1_35radix_sort_onesweep_config_selectorIiNS0_10empty_typeEEEZZNS1_29radix_sort_onesweep_iterationIS3_Lb1EN6thrust23THRUST_200600_302600_NS6detail15normal_iteratorINS9_10device_ptrIiEEEESE_PS5_SF_jNS0_19identity_decomposerENS1_16block_id_wrapperIjLb1EEEEE10hipError_tT1_PNSt15iterator_traitsISK_E10value_typeET2_T3_PNSL_ISQ_E10value_typeET4_T5_PSV_SW_PNS1_23onesweep_lookback_stateEbbT6_jjT7_P12ihipStream_tbENKUlT_T0_SK_SP_E_clISE_PiSF_SF_EEDaS13_S14_SK_SP_EUlS13_E_NS1_11comp_targetILNS1_3genE2ELNS1_11target_archE906ELNS1_3gpuE6ELNS1_3repE0EEENS1_47radix_sort_onesweep_sort_config_static_selectorELNS0_4arch9wavefront6targetE0EEEvSK_,"axG",@progbits,_ZN7rocprim17ROCPRIM_400000_NS6detail17trampoline_kernelINS0_14default_configENS1_35radix_sort_onesweep_config_selectorIiNS0_10empty_typeEEEZZNS1_29radix_sort_onesweep_iterationIS3_Lb1EN6thrust23THRUST_200600_302600_NS6detail15normal_iteratorINS9_10device_ptrIiEEEESE_PS5_SF_jNS0_19identity_decomposerENS1_16block_id_wrapperIjLb1EEEEE10hipError_tT1_PNSt15iterator_traitsISK_E10value_typeET2_T3_PNSL_ISQ_E10value_typeET4_T5_PSV_SW_PNS1_23onesweep_lookback_stateEbbT6_jjT7_P12ihipStream_tbENKUlT_T0_SK_SP_E_clISE_PiSF_SF_EEDaS13_S14_SK_SP_EUlS13_E_NS1_11comp_targetILNS1_3genE2ELNS1_11target_archE906ELNS1_3gpuE6ELNS1_3repE0EEENS1_47radix_sort_onesweep_sort_config_static_selectorELNS0_4arch9wavefront6targetE0EEEvSK_,comdat
.Lfunc_end348:
	.size	_ZN7rocprim17ROCPRIM_400000_NS6detail17trampoline_kernelINS0_14default_configENS1_35radix_sort_onesweep_config_selectorIiNS0_10empty_typeEEEZZNS1_29radix_sort_onesweep_iterationIS3_Lb1EN6thrust23THRUST_200600_302600_NS6detail15normal_iteratorINS9_10device_ptrIiEEEESE_PS5_SF_jNS0_19identity_decomposerENS1_16block_id_wrapperIjLb1EEEEE10hipError_tT1_PNSt15iterator_traitsISK_E10value_typeET2_T3_PNSL_ISQ_E10value_typeET4_T5_PSV_SW_PNS1_23onesweep_lookback_stateEbbT6_jjT7_P12ihipStream_tbENKUlT_T0_SK_SP_E_clISE_PiSF_SF_EEDaS13_S14_SK_SP_EUlS13_E_NS1_11comp_targetILNS1_3genE2ELNS1_11target_archE906ELNS1_3gpuE6ELNS1_3repE0EEENS1_47radix_sort_onesweep_sort_config_static_selectorELNS0_4arch9wavefront6targetE0EEEvSK_, .Lfunc_end348-_ZN7rocprim17ROCPRIM_400000_NS6detail17trampoline_kernelINS0_14default_configENS1_35radix_sort_onesweep_config_selectorIiNS0_10empty_typeEEEZZNS1_29radix_sort_onesweep_iterationIS3_Lb1EN6thrust23THRUST_200600_302600_NS6detail15normal_iteratorINS9_10device_ptrIiEEEESE_PS5_SF_jNS0_19identity_decomposerENS1_16block_id_wrapperIjLb1EEEEE10hipError_tT1_PNSt15iterator_traitsISK_E10value_typeET2_T3_PNSL_ISQ_E10value_typeET4_T5_PSV_SW_PNS1_23onesweep_lookback_stateEbbT6_jjT7_P12ihipStream_tbENKUlT_T0_SK_SP_E_clISE_PiSF_SF_EEDaS13_S14_SK_SP_EUlS13_E_NS1_11comp_targetILNS1_3genE2ELNS1_11target_archE906ELNS1_3gpuE6ELNS1_3repE0EEENS1_47radix_sort_onesweep_sort_config_static_selectorELNS0_4arch9wavefront6targetE0EEEvSK_
                                        ; -- End function
	.set _ZN7rocprim17ROCPRIM_400000_NS6detail17trampoline_kernelINS0_14default_configENS1_35radix_sort_onesweep_config_selectorIiNS0_10empty_typeEEEZZNS1_29radix_sort_onesweep_iterationIS3_Lb1EN6thrust23THRUST_200600_302600_NS6detail15normal_iteratorINS9_10device_ptrIiEEEESE_PS5_SF_jNS0_19identity_decomposerENS1_16block_id_wrapperIjLb1EEEEE10hipError_tT1_PNSt15iterator_traitsISK_E10value_typeET2_T3_PNSL_ISQ_E10value_typeET4_T5_PSV_SW_PNS1_23onesweep_lookback_stateEbbT6_jjT7_P12ihipStream_tbENKUlT_T0_SK_SP_E_clISE_PiSF_SF_EEDaS13_S14_SK_SP_EUlS13_E_NS1_11comp_targetILNS1_3genE2ELNS1_11target_archE906ELNS1_3gpuE6ELNS1_3repE0EEENS1_47radix_sort_onesweep_sort_config_static_selectorELNS0_4arch9wavefront6targetE0EEEvSK_.num_vgpr, 0
	.set _ZN7rocprim17ROCPRIM_400000_NS6detail17trampoline_kernelINS0_14default_configENS1_35radix_sort_onesweep_config_selectorIiNS0_10empty_typeEEEZZNS1_29radix_sort_onesweep_iterationIS3_Lb1EN6thrust23THRUST_200600_302600_NS6detail15normal_iteratorINS9_10device_ptrIiEEEESE_PS5_SF_jNS0_19identity_decomposerENS1_16block_id_wrapperIjLb1EEEEE10hipError_tT1_PNSt15iterator_traitsISK_E10value_typeET2_T3_PNSL_ISQ_E10value_typeET4_T5_PSV_SW_PNS1_23onesweep_lookback_stateEbbT6_jjT7_P12ihipStream_tbENKUlT_T0_SK_SP_E_clISE_PiSF_SF_EEDaS13_S14_SK_SP_EUlS13_E_NS1_11comp_targetILNS1_3genE2ELNS1_11target_archE906ELNS1_3gpuE6ELNS1_3repE0EEENS1_47radix_sort_onesweep_sort_config_static_selectorELNS0_4arch9wavefront6targetE0EEEvSK_.num_agpr, 0
	.set _ZN7rocprim17ROCPRIM_400000_NS6detail17trampoline_kernelINS0_14default_configENS1_35radix_sort_onesweep_config_selectorIiNS0_10empty_typeEEEZZNS1_29radix_sort_onesweep_iterationIS3_Lb1EN6thrust23THRUST_200600_302600_NS6detail15normal_iteratorINS9_10device_ptrIiEEEESE_PS5_SF_jNS0_19identity_decomposerENS1_16block_id_wrapperIjLb1EEEEE10hipError_tT1_PNSt15iterator_traitsISK_E10value_typeET2_T3_PNSL_ISQ_E10value_typeET4_T5_PSV_SW_PNS1_23onesweep_lookback_stateEbbT6_jjT7_P12ihipStream_tbENKUlT_T0_SK_SP_E_clISE_PiSF_SF_EEDaS13_S14_SK_SP_EUlS13_E_NS1_11comp_targetILNS1_3genE2ELNS1_11target_archE906ELNS1_3gpuE6ELNS1_3repE0EEENS1_47radix_sort_onesweep_sort_config_static_selectorELNS0_4arch9wavefront6targetE0EEEvSK_.numbered_sgpr, 0
	.set _ZN7rocprim17ROCPRIM_400000_NS6detail17trampoline_kernelINS0_14default_configENS1_35radix_sort_onesweep_config_selectorIiNS0_10empty_typeEEEZZNS1_29radix_sort_onesweep_iterationIS3_Lb1EN6thrust23THRUST_200600_302600_NS6detail15normal_iteratorINS9_10device_ptrIiEEEESE_PS5_SF_jNS0_19identity_decomposerENS1_16block_id_wrapperIjLb1EEEEE10hipError_tT1_PNSt15iterator_traitsISK_E10value_typeET2_T3_PNSL_ISQ_E10value_typeET4_T5_PSV_SW_PNS1_23onesweep_lookback_stateEbbT6_jjT7_P12ihipStream_tbENKUlT_T0_SK_SP_E_clISE_PiSF_SF_EEDaS13_S14_SK_SP_EUlS13_E_NS1_11comp_targetILNS1_3genE2ELNS1_11target_archE906ELNS1_3gpuE6ELNS1_3repE0EEENS1_47radix_sort_onesweep_sort_config_static_selectorELNS0_4arch9wavefront6targetE0EEEvSK_.num_named_barrier, 0
	.set _ZN7rocprim17ROCPRIM_400000_NS6detail17trampoline_kernelINS0_14default_configENS1_35radix_sort_onesweep_config_selectorIiNS0_10empty_typeEEEZZNS1_29radix_sort_onesweep_iterationIS3_Lb1EN6thrust23THRUST_200600_302600_NS6detail15normal_iteratorINS9_10device_ptrIiEEEESE_PS5_SF_jNS0_19identity_decomposerENS1_16block_id_wrapperIjLb1EEEEE10hipError_tT1_PNSt15iterator_traitsISK_E10value_typeET2_T3_PNSL_ISQ_E10value_typeET4_T5_PSV_SW_PNS1_23onesweep_lookback_stateEbbT6_jjT7_P12ihipStream_tbENKUlT_T0_SK_SP_E_clISE_PiSF_SF_EEDaS13_S14_SK_SP_EUlS13_E_NS1_11comp_targetILNS1_3genE2ELNS1_11target_archE906ELNS1_3gpuE6ELNS1_3repE0EEENS1_47radix_sort_onesweep_sort_config_static_selectorELNS0_4arch9wavefront6targetE0EEEvSK_.private_seg_size, 0
	.set _ZN7rocprim17ROCPRIM_400000_NS6detail17trampoline_kernelINS0_14default_configENS1_35radix_sort_onesweep_config_selectorIiNS0_10empty_typeEEEZZNS1_29radix_sort_onesweep_iterationIS3_Lb1EN6thrust23THRUST_200600_302600_NS6detail15normal_iteratorINS9_10device_ptrIiEEEESE_PS5_SF_jNS0_19identity_decomposerENS1_16block_id_wrapperIjLb1EEEEE10hipError_tT1_PNSt15iterator_traitsISK_E10value_typeET2_T3_PNSL_ISQ_E10value_typeET4_T5_PSV_SW_PNS1_23onesweep_lookback_stateEbbT6_jjT7_P12ihipStream_tbENKUlT_T0_SK_SP_E_clISE_PiSF_SF_EEDaS13_S14_SK_SP_EUlS13_E_NS1_11comp_targetILNS1_3genE2ELNS1_11target_archE906ELNS1_3gpuE6ELNS1_3repE0EEENS1_47radix_sort_onesweep_sort_config_static_selectorELNS0_4arch9wavefront6targetE0EEEvSK_.uses_vcc, 0
	.set _ZN7rocprim17ROCPRIM_400000_NS6detail17trampoline_kernelINS0_14default_configENS1_35radix_sort_onesweep_config_selectorIiNS0_10empty_typeEEEZZNS1_29radix_sort_onesweep_iterationIS3_Lb1EN6thrust23THRUST_200600_302600_NS6detail15normal_iteratorINS9_10device_ptrIiEEEESE_PS5_SF_jNS0_19identity_decomposerENS1_16block_id_wrapperIjLb1EEEEE10hipError_tT1_PNSt15iterator_traitsISK_E10value_typeET2_T3_PNSL_ISQ_E10value_typeET4_T5_PSV_SW_PNS1_23onesweep_lookback_stateEbbT6_jjT7_P12ihipStream_tbENKUlT_T0_SK_SP_E_clISE_PiSF_SF_EEDaS13_S14_SK_SP_EUlS13_E_NS1_11comp_targetILNS1_3genE2ELNS1_11target_archE906ELNS1_3gpuE6ELNS1_3repE0EEENS1_47radix_sort_onesweep_sort_config_static_selectorELNS0_4arch9wavefront6targetE0EEEvSK_.uses_flat_scratch, 0
	.set _ZN7rocprim17ROCPRIM_400000_NS6detail17trampoline_kernelINS0_14default_configENS1_35radix_sort_onesweep_config_selectorIiNS0_10empty_typeEEEZZNS1_29radix_sort_onesweep_iterationIS3_Lb1EN6thrust23THRUST_200600_302600_NS6detail15normal_iteratorINS9_10device_ptrIiEEEESE_PS5_SF_jNS0_19identity_decomposerENS1_16block_id_wrapperIjLb1EEEEE10hipError_tT1_PNSt15iterator_traitsISK_E10value_typeET2_T3_PNSL_ISQ_E10value_typeET4_T5_PSV_SW_PNS1_23onesweep_lookback_stateEbbT6_jjT7_P12ihipStream_tbENKUlT_T0_SK_SP_E_clISE_PiSF_SF_EEDaS13_S14_SK_SP_EUlS13_E_NS1_11comp_targetILNS1_3genE2ELNS1_11target_archE906ELNS1_3gpuE6ELNS1_3repE0EEENS1_47radix_sort_onesweep_sort_config_static_selectorELNS0_4arch9wavefront6targetE0EEEvSK_.has_dyn_sized_stack, 0
	.set _ZN7rocprim17ROCPRIM_400000_NS6detail17trampoline_kernelINS0_14default_configENS1_35radix_sort_onesweep_config_selectorIiNS0_10empty_typeEEEZZNS1_29radix_sort_onesweep_iterationIS3_Lb1EN6thrust23THRUST_200600_302600_NS6detail15normal_iteratorINS9_10device_ptrIiEEEESE_PS5_SF_jNS0_19identity_decomposerENS1_16block_id_wrapperIjLb1EEEEE10hipError_tT1_PNSt15iterator_traitsISK_E10value_typeET2_T3_PNSL_ISQ_E10value_typeET4_T5_PSV_SW_PNS1_23onesweep_lookback_stateEbbT6_jjT7_P12ihipStream_tbENKUlT_T0_SK_SP_E_clISE_PiSF_SF_EEDaS13_S14_SK_SP_EUlS13_E_NS1_11comp_targetILNS1_3genE2ELNS1_11target_archE906ELNS1_3gpuE6ELNS1_3repE0EEENS1_47radix_sort_onesweep_sort_config_static_selectorELNS0_4arch9wavefront6targetE0EEEvSK_.has_recursion, 0
	.set _ZN7rocprim17ROCPRIM_400000_NS6detail17trampoline_kernelINS0_14default_configENS1_35radix_sort_onesweep_config_selectorIiNS0_10empty_typeEEEZZNS1_29radix_sort_onesweep_iterationIS3_Lb1EN6thrust23THRUST_200600_302600_NS6detail15normal_iteratorINS9_10device_ptrIiEEEESE_PS5_SF_jNS0_19identity_decomposerENS1_16block_id_wrapperIjLb1EEEEE10hipError_tT1_PNSt15iterator_traitsISK_E10value_typeET2_T3_PNSL_ISQ_E10value_typeET4_T5_PSV_SW_PNS1_23onesweep_lookback_stateEbbT6_jjT7_P12ihipStream_tbENKUlT_T0_SK_SP_E_clISE_PiSF_SF_EEDaS13_S14_SK_SP_EUlS13_E_NS1_11comp_targetILNS1_3genE2ELNS1_11target_archE906ELNS1_3gpuE6ELNS1_3repE0EEENS1_47radix_sort_onesweep_sort_config_static_selectorELNS0_4arch9wavefront6targetE0EEEvSK_.has_indirect_call, 0
	.section	.AMDGPU.csdata,"",@progbits
; Kernel info:
; codeLenInByte = 0
; TotalNumSgprs: 0
; NumVgprs: 0
; ScratchSize: 0
; MemoryBound: 0
; FloatMode: 240
; IeeeMode: 1
; LDSByteSize: 0 bytes/workgroup (compile time only)
; SGPRBlocks: 0
; VGPRBlocks: 0
; NumSGPRsForWavesPerEU: 1
; NumVGPRsForWavesPerEU: 1
; Occupancy: 16
; WaveLimiterHint : 0
; COMPUTE_PGM_RSRC2:SCRATCH_EN: 0
; COMPUTE_PGM_RSRC2:USER_SGPR: 6
; COMPUTE_PGM_RSRC2:TRAP_HANDLER: 0
; COMPUTE_PGM_RSRC2:TGID_X_EN: 1
; COMPUTE_PGM_RSRC2:TGID_Y_EN: 0
; COMPUTE_PGM_RSRC2:TGID_Z_EN: 0
; COMPUTE_PGM_RSRC2:TIDIG_COMP_CNT: 0
	.section	.text._ZN7rocprim17ROCPRIM_400000_NS6detail17trampoline_kernelINS0_14default_configENS1_35radix_sort_onesweep_config_selectorIiNS0_10empty_typeEEEZZNS1_29radix_sort_onesweep_iterationIS3_Lb1EN6thrust23THRUST_200600_302600_NS6detail15normal_iteratorINS9_10device_ptrIiEEEESE_PS5_SF_jNS0_19identity_decomposerENS1_16block_id_wrapperIjLb1EEEEE10hipError_tT1_PNSt15iterator_traitsISK_E10value_typeET2_T3_PNSL_ISQ_E10value_typeET4_T5_PSV_SW_PNS1_23onesweep_lookback_stateEbbT6_jjT7_P12ihipStream_tbENKUlT_T0_SK_SP_E_clISE_PiSF_SF_EEDaS13_S14_SK_SP_EUlS13_E_NS1_11comp_targetILNS1_3genE4ELNS1_11target_archE910ELNS1_3gpuE8ELNS1_3repE0EEENS1_47radix_sort_onesweep_sort_config_static_selectorELNS0_4arch9wavefront6targetE0EEEvSK_,"axG",@progbits,_ZN7rocprim17ROCPRIM_400000_NS6detail17trampoline_kernelINS0_14default_configENS1_35radix_sort_onesweep_config_selectorIiNS0_10empty_typeEEEZZNS1_29radix_sort_onesweep_iterationIS3_Lb1EN6thrust23THRUST_200600_302600_NS6detail15normal_iteratorINS9_10device_ptrIiEEEESE_PS5_SF_jNS0_19identity_decomposerENS1_16block_id_wrapperIjLb1EEEEE10hipError_tT1_PNSt15iterator_traitsISK_E10value_typeET2_T3_PNSL_ISQ_E10value_typeET4_T5_PSV_SW_PNS1_23onesweep_lookback_stateEbbT6_jjT7_P12ihipStream_tbENKUlT_T0_SK_SP_E_clISE_PiSF_SF_EEDaS13_S14_SK_SP_EUlS13_E_NS1_11comp_targetILNS1_3genE4ELNS1_11target_archE910ELNS1_3gpuE8ELNS1_3repE0EEENS1_47radix_sort_onesweep_sort_config_static_selectorELNS0_4arch9wavefront6targetE0EEEvSK_,comdat
	.protected	_ZN7rocprim17ROCPRIM_400000_NS6detail17trampoline_kernelINS0_14default_configENS1_35radix_sort_onesweep_config_selectorIiNS0_10empty_typeEEEZZNS1_29radix_sort_onesweep_iterationIS3_Lb1EN6thrust23THRUST_200600_302600_NS6detail15normal_iteratorINS9_10device_ptrIiEEEESE_PS5_SF_jNS0_19identity_decomposerENS1_16block_id_wrapperIjLb1EEEEE10hipError_tT1_PNSt15iterator_traitsISK_E10value_typeET2_T3_PNSL_ISQ_E10value_typeET4_T5_PSV_SW_PNS1_23onesweep_lookback_stateEbbT6_jjT7_P12ihipStream_tbENKUlT_T0_SK_SP_E_clISE_PiSF_SF_EEDaS13_S14_SK_SP_EUlS13_E_NS1_11comp_targetILNS1_3genE4ELNS1_11target_archE910ELNS1_3gpuE8ELNS1_3repE0EEENS1_47radix_sort_onesweep_sort_config_static_selectorELNS0_4arch9wavefront6targetE0EEEvSK_ ; -- Begin function _ZN7rocprim17ROCPRIM_400000_NS6detail17trampoline_kernelINS0_14default_configENS1_35radix_sort_onesweep_config_selectorIiNS0_10empty_typeEEEZZNS1_29radix_sort_onesweep_iterationIS3_Lb1EN6thrust23THRUST_200600_302600_NS6detail15normal_iteratorINS9_10device_ptrIiEEEESE_PS5_SF_jNS0_19identity_decomposerENS1_16block_id_wrapperIjLb1EEEEE10hipError_tT1_PNSt15iterator_traitsISK_E10value_typeET2_T3_PNSL_ISQ_E10value_typeET4_T5_PSV_SW_PNS1_23onesweep_lookback_stateEbbT6_jjT7_P12ihipStream_tbENKUlT_T0_SK_SP_E_clISE_PiSF_SF_EEDaS13_S14_SK_SP_EUlS13_E_NS1_11comp_targetILNS1_3genE4ELNS1_11target_archE910ELNS1_3gpuE8ELNS1_3repE0EEENS1_47radix_sort_onesweep_sort_config_static_selectorELNS0_4arch9wavefront6targetE0EEEvSK_
	.globl	_ZN7rocprim17ROCPRIM_400000_NS6detail17trampoline_kernelINS0_14default_configENS1_35radix_sort_onesweep_config_selectorIiNS0_10empty_typeEEEZZNS1_29radix_sort_onesweep_iterationIS3_Lb1EN6thrust23THRUST_200600_302600_NS6detail15normal_iteratorINS9_10device_ptrIiEEEESE_PS5_SF_jNS0_19identity_decomposerENS1_16block_id_wrapperIjLb1EEEEE10hipError_tT1_PNSt15iterator_traitsISK_E10value_typeET2_T3_PNSL_ISQ_E10value_typeET4_T5_PSV_SW_PNS1_23onesweep_lookback_stateEbbT6_jjT7_P12ihipStream_tbENKUlT_T0_SK_SP_E_clISE_PiSF_SF_EEDaS13_S14_SK_SP_EUlS13_E_NS1_11comp_targetILNS1_3genE4ELNS1_11target_archE910ELNS1_3gpuE8ELNS1_3repE0EEENS1_47radix_sort_onesweep_sort_config_static_selectorELNS0_4arch9wavefront6targetE0EEEvSK_
	.p2align	8
	.type	_ZN7rocprim17ROCPRIM_400000_NS6detail17trampoline_kernelINS0_14default_configENS1_35radix_sort_onesweep_config_selectorIiNS0_10empty_typeEEEZZNS1_29radix_sort_onesweep_iterationIS3_Lb1EN6thrust23THRUST_200600_302600_NS6detail15normal_iteratorINS9_10device_ptrIiEEEESE_PS5_SF_jNS0_19identity_decomposerENS1_16block_id_wrapperIjLb1EEEEE10hipError_tT1_PNSt15iterator_traitsISK_E10value_typeET2_T3_PNSL_ISQ_E10value_typeET4_T5_PSV_SW_PNS1_23onesweep_lookback_stateEbbT6_jjT7_P12ihipStream_tbENKUlT_T0_SK_SP_E_clISE_PiSF_SF_EEDaS13_S14_SK_SP_EUlS13_E_NS1_11comp_targetILNS1_3genE4ELNS1_11target_archE910ELNS1_3gpuE8ELNS1_3repE0EEENS1_47radix_sort_onesweep_sort_config_static_selectorELNS0_4arch9wavefront6targetE0EEEvSK_,@function
_ZN7rocprim17ROCPRIM_400000_NS6detail17trampoline_kernelINS0_14default_configENS1_35radix_sort_onesweep_config_selectorIiNS0_10empty_typeEEEZZNS1_29radix_sort_onesweep_iterationIS3_Lb1EN6thrust23THRUST_200600_302600_NS6detail15normal_iteratorINS9_10device_ptrIiEEEESE_PS5_SF_jNS0_19identity_decomposerENS1_16block_id_wrapperIjLb1EEEEE10hipError_tT1_PNSt15iterator_traitsISK_E10value_typeET2_T3_PNSL_ISQ_E10value_typeET4_T5_PSV_SW_PNS1_23onesweep_lookback_stateEbbT6_jjT7_P12ihipStream_tbENKUlT_T0_SK_SP_E_clISE_PiSF_SF_EEDaS13_S14_SK_SP_EUlS13_E_NS1_11comp_targetILNS1_3genE4ELNS1_11target_archE910ELNS1_3gpuE8ELNS1_3repE0EEENS1_47radix_sort_onesweep_sort_config_static_selectorELNS0_4arch9wavefront6targetE0EEEvSK_: ; @_ZN7rocprim17ROCPRIM_400000_NS6detail17trampoline_kernelINS0_14default_configENS1_35radix_sort_onesweep_config_selectorIiNS0_10empty_typeEEEZZNS1_29radix_sort_onesweep_iterationIS3_Lb1EN6thrust23THRUST_200600_302600_NS6detail15normal_iteratorINS9_10device_ptrIiEEEESE_PS5_SF_jNS0_19identity_decomposerENS1_16block_id_wrapperIjLb1EEEEE10hipError_tT1_PNSt15iterator_traitsISK_E10value_typeET2_T3_PNSL_ISQ_E10value_typeET4_T5_PSV_SW_PNS1_23onesweep_lookback_stateEbbT6_jjT7_P12ihipStream_tbENKUlT_T0_SK_SP_E_clISE_PiSF_SF_EEDaS13_S14_SK_SP_EUlS13_E_NS1_11comp_targetILNS1_3genE4ELNS1_11target_archE910ELNS1_3gpuE8ELNS1_3repE0EEENS1_47radix_sort_onesweep_sort_config_static_selectorELNS0_4arch9wavefront6targetE0EEEvSK_
; %bb.0:
	.section	.rodata,"a",@progbits
	.p2align	6, 0x0
	.amdhsa_kernel _ZN7rocprim17ROCPRIM_400000_NS6detail17trampoline_kernelINS0_14default_configENS1_35radix_sort_onesweep_config_selectorIiNS0_10empty_typeEEEZZNS1_29radix_sort_onesweep_iterationIS3_Lb1EN6thrust23THRUST_200600_302600_NS6detail15normal_iteratorINS9_10device_ptrIiEEEESE_PS5_SF_jNS0_19identity_decomposerENS1_16block_id_wrapperIjLb1EEEEE10hipError_tT1_PNSt15iterator_traitsISK_E10value_typeET2_T3_PNSL_ISQ_E10value_typeET4_T5_PSV_SW_PNS1_23onesweep_lookback_stateEbbT6_jjT7_P12ihipStream_tbENKUlT_T0_SK_SP_E_clISE_PiSF_SF_EEDaS13_S14_SK_SP_EUlS13_E_NS1_11comp_targetILNS1_3genE4ELNS1_11target_archE910ELNS1_3gpuE8ELNS1_3repE0EEENS1_47radix_sort_onesweep_sort_config_static_selectorELNS0_4arch9wavefront6targetE0EEEvSK_
		.amdhsa_group_segment_fixed_size 0
		.amdhsa_private_segment_fixed_size 0
		.amdhsa_kernarg_size 88
		.amdhsa_user_sgpr_count 6
		.amdhsa_user_sgpr_private_segment_buffer 1
		.amdhsa_user_sgpr_dispatch_ptr 0
		.amdhsa_user_sgpr_queue_ptr 0
		.amdhsa_user_sgpr_kernarg_segment_ptr 1
		.amdhsa_user_sgpr_dispatch_id 0
		.amdhsa_user_sgpr_flat_scratch_init 0
		.amdhsa_user_sgpr_private_segment_size 0
		.amdhsa_wavefront_size32 1
		.amdhsa_uses_dynamic_stack 0
		.amdhsa_system_sgpr_private_segment_wavefront_offset 0
		.amdhsa_system_sgpr_workgroup_id_x 1
		.amdhsa_system_sgpr_workgroup_id_y 0
		.amdhsa_system_sgpr_workgroup_id_z 0
		.amdhsa_system_sgpr_workgroup_info 0
		.amdhsa_system_vgpr_workitem_id 0
		.amdhsa_next_free_vgpr 1
		.amdhsa_next_free_sgpr 1
		.amdhsa_reserve_vcc 0
		.amdhsa_reserve_flat_scratch 0
		.amdhsa_float_round_mode_32 0
		.amdhsa_float_round_mode_16_64 0
		.amdhsa_float_denorm_mode_32 3
		.amdhsa_float_denorm_mode_16_64 3
		.amdhsa_dx10_clamp 1
		.amdhsa_ieee_mode 1
		.amdhsa_fp16_overflow 0
		.amdhsa_workgroup_processor_mode 1
		.amdhsa_memory_ordered 1
		.amdhsa_forward_progress 1
		.amdhsa_shared_vgpr_count 0
		.amdhsa_exception_fp_ieee_invalid_op 0
		.amdhsa_exception_fp_denorm_src 0
		.amdhsa_exception_fp_ieee_div_zero 0
		.amdhsa_exception_fp_ieee_overflow 0
		.amdhsa_exception_fp_ieee_underflow 0
		.amdhsa_exception_fp_ieee_inexact 0
		.amdhsa_exception_int_div_zero 0
	.end_amdhsa_kernel
	.section	.text._ZN7rocprim17ROCPRIM_400000_NS6detail17trampoline_kernelINS0_14default_configENS1_35radix_sort_onesweep_config_selectorIiNS0_10empty_typeEEEZZNS1_29radix_sort_onesweep_iterationIS3_Lb1EN6thrust23THRUST_200600_302600_NS6detail15normal_iteratorINS9_10device_ptrIiEEEESE_PS5_SF_jNS0_19identity_decomposerENS1_16block_id_wrapperIjLb1EEEEE10hipError_tT1_PNSt15iterator_traitsISK_E10value_typeET2_T3_PNSL_ISQ_E10value_typeET4_T5_PSV_SW_PNS1_23onesweep_lookback_stateEbbT6_jjT7_P12ihipStream_tbENKUlT_T0_SK_SP_E_clISE_PiSF_SF_EEDaS13_S14_SK_SP_EUlS13_E_NS1_11comp_targetILNS1_3genE4ELNS1_11target_archE910ELNS1_3gpuE8ELNS1_3repE0EEENS1_47radix_sort_onesweep_sort_config_static_selectorELNS0_4arch9wavefront6targetE0EEEvSK_,"axG",@progbits,_ZN7rocprim17ROCPRIM_400000_NS6detail17trampoline_kernelINS0_14default_configENS1_35radix_sort_onesweep_config_selectorIiNS0_10empty_typeEEEZZNS1_29radix_sort_onesweep_iterationIS3_Lb1EN6thrust23THRUST_200600_302600_NS6detail15normal_iteratorINS9_10device_ptrIiEEEESE_PS5_SF_jNS0_19identity_decomposerENS1_16block_id_wrapperIjLb1EEEEE10hipError_tT1_PNSt15iterator_traitsISK_E10value_typeET2_T3_PNSL_ISQ_E10value_typeET4_T5_PSV_SW_PNS1_23onesweep_lookback_stateEbbT6_jjT7_P12ihipStream_tbENKUlT_T0_SK_SP_E_clISE_PiSF_SF_EEDaS13_S14_SK_SP_EUlS13_E_NS1_11comp_targetILNS1_3genE4ELNS1_11target_archE910ELNS1_3gpuE8ELNS1_3repE0EEENS1_47radix_sort_onesweep_sort_config_static_selectorELNS0_4arch9wavefront6targetE0EEEvSK_,comdat
.Lfunc_end349:
	.size	_ZN7rocprim17ROCPRIM_400000_NS6detail17trampoline_kernelINS0_14default_configENS1_35radix_sort_onesweep_config_selectorIiNS0_10empty_typeEEEZZNS1_29radix_sort_onesweep_iterationIS3_Lb1EN6thrust23THRUST_200600_302600_NS6detail15normal_iteratorINS9_10device_ptrIiEEEESE_PS5_SF_jNS0_19identity_decomposerENS1_16block_id_wrapperIjLb1EEEEE10hipError_tT1_PNSt15iterator_traitsISK_E10value_typeET2_T3_PNSL_ISQ_E10value_typeET4_T5_PSV_SW_PNS1_23onesweep_lookback_stateEbbT6_jjT7_P12ihipStream_tbENKUlT_T0_SK_SP_E_clISE_PiSF_SF_EEDaS13_S14_SK_SP_EUlS13_E_NS1_11comp_targetILNS1_3genE4ELNS1_11target_archE910ELNS1_3gpuE8ELNS1_3repE0EEENS1_47radix_sort_onesweep_sort_config_static_selectorELNS0_4arch9wavefront6targetE0EEEvSK_, .Lfunc_end349-_ZN7rocprim17ROCPRIM_400000_NS6detail17trampoline_kernelINS0_14default_configENS1_35radix_sort_onesweep_config_selectorIiNS0_10empty_typeEEEZZNS1_29radix_sort_onesweep_iterationIS3_Lb1EN6thrust23THRUST_200600_302600_NS6detail15normal_iteratorINS9_10device_ptrIiEEEESE_PS5_SF_jNS0_19identity_decomposerENS1_16block_id_wrapperIjLb1EEEEE10hipError_tT1_PNSt15iterator_traitsISK_E10value_typeET2_T3_PNSL_ISQ_E10value_typeET4_T5_PSV_SW_PNS1_23onesweep_lookback_stateEbbT6_jjT7_P12ihipStream_tbENKUlT_T0_SK_SP_E_clISE_PiSF_SF_EEDaS13_S14_SK_SP_EUlS13_E_NS1_11comp_targetILNS1_3genE4ELNS1_11target_archE910ELNS1_3gpuE8ELNS1_3repE0EEENS1_47radix_sort_onesweep_sort_config_static_selectorELNS0_4arch9wavefront6targetE0EEEvSK_
                                        ; -- End function
	.set _ZN7rocprim17ROCPRIM_400000_NS6detail17trampoline_kernelINS0_14default_configENS1_35radix_sort_onesweep_config_selectorIiNS0_10empty_typeEEEZZNS1_29radix_sort_onesweep_iterationIS3_Lb1EN6thrust23THRUST_200600_302600_NS6detail15normal_iteratorINS9_10device_ptrIiEEEESE_PS5_SF_jNS0_19identity_decomposerENS1_16block_id_wrapperIjLb1EEEEE10hipError_tT1_PNSt15iterator_traitsISK_E10value_typeET2_T3_PNSL_ISQ_E10value_typeET4_T5_PSV_SW_PNS1_23onesweep_lookback_stateEbbT6_jjT7_P12ihipStream_tbENKUlT_T0_SK_SP_E_clISE_PiSF_SF_EEDaS13_S14_SK_SP_EUlS13_E_NS1_11comp_targetILNS1_3genE4ELNS1_11target_archE910ELNS1_3gpuE8ELNS1_3repE0EEENS1_47radix_sort_onesweep_sort_config_static_selectorELNS0_4arch9wavefront6targetE0EEEvSK_.num_vgpr, 0
	.set _ZN7rocprim17ROCPRIM_400000_NS6detail17trampoline_kernelINS0_14default_configENS1_35radix_sort_onesweep_config_selectorIiNS0_10empty_typeEEEZZNS1_29radix_sort_onesweep_iterationIS3_Lb1EN6thrust23THRUST_200600_302600_NS6detail15normal_iteratorINS9_10device_ptrIiEEEESE_PS5_SF_jNS0_19identity_decomposerENS1_16block_id_wrapperIjLb1EEEEE10hipError_tT1_PNSt15iterator_traitsISK_E10value_typeET2_T3_PNSL_ISQ_E10value_typeET4_T5_PSV_SW_PNS1_23onesweep_lookback_stateEbbT6_jjT7_P12ihipStream_tbENKUlT_T0_SK_SP_E_clISE_PiSF_SF_EEDaS13_S14_SK_SP_EUlS13_E_NS1_11comp_targetILNS1_3genE4ELNS1_11target_archE910ELNS1_3gpuE8ELNS1_3repE0EEENS1_47radix_sort_onesweep_sort_config_static_selectorELNS0_4arch9wavefront6targetE0EEEvSK_.num_agpr, 0
	.set _ZN7rocprim17ROCPRIM_400000_NS6detail17trampoline_kernelINS0_14default_configENS1_35radix_sort_onesweep_config_selectorIiNS0_10empty_typeEEEZZNS1_29radix_sort_onesweep_iterationIS3_Lb1EN6thrust23THRUST_200600_302600_NS6detail15normal_iteratorINS9_10device_ptrIiEEEESE_PS5_SF_jNS0_19identity_decomposerENS1_16block_id_wrapperIjLb1EEEEE10hipError_tT1_PNSt15iterator_traitsISK_E10value_typeET2_T3_PNSL_ISQ_E10value_typeET4_T5_PSV_SW_PNS1_23onesweep_lookback_stateEbbT6_jjT7_P12ihipStream_tbENKUlT_T0_SK_SP_E_clISE_PiSF_SF_EEDaS13_S14_SK_SP_EUlS13_E_NS1_11comp_targetILNS1_3genE4ELNS1_11target_archE910ELNS1_3gpuE8ELNS1_3repE0EEENS1_47radix_sort_onesweep_sort_config_static_selectorELNS0_4arch9wavefront6targetE0EEEvSK_.numbered_sgpr, 0
	.set _ZN7rocprim17ROCPRIM_400000_NS6detail17trampoline_kernelINS0_14default_configENS1_35radix_sort_onesweep_config_selectorIiNS0_10empty_typeEEEZZNS1_29radix_sort_onesweep_iterationIS3_Lb1EN6thrust23THRUST_200600_302600_NS6detail15normal_iteratorINS9_10device_ptrIiEEEESE_PS5_SF_jNS0_19identity_decomposerENS1_16block_id_wrapperIjLb1EEEEE10hipError_tT1_PNSt15iterator_traitsISK_E10value_typeET2_T3_PNSL_ISQ_E10value_typeET4_T5_PSV_SW_PNS1_23onesweep_lookback_stateEbbT6_jjT7_P12ihipStream_tbENKUlT_T0_SK_SP_E_clISE_PiSF_SF_EEDaS13_S14_SK_SP_EUlS13_E_NS1_11comp_targetILNS1_3genE4ELNS1_11target_archE910ELNS1_3gpuE8ELNS1_3repE0EEENS1_47radix_sort_onesweep_sort_config_static_selectorELNS0_4arch9wavefront6targetE0EEEvSK_.num_named_barrier, 0
	.set _ZN7rocprim17ROCPRIM_400000_NS6detail17trampoline_kernelINS0_14default_configENS1_35radix_sort_onesweep_config_selectorIiNS0_10empty_typeEEEZZNS1_29radix_sort_onesweep_iterationIS3_Lb1EN6thrust23THRUST_200600_302600_NS6detail15normal_iteratorINS9_10device_ptrIiEEEESE_PS5_SF_jNS0_19identity_decomposerENS1_16block_id_wrapperIjLb1EEEEE10hipError_tT1_PNSt15iterator_traitsISK_E10value_typeET2_T3_PNSL_ISQ_E10value_typeET4_T5_PSV_SW_PNS1_23onesweep_lookback_stateEbbT6_jjT7_P12ihipStream_tbENKUlT_T0_SK_SP_E_clISE_PiSF_SF_EEDaS13_S14_SK_SP_EUlS13_E_NS1_11comp_targetILNS1_3genE4ELNS1_11target_archE910ELNS1_3gpuE8ELNS1_3repE0EEENS1_47radix_sort_onesweep_sort_config_static_selectorELNS0_4arch9wavefront6targetE0EEEvSK_.private_seg_size, 0
	.set _ZN7rocprim17ROCPRIM_400000_NS6detail17trampoline_kernelINS0_14default_configENS1_35radix_sort_onesweep_config_selectorIiNS0_10empty_typeEEEZZNS1_29radix_sort_onesweep_iterationIS3_Lb1EN6thrust23THRUST_200600_302600_NS6detail15normal_iteratorINS9_10device_ptrIiEEEESE_PS5_SF_jNS0_19identity_decomposerENS1_16block_id_wrapperIjLb1EEEEE10hipError_tT1_PNSt15iterator_traitsISK_E10value_typeET2_T3_PNSL_ISQ_E10value_typeET4_T5_PSV_SW_PNS1_23onesweep_lookback_stateEbbT6_jjT7_P12ihipStream_tbENKUlT_T0_SK_SP_E_clISE_PiSF_SF_EEDaS13_S14_SK_SP_EUlS13_E_NS1_11comp_targetILNS1_3genE4ELNS1_11target_archE910ELNS1_3gpuE8ELNS1_3repE0EEENS1_47radix_sort_onesweep_sort_config_static_selectorELNS0_4arch9wavefront6targetE0EEEvSK_.uses_vcc, 0
	.set _ZN7rocprim17ROCPRIM_400000_NS6detail17trampoline_kernelINS0_14default_configENS1_35radix_sort_onesweep_config_selectorIiNS0_10empty_typeEEEZZNS1_29radix_sort_onesweep_iterationIS3_Lb1EN6thrust23THRUST_200600_302600_NS6detail15normal_iteratorINS9_10device_ptrIiEEEESE_PS5_SF_jNS0_19identity_decomposerENS1_16block_id_wrapperIjLb1EEEEE10hipError_tT1_PNSt15iterator_traitsISK_E10value_typeET2_T3_PNSL_ISQ_E10value_typeET4_T5_PSV_SW_PNS1_23onesweep_lookback_stateEbbT6_jjT7_P12ihipStream_tbENKUlT_T0_SK_SP_E_clISE_PiSF_SF_EEDaS13_S14_SK_SP_EUlS13_E_NS1_11comp_targetILNS1_3genE4ELNS1_11target_archE910ELNS1_3gpuE8ELNS1_3repE0EEENS1_47radix_sort_onesweep_sort_config_static_selectorELNS0_4arch9wavefront6targetE0EEEvSK_.uses_flat_scratch, 0
	.set _ZN7rocprim17ROCPRIM_400000_NS6detail17trampoline_kernelINS0_14default_configENS1_35radix_sort_onesweep_config_selectorIiNS0_10empty_typeEEEZZNS1_29radix_sort_onesweep_iterationIS3_Lb1EN6thrust23THRUST_200600_302600_NS6detail15normal_iteratorINS9_10device_ptrIiEEEESE_PS5_SF_jNS0_19identity_decomposerENS1_16block_id_wrapperIjLb1EEEEE10hipError_tT1_PNSt15iterator_traitsISK_E10value_typeET2_T3_PNSL_ISQ_E10value_typeET4_T5_PSV_SW_PNS1_23onesweep_lookback_stateEbbT6_jjT7_P12ihipStream_tbENKUlT_T0_SK_SP_E_clISE_PiSF_SF_EEDaS13_S14_SK_SP_EUlS13_E_NS1_11comp_targetILNS1_3genE4ELNS1_11target_archE910ELNS1_3gpuE8ELNS1_3repE0EEENS1_47radix_sort_onesweep_sort_config_static_selectorELNS0_4arch9wavefront6targetE0EEEvSK_.has_dyn_sized_stack, 0
	.set _ZN7rocprim17ROCPRIM_400000_NS6detail17trampoline_kernelINS0_14default_configENS1_35radix_sort_onesweep_config_selectorIiNS0_10empty_typeEEEZZNS1_29radix_sort_onesweep_iterationIS3_Lb1EN6thrust23THRUST_200600_302600_NS6detail15normal_iteratorINS9_10device_ptrIiEEEESE_PS5_SF_jNS0_19identity_decomposerENS1_16block_id_wrapperIjLb1EEEEE10hipError_tT1_PNSt15iterator_traitsISK_E10value_typeET2_T3_PNSL_ISQ_E10value_typeET4_T5_PSV_SW_PNS1_23onesweep_lookback_stateEbbT6_jjT7_P12ihipStream_tbENKUlT_T0_SK_SP_E_clISE_PiSF_SF_EEDaS13_S14_SK_SP_EUlS13_E_NS1_11comp_targetILNS1_3genE4ELNS1_11target_archE910ELNS1_3gpuE8ELNS1_3repE0EEENS1_47radix_sort_onesweep_sort_config_static_selectorELNS0_4arch9wavefront6targetE0EEEvSK_.has_recursion, 0
	.set _ZN7rocprim17ROCPRIM_400000_NS6detail17trampoline_kernelINS0_14default_configENS1_35radix_sort_onesweep_config_selectorIiNS0_10empty_typeEEEZZNS1_29radix_sort_onesweep_iterationIS3_Lb1EN6thrust23THRUST_200600_302600_NS6detail15normal_iteratorINS9_10device_ptrIiEEEESE_PS5_SF_jNS0_19identity_decomposerENS1_16block_id_wrapperIjLb1EEEEE10hipError_tT1_PNSt15iterator_traitsISK_E10value_typeET2_T3_PNSL_ISQ_E10value_typeET4_T5_PSV_SW_PNS1_23onesweep_lookback_stateEbbT6_jjT7_P12ihipStream_tbENKUlT_T0_SK_SP_E_clISE_PiSF_SF_EEDaS13_S14_SK_SP_EUlS13_E_NS1_11comp_targetILNS1_3genE4ELNS1_11target_archE910ELNS1_3gpuE8ELNS1_3repE0EEENS1_47radix_sort_onesweep_sort_config_static_selectorELNS0_4arch9wavefront6targetE0EEEvSK_.has_indirect_call, 0
	.section	.AMDGPU.csdata,"",@progbits
; Kernel info:
; codeLenInByte = 0
; TotalNumSgprs: 0
; NumVgprs: 0
; ScratchSize: 0
; MemoryBound: 0
; FloatMode: 240
; IeeeMode: 1
; LDSByteSize: 0 bytes/workgroup (compile time only)
; SGPRBlocks: 0
; VGPRBlocks: 0
; NumSGPRsForWavesPerEU: 1
; NumVGPRsForWavesPerEU: 1
; Occupancy: 16
; WaveLimiterHint : 0
; COMPUTE_PGM_RSRC2:SCRATCH_EN: 0
; COMPUTE_PGM_RSRC2:USER_SGPR: 6
; COMPUTE_PGM_RSRC2:TRAP_HANDLER: 0
; COMPUTE_PGM_RSRC2:TGID_X_EN: 1
; COMPUTE_PGM_RSRC2:TGID_Y_EN: 0
; COMPUTE_PGM_RSRC2:TGID_Z_EN: 0
; COMPUTE_PGM_RSRC2:TIDIG_COMP_CNT: 0
	.section	.text._ZN7rocprim17ROCPRIM_400000_NS6detail17trampoline_kernelINS0_14default_configENS1_35radix_sort_onesweep_config_selectorIiNS0_10empty_typeEEEZZNS1_29radix_sort_onesweep_iterationIS3_Lb1EN6thrust23THRUST_200600_302600_NS6detail15normal_iteratorINS9_10device_ptrIiEEEESE_PS5_SF_jNS0_19identity_decomposerENS1_16block_id_wrapperIjLb1EEEEE10hipError_tT1_PNSt15iterator_traitsISK_E10value_typeET2_T3_PNSL_ISQ_E10value_typeET4_T5_PSV_SW_PNS1_23onesweep_lookback_stateEbbT6_jjT7_P12ihipStream_tbENKUlT_T0_SK_SP_E_clISE_PiSF_SF_EEDaS13_S14_SK_SP_EUlS13_E_NS1_11comp_targetILNS1_3genE3ELNS1_11target_archE908ELNS1_3gpuE7ELNS1_3repE0EEENS1_47radix_sort_onesweep_sort_config_static_selectorELNS0_4arch9wavefront6targetE0EEEvSK_,"axG",@progbits,_ZN7rocprim17ROCPRIM_400000_NS6detail17trampoline_kernelINS0_14default_configENS1_35radix_sort_onesweep_config_selectorIiNS0_10empty_typeEEEZZNS1_29radix_sort_onesweep_iterationIS3_Lb1EN6thrust23THRUST_200600_302600_NS6detail15normal_iteratorINS9_10device_ptrIiEEEESE_PS5_SF_jNS0_19identity_decomposerENS1_16block_id_wrapperIjLb1EEEEE10hipError_tT1_PNSt15iterator_traitsISK_E10value_typeET2_T3_PNSL_ISQ_E10value_typeET4_T5_PSV_SW_PNS1_23onesweep_lookback_stateEbbT6_jjT7_P12ihipStream_tbENKUlT_T0_SK_SP_E_clISE_PiSF_SF_EEDaS13_S14_SK_SP_EUlS13_E_NS1_11comp_targetILNS1_3genE3ELNS1_11target_archE908ELNS1_3gpuE7ELNS1_3repE0EEENS1_47radix_sort_onesweep_sort_config_static_selectorELNS0_4arch9wavefront6targetE0EEEvSK_,comdat
	.protected	_ZN7rocprim17ROCPRIM_400000_NS6detail17trampoline_kernelINS0_14default_configENS1_35radix_sort_onesweep_config_selectorIiNS0_10empty_typeEEEZZNS1_29radix_sort_onesweep_iterationIS3_Lb1EN6thrust23THRUST_200600_302600_NS6detail15normal_iteratorINS9_10device_ptrIiEEEESE_PS5_SF_jNS0_19identity_decomposerENS1_16block_id_wrapperIjLb1EEEEE10hipError_tT1_PNSt15iterator_traitsISK_E10value_typeET2_T3_PNSL_ISQ_E10value_typeET4_T5_PSV_SW_PNS1_23onesweep_lookback_stateEbbT6_jjT7_P12ihipStream_tbENKUlT_T0_SK_SP_E_clISE_PiSF_SF_EEDaS13_S14_SK_SP_EUlS13_E_NS1_11comp_targetILNS1_3genE3ELNS1_11target_archE908ELNS1_3gpuE7ELNS1_3repE0EEENS1_47radix_sort_onesweep_sort_config_static_selectorELNS0_4arch9wavefront6targetE0EEEvSK_ ; -- Begin function _ZN7rocprim17ROCPRIM_400000_NS6detail17trampoline_kernelINS0_14default_configENS1_35radix_sort_onesweep_config_selectorIiNS0_10empty_typeEEEZZNS1_29radix_sort_onesweep_iterationIS3_Lb1EN6thrust23THRUST_200600_302600_NS6detail15normal_iteratorINS9_10device_ptrIiEEEESE_PS5_SF_jNS0_19identity_decomposerENS1_16block_id_wrapperIjLb1EEEEE10hipError_tT1_PNSt15iterator_traitsISK_E10value_typeET2_T3_PNSL_ISQ_E10value_typeET4_T5_PSV_SW_PNS1_23onesweep_lookback_stateEbbT6_jjT7_P12ihipStream_tbENKUlT_T0_SK_SP_E_clISE_PiSF_SF_EEDaS13_S14_SK_SP_EUlS13_E_NS1_11comp_targetILNS1_3genE3ELNS1_11target_archE908ELNS1_3gpuE7ELNS1_3repE0EEENS1_47radix_sort_onesweep_sort_config_static_selectorELNS0_4arch9wavefront6targetE0EEEvSK_
	.globl	_ZN7rocprim17ROCPRIM_400000_NS6detail17trampoline_kernelINS0_14default_configENS1_35radix_sort_onesweep_config_selectorIiNS0_10empty_typeEEEZZNS1_29radix_sort_onesweep_iterationIS3_Lb1EN6thrust23THRUST_200600_302600_NS6detail15normal_iteratorINS9_10device_ptrIiEEEESE_PS5_SF_jNS0_19identity_decomposerENS1_16block_id_wrapperIjLb1EEEEE10hipError_tT1_PNSt15iterator_traitsISK_E10value_typeET2_T3_PNSL_ISQ_E10value_typeET4_T5_PSV_SW_PNS1_23onesweep_lookback_stateEbbT6_jjT7_P12ihipStream_tbENKUlT_T0_SK_SP_E_clISE_PiSF_SF_EEDaS13_S14_SK_SP_EUlS13_E_NS1_11comp_targetILNS1_3genE3ELNS1_11target_archE908ELNS1_3gpuE7ELNS1_3repE0EEENS1_47radix_sort_onesweep_sort_config_static_selectorELNS0_4arch9wavefront6targetE0EEEvSK_
	.p2align	8
	.type	_ZN7rocprim17ROCPRIM_400000_NS6detail17trampoline_kernelINS0_14default_configENS1_35radix_sort_onesweep_config_selectorIiNS0_10empty_typeEEEZZNS1_29radix_sort_onesweep_iterationIS3_Lb1EN6thrust23THRUST_200600_302600_NS6detail15normal_iteratorINS9_10device_ptrIiEEEESE_PS5_SF_jNS0_19identity_decomposerENS1_16block_id_wrapperIjLb1EEEEE10hipError_tT1_PNSt15iterator_traitsISK_E10value_typeET2_T3_PNSL_ISQ_E10value_typeET4_T5_PSV_SW_PNS1_23onesweep_lookback_stateEbbT6_jjT7_P12ihipStream_tbENKUlT_T0_SK_SP_E_clISE_PiSF_SF_EEDaS13_S14_SK_SP_EUlS13_E_NS1_11comp_targetILNS1_3genE3ELNS1_11target_archE908ELNS1_3gpuE7ELNS1_3repE0EEENS1_47radix_sort_onesweep_sort_config_static_selectorELNS0_4arch9wavefront6targetE0EEEvSK_,@function
_ZN7rocprim17ROCPRIM_400000_NS6detail17trampoline_kernelINS0_14default_configENS1_35radix_sort_onesweep_config_selectorIiNS0_10empty_typeEEEZZNS1_29radix_sort_onesweep_iterationIS3_Lb1EN6thrust23THRUST_200600_302600_NS6detail15normal_iteratorINS9_10device_ptrIiEEEESE_PS5_SF_jNS0_19identity_decomposerENS1_16block_id_wrapperIjLb1EEEEE10hipError_tT1_PNSt15iterator_traitsISK_E10value_typeET2_T3_PNSL_ISQ_E10value_typeET4_T5_PSV_SW_PNS1_23onesweep_lookback_stateEbbT6_jjT7_P12ihipStream_tbENKUlT_T0_SK_SP_E_clISE_PiSF_SF_EEDaS13_S14_SK_SP_EUlS13_E_NS1_11comp_targetILNS1_3genE3ELNS1_11target_archE908ELNS1_3gpuE7ELNS1_3repE0EEENS1_47radix_sort_onesweep_sort_config_static_selectorELNS0_4arch9wavefront6targetE0EEEvSK_: ; @_ZN7rocprim17ROCPRIM_400000_NS6detail17trampoline_kernelINS0_14default_configENS1_35radix_sort_onesweep_config_selectorIiNS0_10empty_typeEEEZZNS1_29radix_sort_onesweep_iterationIS3_Lb1EN6thrust23THRUST_200600_302600_NS6detail15normal_iteratorINS9_10device_ptrIiEEEESE_PS5_SF_jNS0_19identity_decomposerENS1_16block_id_wrapperIjLb1EEEEE10hipError_tT1_PNSt15iterator_traitsISK_E10value_typeET2_T3_PNSL_ISQ_E10value_typeET4_T5_PSV_SW_PNS1_23onesweep_lookback_stateEbbT6_jjT7_P12ihipStream_tbENKUlT_T0_SK_SP_E_clISE_PiSF_SF_EEDaS13_S14_SK_SP_EUlS13_E_NS1_11comp_targetILNS1_3genE3ELNS1_11target_archE908ELNS1_3gpuE7ELNS1_3repE0EEENS1_47radix_sort_onesweep_sort_config_static_selectorELNS0_4arch9wavefront6targetE0EEEvSK_
; %bb.0:
	.section	.rodata,"a",@progbits
	.p2align	6, 0x0
	.amdhsa_kernel _ZN7rocprim17ROCPRIM_400000_NS6detail17trampoline_kernelINS0_14default_configENS1_35radix_sort_onesweep_config_selectorIiNS0_10empty_typeEEEZZNS1_29radix_sort_onesweep_iterationIS3_Lb1EN6thrust23THRUST_200600_302600_NS6detail15normal_iteratorINS9_10device_ptrIiEEEESE_PS5_SF_jNS0_19identity_decomposerENS1_16block_id_wrapperIjLb1EEEEE10hipError_tT1_PNSt15iterator_traitsISK_E10value_typeET2_T3_PNSL_ISQ_E10value_typeET4_T5_PSV_SW_PNS1_23onesweep_lookback_stateEbbT6_jjT7_P12ihipStream_tbENKUlT_T0_SK_SP_E_clISE_PiSF_SF_EEDaS13_S14_SK_SP_EUlS13_E_NS1_11comp_targetILNS1_3genE3ELNS1_11target_archE908ELNS1_3gpuE7ELNS1_3repE0EEENS1_47radix_sort_onesweep_sort_config_static_selectorELNS0_4arch9wavefront6targetE0EEEvSK_
		.amdhsa_group_segment_fixed_size 0
		.amdhsa_private_segment_fixed_size 0
		.amdhsa_kernarg_size 88
		.amdhsa_user_sgpr_count 6
		.amdhsa_user_sgpr_private_segment_buffer 1
		.amdhsa_user_sgpr_dispatch_ptr 0
		.amdhsa_user_sgpr_queue_ptr 0
		.amdhsa_user_sgpr_kernarg_segment_ptr 1
		.amdhsa_user_sgpr_dispatch_id 0
		.amdhsa_user_sgpr_flat_scratch_init 0
		.amdhsa_user_sgpr_private_segment_size 0
		.amdhsa_wavefront_size32 1
		.amdhsa_uses_dynamic_stack 0
		.amdhsa_system_sgpr_private_segment_wavefront_offset 0
		.amdhsa_system_sgpr_workgroup_id_x 1
		.amdhsa_system_sgpr_workgroup_id_y 0
		.amdhsa_system_sgpr_workgroup_id_z 0
		.amdhsa_system_sgpr_workgroup_info 0
		.amdhsa_system_vgpr_workitem_id 0
		.amdhsa_next_free_vgpr 1
		.amdhsa_next_free_sgpr 1
		.amdhsa_reserve_vcc 0
		.amdhsa_reserve_flat_scratch 0
		.amdhsa_float_round_mode_32 0
		.amdhsa_float_round_mode_16_64 0
		.amdhsa_float_denorm_mode_32 3
		.amdhsa_float_denorm_mode_16_64 3
		.amdhsa_dx10_clamp 1
		.amdhsa_ieee_mode 1
		.amdhsa_fp16_overflow 0
		.amdhsa_workgroup_processor_mode 1
		.amdhsa_memory_ordered 1
		.amdhsa_forward_progress 1
		.amdhsa_shared_vgpr_count 0
		.amdhsa_exception_fp_ieee_invalid_op 0
		.amdhsa_exception_fp_denorm_src 0
		.amdhsa_exception_fp_ieee_div_zero 0
		.amdhsa_exception_fp_ieee_overflow 0
		.amdhsa_exception_fp_ieee_underflow 0
		.amdhsa_exception_fp_ieee_inexact 0
		.amdhsa_exception_int_div_zero 0
	.end_amdhsa_kernel
	.section	.text._ZN7rocprim17ROCPRIM_400000_NS6detail17trampoline_kernelINS0_14default_configENS1_35radix_sort_onesweep_config_selectorIiNS0_10empty_typeEEEZZNS1_29radix_sort_onesweep_iterationIS3_Lb1EN6thrust23THRUST_200600_302600_NS6detail15normal_iteratorINS9_10device_ptrIiEEEESE_PS5_SF_jNS0_19identity_decomposerENS1_16block_id_wrapperIjLb1EEEEE10hipError_tT1_PNSt15iterator_traitsISK_E10value_typeET2_T3_PNSL_ISQ_E10value_typeET4_T5_PSV_SW_PNS1_23onesweep_lookback_stateEbbT6_jjT7_P12ihipStream_tbENKUlT_T0_SK_SP_E_clISE_PiSF_SF_EEDaS13_S14_SK_SP_EUlS13_E_NS1_11comp_targetILNS1_3genE3ELNS1_11target_archE908ELNS1_3gpuE7ELNS1_3repE0EEENS1_47radix_sort_onesweep_sort_config_static_selectorELNS0_4arch9wavefront6targetE0EEEvSK_,"axG",@progbits,_ZN7rocprim17ROCPRIM_400000_NS6detail17trampoline_kernelINS0_14default_configENS1_35radix_sort_onesweep_config_selectorIiNS0_10empty_typeEEEZZNS1_29radix_sort_onesweep_iterationIS3_Lb1EN6thrust23THRUST_200600_302600_NS6detail15normal_iteratorINS9_10device_ptrIiEEEESE_PS5_SF_jNS0_19identity_decomposerENS1_16block_id_wrapperIjLb1EEEEE10hipError_tT1_PNSt15iterator_traitsISK_E10value_typeET2_T3_PNSL_ISQ_E10value_typeET4_T5_PSV_SW_PNS1_23onesweep_lookback_stateEbbT6_jjT7_P12ihipStream_tbENKUlT_T0_SK_SP_E_clISE_PiSF_SF_EEDaS13_S14_SK_SP_EUlS13_E_NS1_11comp_targetILNS1_3genE3ELNS1_11target_archE908ELNS1_3gpuE7ELNS1_3repE0EEENS1_47radix_sort_onesweep_sort_config_static_selectorELNS0_4arch9wavefront6targetE0EEEvSK_,comdat
.Lfunc_end350:
	.size	_ZN7rocprim17ROCPRIM_400000_NS6detail17trampoline_kernelINS0_14default_configENS1_35radix_sort_onesweep_config_selectorIiNS0_10empty_typeEEEZZNS1_29radix_sort_onesweep_iterationIS3_Lb1EN6thrust23THRUST_200600_302600_NS6detail15normal_iteratorINS9_10device_ptrIiEEEESE_PS5_SF_jNS0_19identity_decomposerENS1_16block_id_wrapperIjLb1EEEEE10hipError_tT1_PNSt15iterator_traitsISK_E10value_typeET2_T3_PNSL_ISQ_E10value_typeET4_T5_PSV_SW_PNS1_23onesweep_lookback_stateEbbT6_jjT7_P12ihipStream_tbENKUlT_T0_SK_SP_E_clISE_PiSF_SF_EEDaS13_S14_SK_SP_EUlS13_E_NS1_11comp_targetILNS1_3genE3ELNS1_11target_archE908ELNS1_3gpuE7ELNS1_3repE0EEENS1_47radix_sort_onesweep_sort_config_static_selectorELNS0_4arch9wavefront6targetE0EEEvSK_, .Lfunc_end350-_ZN7rocprim17ROCPRIM_400000_NS6detail17trampoline_kernelINS0_14default_configENS1_35radix_sort_onesweep_config_selectorIiNS0_10empty_typeEEEZZNS1_29radix_sort_onesweep_iterationIS3_Lb1EN6thrust23THRUST_200600_302600_NS6detail15normal_iteratorINS9_10device_ptrIiEEEESE_PS5_SF_jNS0_19identity_decomposerENS1_16block_id_wrapperIjLb1EEEEE10hipError_tT1_PNSt15iterator_traitsISK_E10value_typeET2_T3_PNSL_ISQ_E10value_typeET4_T5_PSV_SW_PNS1_23onesweep_lookback_stateEbbT6_jjT7_P12ihipStream_tbENKUlT_T0_SK_SP_E_clISE_PiSF_SF_EEDaS13_S14_SK_SP_EUlS13_E_NS1_11comp_targetILNS1_3genE3ELNS1_11target_archE908ELNS1_3gpuE7ELNS1_3repE0EEENS1_47radix_sort_onesweep_sort_config_static_selectorELNS0_4arch9wavefront6targetE0EEEvSK_
                                        ; -- End function
	.set _ZN7rocprim17ROCPRIM_400000_NS6detail17trampoline_kernelINS0_14default_configENS1_35radix_sort_onesweep_config_selectorIiNS0_10empty_typeEEEZZNS1_29radix_sort_onesweep_iterationIS3_Lb1EN6thrust23THRUST_200600_302600_NS6detail15normal_iteratorINS9_10device_ptrIiEEEESE_PS5_SF_jNS0_19identity_decomposerENS1_16block_id_wrapperIjLb1EEEEE10hipError_tT1_PNSt15iterator_traitsISK_E10value_typeET2_T3_PNSL_ISQ_E10value_typeET4_T5_PSV_SW_PNS1_23onesweep_lookback_stateEbbT6_jjT7_P12ihipStream_tbENKUlT_T0_SK_SP_E_clISE_PiSF_SF_EEDaS13_S14_SK_SP_EUlS13_E_NS1_11comp_targetILNS1_3genE3ELNS1_11target_archE908ELNS1_3gpuE7ELNS1_3repE0EEENS1_47radix_sort_onesweep_sort_config_static_selectorELNS0_4arch9wavefront6targetE0EEEvSK_.num_vgpr, 0
	.set _ZN7rocprim17ROCPRIM_400000_NS6detail17trampoline_kernelINS0_14default_configENS1_35radix_sort_onesweep_config_selectorIiNS0_10empty_typeEEEZZNS1_29radix_sort_onesweep_iterationIS3_Lb1EN6thrust23THRUST_200600_302600_NS6detail15normal_iteratorINS9_10device_ptrIiEEEESE_PS5_SF_jNS0_19identity_decomposerENS1_16block_id_wrapperIjLb1EEEEE10hipError_tT1_PNSt15iterator_traitsISK_E10value_typeET2_T3_PNSL_ISQ_E10value_typeET4_T5_PSV_SW_PNS1_23onesweep_lookback_stateEbbT6_jjT7_P12ihipStream_tbENKUlT_T0_SK_SP_E_clISE_PiSF_SF_EEDaS13_S14_SK_SP_EUlS13_E_NS1_11comp_targetILNS1_3genE3ELNS1_11target_archE908ELNS1_3gpuE7ELNS1_3repE0EEENS1_47radix_sort_onesweep_sort_config_static_selectorELNS0_4arch9wavefront6targetE0EEEvSK_.num_agpr, 0
	.set _ZN7rocprim17ROCPRIM_400000_NS6detail17trampoline_kernelINS0_14default_configENS1_35radix_sort_onesweep_config_selectorIiNS0_10empty_typeEEEZZNS1_29radix_sort_onesweep_iterationIS3_Lb1EN6thrust23THRUST_200600_302600_NS6detail15normal_iteratorINS9_10device_ptrIiEEEESE_PS5_SF_jNS0_19identity_decomposerENS1_16block_id_wrapperIjLb1EEEEE10hipError_tT1_PNSt15iterator_traitsISK_E10value_typeET2_T3_PNSL_ISQ_E10value_typeET4_T5_PSV_SW_PNS1_23onesweep_lookback_stateEbbT6_jjT7_P12ihipStream_tbENKUlT_T0_SK_SP_E_clISE_PiSF_SF_EEDaS13_S14_SK_SP_EUlS13_E_NS1_11comp_targetILNS1_3genE3ELNS1_11target_archE908ELNS1_3gpuE7ELNS1_3repE0EEENS1_47radix_sort_onesweep_sort_config_static_selectorELNS0_4arch9wavefront6targetE0EEEvSK_.numbered_sgpr, 0
	.set _ZN7rocprim17ROCPRIM_400000_NS6detail17trampoline_kernelINS0_14default_configENS1_35radix_sort_onesweep_config_selectorIiNS0_10empty_typeEEEZZNS1_29radix_sort_onesweep_iterationIS3_Lb1EN6thrust23THRUST_200600_302600_NS6detail15normal_iteratorINS9_10device_ptrIiEEEESE_PS5_SF_jNS0_19identity_decomposerENS1_16block_id_wrapperIjLb1EEEEE10hipError_tT1_PNSt15iterator_traitsISK_E10value_typeET2_T3_PNSL_ISQ_E10value_typeET4_T5_PSV_SW_PNS1_23onesweep_lookback_stateEbbT6_jjT7_P12ihipStream_tbENKUlT_T0_SK_SP_E_clISE_PiSF_SF_EEDaS13_S14_SK_SP_EUlS13_E_NS1_11comp_targetILNS1_3genE3ELNS1_11target_archE908ELNS1_3gpuE7ELNS1_3repE0EEENS1_47radix_sort_onesweep_sort_config_static_selectorELNS0_4arch9wavefront6targetE0EEEvSK_.num_named_barrier, 0
	.set _ZN7rocprim17ROCPRIM_400000_NS6detail17trampoline_kernelINS0_14default_configENS1_35radix_sort_onesweep_config_selectorIiNS0_10empty_typeEEEZZNS1_29radix_sort_onesweep_iterationIS3_Lb1EN6thrust23THRUST_200600_302600_NS6detail15normal_iteratorINS9_10device_ptrIiEEEESE_PS5_SF_jNS0_19identity_decomposerENS1_16block_id_wrapperIjLb1EEEEE10hipError_tT1_PNSt15iterator_traitsISK_E10value_typeET2_T3_PNSL_ISQ_E10value_typeET4_T5_PSV_SW_PNS1_23onesweep_lookback_stateEbbT6_jjT7_P12ihipStream_tbENKUlT_T0_SK_SP_E_clISE_PiSF_SF_EEDaS13_S14_SK_SP_EUlS13_E_NS1_11comp_targetILNS1_3genE3ELNS1_11target_archE908ELNS1_3gpuE7ELNS1_3repE0EEENS1_47radix_sort_onesweep_sort_config_static_selectorELNS0_4arch9wavefront6targetE0EEEvSK_.private_seg_size, 0
	.set _ZN7rocprim17ROCPRIM_400000_NS6detail17trampoline_kernelINS0_14default_configENS1_35radix_sort_onesweep_config_selectorIiNS0_10empty_typeEEEZZNS1_29radix_sort_onesweep_iterationIS3_Lb1EN6thrust23THRUST_200600_302600_NS6detail15normal_iteratorINS9_10device_ptrIiEEEESE_PS5_SF_jNS0_19identity_decomposerENS1_16block_id_wrapperIjLb1EEEEE10hipError_tT1_PNSt15iterator_traitsISK_E10value_typeET2_T3_PNSL_ISQ_E10value_typeET4_T5_PSV_SW_PNS1_23onesweep_lookback_stateEbbT6_jjT7_P12ihipStream_tbENKUlT_T0_SK_SP_E_clISE_PiSF_SF_EEDaS13_S14_SK_SP_EUlS13_E_NS1_11comp_targetILNS1_3genE3ELNS1_11target_archE908ELNS1_3gpuE7ELNS1_3repE0EEENS1_47radix_sort_onesweep_sort_config_static_selectorELNS0_4arch9wavefront6targetE0EEEvSK_.uses_vcc, 0
	.set _ZN7rocprim17ROCPRIM_400000_NS6detail17trampoline_kernelINS0_14default_configENS1_35radix_sort_onesweep_config_selectorIiNS0_10empty_typeEEEZZNS1_29radix_sort_onesweep_iterationIS3_Lb1EN6thrust23THRUST_200600_302600_NS6detail15normal_iteratorINS9_10device_ptrIiEEEESE_PS5_SF_jNS0_19identity_decomposerENS1_16block_id_wrapperIjLb1EEEEE10hipError_tT1_PNSt15iterator_traitsISK_E10value_typeET2_T3_PNSL_ISQ_E10value_typeET4_T5_PSV_SW_PNS1_23onesweep_lookback_stateEbbT6_jjT7_P12ihipStream_tbENKUlT_T0_SK_SP_E_clISE_PiSF_SF_EEDaS13_S14_SK_SP_EUlS13_E_NS1_11comp_targetILNS1_3genE3ELNS1_11target_archE908ELNS1_3gpuE7ELNS1_3repE0EEENS1_47radix_sort_onesweep_sort_config_static_selectorELNS0_4arch9wavefront6targetE0EEEvSK_.uses_flat_scratch, 0
	.set _ZN7rocprim17ROCPRIM_400000_NS6detail17trampoline_kernelINS0_14default_configENS1_35radix_sort_onesweep_config_selectorIiNS0_10empty_typeEEEZZNS1_29radix_sort_onesweep_iterationIS3_Lb1EN6thrust23THRUST_200600_302600_NS6detail15normal_iteratorINS9_10device_ptrIiEEEESE_PS5_SF_jNS0_19identity_decomposerENS1_16block_id_wrapperIjLb1EEEEE10hipError_tT1_PNSt15iterator_traitsISK_E10value_typeET2_T3_PNSL_ISQ_E10value_typeET4_T5_PSV_SW_PNS1_23onesweep_lookback_stateEbbT6_jjT7_P12ihipStream_tbENKUlT_T0_SK_SP_E_clISE_PiSF_SF_EEDaS13_S14_SK_SP_EUlS13_E_NS1_11comp_targetILNS1_3genE3ELNS1_11target_archE908ELNS1_3gpuE7ELNS1_3repE0EEENS1_47radix_sort_onesweep_sort_config_static_selectorELNS0_4arch9wavefront6targetE0EEEvSK_.has_dyn_sized_stack, 0
	.set _ZN7rocprim17ROCPRIM_400000_NS6detail17trampoline_kernelINS0_14default_configENS1_35radix_sort_onesweep_config_selectorIiNS0_10empty_typeEEEZZNS1_29radix_sort_onesweep_iterationIS3_Lb1EN6thrust23THRUST_200600_302600_NS6detail15normal_iteratorINS9_10device_ptrIiEEEESE_PS5_SF_jNS0_19identity_decomposerENS1_16block_id_wrapperIjLb1EEEEE10hipError_tT1_PNSt15iterator_traitsISK_E10value_typeET2_T3_PNSL_ISQ_E10value_typeET4_T5_PSV_SW_PNS1_23onesweep_lookback_stateEbbT6_jjT7_P12ihipStream_tbENKUlT_T0_SK_SP_E_clISE_PiSF_SF_EEDaS13_S14_SK_SP_EUlS13_E_NS1_11comp_targetILNS1_3genE3ELNS1_11target_archE908ELNS1_3gpuE7ELNS1_3repE0EEENS1_47radix_sort_onesweep_sort_config_static_selectorELNS0_4arch9wavefront6targetE0EEEvSK_.has_recursion, 0
	.set _ZN7rocprim17ROCPRIM_400000_NS6detail17trampoline_kernelINS0_14default_configENS1_35radix_sort_onesweep_config_selectorIiNS0_10empty_typeEEEZZNS1_29radix_sort_onesweep_iterationIS3_Lb1EN6thrust23THRUST_200600_302600_NS6detail15normal_iteratorINS9_10device_ptrIiEEEESE_PS5_SF_jNS0_19identity_decomposerENS1_16block_id_wrapperIjLb1EEEEE10hipError_tT1_PNSt15iterator_traitsISK_E10value_typeET2_T3_PNSL_ISQ_E10value_typeET4_T5_PSV_SW_PNS1_23onesweep_lookback_stateEbbT6_jjT7_P12ihipStream_tbENKUlT_T0_SK_SP_E_clISE_PiSF_SF_EEDaS13_S14_SK_SP_EUlS13_E_NS1_11comp_targetILNS1_3genE3ELNS1_11target_archE908ELNS1_3gpuE7ELNS1_3repE0EEENS1_47radix_sort_onesweep_sort_config_static_selectorELNS0_4arch9wavefront6targetE0EEEvSK_.has_indirect_call, 0
	.section	.AMDGPU.csdata,"",@progbits
; Kernel info:
; codeLenInByte = 0
; TotalNumSgprs: 0
; NumVgprs: 0
; ScratchSize: 0
; MemoryBound: 0
; FloatMode: 240
; IeeeMode: 1
; LDSByteSize: 0 bytes/workgroup (compile time only)
; SGPRBlocks: 0
; VGPRBlocks: 0
; NumSGPRsForWavesPerEU: 1
; NumVGPRsForWavesPerEU: 1
; Occupancy: 16
; WaveLimiterHint : 0
; COMPUTE_PGM_RSRC2:SCRATCH_EN: 0
; COMPUTE_PGM_RSRC2:USER_SGPR: 6
; COMPUTE_PGM_RSRC2:TRAP_HANDLER: 0
; COMPUTE_PGM_RSRC2:TGID_X_EN: 1
; COMPUTE_PGM_RSRC2:TGID_Y_EN: 0
; COMPUTE_PGM_RSRC2:TGID_Z_EN: 0
; COMPUTE_PGM_RSRC2:TIDIG_COMP_CNT: 0
	.section	.text._ZN7rocprim17ROCPRIM_400000_NS6detail17trampoline_kernelINS0_14default_configENS1_35radix_sort_onesweep_config_selectorIiNS0_10empty_typeEEEZZNS1_29radix_sort_onesweep_iterationIS3_Lb1EN6thrust23THRUST_200600_302600_NS6detail15normal_iteratorINS9_10device_ptrIiEEEESE_PS5_SF_jNS0_19identity_decomposerENS1_16block_id_wrapperIjLb1EEEEE10hipError_tT1_PNSt15iterator_traitsISK_E10value_typeET2_T3_PNSL_ISQ_E10value_typeET4_T5_PSV_SW_PNS1_23onesweep_lookback_stateEbbT6_jjT7_P12ihipStream_tbENKUlT_T0_SK_SP_E_clISE_PiSF_SF_EEDaS13_S14_SK_SP_EUlS13_E_NS1_11comp_targetILNS1_3genE10ELNS1_11target_archE1201ELNS1_3gpuE5ELNS1_3repE0EEENS1_47radix_sort_onesweep_sort_config_static_selectorELNS0_4arch9wavefront6targetE0EEEvSK_,"axG",@progbits,_ZN7rocprim17ROCPRIM_400000_NS6detail17trampoline_kernelINS0_14default_configENS1_35radix_sort_onesweep_config_selectorIiNS0_10empty_typeEEEZZNS1_29radix_sort_onesweep_iterationIS3_Lb1EN6thrust23THRUST_200600_302600_NS6detail15normal_iteratorINS9_10device_ptrIiEEEESE_PS5_SF_jNS0_19identity_decomposerENS1_16block_id_wrapperIjLb1EEEEE10hipError_tT1_PNSt15iterator_traitsISK_E10value_typeET2_T3_PNSL_ISQ_E10value_typeET4_T5_PSV_SW_PNS1_23onesweep_lookback_stateEbbT6_jjT7_P12ihipStream_tbENKUlT_T0_SK_SP_E_clISE_PiSF_SF_EEDaS13_S14_SK_SP_EUlS13_E_NS1_11comp_targetILNS1_3genE10ELNS1_11target_archE1201ELNS1_3gpuE5ELNS1_3repE0EEENS1_47radix_sort_onesweep_sort_config_static_selectorELNS0_4arch9wavefront6targetE0EEEvSK_,comdat
	.protected	_ZN7rocprim17ROCPRIM_400000_NS6detail17trampoline_kernelINS0_14default_configENS1_35radix_sort_onesweep_config_selectorIiNS0_10empty_typeEEEZZNS1_29radix_sort_onesweep_iterationIS3_Lb1EN6thrust23THRUST_200600_302600_NS6detail15normal_iteratorINS9_10device_ptrIiEEEESE_PS5_SF_jNS0_19identity_decomposerENS1_16block_id_wrapperIjLb1EEEEE10hipError_tT1_PNSt15iterator_traitsISK_E10value_typeET2_T3_PNSL_ISQ_E10value_typeET4_T5_PSV_SW_PNS1_23onesweep_lookback_stateEbbT6_jjT7_P12ihipStream_tbENKUlT_T0_SK_SP_E_clISE_PiSF_SF_EEDaS13_S14_SK_SP_EUlS13_E_NS1_11comp_targetILNS1_3genE10ELNS1_11target_archE1201ELNS1_3gpuE5ELNS1_3repE0EEENS1_47radix_sort_onesweep_sort_config_static_selectorELNS0_4arch9wavefront6targetE0EEEvSK_ ; -- Begin function _ZN7rocprim17ROCPRIM_400000_NS6detail17trampoline_kernelINS0_14default_configENS1_35radix_sort_onesweep_config_selectorIiNS0_10empty_typeEEEZZNS1_29radix_sort_onesweep_iterationIS3_Lb1EN6thrust23THRUST_200600_302600_NS6detail15normal_iteratorINS9_10device_ptrIiEEEESE_PS5_SF_jNS0_19identity_decomposerENS1_16block_id_wrapperIjLb1EEEEE10hipError_tT1_PNSt15iterator_traitsISK_E10value_typeET2_T3_PNSL_ISQ_E10value_typeET4_T5_PSV_SW_PNS1_23onesweep_lookback_stateEbbT6_jjT7_P12ihipStream_tbENKUlT_T0_SK_SP_E_clISE_PiSF_SF_EEDaS13_S14_SK_SP_EUlS13_E_NS1_11comp_targetILNS1_3genE10ELNS1_11target_archE1201ELNS1_3gpuE5ELNS1_3repE0EEENS1_47radix_sort_onesweep_sort_config_static_selectorELNS0_4arch9wavefront6targetE0EEEvSK_
	.globl	_ZN7rocprim17ROCPRIM_400000_NS6detail17trampoline_kernelINS0_14default_configENS1_35radix_sort_onesweep_config_selectorIiNS0_10empty_typeEEEZZNS1_29radix_sort_onesweep_iterationIS3_Lb1EN6thrust23THRUST_200600_302600_NS6detail15normal_iteratorINS9_10device_ptrIiEEEESE_PS5_SF_jNS0_19identity_decomposerENS1_16block_id_wrapperIjLb1EEEEE10hipError_tT1_PNSt15iterator_traitsISK_E10value_typeET2_T3_PNSL_ISQ_E10value_typeET4_T5_PSV_SW_PNS1_23onesweep_lookback_stateEbbT6_jjT7_P12ihipStream_tbENKUlT_T0_SK_SP_E_clISE_PiSF_SF_EEDaS13_S14_SK_SP_EUlS13_E_NS1_11comp_targetILNS1_3genE10ELNS1_11target_archE1201ELNS1_3gpuE5ELNS1_3repE0EEENS1_47radix_sort_onesweep_sort_config_static_selectorELNS0_4arch9wavefront6targetE0EEEvSK_
	.p2align	8
	.type	_ZN7rocprim17ROCPRIM_400000_NS6detail17trampoline_kernelINS0_14default_configENS1_35radix_sort_onesweep_config_selectorIiNS0_10empty_typeEEEZZNS1_29radix_sort_onesweep_iterationIS3_Lb1EN6thrust23THRUST_200600_302600_NS6detail15normal_iteratorINS9_10device_ptrIiEEEESE_PS5_SF_jNS0_19identity_decomposerENS1_16block_id_wrapperIjLb1EEEEE10hipError_tT1_PNSt15iterator_traitsISK_E10value_typeET2_T3_PNSL_ISQ_E10value_typeET4_T5_PSV_SW_PNS1_23onesweep_lookback_stateEbbT6_jjT7_P12ihipStream_tbENKUlT_T0_SK_SP_E_clISE_PiSF_SF_EEDaS13_S14_SK_SP_EUlS13_E_NS1_11comp_targetILNS1_3genE10ELNS1_11target_archE1201ELNS1_3gpuE5ELNS1_3repE0EEENS1_47radix_sort_onesweep_sort_config_static_selectorELNS0_4arch9wavefront6targetE0EEEvSK_,@function
_ZN7rocprim17ROCPRIM_400000_NS6detail17trampoline_kernelINS0_14default_configENS1_35radix_sort_onesweep_config_selectorIiNS0_10empty_typeEEEZZNS1_29radix_sort_onesweep_iterationIS3_Lb1EN6thrust23THRUST_200600_302600_NS6detail15normal_iteratorINS9_10device_ptrIiEEEESE_PS5_SF_jNS0_19identity_decomposerENS1_16block_id_wrapperIjLb1EEEEE10hipError_tT1_PNSt15iterator_traitsISK_E10value_typeET2_T3_PNSL_ISQ_E10value_typeET4_T5_PSV_SW_PNS1_23onesweep_lookback_stateEbbT6_jjT7_P12ihipStream_tbENKUlT_T0_SK_SP_E_clISE_PiSF_SF_EEDaS13_S14_SK_SP_EUlS13_E_NS1_11comp_targetILNS1_3genE10ELNS1_11target_archE1201ELNS1_3gpuE5ELNS1_3repE0EEENS1_47radix_sort_onesweep_sort_config_static_selectorELNS0_4arch9wavefront6targetE0EEEvSK_: ; @_ZN7rocprim17ROCPRIM_400000_NS6detail17trampoline_kernelINS0_14default_configENS1_35radix_sort_onesweep_config_selectorIiNS0_10empty_typeEEEZZNS1_29radix_sort_onesweep_iterationIS3_Lb1EN6thrust23THRUST_200600_302600_NS6detail15normal_iteratorINS9_10device_ptrIiEEEESE_PS5_SF_jNS0_19identity_decomposerENS1_16block_id_wrapperIjLb1EEEEE10hipError_tT1_PNSt15iterator_traitsISK_E10value_typeET2_T3_PNSL_ISQ_E10value_typeET4_T5_PSV_SW_PNS1_23onesweep_lookback_stateEbbT6_jjT7_P12ihipStream_tbENKUlT_T0_SK_SP_E_clISE_PiSF_SF_EEDaS13_S14_SK_SP_EUlS13_E_NS1_11comp_targetILNS1_3genE10ELNS1_11target_archE1201ELNS1_3gpuE5ELNS1_3repE0EEENS1_47radix_sort_onesweep_sort_config_static_selectorELNS0_4arch9wavefront6targetE0EEEvSK_
; %bb.0:
	.section	.rodata,"a",@progbits
	.p2align	6, 0x0
	.amdhsa_kernel _ZN7rocprim17ROCPRIM_400000_NS6detail17trampoline_kernelINS0_14default_configENS1_35radix_sort_onesweep_config_selectorIiNS0_10empty_typeEEEZZNS1_29radix_sort_onesweep_iterationIS3_Lb1EN6thrust23THRUST_200600_302600_NS6detail15normal_iteratorINS9_10device_ptrIiEEEESE_PS5_SF_jNS0_19identity_decomposerENS1_16block_id_wrapperIjLb1EEEEE10hipError_tT1_PNSt15iterator_traitsISK_E10value_typeET2_T3_PNSL_ISQ_E10value_typeET4_T5_PSV_SW_PNS1_23onesweep_lookback_stateEbbT6_jjT7_P12ihipStream_tbENKUlT_T0_SK_SP_E_clISE_PiSF_SF_EEDaS13_S14_SK_SP_EUlS13_E_NS1_11comp_targetILNS1_3genE10ELNS1_11target_archE1201ELNS1_3gpuE5ELNS1_3repE0EEENS1_47radix_sort_onesweep_sort_config_static_selectorELNS0_4arch9wavefront6targetE0EEEvSK_
		.amdhsa_group_segment_fixed_size 0
		.amdhsa_private_segment_fixed_size 0
		.amdhsa_kernarg_size 88
		.amdhsa_user_sgpr_count 6
		.amdhsa_user_sgpr_private_segment_buffer 1
		.amdhsa_user_sgpr_dispatch_ptr 0
		.amdhsa_user_sgpr_queue_ptr 0
		.amdhsa_user_sgpr_kernarg_segment_ptr 1
		.amdhsa_user_sgpr_dispatch_id 0
		.amdhsa_user_sgpr_flat_scratch_init 0
		.amdhsa_user_sgpr_private_segment_size 0
		.amdhsa_wavefront_size32 1
		.amdhsa_uses_dynamic_stack 0
		.amdhsa_system_sgpr_private_segment_wavefront_offset 0
		.amdhsa_system_sgpr_workgroup_id_x 1
		.amdhsa_system_sgpr_workgroup_id_y 0
		.amdhsa_system_sgpr_workgroup_id_z 0
		.amdhsa_system_sgpr_workgroup_info 0
		.amdhsa_system_vgpr_workitem_id 0
		.amdhsa_next_free_vgpr 1
		.amdhsa_next_free_sgpr 1
		.amdhsa_reserve_vcc 0
		.amdhsa_reserve_flat_scratch 0
		.amdhsa_float_round_mode_32 0
		.amdhsa_float_round_mode_16_64 0
		.amdhsa_float_denorm_mode_32 3
		.amdhsa_float_denorm_mode_16_64 3
		.amdhsa_dx10_clamp 1
		.amdhsa_ieee_mode 1
		.amdhsa_fp16_overflow 0
		.amdhsa_workgroup_processor_mode 1
		.amdhsa_memory_ordered 1
		.amdhsa_forward_progress 1
		.amdhsa_shared_vgpr_count 0
		.amdhsa_exception_fp_ieee_invalid_op 0
		.amdhsa_exception_fp_denorm_src 0
		.amdhsa_exception_fp_ieee_div_zero 0
		.amdhsa_exception_fp_ieee_overflow 0
		.amdhsa_exception_fp_ieee_underflow 0
		.amdhsa_exception_fp_ieee_inexact 0
		.amdhsa_exception_int_div_zero 0
	.end_amdhsa_kernel
	.section	.text._ZN7rocprim17ROCPRIM_400000_NS6detail17trampoline_kernelINS0_14default_configENS1_35radix_sort_onesweep_config_selectorIiNS0_10empty_typeEEEZZNS1_29radix_sort_onesweep_iterationIS3_Lb1EN6thrust23THRUST_200600_302600_NS6detail15normal_iteratorINS9_10device_ptrIiEEEESE_PS5_SF_jNS0_19identity_decomposerENS1_16block_id_wrapperIjLb1EEEEE10hipError_tT1_PNSt15iterator_traitsISK_E10value_typeET2_T3_PNSL_ISQ_E10value_typeET4_T5_PSV_SW_PNS1_23onesweep_lookback_stateEbbT6_jjT7_P12ihipStream_tbENKUlT_T0_SK_SP_E_clISE_PiSF_SF_EEDaS13_S14_SK_SP_EUlS13_E_NS1_11comp_targetILNS1_3genE10ELNS1_11target_archE1201ELNS1_3gpuE5ELNS1_3repE0EEENS1_47radix_sort_onesweep_sort_config_static_selectorELNS0_4arch9wavefront6targetE0EEEvSK_,"axG",@progbits,_ZN7rocprim17ROCPRIM_400000_NS6detail17trampoline_kernelINS0_14default_configENS1_35radix_sort_onesweep_config_selectorIiNS0_10empty_typeEEEZZNS1_29radix_sort_onesweep_iterationIS3_Lb1EN6thrust23THRUST_200600_302600_NS6detail15normal_iteratorINS9_10device_ptrIiEEEESE_PS5_SF_jNS0_19identity_decomposerENS1_16block_id_wrapperIjLb1EEEEE10hipError_tT1_PNSt15iterator_traitsISK_E10value_typeET2_T3_PNSL_ISQ_E10value_typeET4_T5_PSV_SW_PNS1_23onesweep_lookback_stateEbbT6_jjT7_P12ihipStream_tbENKUlT_T0_SK_SP_E_clISE_PiSF_SF_EEDaS13_S14_SK_SP_EUlS13_E_NS1_11comp_targetILNS1_3genE10ELNS1_11target_archE1201ELNS1_3gpuE5ELNS1_3repE0EEENS1_47radix_sort_onesweep_sort_config_static_selectorELNS0_4arch9wavefront6targetE0EEEvSK_,comdat
.Lfunc_end351:
	.size	_ZN7rocprim17ROCPRIM_400000_NS6detail17trampoline_kernelINS0_14default_configENS1_35radix_sort_onesweep_config_selectorIiNS0_10empty_typeEEEZZNS1_29radix_sort_onesweep_iterationIS3_Lb1EN6thrust23THRUST_200600_302600_NS6detail15normal_iteratorINS9_10device_ptrIiEEEESE_PS5_SF_jNS0_19identity_decomposerENS1_16block_id_wrapperIjLb1EEEEE10hipError_tT1_PNSt15iterator_traitsISK_E10value_typeET2_T3_PNSL_ISQ_E10value_typeET4_T5_PSV_SW_PNS1_23onesweep_lookback_stateEbbT6_jjT7_P12ihipStream_tbENKUlT_T0_SK_SP_E_clISE_PiSF_SF_EEDaS13_S14_SK_SP_EUlS13_E_NS1_11comp_targetILNS1_3genE10ELNS1_11target_archE1201ELNS1_3gpuE5ELNS1_3repE0EEENS1_47radix_sort_onesweep_sort_config_static_selectorELNS0_4arch9wavefront6targetE0EEEvSK_, .Lfunc_end351-_ZN7rocprim17ROCPRIM_400000_NS6detail17trampoline_kernelINS0_14default_configENS1_35radix_sort_onesweep_config_selectorIiNS0_10empty_typeEEEZZNS1_29radix_sort_onesweep_iterationIS3_Lb1EN6thrust23THRUST_200600_302600_NS6detail15normal_iteratorINS9_10device_ptrIiEEEESE_PS5_SF_jNS0_19identity_decomposerENS1_16block_id_wrapperIjLb1EEEEE10hipError_tT1_PNSt15iterator_traitsISK_E10value_typeET2_T3_PNSL_ISQ_E10value_typeET4_T5_PSV_SW_PNS1_23onesweep_lookback_stateEbbT6_jjT7_P12ihipStream_tbENKUlT_T0_SK_SP_E_clISE_PiSF_SF_EEDaS13_S14_SK_SP_EUlS13_E_NS1_11comp_targetILNS1_3genE10ELNS1_11target_archE1201ELNS1_3gpuE5ELNS1_3repE0EEENS1_47radix_sort_onesweep_sort_config_static_selectorELNS0_4arch9wavefront6targetE0EEEvSK_
                                        ; -- End function
	.set _ZN7rocprim17ROCPRIM_400000_NS6detail17trampoline_kernelINS0_14default_configENS1_35radix_sort_onesweep_config_selectorIiNS0_10empty_typeEEEZZNS1_29radix_sort_onesweep_iterationIS3_Lb1EN6thrust23THRUST_200600_302600_NS6detail15normal_iteratorINS9_10device_ptrIiEEEESE_PS5_SF_jNS0_19identity_decomposerENS1_16block_id_wrapperIjLb1EEEEE10hipError_tT1_PNSt15iterator_traitsISK_E10value_typeET2_T3_PNSL_ISQ_E10value_typeET4_T5_PSV_SW_PNS1_23onesweep_lookback_stateEbbT6_jjT7_P12ihipStream_tbENKUlT_T0_SK_SP_E_clISE_PiSF_SF_EEDaS13_S14_SK_SP_EUlS13_E_NS1_11comp_targetILNS1_3genE10ELNS1_11target_archE1201ELNS1_3gpuE5ELNS1_3repE0EEENS1_47radix_sort_onesweep_sort_config_static_selectorELNS0_4arch9wavefront6targetE0EEEvSK_.num_vgpr, 0
	.set _ZN7rocprim17ROCPRIM_400000_NS6detail17trampoline_kernelINS0_14default_configENS1_35radix_sort_onesweep_config_selectorIiNS0_10empty_typeEEEZZNS1_29radix_sort_onesweep_iterationIS3_Lb1EN6thrust23THRUST_200600_302600_NS6detail15normal_iteratorINS9_10device_ptrIiEEEESE_PS5_SF_jNS0_19identity_decomposerENS1_16block_id_wrapperIjLb1EEEEE10hipError_tT1_PNSt15iterator_traitsISK_E10value_typeET2_T3_PNSL_ISQ_E10value_typeET4_T5_PSV_SW_PNS1_23onesweep_lookback_stateEbbT6_jjT7_P12ihipStream_tbENKUlT_T0_SK_SP_E_clISE_PiSF_SF_EEDaS13_S14_SK_SP_EUlS13_E_NS1_11comp_targetILNS1_3genE10ELNS1_11target_archE1201ELNS1_3gpuE5ELNS1_3repE0EEENS1_47radix_sort_onesweep_sort_config_static_selectorELNS0_4arch9wavefront6targetE0EEEvSK_.num_agpr, 0
	.set _ZN7rocprim17ROCPRIM_400000_NS6detail17trampoline_kernelINS0_14default_configENS1_35radix_sort_onesweep_config_selectorIiNS0_10empty_typeEEEZZNS1_29radix_sort_onesweep_iterationIS3_Lb1EN6thrust23THRUST_200600_302600_NS6detail15normal_iteratorINS9_10device_ptrIiEEEESE_PS5_SF_jNS0_19identity_decomposerENS1_16block_id_wrapperIjLb1EEEEE10hipError_tT1_PNSt15iterator_traitsISK_E10value_typeET2_T3_PNSL_ISQ_E10value_typeET4_T5_PSV_SW_PNS1_23onesweep_lookback_stateEbbT6_jjT7_P12ihipStream_tbENKUlT_T0_SK_SP_E_clISE_PiSF_SF_EEDaS13_S14_SK_SP_EUlS13_E_NS1_11comp_targetILNS1_3genE10ELNS1_11target_archE1201ELNS1_3gpuE5ELNS1_3repE0EEENS1_47radix_sort_onesweep_sort_config_static_selectorELNS0_4arch9wavefront6targetE0EEEvSK_.numbered_sgpr, 0
	.set _ZN7rocprim17ROCPRIM_400000_NS6detail17trampoline_kernelINS0_14default_configENS1_35radix_sort_onesweep_config_selectorIiNS0_10empty_typeEEEZZNS1_29radix_sort_onesweep_iterationIS3_Lb1EN6thrust23THRUST_200600_302600_NS6detail15normal_iteratorINS9_10device_ptrIiEEEESE_PS5_SF_jNS0_19identity_decomposerENS1_16block_id_wrapperIjLb1EEEEE10hipError_tT1_PNSt15iterator_traitsISK_E10value_typeET2_T3_PNSL_ISQ_E10value_typeET4_T5_PSV_SW_PNS1_23onesweep_lookback_stateEbbT6_jjT7_P12ihipStream_tbENKUlT_T0_SK_SP_E_clISE_PiSF_SF_EEDaS13_S14_SK_SP_EUlS13_E_NS1_11comp_targetILNS1_3genE10ELNS1_11target_archE1201ELNS1_3gpuE5ELNS1_3repE0EEENS1_47radix_sort_onesweep_sort_config_static_selectorELNS0_4arch9wavefront6targetE0EEEvSK_.num_named_barrier, 0
	.set _ZN7rocprim17ROCPRIM_400000_NS6detail17trampoline_kernelINS0_14default_configENS1_35radix_sort_onesweep_config_selectorIiNS0_10empty_typeEEEZZNS1_29radix_sort_onesweep_iterationIS3_Lb1EN6thrust23THRUST_200600_302600_NS6detail15normal_iteratorINS9_10device_ptrIiEEEESE_PS5_SF_jNS0_19identity_decomposerENS1_16block_id_wrapperIjLb1EEEEE10hipError_tT1_PNSt15iterator_traitsISK_E10value_typeET2_T3_PNSL_ISQ_E10value_typeET4_T5_PSV_SW_PNS1_23onesweep_lookback_stateEbbT6_jjT7_P12ihipStream_tbENKUlT_T0_SK_SP_E_clISE_PiSF_SF_EEDaS13_S14_SK_SP_EUlS13_E_NS1_11comp_targetILNS1_3genE10ELNS1_11target_archE1201ELNS1_3gpuE5ELNS1_3repE0EEENS1_47radix_sort_onesweep_sort_config_static_selectorELNS0_4arch9wavefront6targetE0EEEvSK_.private_seg_size, 0
	.set _ZN7rocprim17ROCPRIM_400000_NS6detail17trampoline_kernelINS0_14default_configENS1_35radix_sort_onesweep_config_selectorIiNS0_10empty_typeEEEZZNS1_29radix_sort_onesweep_iterationIS3_Lb1EN6thrust23THRUST_200600_302600_NS6detail15normal_iteratorINS9_10device_ptrIiEEEESE_PS5_SF_jNS0_19identity_decomposerENS1_16block_id_wrapperIjLb1EEEEE10hipError_tT1_PNSt15iterator_traitsISK_E10value_typeET2_T3_PNSL_ISQ_E10value_typeET4_T5_PSV_SW_PNS1_23onesweep_lookback_stateEbbT6_jjT7_P12ihipStream_tbENKUlT_T0_SK_SP_E_clISE_PiSF_SF_EEDaS13_S14_SK_SP_EUlS13_E_NS1_11comp_targetILNS1_3genE10ELNS1_11target_archE1201ELNS1_3gpuE5ELNS1_3repE0EEENS1_47radix_sort_onesweep_sort_config_static_selectorELNS0_4arch9wavefront6targetE0EEEvSK_.uses_vcc, 0
	.set _ZN7rocprim17ROCPRIM_400000_NS6detail17trampoline_kernelINS0_14default_configENS1_35radix_sort_onesweep_config_selectorIiNS0_10empty_typeEEEZZNS1_29radix_sort_onesweep_iterationIS3_Lb1EN6thrust23THRUST_200600_302600_NS6detail15normal_iteratorINS9_10device_ptrIiEEEESE_PS5_SF_jNS0_19identity_decomposerENS1_16block_id_wrapperIjLb1EEEEE10hipError_tT1_PNSt15iterator_traitsISK_E10value_typeET2_T3_PNSL_ISQ_E10value_typeET4_T5_PSV_SW_PNS1_23onesweep_lookback_stateEbbT6_jjT7_P12ihipStream_tbENKUlT_T0_SK_SP_E_clISE_PiSF_SF_EEDaS13_S14_SK_SP_EUlS13_E_NS1_11comp_targetILNS1_3genE10ELNS1_11target_archE1201ELNS1_3gpuE5ELNS1_3repE0EEENS1_47radix_sort_onesweep_sort_config_static_selectorELNS0_4arch9wavefront6targetE0EEEvSK_.uses_flat_scratch, 0
	.set _ZN7rocprim17ROCPRIM_400000_NS6detail17trampoline_kernelINS0_14default_configENS1_35radix_sort_onesweep_config_selectorIiNS0_10empty_typeEEEZZNS1_29radix_sort_onesweep_iterationIS3_Lb1EN6thrust23THRUST_200600_302600_NS6detail15normal_iteratorINS9_10device_ptrIiEEEESE_PS5_SF_jNS0_19identity_decomposerENS1_16block_id_wrapperIjLb1EEEEE10hipError_tT1_PNSt15iterator_traitsISK_E10value_typeET2_T3_PNSL_ISQ_E10value_typeET4_T5_PSV_SW_PNS1_23onesweep_lookback_stateEbbT6_jjT7_P12ihipStream_tbENKUlT_T0_SK_SP_E_clISE_PiSF_SF_EEDaS13_S14_SK_SP_EUlS13_E_NS1_11comp_targetILNS1_3genE10ELNS1_11target_archE1201ELNS1_3gpuE5ELNS1_3repE0EEENS1_47radix_sort_onesweep_sort_config_static_selectorELNS0_4arch9wavefront6targetE0EEEvSK_.has_dyn_sized_stack, 0
	.set _ZN7rocprim17ROCPRIM_400000_NS6detail17trampoline_kernelINS0_14default_configENS1_35radix_sort_onesweep_config_selectorIiNS0_10empty_typeEEEZZNS1_29radix_sort_onesweep_iterationIS3_Lb1EN6thrust23THRUST_200600_302600_NS6detail15normal_iteratorINS9_10device_ptrIiEEEESE_PS5_SF_jNS0_19identity_decomposerENS1_16block_id_wrapperIjLb1EEEEE10hipError_tT1_PNSt15iterator_traitsISK_E10value_typeET2_T3_PNSL_ISQ_E10value_typeET4_T5_PSV_SW_PNS1_23onesweep_lookback_stateEbbT6_jjT7_P12ihipStream_tbENKUlT_T0_SK_SP_E_clISE_PiSF_SF_EEDaS13_S14_SK_SP_EUlS13_E_NS1_11comp_targetILNS1_3genE10ELNS1_11target_archE1201ELNS1_3gpuE5ELNS1_3repE0EEENS1_47radix_sort_onesweep_sort_config_static_selectorELNS0_4arch9wavefront6targetE0EEEvSK_.has_recursion, 0
	.set _ZN7rocprim17ROCPRIM_400000_NS6detail17trampoline_kernelINS0_14default_configENS1_35radix_sort_onesweep_config_selectorIiNS0_10empty_typeEEEZZNS1_29radix_sort_onesweep_iterationIS3_Lb1EN6thrust23THRUST_200600_302600_NS6detail15normal_iteratorINS9_10device_ptrIiEEEESE_PS5_SF_jNS0_19identity_decomposerENS1_16block_id_wrapperIjLb1EEEEE10hipError_tT1_PNSt15iterator_traitsISK_E10value_typeET2_T3_PNSL_ISQ_E10value_typeET4_T5_PSV_SW_PNS1_23onesweep_lookback_stateEbbT6_jjT7_P12ihipStream_tbENKUlT_T0_SK_SP_E_clISE_PiSF_SF_EEDaS13_S14_SK_SP_EUlS13_E_NS1_11comp_targetILNS1_3genE10ELNS1_11target_archE1201ELNS1_3gpuE5ELNS1_3repE0EEENS1_47radix_sort_onesweep_sort_config_static_selectorELNS0_4arch9wavefront6targetE0EEEvSK_.has_indirect_call, 0
	.section	.AMDGPU.csdata,"",@progbits
; Kernel info:
; codeLenInByte = 0
; TotalNumSgprs: 0
; NumVgprs: 0
; ScratchSize: 0
; MemoryBound: 0
; FloatMode: 240
; IeeeMode: 1
; LDSByteSize: 0 bytes/workgroup (compile time only)
; SGPRBlocks: 0
; VGPRBlocks: 0
; NumSGPRsForWavesPerEU: 1
; NumVGPRsForWavesPerEU: 1
; Occupancy: 16
; WaveLimiterHint : 0
; COMPUTE_PGM_RSRC2:SCRATCH_EN: 0
; COMPUTE_PGM_RSRC2:USER_SGPR: 6
; COMPUTE_PGM_RSRC2:TRAP_HANDLER: 0
; COMPUTE_PGM_RSRC2:TGID_X_EN: 1
; COMPUTE_PGM_RSRC2:TGID_Y_EN: 0
; COMPUTE_PGM_RSRC2:TGID_Z_EN: 0
; COMPUTE_PGM_RSRC2:TIDIG_COMP_CNT: 0
	.section	.text._ZN7rocprim17ROCPRIM_400000_NS6detail17trampoline_kernelINS0_14default_configENS1_35radix_sort_onesweep_config_selectorIiNS0_10empty_typeEEEZZNS1_29radix_sort_onesweep_iterationIS3_Lb1EN6thrust23THRUST_200600_302600_NS6detail15normal_iteratorINS9_10device_ptrIiEEEESE_PS5_SF_jNS0_19identity_decomposerENS1_16block_id_wrapperIjLb1EEEEE10hipError_tT1_PNSt15iterator_traitsISK_E10value_typeET2_T3_PNSL_ISQ_E10value_typeET4_T5_PSV_SW_PNS1_23onesweep_lookback_stateEbbT6_jjT7_P12ihipStream_tbENKUlT_T0_SK_SP_E_clISE_PiSF_SF_EEDaS13_S14_SK_SP_EUlS13_E_NS1_11comp_targetILNS1_3genE9ELNS1_11target_archE1100ELNS1_3gpuE3ELNS1_3repE0EEENS1_47radix_sort_onesweep_sort_config_static_selectorELNS0_4arch9wavefront6targetE0EEEvSK_,"axG",@progbits,_ZN7rocprim17ROCPRIM_400000_NS6detail17trampoline_kernelINS0_14default_configENS1_35radix_sort_onesweep_config_selectorIiNS0_10empty_typeEEEZZNS1_29radix_sort_onesweep_iterationIS3_Lb1EN6thrust23THRUST_200600_302600_NS6detail15normal_iteratorINS9_10device_ptrIiEEEESE_PS5_SF_jNS0_19identity_decomposerENS1_16block_id_wrapperIjLb1EEEEE10hipError_tT1_PNSt15iterator_traitsISK_E10value_typeET2_T3_PNSL_ISQ_E10value_typeET4_T5_PSV_SW_PNS1_23onesweep_lookback_stateEbbT6_jjT7_P12ihipStream_tbENKUlT_T0_SK_SP_E_clISE_PiSF_SF_EEDaS13_S14_SK_SP_EUlS13_E_NS1_11comp_targetILNS1_3genE9ELNS1_11target_archE1100ELNS1_3gpuE3ELNS1_3repE0EEENS1_47radix_sort_onesweep_sort_config_static_selectorELNS0_4arch9wavefront6targetE0EEEvSK_,comdat
	.protected	_ZN7rocprim17ROCPRIM_400000_NS6detail17trampoline_kernelINS0_14default_configENS1_35radix_sort_onesweep_config_selectorIiNS0_10empty_typeEEEZZNS1_29radix_sort_onesweep_iterationIS3_Lb1EN6thrust23THRUST_200600_302600_NS6detail15normal_iteratorINS9_10device_ptrIiEEEESE_PS5_SF_jNS0_19identity_decomposerENS1_16block_id_wrapperIjLb1EEEEE10hipError_tT1_PNSt15iterator_traitsISK_E10value_typeET2_T3_PNSL_ISQ_E10value_typeET4_T5_PSV_SW_PNS1_23onesweep_lookback_stateEbbT6_jjT7_P12ihipStream_tbENKUlT_T0_SK_SP_E_clISE_PiSF_SF_EEDaS13_S14_SK_SP_EUlS13_E_NS1_11comp_targetILNS1_3genE9ELNS1_11target_archE1100ELNS1_3gpuE3ELNS1_3repE0EEENS1_47radix_sort_onesweep_sort_config_static_selectorELNS0_4arch9wavefront6targetE0EEEvSK_ ; -- Begin function _ZN7rocprim17ROCPRIM_400000_NS6detail17trampoline_kernelINS0_14default_configENS1_35radix_sort_onesweep_config_selectorIiNS0_10empty_typeEEEZZNS1_29radix_sort_onesweep_iterationIS3_Lb1EN6thrust23THRUST_200600_302600_NS6detail15normal_iteratorINS9_10device_ptrIiEEEESE_PS5_SF_jNS0_19identity_decomposerENS1_16block_id_wrapperIjLb1EEEEE10hipError_tT1_PNSt15iterator_traitsISK_E10value_typeET2_T3_PNSL_ISQ_E10value_typeET4_T5_PSV_SW_PNS1_23onesweep_lookback_stateEbbT6_jjT7_P12ihipStream_tbENKUlT_T0_SK_SP_E_clISE_PiSF_SF_EEDaS13_S14_SK_SP_EUlS13_E_NS1_11comp_targetILNS1_3genE9ELNS1_11target_archE1100ELNS1_3gpuE3ELNS1_3repE0EEENS1_47radix_sort_onesweep_sort_config_static_selectorELNS0_4arch9wavefront6targetE0EEEvSK_
	.globl	_ZN7rocprim17ROCPRIM_400000_NS6detail17trampoline_kernelINS0_14default_configENS1_35radix_sort_onesweep_config_selectorIiNS0_10empty_typeEEEZZNS1_29radix_sort_onesweep_iterationIS3_Lb1EN6thrust23THRUST_200600_302600_NS6detail15normal_iteratorINS9_10device_ptrIiEEEESE_PS5_SF_jNS0_19identity_decomposerENS1_16block_id_wrapperIjLb1EEEEE10hipError_tT1_PNSt15iterator_traitsISK_E10value_typeET2_T3_PNSL_ISQ_E10value_typeET4_T5_PSV_SW_PNS1_23onesweep_lookback_stateEbbT6_jjT7_P12ihipStream_tbENKUlT_T0_SK_SP_E_clISE_PiSF_SF_EEDaS13_S14_SK_SP_EUlS13_E_NS1_11comp_targetILNS1_3genE9ELNS1_11target_archE1100ELNS1_3gpuE3ELNS1_3repE0EEENS1_47radix_sort_onesweep_sort_config_static_selectorELNS0_4arch9wavefront6targetE0EEEvSK_
	.p2align	8
	.type	_ZN7rocprim17ROCPRIM_400000_NS6detail17trampoline_kernelINS0_14default_configENS1_35radix_sort_onesweep_config_selectorIiNS0_10empty_typeEEEZZNS1_29radix_sort_onesweep_iterationIS3_Lb1EN6thrust23THRUST_200600_302600_NS6detail15normal_iteratorINS9_10device_ptrIiEEEESE_PS5_SF_jNS0_19identity_decomposerENS1_16block_id_wrapperIjLb1EEEEE10hipError_tT1_PNSt15iterator_traitsISK_E10value_typeET2_T3_PNSL_ISQ_E10value_typeET4_T5_PSV_SW_PNS1_23onesweep_lookback_stateEbbT6_jjT7_P12ihipStream_tbENKUlT_T0_SK_SP_E_clISE_PiSF_SF_EEDaS13_S14_SK_SP_EUlS13_E_NS1_11comp_targetILNS1_3genE9ELNS1_11target_archE1100ELNS1_3gpuE3ELNS1_3repE0EEENS1_47radix_sort_onesweep_sort_config_static_selectorELNS0_4arch9wavefront6targetE0EEEvSK_,@function
_ZN7rocprim17ROCPRIM_400000_NS6detail17trampoline_kernelINS0_14default_configENS1_35radix_sort_onesweep_config_selectorIiNS0_10empty_typeEEEZZNS1_29radix_sort_onesweep_iterationIS3_Lb1EN6thrust23THRUST_200600_302600_NS6detail15normal_iteratorINS9_10device_ptrIiEEEESE_PS5_SF_jNS0_19identity_decomposerENS1_16block_id_wrapperIjLb1EEEEE10hipError_tT1_PNSt15iterator_traitsISK_E10value_typeET2_T3_PNSL_ISQ_E10value_typeET4_T5_PSV_SW_PNS1_23onesweep_lookback_stateEbbT6_jjT7_P12ihipStream_tbENKUlT_T0_SK_SP_E_clISE_PiSF_SF_EEDaS13_S14_SK_SP_EUlS13_E_NS1_11comp_targetILNS1_3genE9ELNS1_11target_archE1100ELNS1_3gpuE3ELNS1_3repE0EEENS1_47radix_sort_onesweep_sort_config_static_selectorELNS0_4arch9wavefront6targetE0EEEvSK_: ; @_ZN7rocprim17ROCPRIM_400000_NS6detail17trampoline_kernelINS0_14default_configENS1_35radix_sort_onesweep_config_selectorIiNS0_10empty_typeEEEZZNS1_29radix_sort_onesweep_iterationIS3_Lb1EN6thrust23THRUST_200600_302600_NS6detail15normal_iteratorINS9_10device_ptrIiEEEESE_PS5_SF_jNS0_19identity_decomposerENS1_16block_id_wrapperIjLb1EEEEE10hipError_tT1_PNSt15iterator_traitsISK_E10value_typeET2_T3_PNSL_ISQ_E10value_typeET4_T5_PSV_SW_PNS1_23onesweep_lookback_stateEbbT6_jjT7_P12ihipStream_tbENKUlT_T0_SK_SP_E_clISE_PiSF_SF_EEDaS13_S14_SK_SP_EUlS13_E_NS1_11comp_targetILNS1_3genE9ELNS1_11target_archE1100ELNS1_3gpuE3ELNS1_3repE0EEENS1_47radix_sort_onesweep_sort_config_static_selectorELNS0_4arch9wavefront6targetE0EEEvSK_
; %bb.0:
	.section	.rodata,"a",@progbits
	.p2align	6, 0x0
	.amdhsa_kernel _ZN7rocprim17ROCPRIM_400000_NS6detail17trampoline_kernelINS0_14default_configENS1_35radix_sort_onesweep_config_selectorIiNS0_10empty_typeEEEZZNS1_29radix_sort_onesweep_iterationIS3_Lb1EN6thrust23THRUST_200600_302600_NS6detail15normal_iteratorINS9_10device_ptrIiEEEESE_PS5_SF_jNS0_19identity_decomposerENS1_16block_id_wrapperIjLb1EEEEE10hipError_tT1_PNSt15iterator_traitsISK_E10value_typeET2_T3_PNSL_ISQ_E10value_typeET4_T5_PSV_SW_PNS1_23onesweep_lookback_stateEbbT6_jjT7_P12ihipStream_tbENKUlT_T0_SK_SP_E_clISE_PiSF_SF_EEDaS13_S14_SK_SP_EUlS13_E_NS1_11comp_targetILNS1_3genE9ELNS1_11target_archE1100ELNS1_3gpuE3ELNS1_3repE0EEENS1_47radix_sort_onesweep_sort_config_static_selectorELNS0_4arch9wavefront6targetE0EEEvSK_
		.amdhsa_group_segment_fixed_size 0
		.amdhsa_private_segment_fixed_size 0
		.amdhsa_kernarg_size 88
		.amdhsa_user_sgpr_count 6
		.amdhsa_user_sgpr_private_segment_buffer 1
		.amdhsa_user_sgpr_dispatch_ptr 0
		.amdhsa_user_sgpr_queue_ptr 0
		.amdhsa_user_sgpr_kernarg_segment_ptr 1
		.amdhsa_user_sgpr_dispatch_id 0
		.amdhsa_user_sgpr_flat_scratch_init 0
		.amdhsa_user_sgpr_private_segment_size 0
		.amdhsa_wavefront_size32 1
		.amdhsa_uses_dynamic_stack 0
		.amdhsa_system_sgpr_private_segment_wavefront_offset 0
		.amdhsa_system_sgpr_workgroup_id_x 1
		.amdhsa_system_sgpr_workgroup_id_y 0
		.amdhsa_system_sgpr_workgroup_id_z 0
		.amdhsa_system_sgpr_workgroup_info 0
		.amdhsa_system_vgpr_workitem_id 0
		.amdhsa_next_free_vgpr 1
		.amdhsa_next_free_sgpr 1
		.amdhsa_reserve_vcc 0
		.amdhsa_reserve_flat_scratch 0
		.amdhsa_float_round_mode_32 0
		.amdhsa_float_round_mode_16_64 0
		.amdhsa_float_denorm_mode_32 3
		.amdhsa_float_denorm_mode_16_64 3
		.amdhsa_dx10_clamp 1
		.amdhsa_ieee_mode 1
		.amdhsa_fp16_overflow 0
		.amdhsa_workgroup_processor_mode 1
		.amdhsa_memory_ordered 1
		.amdhsa_forward_progress 1
		.amdhsa_shared_vgpr_count 0
		.amdhsa_exception_fp_ieee_invalid_op 0
		.amdhsa_exception_fp_denorm_src 0
		.amdhsa_exception_fp_ieee_div_zero 0
		.amdhsa_exception_fp_ieee_overflow 0
		.amdhsa_exception_fp_ieee_underflow 0
		.amdhsa_exception_fp_ieee_inexact 0
		.amdhsa_exception_int_div_zero 0
	.end_amdhsa_kernel
	.section	.text._ZN7rocprim17ROCPRIM_400000_NS6detail17trampoline_kernelINS0_14default_configENS1_35radix_sort_onesweep_config_selectorIiNS0_10empty_typeEEEZZNS1_29radix_sort_onesweep_iterationIS3_Lb1EN6thrust23THRUST_200600_302600_NS6detail15normal_iteratorINS9_10device_ptrIiEEEESE_PS5_SF_jNS0_19identity_decomposerENS1_16block_id_wrapperIjLb1EEEEE10hipError_tT1_PNSt15iterator_traitsISK_E10value_typeET2_T3_PNSL_ISQ_E10value_typeET4_T5_PSV_SW_PNS1_23onesweep_lookback_stateEbbT6_jjT7_P12ihipStream_tbENKUlT_T0_SK_SP_E_clISE_PiSF_SF_EEDaS13_S14_SK_SP_EUlS13_E_NS1_11comp_targetILNS1_3genE9ELNS1_11target_archE1100ELNS1_3gpuE3ELNS1_3repE0EEENS1_47radix_sort_onesweep_sort_config_static_selectorELNS0_4arch9wavefront6targetE0EEEvSK_,"axG",@progbits,_ZN7rocprim17ROCPRIM_400000_NS6detail17trampoline_kernelINS0_14default_configENS1_35radix_sort_onesweep_config_selectorIiNS0_10empty_typeEEEZZNS1_29radix_sort_onesweep_iterationIS3_Lb1EN6thrust23THRUST_200600_302600_NS6detail15normal_iteratorINS9_10device_ptrIiEEEESE_PS5_SF_jNS0_19identity_decomposerENS1_16block_id_wrapperIjLb1EEEEE10hipError_tT1_PNSt15iterator_traitsISK_E10value_typeET2_T3_PNSL_ISQ_E10value_typeET4_T5_PSV_SW_PNS1_23onesweep_lookback_stateEbbT6_jjT7_P12ihipStream_tbENKUlT_T0_SK_SP_E_clISE_PiSF_SF_EEDaS13_S14_SK_SP_EUlS13_E_NS1_11comp_targetILNS1_3genE9ELNS1_11target_archE1100ELNS1_3gpuE3ELNS1_3repE0EEENS1_47radix_sort_onesweep_sort_config_static_selectorELNS0_4arch9wavefront6targetE0EEEvSK_,comdat
.Lfunc_end352:
	.size	_ZN7rocprim17ROCPRIM_400000_NS6detail17trampoline_kernelINS0_14default_configENS1_35radix_sort_onesweep_config_selectorIiNS0_10empty_typeEEEZZNS1_29radix_sort_onesweep_iterationIS3_Lb1EN6thrust23THRUST_200600_302600_NS6detail15normal_iteratorINS9_10device_ptrIiEEEESE_PS5_SF_jNS0_19identity_decomposerENS1_16block_id_wrapperIjLb1EEEEE10hipError_tT1_PNSt15iterator_traitsISK_E10value_typeET2_T3_PNSL_ISQ_E10value_typeET4_T5_PSV_SW_PNS1_23onesweep_lookback_stateEbbT6_jjT7_P12ihipStream_tbENKUlT_T0_SK_SP_E_clISE_PiSF_SF_EEDaS13_S14_SK_SP_EUlS13_E_NS1_11comp_targetILNS1_3genE9ELNS1_11target_archE1100ELNS1_3gpuE3ELNS1_3repE0EEENS1_47radix_sort_onesweep_sort_config_static_selectorELNS0_4arch9wavefront6targetE0EEEvSK_, .Lfunc_end352-_ZN7rocprim17ROCPRIM_400000_NS6detail17trampoline_kernelINS0_14default_configENS1_35radix_sort_onesweep_config_selectorIiNS0_10empty_typeEEEZZNS1_29radix_sort_onesweep_iterationIS3_Lb1EN6thrust23THRUST_200600_302600_NS6detail15normal_iteratorINS9_10device_ptrIiEEEESE_PS5_SF_jNS0_19identity_decomposerENS1_16block_id_wrapperIjLb1EEEEE10hipError_tT1_PNSt15iterator_traitsISK_E10value_typeET2_T3_PNSL_ISQ_E10value_typeET4_T5_PSV_SW_PNS1_23onesweep_lookback_stateEbbT6_jjT7_P12ihipStream_tbENKUlT_T0_SK_SP_E_clISE_PiSF_SF_EEDaS13_S14_SK_SP_EUlS13_E_NS1_11comp_targetILNS1_3genE9ELNS1_11target_archE1100ELNS1_3gpuE3ELNS1_3repE0EEENS1_47radix_sort_onesweep_sort_config_static_selectorELNS0_4arch9wavefront6targetE0EEEvSK_
                                        ; -- End function
	.set _ZN7rocprim17ROCPRIM_400000_NS6detail17trampoline_kernelINS0_14default_configENS1_35radix_sort_onesweep_config_selectorIiNS0_10empty_typeEEEZZNS1_29radix_sort_onesweep_iterationIS3_Lb1EN6thrust23THRUST_200600_302600_NS6detail15normal_iteratorINS9_10device_ptrIiEEEESE_PS5_SF_jNS0_19identity_decomposerENS1_16block_id_wrapperIjLb1EEEEE10hipError_tT1_PNSt15iterator_traitsISK_E10value_typeET2_T3_PNSL_ISQ_E10value_typeET4_T5_PSV_SW_PNS1_23onesweep_lookback_stateEbbT6_jjT7_P12ihipStream_tbENKUlT_T0_SK_SP_E_clISE_PiSF_SF_EEDaS13_S14_SK_SP_EUlS13_E_NS1_11comp_targetILNS1_3genE9ELNS1_11target_archE1100ELNS1_3gpuE3ELNS1_3repE0EEENS1_47radix_sort_onesweep_sort_config_static_selectorELNS0_4arch9wavefront6targetE0EEEvSK_.num_vgpr, 0
	.set _ZN7rocprim17ROCPRIM_400000_NS6detail17trampoline_kernelINS0_14default_configENS1_35radix_sort_onesweep_config_selectorIiNS0_10empty_typeEEEZZNS1_29radix_sort_onesweep_iterationIS3_Lb1EN6thrust23THRUST_200600_302600_NS6detail15normal_iteratorINS9_10device_ptrIiEEEESE_PS5_SF_jNS0_19identity_decomposerENS1_16block_id_wrapperIjLb1EEEEE10hipError_tT1_PNSt15iterator_traitsISK_E10value_typeET2_T3_PNSL_ISQ_E10value_typeET4_T5_PSV_SW_PNS1_23onesweep_lookback_stateEbbT6_jjT7_P12ihipStream_tbENKUlT_T0_SK_SP_E_clISE_PiSF_SF_EEDaS13_S14_SK_SP_EUlS13_E_NS1_11comp_targetILNS1_3genE9ELNS1_11target_archE1100ELNS1_3gpuE3ELNS1_3repE0EEENS1_47radix_sort_onesweep_sort_config_static_selectorELNS0_4arch9wavefront6targetE0EEEvSK_.num_agpr, 0
	.set _ZN7rocprim17ROCPRIM_400000_NS6detail17trampoline_kernelINS0_14default_configENS1_35radix_sort_onesweep_config_selectorIiNS0_10empty_typeEEEZZNS1_29radix_sort_onesweep_iterationIS3_Lb1EN6thrust23THRUST_200600_302600_NS6detail15normal_iteratorINS9_10device_ptrIiEEEESE_PS5_SF_jNS0_19identity_decomposerENS1_16block_id_wrapperIjLb1EEEEE10hipError_tT1_PNSt15iterator_traitsISK_E10value_typeET2_T3_PNSL_ISQ_E10value_typeET4_T5_PSV_SW_PNS1_23onesweep_lookback_stateEbbT6_jjT7_P12ihipStream_tbENKUlT_T0_SK_SP_E_clISE_PiSF_SF_EEDaS13_S14_SK_SP_EUlS13_E_NS1_11comp_targetILNS1_3genE9ELNS1_11target_archE1100ELNS1_3gpuE3ELNS1_3repE0EEENS1_47radix_sort_onesweep_sort_config_static_selectorELNS0_4arch9wavefront6targetE0EEEvSK_.numbered_sgpr, 0
	.set _ZN7rocprim17ROCPRIM_400000_NS6detail17trampoline_kernelINS0_14default_configENS1_35radix_sort_onesweep_config_selectorIiNS0_10empty_typeEEEZZNS1_29radix_sort_onesweep_iterationIS3_Lb1EN6thrust23THRUST_200600_302600_NS6detail15normal_iteratorINS9_10device_ptrIiEEEESE_PS5_SF_jNS0_19identity_decomposerENS1_16block_id_wrapperIjLb1EEEEE10hipError_tT1_PNSt15iterator_traitsISK_E10value_typeET2_T3_PNSL_ISQ_E10value_typeET4_T5_PSV_SW_PNS1_23onesweep_lookback_stateEbbT6_jjT7_P12ihipStream_tbENKUlT_T0_SK_SP_E_clISE_PiSF_SF_EEDaS13_S14_SK_SP_EUlS13_E_NS1_11comp_targetILNS1_3genE9ELNS1_11target_archE1100ELNS1_3gpuE3ELNS1_3repE0EEENS1_47radix_sort_onesweep_sort_config_static_selectorELNS0_4arch9wavefront6targetE0EEEvSK_.num_named_barrier, 0
	.set _ZN7rocprim17ROCPRIM_400000_NS6detail17trampoline_kernelINS0_14default_configENS1_35radix_sort_onesweep_config_selectorIiNS0_10empty_typeEEEZZNS1_29radix_sort_onesweep_iterationIS3_Lb1EN6thrust23THRUST_200600_302600_NS6detail15normal_iteratorINS9_10device_ptrIiEEEESE_PS5_SF_jNS0_19identity_decomposerENS1_16block_id_wrapperIjLb1EEEEE10hipError_tT1_PNSt15iterator_traitsISK_E10value_typeET2_T3_PNSL_ISQ_E10value_typeET4_T5_PSV_SW_PNS1_23onesweep_lookback_stateEbbT6_jjT7_P12ihipStream_tbENKUlT_T0_SK_SP_E_clISE_PiSF_SF_EEDaS13_S14_SK_SP_EUlS13_E_NS1_11comp_targetILNS1_3genE9ELNS1_11target_archE1100ELNS1_3gpuE3ELNS1_3repE0EEENS1_47radix_sort_onesweep_sort_config_static_selectorELNS0_4arch9wavefront6targetE0EEEvSK_.private_seg_size, 0
	.set _ZN7rocprim17ROCPRIM_400000_NS6detail17trampoline_kernelINS0_14default_configENS1_35radix_sort_onesweep_config_selectorIiNS0_10empty_typeEEEZZNS1_29radix_sort_onesweep_iterationIS3_Lb1EN6thrust23THRUST_200600_302600_NS6detail15normal_iteratorINS9_10device_ptrIiEEEESE_PS5_SF_jNS0_19identity_decomposerENS1_16block_id_wrapperIjLb1EEEEE10hipError_tT1_PNSt15iterator_traitsISK_E10value_typeET2_T3_PNSL_ISQ_E10value_typeET4_T5_PSV_SW_PNS1_23onesweep_lookback_stateEbbT6_jjT7_P12ihipStream_tbENKUlT_T0_SK_SP_E_clISE_PiSF_SF_EEDaS13_S14_SK_SP_EUlS13_E_NS1_11comp_targetILNS1_3genE9ELNS1_11target_archE1100ELNS1_3gpuE3ELNS1_3repE0EEENS1_47radix_sort_onesweep_sort_config_static_selectorELNS0_4arch9wavefront6targetE0EEEvSK_.uses_vcc, 0
	.set _ZN7rocprim17ROCPRIM_400000_NS6detail17trampoline_kernelINS0_14default_configENS1_35radix_sort_onesweep_config_selectorIiNS0_10empty_typeEEEZZNS1_29radix_sort_onesweep_iterationIS3_Lb1EN6thrust23THRUST_200600_302600_NS6detail15normal_iteratorINS9_10device_ptrIiEEEESE_PS5_SF_jNS0_19identity_decomposerENS1_16block_id_wrapperIjLb1EEEEE10hipError_tT1_PNSt15iterator_traitsISK_E10value_typeET2_T3_PNSL_ISQ_E10value_typeET4_T5_PSV_SW_PNS1_23onesweep_lookback_stateEbbT6_jjT7_P12ihipStream_tbENKUlT_T0_SK_SP_E_clISE_PiSF_SF_EEDaS13_S14_SK_SP_EUlS13_E_NS1_11comp_targetILNS1_3genE9ELNS1_11target_archE1100ELNS1_3gpuE3ELNS1_3repE0EEENS1_47radix_sort_onesweep_sort_config_static_selectorELNS0_4arch9wavefront6targetE0EEEvSK_.uses_flat_scratch, 0
	.set _ZN7rocprim17ROCPRIM_400000_NS6detail17trampoline_kernelINS0_14default_configENS1_35radix_sort_onesweep_config_selectorIiNS0_10empty_typeEEEZZNS1_29radix_sort_onesweep_iterationIS3_Lb1EN6thrust23THRUST_200600_302600_NS6detail15normal_iteratorINS9_10device_ptrIiEEEESE_PS5_SF_jNS0_19identity_decomposerENS1_16block_id_wrapperIjLb1EEEEE10hipError_tT1_PNSt15iterator_traitsISK_E10value_typeET2_T3_PNSL_ISQ_E10value_typeET4_T5_PSV_SW_PNS1_23onesweep_lookback_stateEbbT6_jjT7_P12ihipStream_tbENKUlT_T0_SK_SP_E_clISE_PiSF_SF_EEDaS13_S14_SK_SP_EUlS13_E_NS1_11comp_targetILNS1_3genE9ELNS1_11target_archE1100ELNS1_3gpuE3ELNS1_3repE0EEENS1_47radix_sort_onesweep_sort_config_static_selectorELNS0_4arch9wavefront6targetE0EEEvSK_.has_dyn_sized_stack, 0
	.set _ZN7rocprim17ROCPRIM_400000_NS6detail17trampoline_kernelINS0_14default_configENS1_35radix_sort_onesweep_config_selectorIiNS0_10empty_typeEEEZZNS1_29radix_sort_onesweep_iterationIS3_Lb1EN6thrust23THRUST_200600_302600_NS6detail15normal_iteratorINS9_10device_ptrIiEEEESE_PS5_SF_jNS0_19identity_decomposerENS1_16block_id_wrapperIjLb1EEEEE10hipError_tT1_PNSt15iterator_traitsISK_E10value_typeET2_T3_PNSL_ISQ_E10value_typeET4_T5_PSV_SW_PNS1_23onesweep_lookback_stateEbbT6_jjT7_P12ihipStream_tbENKUlT_T0_SK_SP_E_clISE_PiSF_SF_EEDaS13_S14_SK_SP_EUlS13_E_NS1_11comp_targetILNS1_3genE9ELNS1_11target_archE1100ELNS1_3gpuE3ELNS1_3repE0EEENS1_47radix_sort_onesweep_sort_config_static_selectorELNS0_4arch9wavefront6targetE0EEEvSK_.has_recursion, 0
	.set _ZN7rocprim17ROCPRIM_400000_NS6detail17trampoline_kernelINS0_14default_configENS1_35radix_sort_onesweep_config_selectorIiNS0_10empty_typeEEEZZNS1_29radix_sort_onesweep_iterationIS3_Lb1EN6thrust23THRUST_200600_302600_NS6detail15normal_iteratorINS9_10device_ptrIiEEEESE_PS5_SF_jNS0_19identity_decomposerENS1_16block_id_wrapperIjLb1EEEEE10hipError_tT1_PNSt15iterator_traitsISK_E10value_typeET2_T3_PNSL_ISQ_E10value_typeET4_T5_PSV_SW_PNS1_23onesweep_lookback_stateEbbT6_jjT7_P12ihipStream_tbENKUlT_T0_SK_SP_E_clISE_PiSF_SF_EEDaS13_S14_SK_SP_EUlS13_E_NS1_11comp_targetILNS1_3genE9ELNS1_11target_archE1100ELNS1_3gpuE3ELNS1_3repE0EEENS1_47radix_sort_onesweep_sort_config_static_selectorELNS0_4arch9wavefront6targetE0EEEvSK_.has_indirect_call, 0
	.section	.AMDGPU.csdata,"",@progbits
; Kernel info:
; codeLenInByte = 0
; TotalNumSgprs: 0
; NumVgprs: 0
; ScratchSize: 0
; MemoryBound: 0
; FloatMode: 240
; IeeeMode: 1
; LDSByteSize: 0 bytes/workgroup (compile time only)
; SGPRBlocks: 0
; VGPRBlocks: 0
; NumSGPRsForWavesPerEU: 1
; NumVGPRsForWavesPerEU: 1
; Occupancy: 16
; WaveLimiterHint : 0
; COMPUTE_PGM_RSRC2:SCRATCH_EN: 0
; COMPUTE_PGM_RSRC2:USER_SGPR: 6
; COMPUTE_PGM_RSRC2:TRAP_HANDLER: 0
; COMPUTE_PGM_RSRC2:TGID_X_EN: 1
; COMPUTE_PGM_RSRC2:TGID_Y_EN: 0
; COMPUTE_PGM_RSRC2:TGID_Z_EN: 0
; COMPUTE_PGM_RSRC2:TIDIG_COMP_CNT: 0
	.section	.text._ZN7rocprim17ROCPRIM_400000_NS6detail17trampoline_kernelINS0_14default_configENS1_35radix_sort_onesweep_config_selectorIiNS0_10empty_typeEEEZZNS1_29radix_sort_onesweep_iterationIS3_Lb1EN6thrust23THRUST_200600_302600_NS6detail15normal_iteratorINS9_10device_ptrIiEEEESE_PS5_SF_jNS0_19identity_decomposerENS1_16block_id_wrapperIjLb1EEEEE10hipError_tT1_PNSt15iterator_traitsISK_E10value_typeET2_T3_PNSL_ISQ_E10value_typeET4_T5_PSV_SW_PNS1_23onesweep_lookback_stateEbbT6_jjT7_P12ihipStream_tbENKUlT_T0_SK_SP_E_clISE_PiSF_SF_EEDaS13_S14_SK_SP_EUlS13_E_NS1_11comp_targetILNS1_3genE8ELNS1_11target_archE1030ELNS1_3gpuE2ELNS1_3repE0EEENS1_47radix_sort_onesweep_sort_config_static_selectorELNS0_4arch9wavefront6targetE0EEEvSK_,"axG",@progbits,_ZN7rocprim17ROCPRIM_400000_NS6detail17trampoline_kernelINS0_14default_configENS1_35radix_sort_onesweep_config_selectorIiNS0_10empty_typeEEEZZNS1_29radix_sort_onesweep_iterationIS3_Lb1EN6thrust23THRUST_200600_302600_NS6detail15normal_iteratorINS9_10device_ptrIiEEEESE_PS5_SF_jNS0_19identity_decomposerENS1_16block_id_wrapperIjLb1EEEEE10hipError_tT1_PNSt15iterator_traitsISK_E10value_typeET2_T3_PNSL_ISQ_E10value_typeET4_T5_PSV_SW_PNS1_23onesweep_lookback_stateEbbT6_jjT7_P12ihipStream_tbENKUlT_T0_SK_SP_E_clISE_PiSF_SF_EEDaS13_S14_SK_SP_EUlS13_E_NS1_11comp_targetILNS1_3genE8ELNS1_11target_archE1030ELNS1_3gpuE2ELNS1_3repE0EEENS1_47radix_sort_onesweep_sort_config_static_selectorELNS0_4arch9wavefront6targetE0EEEvSK_,comdat
	.protected	_ZN7rocprim17ROCPRIM_400000_NS6detail17trampoline_kernelINS0_14default_configENS1_35radix_sort_onesweep_config_selectorIiNS0_10empty_typeEEEZZNS1_29radix_sort_onesweep_iterationIS3_Lb1EN6thrust23THRUST_200600_302600_NS6detail15normal_iteratorINS9_10device_ptrIiEEEESE_PS5_SF_jNS0_19identity_decomposerENS1_16block_id_wrapperIjLb1EEEEE10hipError_tT1_PNSt15iterator_traitsISK_E10value_typeET2_T3_PNSL_ISQ_E10value_typeET4_T5_PSV_SW_PNS1_23onesweep_lookback_stateEbbT6_jjT7_P12ihipStream_tbENKUlT_T0_SK_SP_E_clISE_PiSF_SF_EEDaS13_S14_SK_SP_EUlS13_E_NS1_11comp_targetILNS1_3genE8ELNS1_11target_archE1030ELNS1_3gpuE2ELNS1_3repE0EEENS1_47radix_sort_onesweep_sort_config_static_selectorELNS0_4arch9wavefront6targetE0EEEvSK_ ; -- Begin function _ZN7rocprim17ROCPRIM_400000_NS6detail17trampoline_kernelINS0_14default_configENS1_35radix_sort_onesweep_config_selectorIiNS0_10empty_typeEEEZZNS1_29radix_sort_onesweep_iterationIS3_Lb1EN6thrust23THRUST_200600_302600_NS6detail15normal_iteratorINS9_10device_ptrIiEEEESE_PS5_SF_jNS0_19identity_decomposerENS1_16block_id_wrapperIjLb1EEEEE10hipError_tT1_PNSt15iterator_traitsISK_E10value_typeET2_T3_PNSL_ISQ_E10value_typeET4_T5_PSV_SW_PNS1_23onesweep_lookback_stateEbbT6_jjT7_P12ihipStream_tbENKUlT_T0_SK_SP_E_clISE_PiSF_SF_EEDaS13_S14_SK_SP_EUlS13_E_NS1_11comp_targetILNS1_3genE8ELNS1_11target_archE1030ELNS1_3gpuE2ELNS1_3repE0EEENS1_47radix_sort_onesweep_sort_config_static_selectorELNS0_4arch9wavefront6targetE0EEEvSK_
	.globl	_ZN7rocprim17ROCPRIM_400000_NS6detail17trampoline_kernelINS0_14default_configENS1_35radix_sort_onesweep_config_selectorIiNS0_10empty_typeEEEZZNS1_29radix_sort_onesweep_iterationIS3_Lb1EN6thrust23THRUST_200600_302600_NS6detail15normal_iteratorINS9_10device_ptrIiEEEESE_PS5_SF_jNS0_19identity_decomposerENS1_16block_id_wrapperIjLb1EEEEE10hipError_tT1_PNSt15iterator_traitsISK_E10value_typeET2_T3_PNSL_ISQ_E10value_typeET4_T5_PSV_SW_PNS1_23onesweep_lookback_stateEbbT6_jjT7_P12ihipStream_tbENKUlT_T0_SK_SP_E_clISE_PiSF_SF_EEDaS13_S14_SK_SP_EUlS13_E_NS1_11comp_targetILNS1_3genE8ELNS1_11target_archE1030ELNS1_3gpuE2ELNS1_3repE0EEENS1_47radix_sort_onesweep_sort_config_static_selectorELNS0_4arch9wavefront6targetE0EEEvSK_
	.p2align	8
	.type	_ZN7rocprim17ROCPRIM_400000_NS6detail17trampoline_kernelINS0_14default_configENS1_35radix_sort_onesweep_config_selectorIiNS0_10empty_typeEEEZZNS1_29radix_sort_onesweep_iterationIS3_Lb1EN6thrust23THRUST_200600_302600_NS6detail15normal_iteratorINS9_10device_ptrIiEEEESE_PS5_SF_jNS0_19identity_decomposerENS1_16block_id_wrapperIjLb1EEEEE10hipError_tT1_PNSt15iterator_traitsISK_E10value_typeET2_T3_PNSL_ISQ_E10value_typeET4_T5_PSV_SW_PNS1_23onesweep_lookback_stateEbbT6_jjT7_P12ihipStream_tbENKUlT_T0_SK_SP_E_clISE_PiSF_SF_EEDaS13_S14_SK_SP_EUlS13_E_NS1_11comp_targetILNS1_3genE8ELNS1_11target_archE1030ELNS1_3gpuE2ELNS1_3repE0EEENS1_47radix_sort_onesweep_sort_config_static_selectorELNS0_4arch9wavefront6targetE0EEEvSK_,@function
_ZN7rocprim17ROCPRIM_400000_NS6detail17trampoline_kernelINS0_14default_configENS1_35radix_sort_onesweep_config_selectorIiNS0_10empty_typeEEEZZNS1_29radix_sort_onesweep_iterationIS3_Lb1EN6thrust23THRUST_200600_302600_NS6detail15normal_iteratorINS9_10device_ptrIiEEEESE_PS5_SF_jNS0_19identity_decomposerENS1_16block_id_wrapperIjLb1EEEEE10hipError_tT1_PNSt15iterator_traitsISK_E10value_typeET2_T3_PNSL_ISQ_E10value_typeET4_T5_PSV_SW_PNS1_23onesweep_lookback_stateEbbT6_jjT7_P12ihipStream_tbENKUlT_T0_SK_SP_E_clISE_PiSF_SF_EEDaS13_S14_SK_SP_EUlS13_E_NS1_11comp_targetILNS1_3genE8ELNS1_11target_archE1030ELNS1_3gpuE2ELNS1_3repE0EEENS1_47radix_sort_onesweep_sort_config_static_selectorELNS0_4arch9wavefront6targetE0EEEvSK_: ; @_ZN7rocprim17ROCPRIM_400000_NS6detail17trampoline_kernelINS0_14default_configENS1_35radix_sort_onesweep_config_selectorIiNS0_10empty_typeEEEZZNS1_29radix_sort_onesweep_iterationIS3_Lb1EN6thrust23THRUST_200600_302600_NS6detail15normal_iteratorINS9_10device_ptrIiEEEESE_PS5_SF_jNS0_19identity_decomposerENS1_16block_id_wrapperIjLb1EEEEE10hipError_tT1_PNSt15iterator_traitsISK_E10value_typeET2_T3_PNSL_ISQ_E10value_typeET4_T5_PSV_SW_PNS1_23onesweep_lookback_stateEbbT6_jjT7_P12ihipStream_tbENKUlT_T0_SK_SP_E_clISE_PiSF_SF_EEDaS13_S14_SK_SP_EUlS13_E_NS1_11comp_targetILNS1_3genE8ELNS1_11target_archE1030ELNS1_3gpuE2ELNS1_3repE0EEENS1_47radix_sort_onesweep_sort_config_static_selectorELNS0_4arch9wavefront6targetE0EEEvSK_
; %bb.0:
	s_clause 0x2
	s_load_dwordx4 s[12:15], s[4:5], 0x28
	s_load_dwordx2 s[10:11], s[4:5], 0x38
	s_load_dwordx4 s[20:23], s[4:5], 0x44
	v_cmp_eq_u32_e64 s0, 0, v0
	s_and_saveexec_b32 s1, s0
	s_cbranch_execz .LBB353_4
; %bb.1:
	s_mov_b32 s3, exec_lo
	s_mov_b32 s2, exec_lo
	v_mbcnt_lo_u32_b32 v3, s3, 0
                                        ; implicit-def: $vgpr4
	v_cmpx_eq_u32_e32 0, v3
	s_cbranch_execz .LBB353_3
; %bb.2:
	s_load_dwordx2 s[8:9], s[4:5], 0x50
	s_bcnt1_i32_b32 s3, s3
	v_mov_b32_e32 v4, 0
	v_mov_b32_e32 v5, s3
	s_waitcnt lgkmcnt(0)
	global_atomic_add v4, v4, v5, s[8:9] glc
.LBB353_3:
	s_or_b32 exec_lo, exec_lo, s2
	s_waitcnt vmcnt(0)
	v_readfirstlane_b32 s2, v4
	v_mov_b32_e32 v4, 0
	v_add_nc_u32_e32 v3, s2, v3
	ds_write_b32 v4, v3 offset:36992
.LBB353_4:
	s_or_b32 exec_lo, exec_lo, s1
	v_mov_b32_e32 v3, 0
	s_clause 0x1
	s_load_dwordx4 s[16:19], s[4:5], 0x0
	s_load_dword s1, s[4:5], 0x20
	s_waitcnt lgkmcnt(0)
	s_barrier
	buffer_gl0_inv
	ds_read_b32 v3, v3 offset:36992
	v_mbcnt_lo_u32_b32 v12, -1, 0
	v_lshlrev_b32_e32 v11, 2, v0
	s_mov_b32 s2, -1
	s_waitcnt lgkmcnt(0)
	s_barrier
	buffer_gl0_inv
	v_cmp_le_u32_e32 vcc_lo, s22, v3
	v_readfirstlane_b32 s23, v3
	s_cbranch_vccz .LBB353_52
; %bb.5:
	s_lshl_b32 s3, s22, 12
	s_lshl_b32 s2, s23, 12
	s_sub_i32 s22, s1, s3
	s_mov_b32 s3, 0
	v_and_b32_e32 v3, 0xf80, v11
	v_lshlrev_b32_e32 v4, 2, v12
	s_lshl_b64 s[2:3], s[2:3], 2
	s_add_u32 s1, s16, s2
	s_addc_u32 s2, s17, s3
	v_lshlrev_b32_e32 v5, 2, v3
	v_add_co_u32 v4, s1, s1, v4
	v_add_co_ci_u32_e64 v6, null, s2, 0, s1
	v_or_b32_e32 v9, v12, v3
	v_bfrev_b32_e32 v3, 1
	v_add_co_u32 v7, vcc_lo, v4, v5
	v_add_co_ci_u32_e64 v8, null, 0, v6, vcc_lo
	v_mov_b32_e32 v4, v3
	v_mov_b32_e32 v5, v3
	;; [unrolled: 1-line block ×3, first 2 shown]
	s_mov_b32 s1, exec_lo
	v_cmpx_gt_u32_e64 s22, v9
	s_cbranch_execz .LBB353_7
; %bb.6:
	global_load_dword v13, v[7:8], off
	v_mov_b32_e32 v14, v3
	v_mov_b32_e32 v15, v3
	;; [unrolled: 1-line block ×3, first 2 shown]
	s_waitcnt vmcnt(0)
	v_mov_b32_e32 v3, v13
	v_mov_b32_e32 v4, v14
	;; [unrolled: 1-line block ×4, first 2 shown]
.LBB353_7:
	s_or_b32 exec_lo, exec_lo, s1
	v_or_b32_e32 v10, 32, v9
	s_mov_b32 s1, exec_lo
	v_cmpx_gt_u32_e64 s22, v10
	s_cbranch_execz .LBB353_9
; %bb.8:
	global_load_dword v4, v[7:8], off offset:128
.LBB353_9:
	s_or_b32 exec_lo, exec_lo, s1
	v_or_b32_e32 v10, 64, v9
	s_mov_b32 s1, exec_lo
	v_cmpx_gt_u32_e64 s22, v10
	s_cbranch_execz .LBB353_11
; %bb.10:
	global_load_dword v5, v[7:8], off offset:256
.LBB353_11:
	s_or_b32 exec_lo, exec_lo, s1
	v_or_b32_e32 v9, 0x60, v9
	s_mov_b32 s1, exec_lo
	v_cmpx_gt_u32_e64 s22, v9
	s_cbranch_execz .LBB353_13
; %bb.12:
	global_load_dword v6, v[7:8], off offset:384
.LBB353_13:
	s_or_b32 exec_lo, exec_lo, s1
	s_clause 0x1
	s_load_dword s1, s[4:5], 0x64
	s_load_dword s24, s[4:5], 0x58
	s_add_u32 s2, s4, 0x58
	s_addc_u32 s3, s5, 0
	v_mov_b32_e32 v10, 0
	v_xor_b32_e32 v13, 0x7fffffff, v3
	v_lshrrev_b32_e32 v3, s20, v13
	s_waitcnt lgkmcnt(0)
	s_lshr_b32 s7, s1, 16
	s_cmp_lt_u32 s6, s24
	s_cselect_b32 s1, 12, 18
	s_add_u32 s2, s2, s1
	s_addc_u32 s3, s3, 0
	s_lshl_b32 s1, -1, s21
	global_load_ushort v7, v10, s[2:3]
	s_not_b32 s25, s1
	v_and_b32_e32 v3, s25, v3
	v_and_b32_e32 v8, 1, v3
	v_lshlrev_b32_e32 v9, 30, v3
	v_lshlrev_b32_e32 v14, 29, v3
	;; [unrolled: 1-line block ×4, first 2 shown]
	v_add_co_u32 v8, s1, v8, -1
	v_cndmask_b32_e64 v15, 0, 1, s1
	v_not_b32_e32 v19, v9
	v_cmp_gt_i32_e64 s1, 0, v9
	v_not_b32_e32 v9, v14
	v_lshlrev_b32_e32 v18, 26, v3
	v_cmp_ne_u32_e32 vcc_lo, 0, v15
	v_ashrrev_i32_e32 v19, 31, v19
	v_lshlrev_b32_e32 v15, 25, v3
	v_ashrrev_i32_e32 v9, 31, v9
	v_xor_b32_e32 v8, vcc_lo, v8
	v_cmp_gt_i32_e32 vcc_lo, 0, v14
	v_not_b32_e32 v14, v16
	v_xor_b32_e32 v19, s1, v19
	v_cmp_gt_i32_e64 s1, 0, v16
	v_and_b32_e32 v8, exec_lo, v8
	v_not_b32_e32 v16, v17
	v_ashrrev_i32_e32 v14, 31, v14
	v_xor_b32_e32 v9, vcc_lo, v9
	v_cmp_gt_i32_e32 vcc_lo, 0, v17
	v_and_b32_e32 v8, v8, v19
	v_not_b32_e32 v17, v18
	v_ashrrev_i32_e32 v16, 31, v16
	v_xor_b32_e32 v14, s1, v14
	v_cmp_gt_i32_e64 s1, 0, v18
	v_and_b32_e32 v8, v8, v9
	v_not_b32_e32 v9, v15
	v_ashrrev_i32_e32 v17, 31, v17
	v_xor_b32_e32 v16, vcc_lo, v16
	v_cmp_gt_i32_e32 vcc_lo, 0, v15
	v_and_b32_e32 v8, v8, v14
	v_lshlrev_b32_e32 v14, 24, v3
	v_ashrrev_i32_e32 v9, 31, v9
	v_xor_b32_e32 v15, s1, v17
	v_and_b32_e32 v8, v8, v16
	v_not_b32_e32 v16, v14
	v_xor_b32_e32 v9, vcc_lo, v9
	v_cmp_gt_i32_e32 vcc_lo, 0, v14
	v_and_b32_e32 v8, v8, v15
	v_mad_u32_u24 v15, v2, s7, v1
	v_ashrrev_i32_e32 v14, 31, v16
	v_mul_u32_u24_e32 v16, 36, v0
	v_and_b32_e32 v17, v8, v9
	ds_write2_b32 v16, v10, v10 offset0:32 offset1:33
	ds_write2_b32 v16, v10, v10 offset0:34 offset1:35
	;; [unrolled: 1-line block ×4, first 2 shown]
	ds_write_b32 v16, v10 offset:160
	s_waitcnt vmcnt(0) lgkmcnt(0)
	s_barrier
	buffer_gl0_inv
	; wave barrier
	v_mad_u64_u32 v[8:9], null, v15, v7, v[0:1]
	v_xor_b32_e32 v7, vcc_lo, v14
	v_mul_lo_u32 v9, 0x84, v3
	v_and_b32_e32 v7, v17, v7
	v_lshrrev_b32_e32 v8, 3, v8
	v_mbcnt_lo_u32_b32 v14, v7, 0
	v_and_b32_e32 v3, 0x1ffffffc, v8
	v_cmp_ne_u32_e64 s1, 0, v7
	v_cmp_eq_u32_e32 vcc_lo, 0, v14
	v_add_nc_u32_e32 v17, v3, v9
	s_and_b32 s2, s1, vcc_lo
	s_and_saveexec_b32 s1, s2
; %bb.14:
	v_bcnt_u32_b32 v7, v7, 0
	ds_write_b32 v17, v7 offset:128
; %bb.15:
	s_or_b32 exec_lo, exec_lo, s1
	v_xor_b32_e32 v15, 0x7fffffff, v4
	; wave barrier
	v_lshrrev_b32_e32 v4, s20, v15
	v_and_b32_e32 v4, s25, v4
	v_and_b32_e32 v8, 1, v4
	v_lshlrev_b32_e32 v9, 30, v4
	v_lshlrev_b32_e32 v10, 29, v4
	;; [unrolled: 1-line block ×4, first 2 shown]
	v_add_co_u32 v8, s1, v8, -1
	v_cndmask_b32_e64 v19, 0, 1, s1
	v_not_b32_e32 v23, v9
	v_cmp_gt_i32_e64 s1, 0, v9
	v_not_b32_e32 v9, v10
	v_lshlrev_b32_e32 v21, 26, v4
	v_cmp_ne_u32_e32 vcc_lo, 0, v19
	v_ashrrev_i32_e32 v19, 31, v23
	v_lshlrev_b32_e32 v22, 25, v4
	v_ashrrev_i32_e32 v9, 31, v9
	v_mul_lo_u32 v7, 0x84, v4
	v_xor_b32_e32 v8, vcc_lo, v8
	v_cmp_gt_i32_e32 vcc_lo, 0, v10
	v_not_b32_e32 v10, v18
	v_xor_b32_e32 v19, s1, v19
	v_cmp_gt_i32_e64 s1, 0, v18
	v_and_b32_e32 v8, exec_lo, v8
	v_not_b32_e32 v18, v20
	v_ashrrev_i32_e32 v10, 31, v10
	v_xor_b32_e32 v9, vcc_lo, v9
	v_cmp_gt_i32_e32 vcc_lo, 0, v20
	v_and_b32_e32 v8, v8, v19
	v_not_b32_e32 v19, v21
	v_ashrrev_i32_e32 v18, 31, v18
	v_xor_b32_e32 v10, s1, v10
	v_lshlrev_b32_e32 v4, 24, v4
	v_and_b32_e32 v8, v8, v9
	v_cmp_gt_i32_e64 s1, 0, v21
	v_not_b32_e32 v9, v22
	v_ashrrev_i32_e32 v19, 31, v19
	v_xor_b32_e32 v18, vcc_lo, v18
	v_and_b32_e32 v8, v8, v10
	v_cmp_gt_i32_e32 vcc_lo, 0, v22
	v_not_b32_e32 v10, v4
	v_ashrrev_i32_e32 v9, 31, v9
	v_xor_b32_e32 v19, s1, v19
	v_and_b32_e32 v8, v8, v18
	v_cmp_gt_i32_e64 s1, 0, v4
	v_ashrrev_i32_e32 v4, 31, v10
	v_xor_b32_e32 v9, vcc_lo, v9
	v_add_nc_u32_e32 v21, v3, v7
	v_and_b32_e32 v8, v8, v19
	v_xor_b32_e32 v4, s1, v4
	ds_read_b32 v18, v21 offset:128
	v_and_b32_e32 v7, v8, v9
	; wave barrier
	v_and_b32_e32 v4, v7, v4
	v_mbcnt_lo_u32_b32 v20, v4, 0
	v_cmp_ne_u32_e64 s1, 0, v4
	v_cmp_eq_u32_e32 vcc_lo, 0, v20
	s_and_b32 s2, s1, vcc_lo
	s_and_saveexec_b32 s1, s2
	s_cbranch_execz .LBB353_17
; %bb.16:
	s_waitcnt lgkmcnt(0)
	v_bcnt_u32_b32 v4, v4, v18
	ds_write_b32 v21, v4 offset:128
.LBB353_17:
	s_or_b32 exec_lo, exec_lo, s1
	v_xor_b32_e32 v19, 0x7fffffff, v5
	; wave barrier
	v_lshrrev_b32_e32 v4, s20, v19
	v_and_b32_e32 v4, s25, v4
	v_and_b32_e32 v7, 1, v4
	v_lshlrev_b32_e32 v8, 30, v4
	v_lshlrev_b32_e32 v9, 29, v4
	v_lshlrev_b32_e32 v10, 28, v4
	v_lshlrev_b32_e32 v23, 27, v4
	v_add_co_u32 v7, s1, v7, -1
	v_cndmask_b32_e64 v22, 0, 1, s1
	v_not_b32_e32 v26, v8
	v_cmp_gt_i32_e64 s1, 0, v8
	v_not_b32_e32 v8, v9
	v_lshlrev_b32_e32 v24, 26, v4
	v_cmp_ne_u32_e32 vcc_lo, 0, v22
	v_ashrrev_i32_e32 v22, 31, v26
	v_lshlrev_b32_e32 v25, 25, v4
	v_ashrrev_i32_e32 v8, 31, v8
	v_mul_lo_u32 v5, 0x84, v4
	v_xor_b32_e32 v7, vcc_lo, v7
	v_cmp_gt_i32_e32 vcc_lo, 0, v9
	v_not_b32_e32 v9, v10
	v_xor_b32_e32 v22, s1, v22
	v_cmp_gt_i32_e64 s1, 0, v10
	v_and_b32_e32 v7, exec_lo, v7
	v_not_b32_e32 v10, v23
	v_ashrrev_i32_e32 v9, 31, v9
	v_xor_b32_e32 v8, vcc_lo, v8
	v_cmp_gt_i32_e32 vcc_lo, 0, v23
	v_and_b32_e32 v7, v7, v22
	v_not_b32_e32 v22, v24
	v_ashrrev_i32_e32 v10, 31, v10
	v_xor_b32_e32 v9, s1, v9
	v_lshlrev_b32_e32 v4, 24, v4
	v_and_b32_e32 v7, v7, v8
	v_cmp_gt_i32_e64 s1, 0, v24
	v_not_b32_e32 v8, v25
	v_ashrrev_i32_e32 v22, 31, v22
	v_xor_b32_e32 v10, vcc_lo, v10
	v_and_b32_e32 v7, v7, v9
	v_cmp_gt_i32_e32 vcc_lo, 0, v25
	v_not_b32_e32 v9, v4
	v_ashrrev_i32_e32 v8, 31, v8
	v_xor_b32_e32 v22, s1, v22
	v_and_b32_e32 v7, v7, v10
	v_cmp_gt_i32_e64 s1, 0, v4
	v_ashrrev_i32_e32 v4, 31, v9
	v_xor_b32_e32 v8, vcc_lo, v8
	v_add_nc_u32_e32 v25, v3, v5
	v_and_b32_e32 v7, v7, v22
	v_xor_b32_e32 v4, s1, v4
	ds_read_b32 v22, v25 offset:128
	v_and_b32_e32 v5, v7, v8
	; wave barrier
	v_and_b32_e32 v4, v5, v4
	v_mbcnt_lo_u32_b32 v24, v4, 0
	v_cmp_ne_u32_e64 s1, 0, v4
	v_cmp_eq_u32_e32 vcc_lo, 0, v24
	s_and_b32 s2, s1, vcc_lo
	s_and_saveexec_b32 s1, s2
	s_cbranch_execz .LBB353_19
; %bb.18:
	s_waitcnt lgkmcnt(0)
	v_bcnt_u32_b32 v4, v4, v22
	ds_write_b32 v25, v4 offset:128
.LBB353_19:
	s_or_b32 exec_lo, exec_lo, s1
	v_xor_b32_e32 v23, 0x7fffffff, v6
	; wave barrier
	v_lshrrev_b32_e32 v4, s20, v23
	v_and_b32_e32 v4, s25, v4
	v_and_b32_e32 v6, 1, v4
	v_lshlrev_b32_e32 v7, 30, v4
	v_lshlrev_b32_e32 v8, 29, v4
	;; [unrolled: 1-line block ×4, first 2 shown]
	v_add_co_u32 v6, s1, v6, -1
	v_cndmask_b32_e64 v10, 0, 1, s1
	v_not_b32_e32 v29, v7
	v_cmp_gt_i32_e64 s1, 0, v7
	v_not_b32_e32 v7, v8
	v_lshlrev_b32_e32 v27, 26, v4
	v_cmp_ne_u32_e32 vcc_lo, 0, v10
	v_ashrrev_i32_e32 v10, 31, v29
	v_lshlrev_b32_e32 v28, 25, v4
	v_ashrrev_i32_e32 v7, 31, v7
	v_mul_lo_u32 v5, 0x84, v4
	v_xor_b32_e32 v6, vcc_lo, v6
	v_cmp_gt_i32_e32 vcc_lo, 0, v8
	v_not_b32_e32 v8, v9
	v_xor_b32_e32 v10, s1, v10
	v_cmp_gt_i32_e64 s1, 0, v9
	v_and_b32_e32 v6, exec_lo, v6
	v_not_b32_e32 v9, v26
	v_ashrrev_i32_e32 v8, 31, v8
	v_xor_b32_e32 v7, vcc_lo, v7
	v_cmp_gt_i32_e32 vcc_lo, 0, v26
	v_and_b32_e32 v6, v6, v10
	v_not_b32_e32 v10, v27
	v_ashrrev_i32_e32 v9, 31, v9
	v_xor_b32_e32 v8, s1, v8
	v_lshlrev_b32_e32 v4, 24, v4
	v_and_b32_e32 v6, v6, v7
	v_cmp_gt_i32_e64 s1, 0, v27
	v_not_b32_e32 v7, v28
	v_ashrrev_i32_e32 v10, 31, v10
	v_xor_b32_e32 v9, vcc_lo, v9
	v_and_b32_e32 v6, v6, v8
	v_cmp_gt_i32_e32 vcc_lo, 0, v28
	v_not_b32_e32 v8, v4
	v_ashrrev_i32_e32 v7, 31, v7
	v_xor_b32_e32 v10, s1, v10
	v_and_b32_e32 v6, v6, v9
	v_cmp_gt_i32_e64 s1, 0, v4
	v_ashrrev_i32_e32 v4, 31, v8
	v_xor_b32_e32 v7, vcc_lo, v7
	v_add_nc_u32_e32 v28, v3, v5
	v_and_b32_e32 v6, v6, v10
	v_xor_b32_e32 v3, s1, v4
	ds_read_b32 v26, v28 offset:128
	v_and_b32_e32 v4, v6, v7
	; wave barrier
	v_and_b32_e32 v3, v4, v3
	v_mbcnt_lo_u32_b32 v27, v3, 0
	v_cmp_ne_u32_e64 s1, 0, v3
	v_cmp_eq_u32_e32 vcc_lo, 0, v27
	s_and_b32 s2, s1, vcc_lo
	s_and_saveexec_b32 s1, s2
	s_cbranch_execz .LBB353_21
; %bb.20:
	s_waitcnt lgkmcnt(0)
	v_bcnt_u32_b32 v3, v3, v26
	ds_write_b32 v28, v3 offset:128
.LBB353_21:
	s_or_b32 exec_lo, exec_lo, s1
	; wave barrier
	s_waitcnt lgkmcnt(0)
	s_barrier
	buffer_gl0_inv
	ds_read2_b32 v[9:10], v16 offset0:32 offset1:33
	ds_read2_b32 v[7:8], v16 offset0:34 offset1:35
	ds_read2_b32 v[5:6], v16 offset0:36 offset1:37
	ds_read2_b32 v[3:4], v16 offset0:38 offset1:39
	ds_read_b32 v29, v16 offset:160
	v_and_b32_e32 v32, 16, v12
	v_and_b32_e32 v33, 31, v0
	s_mov_b32 s9, exec_lo
	v_cmp_eq_u32_e64 s7, 0, v32
	s_waitcnt lgkmcnt(3)
	v_add3_u32 v30, v10, v9, v7
	s_waitcnt lgkmcnt(2)
	v_add3_u32 v30, v30, v8, v5
	;; [unrolled: 2-line block ×4, first 2 shown]
	v_and_b32_e32 v30, 15, v12
	v_mov_b32_dpp v31, v29 row_shr:1 row_mask:0xf bank_mask:0xf
	v_cmp_eq_u32_e32 vcc_lo, 0, v30
	v_cmp_lt_u32_e64 s1, 1, v30
	v_cmp_lt_u32_e64 s2, 3, v30
	;; [unrolled: 1-line block ×3, first 2 shown]
	v_cndmask_b32_e64 v31, v31, 0, vcc_lo
	v_add_nc_u32_e32 v29, v31, v29
	v_mov_b32_dpp v31, v29 row_shr:2 row_mask:0xf bank_mask:0xf
	v_cndmask_b32_e64 v31, 0, v31, s1
	v_add_nc_u32_e32 v29, v29, v31
	v_mov_b32_dpp v31, v29 row_shr:4 row_mask:0xf bank_mask:0xf
	v_cndmask_b32_e64 v31, 0, v31, s2
	;; [unrolled: 3-line block ×3, first 2 shown]
	v_bfe_i32 v31, v12, 4, 1
	v_add_nc_u32_e32 v29, v29, v30
	ds_swizzle_b32 v30, v29 offset:swizzle(BROADCAST,32,15)
	s_waitcnt lgkmcnt(0)
	v_and_b32_e32 v31, v31, v30
	v_lshrrev_b32_e32 v30, 5, v0
	v_add_nc_u32_e32 v29, v29, v31
	v_cmpx_eq_u32_e32 31, v33
; %bb.22:
	v_lshlrev_b32_e32 v31, 2, v30
	ds_write_b32 v31, v29
; %bb.23:
	s_or_b32 exec_lo, exec_lo, s9
	v_cmp_lt_u32_e64 s8, 31, v0
	s_mov_b32 s26, exec_lo
	s_waitcnt lgkmcnt(0)
	s_barrier
	buffer_gl0_inv
	v_cmpx_gt_u32_e32 32, v0
	s_cbranch_execz .LBB353_25
; %bb.24:
	ds_read_b32 v31, v11
	s_waitcnt lgkmcnt(0)
	v_mov_b32_dpp v32, v31 row_shr:1 row_mask:0xf bank_mask:0xf
	v_cndmask_b32_e64 v32, v32, 0, vcc_lo
	v_add_nc_u32_e32 v31, v32, v31
	v_mov_b32_dpp v32, v31 row_shr:2 row_mask:0xf bank_mask:0xf
	v_cndmask_b32_e64 v32, 0, v32, s1
	v_add_nc_u32_e32 v31, v31, v32
	v_mov_b32_dpp v32, v31 row_shr:4 row_mask:0xf bank_mask:0xf
	v_cndmask_b32_e64 v32, 0, v32, s2
	;; [unrolled: 3-line block ×3, first 2 shown]
	v_add_nc_u32_e32 v31, v31, v32
	ds_swizzle_b32 v32, v31 offset:swizzle(BROADCAST,32,15)
	s_waitcnt lgkmcnt(0)
	v_cndmask_b32_e64 v32, v32, 0, s7
	v_add_nc_u32_e32 v31, v31, v32
	ds_write_b32 v11, v31
.LBB353_25:
	s_or_b32 exec_lo, exec_lo, s26
	v_mov_b32_e32 v31, 0
	s_waitcnt lgkmcnt(0)
	s_barrier
	buffer_gl0_inv
	s_and_saveexec_b32 s1, s8
; %bb.26:
	v_lshl_add_u32 v30, v30, 2, -4
	ds_read_b32 v31, v30
; %bb.27:
	s_or_b32 exec_lo, exec_lo, s1
	v_sub_co_u32 v30, vcc_lo, v12, 1
	s_waitcnt lgkmcnt(0)
	v_add_nc_u32_e32 v29, v31, v29
	v_cmp_gt_i32_e64 s1, 0, v30
	v_cndmask_b32_e64 v30, v30, v12, s1
	v_cmp_gt_u32_e64 s1, 0x100, v0
	v_lshlrev_b32_e32 v30, 2, v30
	ds_bpermute_b32 v29, v30, v29
	s_waitcnt lgkmcnt(0)
	v_cndmask_b32_e32 v29, v29, v31, vcc_lo
	v_cmp_lt_u32_e32 vcc_lo, 0xff, v0
	v_cndmask_b32_e64 v29, v29, 0, s0
	v_add_nc_u32_e32 v9, v29, v9
	v_add_nc_u32_e32 v10, v9, v10
	;; [unrolled: 1-line block ×8, first 2 shown]
	ds_write2_b32 v16, v29, v9 offset0:32 offset1:33
	ds_write2_b32 v16, v10, v7 offset0:34 offset1:35
	;; [unrolled: 1-line block ×4, first 2 shown]
	ds_write_b32 v16, v4 offset:160
	s_waitcnt lgkmcnt(0)
	s_barrier
	buffer_gl0_inv
	ds_read_b32 v3, v17 offset:128
	ds_read_b32 v6, v21 offset:128
	;; [unrolled: 1-line block ×4, first 2 shown]
                                        ; implicit-def: $vgpr9
                                        ; implicit-def: $vgpr10
	s_and_saveexec_b32 s3, s1
	s_cbranch_execz .LBB353_31
; %bb.28:
	v_mul_u32_u24_e32 v7, 0x84, v0
	v_add_nc_u32_e32 v8, 1, v0
	s_mov_b32 s7, exec_lo
	ds_read_b32 v9, v7 offset:128
	v_mov_b32_e32 v7, 0x1000
	v_cmpx_ne_u32_e32 0x100, v8
; %bb.29:
	v_mul_u32_u24_e32 v7, 0x84, v8
	ds_read_b32 v7, v7 offset:128
; %bb.30:
	s_or_b32 exec_lo, exec_lo, s7
	s_waitcnt lgkmcnt(0)
	v_sub_nc_u32_e32 v10, v7, v9
.LBB353_31:
	s_or_b32 exec_lo, exec_lo, s3
	v_lshlrev_b32_e32 v7, 2, v14
	v_lshlrev_b32_e32 v8, 2, v20
	;; [unrolled: 1-line block ×5, first 2 shown]
	s_waitcnt lgkmcnt(0)
	v_lshlrev_b32_e32 v4, 2, v4
	v_lshlrev_b32_e32 v6, 2, v6
	;; [unrolled: 1-line block ×5, first 2 shown]
	v_lshl_add_u32 v3, v3, 2, v7
	v_add3_u32 v7, v18, v20, v4
	v_mov_b32_e32 v4, 0
	v_add3_u32 v6, v8, v14, v6
	v_add3_u32 v5, v16, v17, v5
	s_barrier
	buffer_gl0_inv
	ds_write_b32 v3, v13 offset:1024
	ds_write_b32 v6, v15 offset:1024
	ds_write_b32 v5, v19 offset:1024
	ds_write_b32 v7, v23 offset:1024
	s_and_saveexec_b32 s2, s1
	s_cbranch_execz .LBB353_41
; %bb.32:
	v_lshl_add_u32 v3, s23, 8, v0
	v_mov_b32_e32 v13, 0
	s_mov_b32 s3, 0
	s_mov_b32 s7, s23
	v_lshlrev_b64 v[5:6], 2, v[3:4]
	v_or_b32_e32 v3, 2.0, v10
	v_add_co_u32 v5, s1, s10, v5
	v_add_co_ci_u32_e64 v6, null, s11, v6, s1
                                        ; implicit-def: $sgpr1
	global_store_dword v[5:6], v3, off
	s_branch .LBB353_35
	.p2align	6
.LBB353_33:                             ;   in Loop: Header=BB353_35 Depth=1
	s_or_b32 exec_lo, exec_lo, s9
.LBB353_34:                             ;   in Loop: Header=BB353_35 Depth=1
	s_or_b32 exec_lo, exec_lo, s8
	v_and_b32_e32 v7, 0x3fffffff, v3
	v_cmp_gt_i32_e64 s1, -2.0, v3
	v_add_nc_u32_e32 v13, v7, v13
	s_and_b32 s8, exec_lo, s1
	s_or_b32 s3, s8, s3
	s_andn2_b32 exec_lo, exec_lo, s3
	s_cbranch_execz .LBB353_40
.LBB353_35:                             ; =>This Loop Header: Depth=1
                                        ;     Child Loop BB353_38 Depth 2
	s_or_b32 s1, s1, exec_lo
	s_cmp_eq_u32 s7, 0
	s_cbranch_scc1 .LBB353_39
; %bb.36:                               ;   in Loop: Header=BB353_35 Depth=1
	s_add_i32 s7, s7, -1
	s_mov_b32 s8, exec_lo
	v_lshl_or_b32 v3, s7, 8, v0
	v_lshlrev_b64 v[7:8], 2, v[3:4]
	v_add_co_u32 v7, s1, s10, v7
	v_add_co_ci_u32_e64 v8, null, s11, v8, s1
	global_load_dword v3, v[7:8], off glc dlc
	s_waitcnt vmcnt(0)
	v_cmpx_gt_u32_e32 2.0, v3
	s_cbranch_execz .LBB353_34
; %bb.37:                               ;   in Loop: Header=BB353_35 Depth=1
	s_mov_b32 s9, 0
.LBB353_38:                             ;   Parent Loop BB353_35 Depth=1
                                        ; =>  This Inner Loop Header: Depth=2
	global_load_dword v3, v[7:8], off glc dlc
	s_waitcnt vmcnt(0)
	v_cmp_lt_u32_e64 s1, 0x3fffffff, v3
	s_or_b32 s9, s1, s9
	s_andn2_b32 exec_lo, exec_lo, s9
	s_cbranch_execnz .LBB353_38
	s_branch .LBB353_33
.LBB353_39:                             ;   in Loop: Header=BB353_35 Depth=1
                                        ; implicit-def: $sgpr7
	s_and_b32 s8, exec_lo, s1
	s_or_b32 s3, s8, s3
	s_andn2_b32 exec_lo, exec_lo, s3
	s_cbranch_execnz .LBB353_35
.LBB353_40:
	s_or_b32 exec_lo, exec_lo, s3
	v_add_nc_u32_e32 v3, v13, v10
	v_sub_nc_u32_e32 v4, v13, v9
	v_or_b32_e32 v3, 0x80000000, v3
	global_store_dword v[5:6], v3, off
	global_load_dword v3, v11, s[12:13]
	s_waitcnt vmcnt(0)
	v_add_nc_u32_e32 v3, v4, v3
	ds_write_b32 v11, v3
.LBB353_41:
	s_or_b32 exec_lo, exec_lo, s2
	s_mov_b32 s2, exec_lo
	s_waitcnt lgkmcnt(0)
	s_waitcnt_vscnt null, 0x0
	s_barrier
	buffer_gl0_inv
	v_cmpx_gt_u32_e64 s22, v0
	s_cbranch_execz .LBB353_43
; %bb.42:
	ds_read_b32 v5, v11 offset:1024
	v_mov_b32_e32 v4, 0
	s_waitcnt lgkmcnt(0)
	v_lshrrev_b32_e32 v3, s20, v5
	v_xor_b32_e32 v5, 0x7fffffff, v5
	v_and_b32_e32 v3, s25, v3
	v_lshlrev_b32_e32 v3, 2, v3
	ds_read_b32 v3, v3
	s_waitcnt lgkmcnt(0)
	v_add_nc_u32_e32 v3, v3, v0
	v_lshlrev_b64 v[3:4], 2, v[3:4]
	v_add_co_u32 v3, s1, s18, v3
	v_add_co_ci_u32_e64 v4, null, s19, v4, s1
	global_store_dword v[3:4], v5, off
.LBB353_43:
	s_or_b32 exec_lo, exec_lo, s2
	v_or_b32_e32 v3, 0x400, v0
	s_mov_b32 s2, exec_lo
	v_cmpx_gt_u32_e64 s22, v3
	s_cbranch_execz .LBB353_45
; %bb.44:
	ds_read_b32 v5, v11 offset:5120
	s_waitcnt lgkmcnt(0)
	v_lshrrev_b32_e32 v4, s20, v5
	v_xor_b32_e32 v5, 0x7fffffff, v5
	v_and_b32_e32 v4, s25, v4
	v_lshlrev_b32_e32 v4, 2, v4
	ds_read_b32 v6, v4
	v_mov_b32_e32 v4, 0
	s_waitcnt lgkmcnt(0)
	v_add_nc_u32_e32 v3, v6, v3
	v_lshlrev_b64 v[3:4], 2, v[3:4]
	v_add_co_u32 v3, s1, s18, v3
	v_add_co_ci_u32_e64 v4, null, s19, v4, s1
	global_store_dword v[3:4], v5, off
.LBB353_45:
	s_or_b32 exec_lo, exec_lo, s2
	v_or_b32_e32 v3, 0x800, v0
	s_mov_b32 s2, exec_lo
	v_cmpx_gt_u32_e64 s22, v3
	s_cbranch_execz .LBB353_47
; %bb.46:
	ds_read_b32 v5, v11 offset:9216
	s_waitcnt lgkmcnt(0)
	v_lshrrev_b32_e32 v4, s20, v5
	v_xor_b32_e32 v5, 0x7fffffff, v5
	v_and_b32_e32 v4, s25, v4
	v_lshlrev_b32_e32 v4, 2, v4
	ds_read_b32 v6, v4
	v_mov_b32_e32 v4, 0
	s_waitcnt lgkmcnt(0)
	v_add_nc_u32_e32 v3, v6, v3
	v_lshlrev_b64 v[3:4], 2, v[3:4]
	v_add_co_u32 v3, s1, s18, v3
	v_add_co_ci_u32_e64 v4, null, s19, v4, s1
	global_store_dword v[3:4], v5, off
.LBB353_47:
	;; [unrolled: 21-line block ×3, first 2 shown]
	s_or_b32 exec_lo, exec_lo, s2
	s_add_i32 s24, s24, -1
	s_cmp_eq_u32 s23, s24
	s_cselect_b32 s1, -1, 0
	s_xor_b32 s2, vcc_lo, -1
	s_and_b32 s2, s2, s1
	s_and_saveexec_b32 s1, s2
	s_cbranch_execz .LBB353_51
; %bb.50:
	ds_read_b32 v3, v11
	s_waitcnt lgkmcnt(0)
	v_add3_u32 v3, v9, v10, v3
	global_store_dword v11, v3, s[14:15]
.LBB353_51:
	s_or_b32 exec_lo, exec_lo, s1
	s_mov_b32 s2, 0
.LBB353_52:
	s_and_b32 vcc_lo, exec_lo, s2
	s_cbranch_vccz .LBB353_83
; %bb.53:
	s_lshl_b32 s2, s23, 12
	s_mov_b32 s3, 0
	v_lshlrev_b32_e32 v3, 4, v0
	v_lshlrev_b32_e32 v4, 2, v12
	s_lshl_b64 s[2:3], s[2:3], 2
	v_mov_b32_e32 v13, 0
	s_add_u32 s1, s16, s2
	s_addc_u32 s2, s17, s3
	v_and_b32_e32 v3, 0x3e00, v3
	v_add_co_u32 v4, s1, s1, v4
	v_add_co_ci_u32_e64 v5, null, s2, 0, s1
	s_add_u32 s2, s4, 0x58
	v_add_co_u32 v6, vcc_lo, v4, v3
	v_add_co_ci_u32_e64 v7, null, 0, v5, vcc_lo
	s_addc_u32 s3, s5, 0
	global_load_dword v8, v[6:7], off
	s_clause 0x1
	s_load_dword s1, s[4:5], 0x64
	s_load_dword s7, s[4:5], 0x58
	s_waitcnt lgkmcnt(0)
	s_lshr_b32 s4, s1, 16
	s_cmp_lt_u32 s6, s7
	v_mad_u32_u24 v1, v2, s4, v1
	s_cselect_b32 s1, 12, 18
	s_add_u32 s2, s2, s1
	s_addc_u32 s3, s3, 0
	global_load_ushort v10, v13, s[2:3]
	s_clause 0x2
	global_load_dword v5, v[6:7], off offset:128
	global_load_dword v4, v[6:7], off offset:256
	;; [unrolled: 1-line block ×3, first 2 shown]
	s_lshl_b32 s1, -1, s21
	s_not_b32 s8, s1
	s_waitcnt vmcnt(4)
	v_xor_b32_e32 v9, 0x7fffffff, v8
	v_lshrrev_b32_e32 v6, s20, v9
	v_and_b32_e32 v6, s8, v6
	v_and_b32_e32 v7, 1, v6
	v_lshlrev_b32_e32 v8, 30, v6
	v_lshlrev_b32_e32 v14, 29, v6
	;; [unrolled: 1-line block ×4, first 2 shown]
	v_add_co_u32 v7, s1, v7, -1
	v_cndmask_b32_e64 v16, 0, 1, s1
	v_not_b32_e32 v20, v8
	v_cmp_gt_i32_e64 s1, 0, v8
	v_not_b32_e32 v8, v14
	v_lshlrev_b32_e32 v18, 26, v6
	v_cmp_ne_u32_e32 vcc_lo, 0, v16
	v_ashrrev_i32_e32 v20, 31, v20
	v_lshlrev_b32_e32 v19, 25, v6
	v_ashrrev_i32_e32 v8, 31, v8
	v_lshlrev_b32_e32 v16, 24, v6
	v_xor_b32_e32 v7, vcc_lo, v7
	v_cmp_gt_i32_e32 vcc_lo, 0, v14
	v_not_b32_e32 v14, v15
	v_xor_b32_e32 v20, s1, v20
	v_cmp_gt_i32_e64 s1, 0, v15
	v_and_b32_e32 v7, exec_lo, v7
	v_not_b32_e32 v15, v17
	v_ashrrev_i32_e32 v14, 31, v14
	v_xor_b32_e32 v8, vcc_lo, v8
	v_cmp_gt_i32_e32 vcc_lo, 0, v17
	v_and_b32_e32 v7, v7, v20
	v_not_b32_e32 v17, v18
	v_ashrrev_i32_e32 v15, 31, v15
	v_xor_b32_e32 v14, s1, v14
	v_cmp_gt_i32_e64 s1, 0, v18
	v_and_b32_e32 v7, v7, v8
	v_not_b32_e32 v8, v19
	v_ashrrev_i32_e32 v17, 31, v17
	v_xor_b32_e32 v15, vcc_lo, v15
	v_cmp_gt_i32_e32 vcc_lo, 0, v19
	v_and_b32_e32 v7, v7, v14
	v_not_b32_e32 v14, v16
	v_ashrrev_i32_e32 v8, 31, v8
	v_xor_b32_e32 v17, s1, v17
	v_cmp_gt_i32_e64 s1, 0, v16
	v_and_b32_e32 v7, v7, v15
	v_ashrrev_i32_e32 v15, 31, v14
	v_xor_b32_e32 v8, vcc_lo, v8
	s_waitcnt vmcnt(3)
	v_mad_u64_u32 v[1:2], null, v1, v10, v[0:1]
	v_and_b32_e32 v7, v7, v17
	v_xor_b32_e32 v2, s1, v15
	v_mul_lo_u32 v6, 0x84, v6
	v_mul_u32_u24_e32 v14, 36, v0
	v_and_b32_e32 v7, v7, v8
	v_lshrrev_b32_e32 v1, 3, v1
	ds_write2_b32 v14, v13, v13 offset0:32 offset1:33
	ds_write2_b32 v14, v13, v13 offset0:34 offset1:35
	;; [unrolled: 1-line block ×3, first 2 shown]
	v_and_b32_e32 v2, v7, v2
	v_and_b32_e32 v1, 0x1ffffffc, v1
	ds_write2_b32 v14, v13, v13 offset0:38 offset1:39
	ds_write_b32 v14, v13 offset:160
	s_waitcnt vmcnt(0) lgkmcnt(0)
	s_waitcnt_vscnt null, 0x0
	s_barrier
	v_mbcnt_lo_u32_b32 v10, v2, 0
	v_cmp_ne_u32_e64 s1, 0, v2
	v_add_nc_u32_e32 v15, v1, v6
	buffer_gl0_inv
	v_cmp_eq_u32_e32 vcc_lo, 0, v10
	; wave barrier
	s_and_b32 s2, s1, vcc_lo
	s_and_saveexec_b32 s1, s2
; %bb.54:
	v_bcnt_u32_b32 v2, v2, 0
	ds_write_b32 v15, v2 offset:128
; %bb.55:
	s_or_b32 exec_lo, exec_lo, s1
	v_xor_b32_e32 v13, 0x7fffffff, v5
	; wave barrier
	v_lshrrev_b32_e32 v2, s20, v13
	v_and_b32_e32 v2, s8, v2
	v_and_b32_e32 v6, 1, v2
	v_lshlrev_b32_e32 v7, 30, v2
	v_lshlrev_b32_e32 v8, 29, v2
	;; [unrolled: 1-line block ×4, first 2 shown]
	v_add_co_u32 v6, s1, v6, -1
	v_cndmask_b32_e64 v17, 0, 1, s1
	v_not_b32_e32 v21, v7
	v_cmp_gt_i32_e64 s1, 0, v7
	v_not_b32_e32 v7, v8
	v_lshlrev_b32_e32 v19, 26, v2
	v_cmp_ne_u32_e32 vcc_lo, 0, v17
	v_ashrrev_i32_e32 v17, 31, v21
	v_lshlrev_b32_e32 v20, 25, v2
	v_ashrrev_i32_e32 v7, 31, v7
	v_mul_lo_u32 v5, 0x84, v2
	v_xor_b32_e32 v6, vcc_lo, v6
	v_cmp_gt_i32_e32 vcc_lo, 0, v8
	v_not_b32_e32 v8, v16
	v_xor_b32_e32 v17, s1, v17
	v_cmp_gt_i32_e64 s1, 0, v16
	v_and_b32_e32 v6, exec_lo, v6
	v_not_b32_e32 v16, v18
	v_ashrrev_i32_e32 v8, 31, v8
	v_xor_b32_e32 v7, vcc_lo, v7
	v_cmp_gt_i32_e32 vcc_lo, 0, v18
	v_and_b32_e32 v6, v6, v17
	v_not_b32_e32 v17, v19
	v_ashrrev_i32_e32 v16, 31, v16
	v_xor_b32_e32 v8, s1, v8
	v_lshlrev_b32_e32 v2, 24, v2
	v_and_b32_e32 v6, v6, v7
	v_cmp_gt_i32_e64 s1, 0, v19
	v_not_b32_e32 v7, v20
	v_ashrrev_i32_e32 v17, 31, v17
	v_xor_b32_e32 v16, vcc_lo, v16
	v_and_b32_e32 v6, v6, v8
	v_cmp_gt_i32_e32 vcc_lo, 0, v20
	v_not_b32_e32 v8, v2
	v_ashrrev_i32_e32 v7, 31, v7
	v_xor_b32_e32 v17, s1, v17
	v_and_b32_e32 v6, v6, v16
	v_cmp_gt_i32_e64 s1, 0, v2
	v_ashrrev_i32_e32 v2, 31, v8
	v_xor_b32_e32 v7, vcc_lo, v7
	v_add_nc_u32_e32 v19, v1, v5
	v_and_b32_e32 v6, v6, v17
	v_xor_b32_e32 v2, s1, v2
	ds_read_b32 v16, v19 offset:128
	v_and_b32_e32 v5, v6, v7
	; wave barrier
	v_and_b32_e32 v2, v5, v2
	v_mbcnt_lo_u32_b32 v18, v2, 0
	v_cmp_ne_u32_e64 s1, 0, v2
	v_cmp_eq_u32_e32 vcc_lo, 0, v18
	s_and_b32 s2, s1, vcc_lo
	s_and_saveexec_b32 s1, s2
	s_cbranch_execz .LBB353_57
; %bb.56:
	s_waitcnt lgkmcnt(0)
	v_bcnt_u32_b32 v2, v2, v16
	ds_write_b32 v19, v2 offset:128
.LBB353_57:
	s_or_b32 exec_lo, exec_lo, s1
	v_xor_b32_e32 v17, 0x7fffffff, v4
	; wave barrier
	v_lshrrev_b32_e32 v2, s20, v17
	v_and_b32_e32 v2, s8, v2
	v_and_b32_e32 v5, 1, v2
	v_lshlrev_b32_e32 v6, 30, v2
	v_lshlrev_b32_e32 v7, 29, v2
	;; [unrolled: 1-line block ×4, first 2 shown]
	v_add_co_u32 v5, s1, v5, -1
	v_cndmask_b32_e64 v20, 0, 1, s1
	v_not_b32_e32 v24, v6
	v_cmp_gt_i32_e64 s1, 0, v6
	v_not_b32_e32 v6, v7
	v_lshlrev_b32_e32 v22, 26, v2
	v_cmp_ne_u32_e32 vcc_lo, 0, v20
	v_ashrrev_i32_e32 v20, 31, v24
	v_lshlrev_b32_e32 v23, 25, v2
	v_ashrrev_i32_e32 v6, 31, v6
	v_mul_lo_u32 v4, 0x84, v2
	v_xor_b32_e32 v5, vcc_lo, v5
	v_cmp_gt_i32_e32 vcc_lo, 0, v7
	v_not_b32_e32 v7, v8
	v_xor_b32_e32 v20, s1, v20
	v_cmp_gt_i32_e64 s1, 0, v8
	v_and_b32_e32 v5, exec_lo, v5
	v_not_b32_e32 v8, v21
	v_ashrrev_i32_e32 v7, 31, v7
	v_xor_b32_e32 v6, vcc_lo, v6
	v_cmp_gt_i32_e32 vcc_lo, 0, v21
	v_and_b32_e32 v5, v5, v20
	v_not_b32_e32 v20, v22
	v_ashrrev_i32_e32 v8, 31, v8
	v_xor_b32_e32 v7, s1, v7
	v_lshlrev_b32_e32 v2, 24, v2
	v_and_b32_e32 v5, v5, v6
	v_cmp_gt_i32_e64 s1, 0, v22
	v_not_b32_e32 v6, v23
	v_ashrrev_i32_e32 v20, 31, v20
	v_xor_b32_e32 v8, vcc_lo, v8
	v_and_b32_e32 v5, v5, v7
	v_cmp_gt_i32_e32 vcc_lo, 0, v23
	v_not_b32_e32 v7, v2
	v_ashrrev_i32_e32 v6, 31, v6
	v_xor_b32_e32 v20, s1, v20
	v_and_b32_e32 v5, v5, v8
	v_cmp_gt_i32_e64 s1, 0, v2
	v_ashrrev_i32_e32 v2, 31, v7
	v_xor_b32_e32 v6, vcc_lo, v6
	v_add_nc_u32_e32 v23, v1, v4
	v_and_b32_e32 v5, v5, v20
	v_xor_b32_e32 v2, s1, v2
	ds_read_b32 v20, v23 offset:128
	v_and_b32_e32 v4, v5, v6
	; wave barrier
	v_and_b32_e32 v2, v4, v2
	v_mbcnt_lo_u32_b32 v22, v2, 0
	v_cmp_ne_u32_e64 s1, 0, v2
	v_cmp_eq_u32_e32 vcc_lo, 0, v22
	s_and_b32 s2, s1, vcc_lo
	s_and_saveexec_b32 s1, s2
	s_cbranch_execz .LBB353_59
; %bb.58:
	s_waitcnt lgkmcnt(0)
	v_bcnt_u32_b32 v2, v2, v20
	ds_write_b32 v23, v2 offset:128
.LBB353_59:
	s_or_b32 exec_lo, exec_lo, s1
	v_xor_b32_e32 v21, 0x7fffffff, v3
	; wave barrier
	v_lshrrev_b32_e32 v2, s20, v21
	v_and_b32_e32 v2, s8, v2
	v_and_b32_e32 v4, 1, v2
	v_lshlrev_b32_e32 v5, 30, v2
	v_lshlrev_b32_e32 v6, 29, v2
	;; [unrolled: 1-line block ×4, first 2 shown]
	v_add_co_u32 v4, s1, v4, -1
	v_cndmask_b32_e64 v8, 0, 1, s1
	v_not_b32_e32 v27, v5
	v_cmp_gt_i32_e64 s1, 0, v5
	v_not_b32_e32 v5, v6
	v_lshlrev_b32_e32 v25, 26, v2
	v_cmp_ne_u32_e32 vcc_lo, 0, v8
	v_ashrrev_i32_e32 v8, 31, v27
	v_lshlrev_b32_e32 v26, 25, v2
	v_ashrrev_i32_e32 v5, 31, v5
	v_mul_lo_u32 v3, 0x84, v2
	v_xor_b32_e32 v4, vcc_lo, v4
	v_cmp_gt_i32_e32 vcc_lo, 0, v6
	v_not_b32_e32 v6, v7
	v_xor_b32_e32 v8, s1, v8
	v_cmp_gt_i32_e64 s1, 0, v7
	v_and_b32_e32 v4, exec_lo, v4
	v_not_b32_e32 v7, v24
	v_ashrrev_i32_e32 v6, 31, v6
	v_xor_b32_e32 v5, vcc_lo, v5
	v_cmp_gt_i32_e32 vcc_lo, 0, v24
	v_and_b32_e32 v4, v4, v8
	v_not_b32_e32 v8, v25
	v_ashrrev_i32_e32 v7, 31, v7
	v_xor_b32_e32 v6, s1, v6
	v_lshlrev_b32_e32 v2, 24, v2
	v_and_b32_e32 v4, v4, v5
	v_cmp_gt_i32_e64 s1, 0, v25
	v_not_b32_e32 v5, v26
	v_ashrrev_i32_e32 v8, 31, v8
	v_xor_b32_e32 v7, vcc_lo, v7
	v_and_b32_e32 v4, v4, v6
	v_cmp_gt_i32_e32 vcc_lo, 0, v26
	v_not_b32_e32 v6, v2
	v_ashrrev_i32_e32 v5, 31, v5
	v_xor_b32_e32 v8, s1, v8
	v_and_b32_e32 v4, v4, v7
	v_cmp_gt_i32_e64 s1, 0, v2
	v_ashrrev_i32_e32 v2, 31, v6
	v_xor_b32_e32 v5, vcc_lo, v5
	v_add_nc_u32_e32 v26, v1, v3
	v_and_b32_e32 v4, v4, v8
	v_xor_b32_e32 v1, s1, v2
	ds_read_b32 v24, v26 offset:128
	v_and_b32_e32 v2, v4, v5
	; wave barrier
	v_and_b32_e32 v1, v2, v1
	v_mbcnt_lo_u32_b32 v25, v1, 0
	v_cmp_ne_u32_e64 s1, 0, v1
	v_cmp_eq_u32_e32 vcc_lo, 0, v25
	s_and_b32 s2, s1, vcc_lo
	s_and_saveexec_b32 s1, s2
	s_cbranch_execz .LBB353_61
; %bb.60:
	s_waitcnt lgkmcnt(0)
	v_bcnt_u32_b32 v1, v1, v24
	ds_write_b32 v26, v1 offset:128
.LBB353_61:
	s_or_b32 exec_lo, exec_lo, s1
	; wave barrier
	s_waitcnt lgkmcnt(0)
	s_barrier
	buffer_gl0_inv
	ds_read2_b32 v[7:8], v14 offset0:32 offset1:33
	ds_read2_b32 v[5:6], v14 offset0:34 offset1:35
	;; [unrolled: 1-line block ×4, first 2 shown]
	ds_read_b32 v27, v14 offset:160
	v_and_b32_e32 v30, 16, v12
	v_and_b32_e32 v31, 31, v0
	s_mov_b32 s6, exec_lo
	v_cmp_eq_u32_e64 s4, 0, v30
	s_waitcnt lgkmcnt(3)
	v_add3_u32 v28, v8, v7, v5
	s_waitcnt lgkmcnt(2)
	v_add3_u32 v28, v28, v6, v3
	;; [unrolled: 2-line block ×4, first 2 shown]
	v_and_b32_e32 v28, 15, v12
	v_mov_b32_dpp v29, v27 row_shr:1 row_mask:0xf bank_mask:0xf
	v_cmp_eq_u32_e32 vcc_lo, 0, v28
	v_cmp_lt_u32_e64 s1, 1, v28
	v_cmp_lt_u32_e64 s2, 3, v28
	;; [unrolled: 1-line block ×3, first 2 shown]
	v_cndmask_b32_e64 v29, v29, 0, vcc_lo
	v_add_nc_u32_e32 v27, v29, v27
	v_mov_b32_dpp v29, v27 row_shr:2 row_mask:0xf bank_mask:0xf
	v_cndmask_b32_e64 v29, 0, v29, s1
	v_add_nc_u32_e32 v27, v27, v29
	v_mov_b32_dpp v29, v27 row_shr:4 row_mask:0xf bank_mask:0xf
	v_cndmask_b32_e64 v29, 0, v29, s2
	;; [unrolled: 3-line block ×3, first 2 shown]
	v_bfe_i32 v29, v12, 4, 1
	v_add_nc_u32_e32 v27, v27, v28
	ds_swizzle_b32 v28, v27 offset:swizzle(BROADCAST,32,15)
	s_waitcnt lgkmcnt(0)
	v_and_b32_e32 v29, v29, v28
	v_lshrrev_b32_e32 v28, 5, v0
	v_add_nc_u32_e32 v27, v27, v29
	v_cmpx_eq_u32_e32 31, v31
; %bb.62:
	v_lshlrev_b32_e32 v29, 2, v28
	ds_write_b32 v29, v27
; %bb.63:
	s_or_b32 exec_lo, exec_lo, s6
	v_cmp_lt_u32_e64 s5, 31, v0
	s_mov_b32 s9, exec_lo
	s_waitcnt lgkmcnt(0)
	s_barrier
	buffer_gl0_inv
	v_cmpx_gt_u32_e32 32, v0
	s_cbranch_execz .LBB353_65
; %bb.64:
	ds_read_b32 v29, v11
	s_waitcnt lgkmcnt(0)
	v_mov_b32_dpp v30, v29 row_shr:1 row_mask:0xf bank_mask:0xf
	v_cndmask_b32_e64 v30, v30, 0, vcc_lo
	v_add_nc_u32_e32 v29, v30, v29
	v_mov_b32_dpp v30, v29 row_shr:2 row_mask:0xf bank_mask:0xf
	v_cndmask_b32_e64 v30, 0, v30, s1
	v_add_nc_u32_e32 v29, v29, v30
	v_mov_b32_dpp v30, v29 row_shr:4 row_mask:0xf bank_mask:0xf
	v_cndmask_b32_e64 v30, 0, v30, s2
	;; [unrolled: 3-line block ×3, first 2 shown]
	v_add_nc_u32_e32 v29, v29, v30
	ds_swizzle_b32 v30, v29 offset:swizzle(BROADCAST,32,15)
	s_waitcnt lgkmcnt(0)
	v_cndmask_b32_e64 v30, v30, 0, s4
	v_add_nc_u32_e32 v29, v29, v30
	ds_write_b32 v11, v29
.LBB353_65:
	s_or_b32 exec_lo, exec_lo, s9
	v_mov_b32_e32 v29, 0
	s_waitcnt lgkmcnt(0)
	s_barrier
	buffer_gl0_inv
	s_and_saveexec_b32 s1, s5
; %bb.66:
	v_lshl_add_u32 v28, v28, 2, -4
	ds_read_b32 v29, v28
; %bb.67:
	s_or_b32 exec_lo, exec_lo, s1
	v_sub_co_u32 v28, vcc_lo, v12, 1
	s_waitcnt lgkmcnt(0)
	v_add_nc_u32_e32 v27, v29, v27
	v_cmp_gt_i32_e64 s1, 0, v28
	v_cndmask_b32_e64 v12, v28, v12, s1
	v_lshlrev_b32_e32 v12, 2, v12
	ds_bpermute_b32 v12, v12, v27
	s_waitcnt lgkmcnt(0)
	v_cndmask_b32_e32 v12, v12, v29, vcc_lo
	v_cmp_lt_u32_e32 vcc_lo, 0xff, v0
	v_cndmask_b32_e64 v12, v12, 0, s0
	v_cmp_gt_u32_e64 s0, 0x100, v0
	v_add_nc_u32_e32 v7, v12, v7
	v_add_nc_u32_e32 v8, v7, v8
	;; [unrolled: 1-line block ×8, first 2 shown]
	ds_write2_b32 v14, v12, v7 offset0:32 offset1:33
	ds_write2_b32 v14, v8, v5 offset0:34 offset1:35
	;; [unrolled: 1-line block ×4, first 2 shown]
	ds_write_b32 v14, v2 offset:160
	s_waitcnt lgkmcnt(0)
	s_barrier
	buffer_gl0_inv
	ds_read_b32 v1, v15 offset:128
	ds_read_b32 v4, v19 offset:128
	;; [unrolled: 1-line block ×4, first 2 shown]
                                        ; implicit-def: $vgpr7
                                        ; implicit-def: $vgpr8
	s_and_saveexec_b32 s2, s0
	s_cbranch_execz .LBB353_71
; %bb.68:
	v_mul_u32_u24_e32 v5, 0x84, v0
	v_add_nc_u32_e32 v6, 1, v0
	s_mov_b32 s3, exec_lo
	ds_read_b32 v7, v5 offset:128
	v_mov_b32_e32 v5, 0x1000
	v_cmpx_ne_u32_e32 0x100, v6
; %bb.69:
	v_mul_u32_u24_e32 v5, 0x84, v6
	ds_read_b32 v5, v5 offset:128
; %bb.70:
	s_or_b32 exec_lo, exec_lo, s3
	s_waitcnt lgkmcnt(0)
	v_sub_nc_u32_e32 v8, v5, v7
.LBB353_71:
	s_or_b32 exec_lo, exec_lo, s2
	v_lshlrev_b32_e32 v5, 2, v10
	v_lshlrev_b32_e32 v10, 2, v16
	;; [unrolled: 1-line block ×4, first 2 shown]
	s_waitcnt lgkmcnt(0)
	v_lshlrev_b32_e32 v2, 2, v2
	v_lshlrev_b32_e32 v6, 2, v18
	;; [unrolled: 1-line block ×6, first 2 shown]
	v_lshl_add_u32 v1, v1, 2, v5
	v_add3_u32 v5, v15, v16, v2
	v_mov_b32_e32 v2, 0
	v_add3_u32 v4, v6, v10, v4
	v_add3_u32 v3, v12, v14, v3
	s_barrier
	buffer_gl0_inv
	ds_write_b32 v1, v9 offset:1024
	ds_write_b32 v4, v13 offset:1024
	;; [unrolled: 1-line block ×4, first 2 shown]
	s_and_saveexec_b32 s1, s0
	s_cbranch_execz .LBB353_81
; %bb.72:
	v_lshl_add_u32 v1, s23, 8, v0
	v_mov_b32_e32 v9, 0
	s_mov_b32 s2, 0
	s_mov_b32 s3, s23
	v_lshlrev_b64 v[3:4], 2, v[1:2]
	v_or_b32_e32 v1, 2.0, v8
	v_add_co_u32 v3, s0, s10, v3
	v_add_co_ci_u32_e64 v4, null, s11, v4, s0
                                        ; implicit-def: $sgpr0
	global_store_dword v[3:4], v1, off
	s_branch .LBB353_75
	.p2align	6
.LBB353_73:                             ;   in Loop: Header=BB353_75 Depth=1
	s_or_b32 exec_lo, exec_lo, s5
.LBB353_74:                             ;   in Loop: Header=BB353_75 Depth=1
	s_or_b32 exec_lo, exec_lo, s4
	v_and_b32_e32 v5, 0x3fffffff, v1
	v_cmp_gt_i32_e64 s0, -2.0, v1
	v_add_nc_u32_e32 v9, v5, v9
	s_and_b32 s4, exec_lo, s0
	s_or_b32 s2, s4, s2
	s_andn2_b32 exec_lo, exec_lo, s2
	s_cbranch_execz .LBB353_80
.LBB353_75:                             ; =>This Loop Header: Depth=1
                                        ;     Child Loop BB353_78 Depth 2
	s_or_b32 s0, s0, exec_lo
	s_cmp_eq_u32 s3, 0
	s_cbranch_scc1 .LBB353_79
; %bb.76:                               ;   in Loop: Header=BB353_75 Depth=1
	s_add_i32 s3, s3, -1
	s_mov_b32 s4, exec_lo
	v_lshl_or_b32 v1, s3, 8, v0
	v_lshlrev_b64 v[5:6], 2, v[1:2]
	v_add_co_u32 v5, s0, s10, v5
	v_add_co_ci_u32_e64 v6, null, s11, v6, s0
	global_load_dword v1, v[5:6], off glc dlc
	s_waitcnt vmcnt(0)
	v_cmpx_gt_u32_e32 2.0, v1
	s_cbranch_execz .LBB353_74
; %bb.77:                               ;   in Loop: Header=BB353_75 Depth=1
	s_mov_b32 s5, 0
.LBB353_78:                             ;   Parent Loop BB353_75 Depth=1
                                        ; =>  This Inner Loop Header: Depth=2
	global_load_dword v1, v[5:6], off glc dlc
	s_waitcnt vmcnt(0)
	v_cmp_lt_u32_e64 s0, 0x3fffffff, v1
	s_or_b32 s5, s0, s5
	s_andn2_b32 exec_lo, exec_lo, s5
	s_cbranch_execnz .LBB353_78
	s_branch .LBB353_73
.LBB353_79:                             ;   in Loop: Header=BB353_75 Depth=1
                                        ; implicit-def: $sgpr3
	s_and_b32 s4, exec_lo, s0
	s_or_b32 s2, s4, s2
	s_andn2_b32 exec_lo, exec_lo, s2
	s_cbranch_execnz .LBB353_75
.LBB353_80:
	s_or_b32 exec_lo, exec_lo, s2
	v_add_nc_u32_e32 v1, v9, v8
	v_sub_nc_u32_e32 v2, v9, v7
	v_or_b32_e32 v1, 0x80000000, v1
	global_store_dword v[3:4], v1, off
	global_load_dword v1, v11, s[12:13]
	s_waitcnt vmcnt(0)
	v_add_nc_u32_e32 v1, v2, v1
	ds_write_b32 v11, v1
.LBB353_81:
	s_or_b32 exec_lo, exec_lo, s1
	s_waitcnt lgkmcnt(0)
	s_waitcnt_vscnt null, 0x0
	s_barrier
	buffer_gl0_inv
	ds_read2st64_b32 v[1:2], v11 offset0:4 offset1:20
	ds_read2st64_b32 v[3:4], v11 offset0:36 offset1:52
	s_add_i32 s7, s7, -1
	s_cmp_eq_u32 s23, s7
	s_waitcnt lgkmcnt(1)
	v_lshrrev_b32_e32 v5, s20, v1
	v_lshrrev_b32_e32 v6, s20, v2
	s_waitcnt lgkmcnt(0)
	v_lshrrev_b32_e32 v9, s20, v3
	v_lshrrev_b32_e32 v10, s20, v4
	v_xor_b32_e32 v15, 0x7fffffff, v1
	v_and_b32_e32 v5, s8, v5
	v_and_b32_e32 v6, s8, v6
	;; [unrolled: 1-line block ×3, first 2 shown]
	v_xor_b32_e32 v16, 0x7fffffff, v2
	v_xor_b32_e32 v4, 0x7fffffff, v4
	v_lshlrev_b32_e32 v5, 2, v5
	v_lshlrev_b32_e32 v6, 2, v6
	ds_read_b32 v5, v5
	ds_read_b32 v12, v6
	v_lshlrev_b32_e32 v6, 2, v9
	v_and_b32_e32 v9, s8, v10
	ds_read_b32 v13, v6
	v_lshlrev_b32_e32 v6, 2, v9
	ds_read_b32 v14, v6
	v_mov_b32_e32 v6, 0
	s_waitcnt lgkmcnt(3)
	v_add_nc_u32_e32 v5, v5, v0
	v_lshlrev_b64 v[9:10], 2, v[5:6]
	s_waitcnt lgkmcnt(2)
	v_add3_u32 v5, v12, v0, 0x400
	v_lshlrev_b64 v[1:2], 2, v[5:6]
	s_waitcnt lgkmcnt(1)
	v_add3_u32 v5, v13, v0, 0x800
	v_add_co_u32 v9, s0, s18, v9
	v_add_co_ci_u32_e64 v10, null, s19, v10, s0
	v_lshlrev_b64 v[12:13], 2, v[5:6]
	s_waitcnt lgkmcnt(0)
	v_add3_u32 v5, v14, v0, 0xc00
	v_add_co_u32 v0, s0, s18, v1
	v_add_co_ci_u32_e64 v1, null, s19, v2, s0
	v_xor_b32_e32 v14, 0x7fffffff, v3
	v_lshlrev_b64 v[2:3], 2, v[5:6]
	global_store_dword v[9:10], v15, off
	global_store_dword v[0:1], v16, off
	v_add_co_u32 v0, s0, s18, v12
	v_add_co_ci_u32_e64 v1, null, s19, v13, s0
	v_add_co_u32 v2, s0, s18, v2
	v_add_co_ci_u32_e64 v3, null, s19, v3, s0
	s_cselect_b32 s0, -1, 0
	s_xor_b32 s1, vcc_lo, -1
	global_store_dword v[0:1], v14, off
	s_and_b32 s0, s1, s0
	global_store_dword v[2:3], v4, off
	s_and_saveexec_b32 s1, s0
	s_cbranch_execz .LBB353_83
; %bb.82:
	ds_read_b32 v0, v11
	s_waitcnt lgkmcnt(0)
	v_add3_u32 v0, v7, v8, v0
	global_store_dword v11, v0, s[14:15]
.LBB353_83:
	s_endpgm
	.section	.rodata,"a",@progbits
	.p2align	6, 0x0
	.amdhsa_kernel _ZN7rocprim17ROCPRIM_400000_NS6detail17trampoline_kernelINS0_14default_configENS1_35radix_sort_onesweep_config_selectorIiNS0_10empty_typeEEEZZNS1_29radix_sort_onesweep_iterationIS3_Lb1EN6thrust23THRUST_200600_302600_NS6detail15normal_iteratorINS9_10device_ptrIiEEEESE_PS5_SF_jNS0_19identity_decomposerENS1_16block_id_wrapperIjLb1EEEEE10hipError_tT1_PNSt15iterator_traitsISK_E10value_typeET2_T3_PNSL_ISQ_E10value_typeET4_T5_PSV_SW_PNS1_23onesweep_lookback_stateEbbT6_jjT7_P12ihipStream_tbENKUlT_T0_SK_SP_E_clISE_PiSF_SF_EEDaS13_S14_SK_SP_EUlS13_E_NS1_11comp_targetILNS1_3genE8ELNS1_11target_archE1030ELNS1_3gpuE2ELNS1_3repE0EEENS1_47radix_sort_onesweep_sort_config_static_selectorELNS0_4arch9wavefront6targetE0EEEvSK_
		.amdhsa_group_segment_fixed_size 37000
		.amdhsa_private_segment_fixed_size 0
		.amdhsa_kernarg_size 344
		.amdhsa_user_sgpr_count 6
		.amdhsa_user_sgpr_private_segment_buffer 1
		.amdhsa_user_sgpr_dispatch_ptr 0
		.amdhsa_user_sgpr_queue_ptr 0
		.amdhsa_user_sgpr_kernarg_segment_ptr 1
		.amdhsa_user_sgpr_dispatch_id 0
		.amdhsa_user_sgpr_flat_scratch_init 0
		.amdhsa_user_sgpr_private_segment_size 0
		.amdhsa_wavefront_size32 1
		.amdhsa_uses_dynamic_stack 0
		.amdhsa_system_sgpr_private_segment_wavefront_offset 0
		.amdhsa_system_sgpr_workgroup_id_x 1
		.amdhsa_system_sgpr_workgroup_id_y 0
		.amdhsa_system_sgpr_workgroup_id_z 0
		.amdhsa_system_sgpr_workgroup_info 0
		.amdhsa_system_vgpr_workitem_id 2
		.amdhsa_next_free_vgpr 34
		.amdhsa_next_free_sgpr 27
		.amdhsa_reserve_vcc 1
		.amdhsa_reserve_flat_scratch 0
		.amdhsa_float_round_mode_32 0
		.amdhsa_float_round_mode_16_64 0
		.amdhsa_float_denorm_mode_32 3
		.amdhsa_float_denorm_mode_16_64 3
		.amdhsa_dx10_clamp 1
		.amdhsa_ieee_mode 1
		.amdhsa_fp16_overflow 0
		.amdhsa_workgroup_processor_mode 1
		.amdhsa_memory_ordered 1
		.amdhsa_forward_progress 1
		.amdhsa_shared_vgpr_count 0
		.amdhsa_exception_fp_ieee_invalid_op 0
		.amdhsa_exception_fp_denorm_src 0
		.amdhsa_exception_fp_ieee_div_zero 0
		.amdhsa_exception_fp_ieee_overflow 0
		.amdhsa_exception_fp_ieee_underflow 0
		.amdhsa_exception_fp_ieee_inexact 0
		.amdhsa_exception_int_div_zero 0
	.end_amdhsa_kernel
	.section	.text._ZN7rocprim17ROCPRIM_400000_NS6detail17trampoline_kernelINS0_14default_configENS1_35radix_sort_onesweep_config_selectorIiNS0_10empty_typeEEEZZNS1_29radix_sort_onesweep_iterationIS3_Lb1EN6thrust23THRUST_200600_302600_NS6detail15normal_iteratorINS9_10device_ptrIiEEEESE_PS5_SF_jNS0_19identity_decomposerENS1_16block_id_wrapperIjLb1EEEEE10hipError_tT1_PNSt15iterator_traitsISK_E10value_typeET2_T3_PNSL_ISQ_E10value_typeET4_T5_PSV_SW_PNS1_23onesweep_lookback_stateEbbT6_jjT7_P12ihipStream_tbENKUlT_T0_SK_SP_E_clISE_PiSF_SF_EEDaS13_S14_SK_SP_EUlS13_E_NS1_11comp_targetILNS1_3genE8ELNS1_11target_archE1030ELNS1_3gpuE2ELNS1_3repE0EEENS1_47radix_sort_onesweep_sort_config_static_selectorELNS0_4arch9wavefront6targetE0EEEvSK_,"axG",@progbits,_ZN7rocprim17ROCPRIM_400000_NS6detail17trampoline_kernelINS0_14default_configENS1_35radix_sort_onesweep_config_selectorIiNS0_10empty_typeEEEZZNS1_29radix_sort_onesweep_iterationIS3_Lb1EN6thrust23THRUST_200600_302600_NS6detail15normal_iteratorINS9_10device_ptrIiEEEESE_PS5_SF_jNS0_19identity_decomposerENS1_16block_id_wrapperIjLb1EEEEE10hipError_tT1_PNSt15iterator_traitsISK_E10value_typeET2_T3_PNSL_ISQ_E10value_typeET4_T5_PSV_SW_PNS1_23onesweep_lookback_stateEbbT6_jjT7_P12ihipStream_tbENKUlT_T0_SK_SP_E_clISE_PiSF_SF_EEDaS13_S14_SK_SP_EUlS13_E_NS1_11comp_targetILNS1_3genE8ELNS1_11target_archE1030ELNS1_3gpuE2ELNS1_3repE0EEENS1_47radix_sort_onesweep_sort_config_static_selectorELNS0_4arch9wavefront6targetE0EEEvSK_,comdat
.Lfunc_end353:
	.size	_ZN7rocprim17ROCPRIM_400000_NS6detail17trampoline_kernelINS0_14default_configENS1_35radix_sort_onesweep_config_selectorIiNS0_10empty_typeEEEZZNS1_29radix_sort_onesweep_iterationIS3_Lb1EN6thrust23THRUST_200600_302600_NS6detail15normal_iteratorINS9_10device_ptrIiEEEESE_PS5_SF_jNS0_19identity_decomposerENS1_16block_id_wrapperIjLb1EEEEE10hipError_tT1_PNSt15iterator_traitsISK_E10value_typeET2_T3_PNSL_ISQ_E10value_typeET4_T5_PSV_SW_PNS1_23onesweep_lookback_stateEbbT6_jjT7_P12ihipStream_tbENKUlT_T0_SK_SP_E_clISE_PiSF_SF_EEDaS13_S14_SK_SP_EUlS13_E_NS1_11comp_targetILNS1_3genE8ELNS1_11target_archE1030ELNS1_3gpuE2ELNS1_3repE0EEENS1_47radix_sort_onesweep_sort_config_static_selectorELNS0_4arch9wavefront6targetE0EEEvSK_, .Lfunc_end353-_ZN7rocprim17ROCPRIM_400000_NS6detail17trampoline_kernelINS0_14default_configENS1_35radix_sort_onesweep_config_selectorIiNS0_10empty_typeEEEZZNS1_29radix_sort_onesweep_iterationIS3_Lb1EN6thrust23THRUST_200600_302600_NS6detail15normal_iteratorINS9_10device_ptrIiEEEESE_PS5_SF_jNS0_19identity_decomposerENS1_16block_id_wrapperIjLb1EEEEE10hipError_tT1_PNSt15iterator_traitsISK_E10value_typeET2_T3_PNSL_ISQ_E10value_typeET4_T5_PSV_SW_PNS1_23onesweep_lookback_stateEbbT6_jjT7_P12ihipStream_tbENKUlT_T0_SK_SP_E_clISE_PiSF_SF_EEDaS13_S14_SK_SP_EUlS13_E_NS1_11comp_targetILNS1_3genE8ELNS1_11target_archE1030ELNS1_3gpuE2ELNS1_3repE0EEENS1_47radix_sort_onesweep_sort_config_static_selectorELNS0_4arch9wavefront6targetE0EEEvSK_
                                        ; -- End function
	.set _ZN7rocprim17ROCPRIM_400000_NS6detail17trampoline_kernelINS0_14default_configENS1_35radix_sort_onesweep_config_selectorIiNS0_10empty_typeEEEZZNS1_29radix_sort_onesweep_iterationIS3_Lb1EN6thrust23THRUST_200600_302600_NS6detail15normal_iteratorINS9_10device_ptrIiEEEESE_PS5_SF_jNS0_19identity_decomposerENS1_16block_id_wrapperIjLb1EEEEE10hipError_tT1_PNSt15iterator_traitsISK_E10value_typeET2_T3_PNSL_ISQ_E10value_typeET4_T5_PSV_SW_PNS1_23onesweep_lookback_stateEbbT6_jjT7_P12ihipStream_tbENKUlT_T0_SK_SP_E_clISE_PiSF_SF_EEDaS13_S14_SK_SP_EUlS13_E_NS1_11comp_targetILNS1_3genE8ELNS1_11target_archE1030ELNS1_3gpuE2ELNS1_3repE0EEENS1_47radix_sort_onesweep_sort_config_static_selectorELNS0_4arch9wavefront6targetE0EEEvSK_.num_vgpr, 34
	.set _ZN7rocprim17ROCPRIM_400000_NS6detail17trampoline_kernelINS0_14default_configENS1_35radix_sort_onesweep_config_selectorIiNS0_10empty_typeEEEZZNS1_29radix_sort_onesweep_iterationIS3_Lb1EN6thrust23THRUST_200600_302600_NS6detail15normal_iteratorINS9_10device_ptrIiEEEESE_PS5_SF_jNS0_19identity_decomposerENS1_16block_id_wrapperIjLb1EEEEE10hipError_tT1_PNSt15iterator_traitsISK_E10value_typeET2_T3_PNSL_ISQ_E10value_typeET4_T5_PSV_SW_PNS1_23onesweep_lookback_stateEbbT6_jjT7_P12ihipStream_tbENKUlT_T0_SK_SP_E_clISE_PiSF_SF_EEDaS13_S14_SK_SP_EUlS13_E_NS1_11comp_targetILNS1_3genE8ELNS1_11target_archE1030ELNS1_3gpuE2ELNS1_3repE0EEENS1_47radix_sort_onesweep_sort_config_static_selectorELNS0_4arch9wavefront6targetE0EEEvSK_.num_agpr, 0
	.set _ZN7rocprim17ROCPRIM_400000_NS6detail17trampoline_kernelINS0_14default_configENS1_35radix_sort_onesweep_config_selectorIiNS0_10empty_typeEEEZZNS1_29radix_sort_onesweep_iterationIS3_Lb1EN6thrust23THRUST_200600_302600_NS6detail15normal_iteratorINS9_10device_ptrIiEEEESE_PS5_SF_jNS0_19identity_decomposerENS1_16block_id_wrapperIjLb1EEEEE10hipError_tT1_PNSt15iterator_traitsISK_E10value_typeET2_T3_PNSL_ISQ_E10value_typeET4_T5_PSV_SW_PNS1_23onesweep_lookback_stateEbbT6_jjT7_P12ihipStream_tbENKUlT_T0_SK_SP_E_clISE_PiSF_SF_EEDaS13_S14_SK_SP_EUlS13_E_NS1_11comp_targetILNS1_3genE8ELNS1_11target_archE1030ELNS1_3gpuE2ELNS1_3repE0EEENS1_47radix_sort_onesweep_sort_config_static_selectorELNS0_4arch9wavefront6targetE0EEEvSK_.numbered_sgpr, 27
	.set _ZN7rocprim17ROCPRIM_400000_NS6detail17trampoline_kernelINS0_14default_configENS1_35radix_sort_onesweep_config_selectorIiNS0_10empty_typeEEEZZNS1_29radix_sort_onesweep_iterationIS3_Lb1EN6thrust23THRUST_200600_302600_NS6detail15normal_iteratorINS9_10device_ptrIiEEEESE_PS5_SF_jNS0_19identity_decomposerENS1_16block_id_wrapperIjLb1EEEEE10hipError_tT1_PNSt15iterator_traitsISK_E10value_typeET2_T3_PNSL_ISQ_E10value_typeET4_T5_PSV_SW_PNS1_23onesweep_lookback_stateEbbT6_jjT7_P12ihipStream_tbENKUlT_T0_SK_SP_E_clISE_PiSF_SF_EEDaS13_S14_SK_SP_EUlS13_E_NS1_11comp_targetILNS1_3genE8ELNS1_11target_archE1030ELNS1_3gpuE2ELNS1_3repE0EEENS1_47radix_sort_onesweep_sort_config_static_selectorELNS0_4arch9wavefront6targetE0EEEvSK_.num_named_barrier, 0
	.set _ZN7rocprim17ROCPRIM_400000_NS6detail17trampoline_kernelINS0_14default_configENS1_35radix_sort_onesweep_config_selectorIiNS0_10empty_typeEEEZZNS1_29radix_sort_onesweep_iterationIS3_Lb1EN6thrust23THRUST_200600_302600_NS6detail15normal_iteratorINS9_10device_ptrIiEEEESE_PS5_SF_jNS0_19identity_decomposerENS1_16block_id_wrapperIjLb1EEEEE10hipError_tT1_PNSt15iterator_traitsISK_E10value_typeET2_T3_PNSL_ISQ_E10value_typeET4_T5_PSV_SW_PNS1_23onesweep_lookback_stateEbbT6_jjT7_P12ihipStream_tbENKUlT_T0_SK_SP_E_clISE_PiSF_SF_EEDaS13_S14_SK_SP_EUlS13_E_NS1_11comp_targetILNS1_3genE8ELNS1_11target_archE1030ELNS1_3gpuE2ELNS1_3repE0EEENS1_47radix_sort_onesweep_sort_config_static_selectorELNS0_4arch9wavefront6targetE0EEEvSK_.private_seg_size, 0
	.set _ZN7rocprim17ROCPRIM_400000_NS6detail17trampoline_kernelINS0_14default_configENS1_35radix_sort_onesweep_config_selectorIiNS0_10empty_typeEEEZZNS1_29radix_sort_onesweep_iterationIS3_Lb1EN6thrust23THRUST_200600_302600_NS6detail15normal_iteratorINS9_10device_ptrIiEEEESE_PS5_SF_jNS0_19identity_decomposerENS1_16block_id_wrapperIjLb1EEEEE10hipError_tT1_PNSt15iterator_traitsISK_E10value_typeET2_T3_PNSL_ISQ_E10value_typeET4_T5_PSV_SW_PNS1_23onesweep_lookback_stateEbbT6_jjT7_P12ihipStream_tbENKUlT_T0_SK_SP_E_clISE_PiSF_SF_EEDaS13_S14_SK_SP_EUlS13_E_NS1_11comp_targetILNS1_3genE8ELNS1_11target_archE1030ELNS1_3gpuE2ELNS1_3repE0EEENS1_47radix_sort_onesweep_sort_config_static_selectorELNS0_4arch9wavefront6targetE0EEEvSK_.uses_vcc, 1
	.set _ZN7rocprim17ROCPRIM_400000_NS6detail17trampoline_kernelINS0_14default_configENS1_35radix_sort_onesweep_config_selectorIiNS0_10empty_typeEEEZZNS1_29radix_sort_onesweep_iterationIS3_Lb1EN6thrust23THRUST_200600_302600_NS6detail15normal_iteratorINS9_10device_ptrIiEEEESE_PS5_SF_jNS0_19identity_decomposerENS1_16block_id_wrapperIjLb1EEEEE10hipError_tT1_PNSt15iterator_traitsISK_E10value_typeET2_T3_PNSL_ISQ_E10value_typeET4_T5_PSV_SW_PNS1_23onesweep_lookback_stateEbbT6_jjT7_P12ihipStream_tbENKUlT_T0_SK_SP_E_clISE_PiSF_SF_EEDaS13_S14_SK_SP_EUlS13_E_NS1_11comp_targetILNS1_3genE8ELNS1_11target_archE1030ELNS1_3gpuE2ELNS1_3repE0EEENS1_47radix_sort_onesweep_sort_config_static_selectorELNS0_4arch9wavefront6targetE0EEEvSK_.uses_flat_scratch, 0
	.set _ZN7rocprim17ROCPRIM_400000_NS6detail17trampoline_kernelINS0_14default_configENS1_35radix_sort_onesweep_config_selectorIiNS0_10empty_typeEEEZZNS1_29radix_sort_onesweep_iterationIS3_Lb1EN6thrust23THRUST_200600_302600_NS6detail15normal_iteratorINS9_10device_ptrIiEEEESE_PS5_SF_jNS0_19identity_decomposerENS1_16block_id_wrapperIjLb1EEEEE10hipError_tT1_PNSt15iterator_traitsISK_E10value_typeET2_T3_PNSL_ISQ_E10value_typeET4_T5_PSV_SW_PNS1_23onesweep_lookback_stateEbbT6_jjT7_P12ihipStream_tbENKUlT_T0_SK_SP_E_clISE_PiSF_SF_EEDaS13_S14_SK_SP_EUlS13_E_NS1_11comp_targetILNS1_3genE8ELNS1_11target_archE1030ELNS1_3gpuE2ELNS1_3repE0EEENS1_47radix_sort_onesweep_sort_config_static_selectorELNS0_4arch9wavefront6targetE0EEEvSK_.has_dyn_sized_stack, 0
	.set _ZN7rocprim17ROCPRIM_400000_NS6detail17trampoline_kernelINS0_14default_configENS1_35radix_sort_onesweep_config_selectorIiNS0_10empty_typeEEEZZNS1_29radix_sort_onesweep_iterationIS3_Lb1EN6thrust23THRUST_200600_302600_NS6detail15normal_iteratorINS9_10device_ptrIiEEEESE_PS5_SF_jNS0_19identity_decomposerENS1_16block_id_wrapperIjLb1EEEEE10hipError_tT1_PNSt15iterator_traitsISK_E10value_typeET2_T3_PNSL_ISQ_E10value_typeET4_T5_PSV_SW_PNS1_23onesweep_lookback_stateEbbT6_jjT7_P12ihipStream_tbENKUlT_T0_SK_SP_E_clISE_PiSF_SF_EEDaS13_S14_SK_SP_EUlS13_E_NS1_11comp_targetILNS1_3genE8ELNS1_11target_archE1030ELNS1_3gpuE2ELNS1_3repE0EEENS1_47radix_sort_onesweep_sort_config_static_selectorELNS0_4arch9wavefront6targetE0EEEvSK_.has_recursion, 0
	.set _ZN7rocprim17ROCPRIM_400000_NS6detail17trampoline_kernelINS0_14default_configENS1_35radix_sort_onesweep_config_selectorIiNS0_10empty_typeEEEZZNS1_29radix_sort_onesweep_iterationIS3_Lb1EN6thrust23THRUST_200600_302600_NS6detail15normal_iteratorINS9_10device_ptrIiEEEESE_PS5_SF_jNS0_19identity_decomposerENS1_16block_id_wrapperIjLb1EEEEE10hipError_tT1_PNSt15iterator_traitsISK_E10value_typeET2_T3_PNSL_ISQ_E10value_typeET4_T5_PSV_SW_PNS1_23onesweep_lookback_stateEbbT6_jjT7_P12ihipStream_tbENKUlT_T0_SK_SP_E_clISE_PiSF_SF_EEDaS13_S14_SK_SP_EUlS13_E_NS1_11comp_targetILNS1_3genE8ELNS1_11target_archE1030ELNS1_3gpuE2ELNS1_3repE0EEENS1_47radix_sort_onesweep_sort_config_static_selectorELNS0_4arch9wavefront6targetE0EEEvSK_.has_indirect_call, 0
	.section	.AMDGPU.csdata,"",@progbits
; Kernel info:
; codeLenInByte = 6780
; TotalNumSgprs: 29
; NumVgprs: 34
; ScratchSize: 0
; MemoryBound: 0
; FloatMode: 240
; IeeeMode: 1
; LDSByteSize: 37000 bytes/workgroup (compile time only)
; SGPRBlocks: 0
; VGPRBlocks: 4
; NumSGPRsForWavesPerEU: 29
; NumVGPRsForWavesPerEU: 34
; Occupancy: 16
; WaveLimiterHint : 1
; COMPUTE_PGM_RSRC2:SCRATCH_EN: 0
; COMPUTE_PGM_RSRC2:USER_SGPR: 6
; COMPUTE_PGM_RSRC2:TRAP_HANDLER: 0
; COMPUTE_PGM_RSRC2:TGID_X_EN: 1
; COMPUTE_PGM_RSRC2:TGID_Y_EN: 0
; COMPUTE_PGM_RSRC2:TGID_Z_EN: 0
; COMPUTE_PGM_RSRC2:TIDIG_COMP_CNT: 2
	.section	.text._ZN7rocprim17ROCPRIM_400000_NS6detail17trampoline_kernelINS0_14default_configENS1_35radix_sort_onesweep_config_selectorIiNS0_10empty_typeEEEZZNS1_29radix_sort_onesweep_iterationIS3_Lb1EN6thrust23THRUST_200600_302600_NS6detail15normal_iteratorINS9_10device_ptrIiEEEESE_PS5_SF_jNS0_19identity_decomposerENS1_16block_id_wrapperIjLb1EEEEE10hipError_tT1_PNSt15iterator_traitsISK_E10value_typeET2_T3_PNSL_ISQ_E10value_typeET4_T5_PSV_SW_PNS1_23onesweep_lookback_stateEbbT6_jjT7_P12ihipStream_tbENKUlT_T0_SK_SP_E_clIPiSE_SF_SF_EEDaS13_S14_SK_SP_EUlS13_E_NS1_11comp_targetILNS1_3genE0ELNS1_11target_archE4294967295ELNS1_3gpuE0ELNS1_3repE0EEENS1_47radix_sort_onesweep_sort_config_static_selectorELNS0_4arch9wavefront6targetE0EEEvSK_,"axG",@progbits,_ZN7rocprim17ROCPRIM_400000_NS6detail17trampoline_kernelINS0_14default_configENS1_35radix_sort_onesweep_config_selectorIiNS0_10empty_typeEEEZZNS1_29radix_sort_onesweep_iterationIS3_Lb1EN6thrust23THRUST_200600_302600_NS6detail15normal_iteratorINS9_10device_ptrIiEEEESE_PS5_SF_jNS0_19identity_decomposerENS1_16block_id_wrapperIjLb1EEEEE10hipError_tT1_PNSt15iterator_traitsISK_E10value_typeET2_T3_PNSL_ISQ_E10value_typeET4_T5_PSV_SW_PNS1_23onesweep_lookback_stateEbbT6_jjT7_P12ihipStream_tbENKUlT_T0_SK_SP_E_clIPiSE_SF_SF_EEDaS13_S14_SK_SP_EUlS13_E_NS1_11comp_targetILNS1_3genE0ELNS1_11target_archE4294967295ELNS1_3gpuE0ELNS1_3repE0EEENS1_47radix_sort_onesweep_sort_config_static_selectorELNS0_4arch9wavefront6targetE0EEEvSK_,comdat
	.protected	_ZN7rocprim17ROCPRIM_400000_NS6detail17trampoline_kernelINS0_14default_configENS1_35radix_sort_onesweep_config_selectorIiNS0_10empty_typeEEEZZNS1_29radix_sort_onesweep_iterationIS3_Lb1EN6thrust23THRUST_200600_302600_NS6detail15normal_iteratorINS9_10device_ptrIiEEEESE_PS5_SF_jNS0_19identity_decomposerENS1_16block_id_wrapperIjLb1EEEEE10hipError_tT1_PNSt15iterator_traitsISK_E10value_typeET2_T3_PNSL_ISQ_E10value_typeET4_T5_PSV_SW_PNS1_23onesweep_lookback_stateEbbT6_jjT7_P12ihipStream_tbENKUlT_T0_SK_SP_E_clIPiSE_SF_SF_EEDaS13_S14_SK_SP_EUlS13_E_NS1_11comp_targetILNS1_3genE0ELNS1_11target_archE4294967295ELNS1_3gpuE0ELNS1_3repE0EEENS1_47radix_sort_onesweep_sort_config_static_selectorELNS0_4arch9wavefront6targetE0EEEvSK_ ; -- Begin function _ZN7rocprim17ROCPRIM_400000_NS6detail17trampoline_kernelINS0_14default_configENS1_35radix_sort_onesweep_config_selectorIiNS0_10empty_typeEEEZZNS1_29radix_sort_onesweep_iterationIS3_Lb1EN6thrust23THRUST_200600_302600_NS6detail15normal_iteratorINS9_10device_ptrIiEEEESE_PS5_SF_jNS0_19identity_decomposerENS1_16block_id_wrapperIjLb1EEEEE10hipError_tT1_PNSt15iterator_traitsISK_E10value_typeET2_T3_PNSL_ISQ_E10value_typeET4_T5_PSV_SW_PNS1_23onesweep_lookback_stateEbbT6_jjT7_P12ihipStream_tbENKUlT_T0_SK_SP_E_clIPiSE_SF_SF_EEDaS13_S14_SK_SP_EUlS13_E_NS1_11comp_targetILNS1_3genE0ELNS1_11target_archE4294967295ELNS1_3gpuE0ELNS1_3repE0EEENS1_47radix_sort_onesweep_sort_config_static_selectorELNS0_4arch9wavefront6targetE0EEEvSK_
	.globl	_ZN7rocprim17ROCPRIM_400000_NS6detail17trampoline_kernelINS0_14default_configENS1_35radix_sort_onesweep_config_selectorIiNS0_10empty_typeEEEZZNS1_29radix_sort_onesweep_iterationIS3_Lb1EN6thrust23THRUST_200600_302600_NS6detail15normal_iteratorINS9_10device_ptrIiEEEESE_PS5_SF_jNS0_19identity_decomposerENS1_16block_id_wrapperIjLb1EEEEE10hipError_tT1_PNSt15iterator_traitsISK_E10value_typeET2_T3_PNSL_ISQ_E10value_typeET4_T5_PSV_SW_PNS1_23onesweep_lookback_stateEbbT6_jjT7_P12ihipStream_tbENKUlT_T0_SK_SP_E_clIPiSE_SF_SF_EEDaS13_S14_SK_SP_EUlS13_E_NS1_11comp_targetILNS1_3genE0ELNS1_11target_archE4294967295ELNS1_3gpuE0ELNS1_3repE0EEENS1_47radix_sort_onesweep_sort_config_static_selectorELNS0_4arch9wavefront6targetE0EEEvSK_
	.p2align	8
	.type	_ZN7rocprim17ROCPRIM_400000_NS6detail17trampoline_kernelINS0_14default_configENS1_35radix_sort_onesweep_config_selectorIiNS0_10empty_typeEEEZZNS1_29radix_sort_onesweep_iterationIS3_Lb1EN6thrust23THRUST_200600_302600_NS6detail15normal_iteratorINS9_10device_ptrIiEEEESE_PS5_SF_jNS0_19identity_decomposerENS1_16block_id_wrapperIjLb1EEEEE10hipError_tT1_PNSt15iterator_traitsISK_E10value_typeET2_T3_PNSL_ISQ_E10value_typeET4_T5_PSV_SW_PNS1_23onesweep_lookback_stateEbbT6_jjT7_P12ihipStream_tbENKUlT_T0_SK_SP_E_clIPiSE_SF_SF_EEDaS13_S14_SK_SP_EUlS13_E_NS1_11comp_targetILNS1_3genE0ELNS1_11target_archE4294967295ELNS1_3gpuE0ELNS1_3repE0EEENS1_47radix_sort_onesweep_sort_config_static_selectorELNS0_4arch9wavefront6targetE0EEEvSK_,@function
_ZN7rocprim17ROCPRIM_400000_NS6detail17trampoline_kernelINS0_14default_configENS1_35radix_sort_onesweep_config_selectorIiNS0_10empty_typeEEEZZNS1_29radix_sort_onesweep_iterationIS3_Lb1EN6thrust23THRUST_200600_302600_NS6detail15normal_iteratorINS9_10device_ptrIiEEEESE_PS5_SF_jNS0_19identity_decomposerENS1_16block_id_wrapperIjLb1EEEEE10hipError_tT1_PNSt15iterator_traitsISK_E10value_typeET2_T3_PNSL_ISQ_E10value_typeET4_T5_PSV_SW_PNS1_23onesweep_lookback_stateEbbT6_jjT7_P12ihipStream_tbENKUlT_T0_SK_SP_E_clIPiSE_SF_SF_EEDaS13_S14_SK_SP_EUlS13_E_NS1_11comp_targetILNS1_3genE0ELNS1_11target_archE4294967295ELNS1_3gpuE0ELNS1_3repE0EEENS1_47radix_sort_onesweep_sort_config_static_selectorELNS0_4arch9wavefront6targetE0EEEvSK_: ; @_ZN7rocprim17ROCPRIM_400000_NS6detail17trampoline_kernelINS0_14default_configENS1_35radix_sort_onesweep_config_selectorIiNS0_10empty_typeEEEZZNS1_29radix_sort_onesweep_iterationIS3_Lb1EN6thrust23THRUST_200600_302600_NS6detail15normal_iteratorINS9_10device_ptrIiEEEESE_PS5_SF_jNS0_19identity_decomposerENS1_16block_id_wrapperIjLb1EEEEE10hipError_tT1_PNSt15iterator_traitsISK_E10value_typeET2_T3_PNSL_ISQ_E10value_typeET4_T5_PSV_SW_PNS1_23onesweep_lookback_stateEbbT6_jjT7_P12ihipStream_tbENKUlT_T0_SK_SP_E_clIPiSE_SF_SF_EEDaS13_S14_SK_SP_EUlS13_E_NS1_11comp_targetILNS1_3genE0ELNS1_11target_archE4294967295ELNS1_3gpuE0ELNS1_3repE0EEENS1_47radix_sort_onesweep_sort_config_static_selectorELNS0_4arch9wavefront6targetE0EEEvSK_
; %bb.0:
	.section	.rodata,"a",@progbits
	.p2align	6, 0x0
	.amdhsa_kernel _ZN7rocprim17ROCPRIM_400000_NS6detail17trampoline_kernelINS0_14default_configENS1_35radix_sort_onesweep_config_selectorIiNS0_10empty_typeEEEZZNS1_29radix_sort_onesweep_iterationIS3_Lb1EN6thrust23THRUST_200600_302600_NS6detail15normal_iteratorINS9_10device_ptrIiEEEESE_PS5_SF_jNS0_19identity_decomposerENS1_16block_id_wrapperIjLb1EEEEE10hipError_tT1_PNSt15iterator_traitsISK_E10value_typeET2_T3_PNSL_ISQ_E10value_typeET4_T5_PSV_SW_PNS1_23onesweep_lookback_stateEbbT6_jjT7_P12ihipStream_tbENKUlT_T0_SK_SP_E_clIPiSE_SF_SF_EEDaS13_S14_SK_SP_EUlS13_E_NS1_11comp_targetILNS1_3genE0ELNS1_11target_archE4294967295ELNS1_3gpuE0ELNS1_3repE0EEENS1_47radix_sort_onesweep_sort_config_static_selectorELNS0_4arch9wavefront6targetE0EEEvSK_
		.amdhsa_group_segment_fixed_size 0
		.amdhsa_private_segment_fixed_size 0
		.amdhsa_kernarg_size 88
		.amdhsa_user_sgpr_count 6
		.amdhsa_user_sgpr_private_segment_buffer 1
		.amdhsa_user_sgpr_dispatch_ptr 0
		.amdhsa_user_sgpr_queue_ptr 0
		.amdhsa_user_sgpr_kernarg_segment_ptr 1
		.amdhsa_user_sgpr_dispatch_id 0
		.amdhsa_user_sgpr_flat_scratch_init 0
		.amdhsa_user_sgpr_private_segment_size 0
		.amdhsa_wavefront_size32 1
		.amdhsa_uses_dynamic_stack 0
		.amdhsa_system_sgpr_private_segment_wavefront_offset 0
		.amdhsa_system_sgpr_workgroup_id_x 1
		.amdhsa_system_sgpr_workgroup_id_y 0
		.amdhsa_system_sgpr_workgroup_id_z 0
		.amdhsa_system_sgpr_workgroup_info 0
		.amdhsa_system_vgpr_workitem_id 0
		.amdhsa_next_free_vgpr 1
		.amdhsa_next_free_sgpr 1
		.amdhsa_reserve_vcc 0
		.amdhsa_reserve_flat_scratch 0
		.amdhsa_float_round_mode_32 0
		.amdhsa_float_round_mode_16_64 0
		.amdhsa_float_denorm_mode_32 3
		.amdhsa_float_denorm_mode_16_64 3
		.amdhsa_dx10_clamp 1
		.amdhsa_ieee_mode 1
		.amdhsa_fp16_overflow 0
		.amdhsa_workgroup_processor_mode 1
		.amdhsa_memory_ordered 1
		.amdhsa_forward_progress 1
		.amdhsa_shared_vgpr_count 0
		.amdhsa_exception_fp_ieee_invalid_op 0
		.amdhsa_exception_fp_denorm_src 0
		.amdhsa_exception_fp_ieee_div_zero 0
		.amdhsa_exception_fp_ieee_overflow 0
		.amdhsa_exception_fp_ieee_underflow 0
		.amdhsa_exception_fp_ieee_inexact 0
		.amdhsa_exception_int_div_zero 0
	.end_amdhsa_kernel
	.section	.text._ZN7rocprim17ROCPRIM_400000_NS6detail17trampoline_kernelINS0_14default_configENS1_35radix_sort_onesweep_config_selectorIiNS0_10empty_typeEEEZZNS1_29radix_sort_onesweep_iterationIS3_Lb1EN6thrust23THRUST_200600_302600_NS6detail15normal_iteratorINS9_10device_ptrIiEEEESE_PS5_SF_jNS0_19identity_decomposerENS1_16block_id_wrapperIjLb1EEEEE10hipError_tT1_PNSt15iterator_traitsISK_E10value_typeET2_T3_PNSL_ISQ_E10value_typeET4_T5_PSV_SW_PNS1_23onesweep_lookback_stateEbbT6_jjT7_P12ihipStream_tbENKUlT_T0_SK_SP_E_clIPiSE_SF_SF_EEDaS13_S14_SK_SP_EUlS13_E_NS1_11comp_targetILNS1_3genE0ELNS1_11target_archE4294967295ELNS1_3gpuE0ELNS1_3repE0EEENS1_47radix_sort_onesweep_sort_config_static_selectorELNS0_4arch9wavefront6targetE0EEEvSK_,"axG",@progbits,_ZN7rocprim17ROCPRIM_400000_NS6detail17trampoline_kernelINS0_14default_configENS1_35radix_sort_onesweep_config_selectorIiNS0_10empty_typeEEEZZNS1_29radix_sort_onesweep_iterationIS3_Lb1EN6thrust23THRUST_200600_302600_NS6detail15normal_iteratorINS9_10device_ptrIiEEEESE_PS5_SF_jNS0_19identity_decomposerENS1_16block_id_wrapperIjLb1EEEEE10hipError_tT1_PNSt15iterator_traitsISK_E10value_typeET2_T3_PNSL_ISQ_E10value_typeET4_T5_PSV_SW_PNS1_23onesweep_lookback_stateEbbT6_jjT7_P12ihipStream_tbENKUlT_T0_SK_SP_E_clIPiSE_SF_SF_EEDaS13_S14_SK_SP_EUlS13_E_NS1_11comp_targetILNS1_3genE0ELNS1_11target_archE4294967295ELNS1_3gpuE0ELNS1_3repE0EEENS1_47radix_sort_onesweep_sort_config_static_selectorELNS0_4arch9wavefront6targetE0EEEvSK_,comdat
.Lfunc_end354:
	.size	_ZN7rocprim17ROCPRIM_400000_NS6detail17trampoline_kernelINS0_14default_configENS1_35radix_sort_onesweep_config_selectorIiNS0_10empty_typeEEEZZNS1_29radix_sort_onesweep_iterationIS3_Lb1EN6thrust23THRUST_200600_302600_NS6detail15normal_iteratorINS9_10device_ptrIiEEEESE_PS5_SF_jNS0_19identity_decomposerENS1_16block_id_wrapperIjLb1EEEEE10hipError_tT1_PNSt15iterator_traitsISK_E10value_typeET2_T3_PNSL_ISQ_E10value_typeET4_T5_PSV_SW_PNS1_23onesweep_lookback_stateEbbT6_jjT7_P12ihipStream_tbENKUlT_T0_SK_SP_E_clIPiSE_SF_SF_EEDaS13_S14_SK_SP_EUlS13_E_NS1_11comp_targetILNS1_3genE0ELNS1_11target_archE4294967295ELNS1_3gpuE0ELNS1_3repE0EEENS1_47radix_sort_onesweep_sort_config_static_selectorELNS0_4arch9wavefront6targetE0EEEvSK_, .Lfunc_end354-_ZN7rocprim17ROCPRIM_400000_NS6detail17trampoline_kernelINS0_14default_configENS1_35radix_sort_onesweep_config_selectorIiNS0_10empty_typeEEEZZNS1_29radix_sort_onesweep_iterationIS3_Lb1EN6thrust23THRUST_200600_302600_NS6detail15normal_iteratorINS9_10device_ptrIiEEEESE_PS5_SF_jNS0_19identity_decomposerENS1_16block_id_wrapperIjLb1EEEEE10hipError_tT1_PNSt15iterator_traitsISK_E10value_typeET2_T3_PNSL_ISQ_E10value_typeET4_T5_PSV_SW_PNS1_23onesweep_lookback_stateEbbT6_jjT7_P12ihipStream_tbENKUlT_T0_SK_SP_E_clIPiSE_SF_SF_EEDaS13_S14_SK_SP_EUlS13_E_NS1_11comp_targetILNS1_3genE0ELNS1_11target_archE4294967295ELNS1_3gpuE0ELNS1_3repE0EEENS1_47radix_sort_onesweep_sort_config_static_selectorELNS0_4arch9wavefront6targetE0EEEvSK_
                                        ; -- End function
	.set _ZN7rocprim17ROCPRIM_400000_NS6detail17trampoline_kernelINS0_14default_configENS1_35radix_sort_onesweep_config_selectorIiNS0_10empty_typeEEEZZNS1_29radix_sort_onesweep_iterationIS3_Lb1EN6thrust23THRUST_200600_302600_NS6detail15normal_iteratorINS9_10device_ptrIiEEEESE_PS5_SF_jNS0_19identity_decomposerENS1_16block_id_wrapperIjLb1EEEEE10hipError_tT1_PNSt15iterator_traitsISK_E10value_typeET2_T3_PNSL_ISQ_E10value_typeET4_T5_PSV_SW_PNS1_23onesweep_lookback_stateEbbT6_jjT7_P12ihipStream_tbENKUlT_T0_SK_SP_E_clIPiSE_SF_SF_EEDaS13_S14_SK_SP_EUlS13_E_NS1_11comp_targetILNS1_3genE0ELNS1_11target_archE4294967295ELNS1_3gpuE0ELNS1_3repE0EEENS1_47radix_sort_onesweep_sort_config_static_selectorELNS0_4arch9wavefront6targetE0EEEvSK_.num_vgpr, 0
	.set _ZN7rocprim17ROCPRIM_400000_NS6detail17trampoline_kernelINS0_14default_configENS1_35radix_sort_onesweep_config_selectorIiNS0_10empty_typeEEEZZNS1_29radix_sort_onesweep_iterationIS3_Lb1EN6thrust23THRUST_200600_302600_NS6detail15normal_iteratorINS9_10device_ptrIiEEEESE_PS5_SF_jNS0_19identity_decomposerENS1_16block_id_wrapperIjLb1EEEEE10hipError_tT1_PNSt15iterator_traitsISK_E10value_typeET2_T3_PNSL_ISQ_E10value_typeET4_T5_PSV_SW_PNS1_23onesweep_lookback_stateEbbT6_jjT7_P12ihipStream_tbENKUlT_T0_SK_SP_E_clIPiSE_SF_SF_EEDaS13_S14_SK_SP_EUlS13_E_NS1_11comp_targetILNS1_3genE0ELNS1_11target_archE4294967295ELNS1_3gpuE0ELNS1_3repE0EEENS1_47radix_sort_onesweep_sort_config_static_selectorELNS0_4arch9wavefront6targetE0EEEvSK_.num_agpr, 0
	.set _ZN7rocprim17ROCPRIM_400000_NS6detail17trampoline_kernelINS0_14default_configENS1_35radix_sort_onesweep_config_selectorIiNS0_10empty_typeEEEZZNS1_29radix_sort_onesweep_iterationIS3_Lb1EN6thrust23THRUST_200600_302600_NS6detail15normal_iteratorINS9_10device_ptrIiEEEESE_PS5_SF_jNS0_19identity_decomposerENS1_16block_id_wrapperIjLb1EEEEE10hipError_tT1_PNSt15iterator_traitsISK_E10value_typeET2_T3_PNSL_ISQ_E10value_typeET4_T5_PSV_SW_PNS1_23onesweep_lookback_stateEbbT6_jjT7_P12ihipStream_tbENKUlT_T0_SK_SP_E_clIPiSE_SF_SF_EEDaS13_S14_SK_SP_EUlS13_E_NS1_11comp_targetILNS1_3genE0ELNS1_11target_archE4294967295ELNS1_3gpuE0ELNS1_3repE0EEENS1_47radix_sort_onesweep_sort_config_static_selectorELNS0_4arch9wavefront6targetE0EEEvSK_.numbered_sgpr, 0
	.set _ZN7rocprim17ROCPRIM_400000_NS6detail17trampoline_kernelINS0_14default_configENS1_35radix_sort_onesweep_config_selectorIiNS0_10empty_typeEEEZZNS1_29radix_sort_onesweep_iterationIS3_Lb1EN6thrust23THRUST_200600_302600_NS6detail15normal_iteratorINS9_10device_ptrIiEEEESE_PS5_SF_jNS0_19identity_decomposerENS1_16block_id_wrapperIjLb1EEEEE10hipError_tT1_PNSt15iterator_traitsISK_E10value_typeET2_T3_PNSL_ISQ_E10value_typeET4_T5_PSV_SW_PNS1_23onesweep_lookback_stateEbbT6_jjT7_P12ihipStream_tbENKUlT_T0_SK_SP_E_clIPiSE_SF_SF_EEDaS13_S14_SK_SP_EUlS13_E_NS1_11comp_targetILNS1_3genE0ELNS1_11target_archE4294967295ELNS1_3gpuE0ELNS1_3repE0EEENS1_47radix_sort_onesweep_sort_config_static_selectorELNS0_4arch9wavefront6targetE0EEEvSK_.num_named_barrier, 0
	.set _ZN7rocprim17ROCPRIM_400000_NS6detail17trampoline_kernelINS0_14default_configENS1_35radix_sort_onesweep_config_selectorIiNS0_10empty_typeEEEZZNS1_29radix_sort_onesweep_iterationIS3_Lb1EN6thrust23THRUST_200600_302600_NS6detail15normal_iteratorINS9_10device_ptrIiEEEESE_PS5_SF_jNS0_19identity_decomposerENS1_16block_id_wrapperIjLb1EEEEE10hipError_tT1_PNSt15iterator_traitsISK_E10value_typeET2_T3_PNSL_ISQ_E10value_typeET4_T5_PSV_SW_PNS1_23onesweep_lookback_stateEbbT6_jjT7_P12ihipStream_tbENKUlT_T0_SK_SP_E_clIPiSE_SF_SF_EEDaS13_S14_SK_SP_EUlS13_E_NS1_11comp_targetILNS1_3genE0ELNS1_11target_archE4294967295ELNS1_3gpuE0ELNS1_3repE0EEENS1_47radix_sort_onesweep_sort_config_static_selectorELNS0_4arch9wavefront6targetE0EEEvSK_.private_seg_size, 0
	.set _ZN7rocprim17ROCPRIM_400000_NS6detail17trampoline_kernelINS0_14default_configENS1_35radix_sort_onesweep_config_selectorIiNS0_10empty_typeEEEZZNS1_29radix_sort_onesweep_iterationIS3_Lb1EN6thrust23THRUST_200600_302600_NS6detail15normal_iteratorINS9_10device_ptrIiEEEESE_PS5_SF_jNS0_19identity_decomposerENS1_16block_id_wrapperIjLb1EEEEE10hipError_tT1_PNSt15iterator_traitsISK_E10value_typeET2_T3_PNSL_ISQ_E10value_typeET4_T5_PSV_SW_PNS1_23onesweep_lookback_stateEbbT6_jjT7_P12ihipStream_tbENKUlT_T0_SK_SP_E_clIPiSE_SF_SF_EEDaS13_S14_SK_SP_EUlS13_E_NS1_11comp_targetILNS1_3genE0ELNS1_11target_archE4294967295ELNS1_3gpuE0ELNS1_3repE0EEENS1_47radix_sort_onesweep_sort_config_static_selectorELNS0_4arch9wavefront6targetE0EEEvSK_.uses_vcc, 0
	.set _ZN7rocprim17ROCPRIM_400000_NS6detail17trampoline_kernelINS0_14default_configENS1_35radix_sort_onesweep_config_selectorIiNS0_10empty_typeEEEZZNS1_29radix_sort_onesweep_iterationIS3_Lb1EN6thrust23THRUST_200600_302600_NS6detail15normal_iteratorINS9_10device_ptrIiEEEESE_PS5_SF_jNS0_19identity_decomposerENS1_16block_id_wrapperIjLb1EEEEE10hipError_tT1_PNSt15iterator_traitsISK_E10value_typeET2_T3_PNSL_ISQ_E10value_typeET4_T5_PSV_SW_PNS1_23onesweep_lookback_stateEbbT6_jjT7_P12ihipStream_tbENKUlT_T0_SK_SP_E_clIPiSE_SF_SF_EEDaS13_S14_SK_SP_EUlS13_E_NS1_11comp_targetILNS1_3genE0ELNS1_11target_archE4294967295ELNS1_3gpuE0ELNS1_3repE0EEENS1_47radix_sort_onesweep_sort_config_static_selectorELNS0_4arch9wavefront6targetE0EEEvSK_.uses_flat_scratch, 0
	.set _ZN7rocprim17ROCPRIM_400000_NS6detail17trampoline_kernelINS0_14default_configENS1_35radix_sort_onesweep_config_selectorIiNS0_10empty_typeEEEZZNS1_29radix_sort_onesweep_iterationIS3_Lb1EN6thrust23THRUST_200600_302600_NS6detail15normal_iteratorINS9_10device_ptrIiEEEESE_PS5_SF_jNS0_19identity_decomposerENS1_16block_id_wrapperIjLb1EEEEE10hipError_tT1_PNSt15iterator_traitsISK_E10value_typeET2_T3_PNSL_ISQ_E10value_typeET4_T5_PSV_SW_PNS1_23onesweep_lookback_stateEbbT6_jjT7_P12ihipStream_tbENKUlT_T0_SK_SP_E_clIPiSE_SF_SF_EEDaS13_S14_SK_SP_EUlS13_E_NS1_11comp_targetILNS1_3genE0ELNS1_11target_archE4294967295ELNS1_3gpuE0ELNS1_3repE0EEENS1_47radix_sort_onesweep_sort_config_static_selectorELNS0_4arch9wavefront6targetE0EEEvSK_.has_dyn_sized_stack, 0
	.set _ZN7rocprim17ROCPRIM_400000_NS6detail17trampoline_kernelINS0_14default_configENS1_35radix_sort_onesweep_config_selectorIiNS0_10empty_typeEEEZZNS1_29radix_sort_onesweep_iterationIS3_Lb1EN6thrust23THRUST_200600_302600_NS6detail15normal_iteratorINS9_10device_ptrIiEEEESE_PS5_SF_jNS0_19identity_decomposerENS1_16block_id_wrapperIjLb1EEEEE10hipError_tT1_PNSt15iterator_traitsISK_E10value_typeET2_T3_PNSL_ISQ_E10value_typeET4_T5_PSV_SW_PNS1_23onesweep_lookback_stateEbbT6_jjT7_P12ihipStream_tbENKUlT_T0_SK_SP_E_clIPiSE_SF_SF_EEDaS13_S14_SK_SP_EUlS13_E_NS1_11comp_targetILNS1_3genE0ELNS1_11target_archE4294967295ELNS1_3gpuE0ELNS1_3repE0EEENS1_47radix_sort_onesweep_sort_config_static_selectorELNS0_4arch9wavefront6targetE0EEEvSK_.has_recursion, 0
	.set _ZN7rocprim17ROCPRIM_400000_NS6detail17trampoline_kernelINS0_14default_configENS1_35radix_sort_onesweep_config_selectorIiNS0_10empty_typeEEEZZNS1_29radix_sort_onesweep_iterationIS3_Lb1EN6thrust23THRUST_200600_302600_NS6detail15normal_iteratorINS9_10device_ptrIiEEEESE_PS5_SF_jNS0_19identity_decomposerENS1_16block_id_wrapperIjLb1EEEEE10hipError_tT1_PNSt15iterator_traitsISK_E10value_typeET2_T3_PNSL_ISQ_E10value_typeET4_T5_PSV_SW_PNS1_23onesweep_lookback_stateEbbT6_jjT7_P12ihipStream_tbENKUlT_T0_SK_SP_E_clIPiSE_SF_SF_EEDaS13_S14_SK_SP_EUlS13_E_NS1_11comp_targetILNS1_3genE0ELNS1_11target_archE4294967295ELNS1_3gpuE0ELNS1_3repE0EEENS1_47radix_sort_onesweep_sort_config_static_selectorELNS0_4arch9wavefront6targetE0EEEvSK_.has_indirect_call, 0
	.section	.AMDGPU.csdata,"",@progbits
; Kernel info:
; codeLenInByte = 0
; TotalNumSgprs: 0
; NumVgprs: 0
; ScratchSize: 0
; MemoryBound: 0
; FloatMode: 240
; IeeeMode: 1
; LDSByteSize: 0 bytes/workgroup (compile time only)
; SGPRBlocks: 0
; VGPRBlocks: 0
; NumSGPRsForWavesPerEU: 1
; NumVGPRsForWavesPerEU: 1
; Occupancy: 16
; WaveLimiterHint : 0
; COMPUTE_PGM_RSRC2:SCRATCH_EN: 0
; COMPUTE_PGM_RSRC2:USER_SGPR: 6
; COMPUTE_PGM_RSRC2:TRAP_HANDLER: 0
; COMPUTE_PGM_RSRC2:TGID_X_EN: 1
; COMPUTE_PGM_RSRC2:TGID_Y_EN: 0
; COMPUTE_PGM_RSRC2:TGID_Z_EN: 0
; COMPUTE_PGM_RSRC2:TIDIG_COMP_CNT: 0
	.section	.text._ZN7rocprim17ROCPRIM_400000_NS6detail17trampoline_kernelINS0_14default_configENS1_35radix_sort_onesweep_config_selectorIiNS0_10empty_typeEEEZZNS1_29radix_sort_onesweep_iterationIS3_Lb1EN6thrust23THRUST_200600_302600_NS6detail15normal_iteratorINS9_10device_ptrIiEEEESE_PS5_SF_jNS0_19identity_decomposerENS1_16block_id_wrapperIjLb1EEEEE10hipError_tT1_PNSt15iterator_traitsISK_E10value_typeET2_T3_PNSL_ISQ_E10value_typeET4_T5_PSV_SW_PNS1_23onesweep_lookback_stateEbbT6_jjT7_P12ihipStream_tbENKUlT_T0_SK_SP_E_clIPiSE_SF_SF_EEDaS13_S14_SK_SP_EUlS13_E_NS1_11comp_targetILNS1_3genE6ELNS1_11target_archE950ELNS1_3gpuE13ELNS1_3repE0EEENS1_47radix_sort_onesweep_sort_config_static_selectorELNS0_4arch9wavefront6targetE0EEEvSK_,"axG",@progbits,_ZN7rocprim17ROCPRIM_400000_NS6detail17trampoline_kernelINS0_14default_configENS1_35radix_sort_onesweep_config_selectorIiNS0_10empty_typeEEEZZNS1_29radix_sort_onesweep_iterationIS3_Lb1EN6thrust23THRUST_200600_302600_NS6detail15normal_iteratorINS9_10device_ptrIiEEEESE_PS5_SF_jNS0_19identity_decomposerENS1_16block_id_wrapperIjLb1EEEEE10hipError_tT1_PNSt15iterator_traitsISK_E10value_typeET2_T3_PNSL_ISQ_E10value_typeET4_T5_PSV_SW_PNS1_23onesweep_lookback_stateEbbT6_jjT7_P12ihipStream_tbENKUlT_T0_SK_SP_E_clIPiSE_SF_SF_EEDaS13_S14_SK_SP_EUlS13_E_NS1_11comp_targetILNS1_3genE6ELNS1_11target_archE950ELNS1_3gpuE13ELNS1_3repE0EEENS1_47radix_sort_onesweep_sort_config_static_selectorELNS0_4arch9wavefront6targetE0EEEvSK_,comdat
	.protected	_ZN7rocprim17ROCPRIM_400000_NS6detail17trampoline_kernelINS0_14default_configENS1_35radix_sort_onesweep_config_selectorIiNS0_10empty_typeEEEZZNS1_29radix_sort_onesweep_iterationIS3_Lb1EN6thrust23THRUST_200600_302600_NS6detail15normal_iteratorINS9_10device_ptrIiEEEESE_PS5_SF_jNS0_19identity_decomposerENS1_16block_id_wrapperIjLb1EEEEE10hipError_tT1_PNSt15iterator_traitsISK_E10value_typeET2_T3_PNSL_ISQ_E10value_typeET4_T5_PSV_SW_PNS1_23onesweep_lookback_stateEbbT6_jjT7_P12ihipStream_tbENKUlT_T0_SK_SP_E_clIPiSE_SF_SF_EEDaS13_S14_SK_SP_EUlS13_E_NS1_11comp_targetILNS1_3genE6ELNS1_11target_archE950ELNS1_3gpuE13ELNS1_3repE0EEENS1_47radix_sort_onesweep_sort_config_static_selectorELNS0_4arch9wavefront6targetE0EEEvSK_ ; -- Begin function _ZN7rocprim17ROCPRIM_400000_NS6detail17trampoline_kernelINS0_14default_configENS1_35radix_sort_onesweep_config_selectorIiNS0_10empty_typeEEEZZNS1_29radix_sort_onesweep_iterationIS3_Lb1EN6thrust23THRUST_200600_302600_NS6detail15normal_iteratorINS9_10device_ptrIiEEEESE_PS5_SF_jNS0_19identity_decomposerENS1_16block_id_wrapperIjLb1EEEEE10hipError_tT1_PNSt15iterator_traitsISK_E10value_typeET2_T3_PNSL_ISQ_E10value_typeET4_T5_PSV_SW_PNS1_23onesweep_lookback_stateEbbT6_jjT7_P12ihipStream_tbENKUlT_T0_SK_SP_E_clIPiSE_SF_SF_EEDaS13_S14_SK_SP_EUlS13_E_NS1_11comp_targetILNS1_3genE6ELNS1_11target_archE950ELNS1_3gpuE13ELNS1_3repE0EEENS1_47radix_sort_onesweep_sort_config_static_selectorELNS0_4arch9wavefront6targetE0EEEvSK_
	.globl	_ZN7rocprim17ROCPRIM_400000_NS6detail17trampoline_kernelINS0_14default_configENS1_35radix_sort_onesweep_config_selectorIiNS0_10empty_typeEEEZZNS1_29radix_sort_onesweep_iterationIS3_Lb1EN6thrust23THRUST_200600_302600_NS6detail15normal_iteratorINS9_10device_ptrIiEEEESE_PS5_SF_jNS0_19identity_decomposerENS1_16block_id_wrapperIjLb1EEEEE10hipError_tT1_PNSt15iterator_traitsISK_E10value_typeET2_T3_PNSL_ISQ_E10value_typeET4_T5_PSV_SW_PNS1_23onesweep_lookback_stateEbbT6_jjT7_P12ihipStream_tbENKUlT_T0_SK_SP_E_clIPiSE_SF_SF_EEDaS13_S14_SK_SP_EUlS13_E_NS1_11comp_targetILNS1_3genE6ELNS1_11target_archE950ELNS1_3gpuE13ELNS1_3repE0EEENS1_47radix_sort_onesweep_sort_config_static_selectorELNS0_4arch9wavefront6targetE0EEEvSK_
	.p2align	8
	.type	_ZN7rocprim17ROCPRIM_400000_NS6detail17trampoline_kernelINS0_14default_configENS1_35radix_sort_onesweep_config_selectorIiNS0_10empty_typeEEEZZNS1_29radix_sort_onesweep_iterationIS3_Lb1EN6thrust23THRUST_200600_302600_NS6detail15normal_iteratorINS9_10device_ptrIiEEEESE_PS5_SF_jNS0_19identity_decomposerENS1_16block_id_wrapperIjLb1EEEEE10hipError_tT1_PNSt15iterator_traitsISK_E10value_typeET2_T3_PNSL_ISQ_E10value_typeET4_T5_PSV_SW_PNS1_23onesweep_lookback_stateEbbT6_jjT7_P12ihipStream_tbENKUlT_T0_SK_SP_E_clIPiSE_SF_SF_EEDaS13_S14_SK_SP_EUlS13_E_NS1_11comp_targetILNS1_3genE6ELNS1_11target_archE950ELNS1_3gpuE13ELNS1_3repE0EEENS1_47radix_sort_onesweep_sort_config_static_selectorELNS0_4arch9wavefront6targetE0EEEvSK_,@function
_ZN7rocprim17ROCPRIM_400000_NS6detail17trampoline_kernelINS0_14default_configENS1_35radix_sort_onesweep_config_selectorIiNS0_10empty_typeEEEZZNS1_29radix_sort_onesweep_iterationIS3_Lb1EN6thrust23THRUST_200600_302600_NS6detail15normal_iteratorINS9_10device_ptrIiEEEESE_PS5_SF_jNS0_19identity_decomposerENS1_16block_id_wrapperIjLb1EEEEE10hipError_tT1_PNSt15iterator_traitsISK_E10value_typeET2_T3_PNSL_ISQ_E10value_typeET4_T5_PSV_SW_PNS1_23onesweep_lookback_stateEbbT6_jjT7_P12ihipStream_tbENKUlT_T0_SK_SP_E_clIPiSE_SF_SF_EEDaS13_S14_SK_SP_EUlS13_E_NS1_11comp_targetILNS1_3genE6ELNS1_11target_archE950ELNS1_3gpuE13ELNS1_3repE0EEENS1_47radix_sort_onesweep_sort_config_static_selectorELNS0_4arch9wavefront6targetE0EEEvSK_: ; @_ZN7rocprim17ROCPRIM_400000_NS6detail17trampoline_kernelINS0_14default_configENS1_35radix_sort_onesweep_config_selectorIiNS0_10empty_typeEEEZZNS1_29radix_sort_onesweep_iterationIS3_Lb1EN6thrust23THRUST_200600_302600_NS6detail15normal_iteratorINS9_10device_ptrIiEEEESE_PS5_SF_jNS0_19identity_decomposerENS1_16block_id_wrapperIjLb1EEEEE10hipError_tT1_PNSt15iterator_traitsISK_E10value_typeET2_T3_PNSL_ISQ_E10value_typeET4_T5_PSV_SW_PNS1_23onesweep_lookback_stateEbbT6_jjT7_P12ihipStream_tbENKUlT_T0_SK_SP_E_clIPiSE_SF_SF_EEDaS13_S14_SK_SP_EUlS13_E_NS1_11comp_targetILNS1_3genE6ELNS1_11target_archE950ELNS1_3gpuE13ELNS1_3repE0EEENS1_47radix_sort_onesweep_sort_config_static_selectorELNS0_4arch9wavefront6targetE0EEEvSK_
; %bb.0:
	.section	.rodata,"a",@progbits
	.p2align	6, 0x0
	.amdhsa_kernel _ZN7rocprim17ROCPRIM_400000_NS6detail17trampoline_kernelINS0_14default_configENS1_35radix_sort_onesweep_config_selectorIiNS0_10empty_typeEEEZZNS1_29radix_sort_onesweep_iterationIS3_Lb1EN6thrust23THRUST_200600_302600_NS6detail15normal_iteratorINS9_10device_ptrIiEEEESE_PS5_SF_jNS0_19identity_decomposerENS1_16block_id_wrapperIjLb1EEEEE10hipError_tT1_PNSt15iterator_traitsISK_E10value_typeET2_T3_PNSL_ISQ_E10value_typeET4_T5_PSV_SW_PNS1_23onesweep_lookback_stateEbbT6_jjT7_P12ihipStream_tbENKUlT_T0_SK_SP_E_clIPiSE_SF_SF_EEDaS13_S14_SK_SP_EUlS13_E_NS1_11comp_targetILNS1_3genE6ELNS1_11target_archE950ELNS1_3gpuE13ELNS1_3repE0EEENS1_47radix_sort_onesweep_sort_config_static_selectorELNS0_4arch9wavefront6targetE0EEEvSK_
		.amdhsa_group_segment_fixed_size 0
		.amdhsa_private_segment_fixed_size 0
		.amdhsa_kernarg_size 88
		.amdhsa_user_sgpr_count 6
		.amdhsa_user_sgpr_private_segment_buffer 1
		.amdhsa_user_sgpr_dispatch_ptr 0
		.amdhsa_user_sgpr_queue_ptr 0
		.amdhsa_user_sgpr_kernarg_segment_ptr 1
		.amdhsa_user_sgpr_dispatch_id 0
		.amdhsa_user_sgpr_flat_scratch_init 0
		.amdhsa_user_sgpr_private_segment_size 0
		.amdhsa_wavefront_size32 1
		.amdhsa_uses_dynamic_stack 0
		.amdhsa_system_sgpr_private_segment_wavefront_offset 0
		.amdhsa_system_sgpr_workgroup_id_x 1
		.amdhsa_system_sgpr_workgroup_id_y 0
		.amdhsa_system_sgpr_workgroup_id_z 0
		.amdhsa_system_sgpr_workgroup_info 0
		.amdhsa_system_vgpr_workitem_id 0
		.amdhsa_next_free_vgpr 1
		.amdhsa_next_free_sgpr 1
		.amdhsa_reserve_vcc 0
		.amdhsa_reserve_flat_scratch 0
		.amdhsa_float_round_mode_32 0
		.amdhsa_float_round_mode_16_64 0
		.amdhsa_float_denorm_mode_32 3
		.amdhsa_float_denorm_mode_16_64 3
		.amdhsa_dx10_clamp 1
		.amdhsa_ieee_mode 1
		.amdhsa_fp16_overflow 0
		.amdhsa_workgroup_processor_mode 1
		.amdhsa_memory_ordered 1
		.amdhsa_forward_progress 1
		.amdhsa_shared_vgpr_count 0
		.amdhsa_exception_fp_ieee_invalid_op 0
		.amdhsa_exception_fp_denorm_src 0
		.amdhsa_exception_fp_ieee_div_zero 0
		.amdhsa_exception_fp_ieee_overflow 0
		.amdhsa_exception_fp_ieee_underflow 0
		.amdhsa_exception_fp_ieee_inexact 0
		.amdhsa_exception_int_div_zero 0
	.end_amdhsa_kernel
	.section	.text._ZN7rocprim17ROCPRIM_400000_NS6detail17trampoline_kernelINS0_14default_configENS1_35radix_sort_onesweep_config_selectorIiNS0_10empty_typeEEEZZNS1_29radix_sort_onesweep_iterationIS3_Lb1EN6thrust23THRUST_200600_302600_NS6detail15normal_iteratorINS9_10device_ptrIiEEEESE_PS5_SF_jNS0_19identity_decomposerENS1_16block_id_wrapperIjLb1EEEEE10hipError_tT1_PNSt15iterator_traitsISK_E10value_typeET2_T3_PNSL_ISQ_E10value_typeET4_T5_PSV_SW_PNS1_23onesweep_lookback_stateEbbT6_jjT7_P12ihipStream_tbENKUlT_T0_SK_SP_E_clIPiSE_SF_SF_EEDaS13_S14_SK_SP_EUlS13_E_NS1_11comp_targetILNS1_3genE6ELNS1_11target_archE950ELNS1_3gpuE13ELNS1_3repE0EEENS1_47radix_sort_onesweep_sort_config_static_selectorELNS0_4arch9wavefront6targetE0EEEvSK_,"axG",@progbits,_ZN7rocprim17ROCPRIM_400000_NS6detail17trampoline_kernelINS0_14default_configENS1_35radix_sort_onesweep_config_selectorIiNS0_10empty_typeEEEZZNS1_29radix_sort_onesweep_iterationIS3_Lb1EN6thrust23THRUST_200600_302600_NS6detail15normal_iteratorINS9_10device_ptrIiEEEESE_PS5_SF_jNS0_19identity_decomposerENS1_16block_id_wrapperIjLb1EEEEE10hipError_tT1_PNSt15iterator_traitsISK_E10value_typeET2_T3_PNSL_ISQ_E10value_typeET4_T5_PSV_SW_PNS1_23onesweep_lookback_stateEbbT6_jjT7_P12ihipStream_tbENKUlT_T0_SK_SP_E_clIPiSE_SF_SF_EEDaS13_S14_SK_SP_EUlS13_E_NS1_11comp_targetILNS1_3genE6ELNS1_11target_archE950ELNS1_3gpuE13ELNS1_3repE0EEENS1_47radix_sort_onesweep_sort_config_static_selectorELNS0_4arch9wavefront6targetE0EEEvSK_,comdat
.Lfunc_end355:
	.size	_ZN7rocprim17ROCPRIM_400000_NS6detail17trampoline_kernelINS0_14default_configENS1_35radix_sort_onesweep_config_selectorIiNS0_10empty_typeEEEZZNS1_29radix_sort_onesweep_iterationIS3_Lb1EN6thrust23THRUST_200600_302600_NS6detail15normal_iteratorINS9_10device_ptrIiEEEESE_PS5_SF_jNS0_19identity_decomposerENS1_16block_id_wrapperIjLb1EEEEE10hipError_tT1_PNSt15iterator_traitsISK_E10value_typeET2_T3_PNSL_ISQ_E10value_typeET4_T5_PSV_SW_PNS1_23onesweep_lookback_stateEbbT6_jjT7_P12ihipStream_tbENKUlT_T0_SK_SP_E_clIPiSE_SF_SF_EEDaS13_S14_SK_SP_EUlS13_E_NS1_11comp_targetILNS1_3genE6ELNS1_11target_archE950ELNS1_3gpuE13ELNS1_3repE0EEENS1_47radix_sort_onesweep_sort_config_static_selectorELNS0_4arch9wavefront6targetE0EEEvSK_, .Lfunc_end355-_ZN7rocprim17ROCPRIM_400000_NS6detail17trampoline_kernelINS0_14default_configENS1_35radix_sort_onesweep_config_selectorIiNS0_10empty_typeEEEZZNS1_29radix_sort_onesweep_iterationIS3_Lb1EN6thrust23THRUST_200600_302600_NS6detail15normal_iteratorINS9_10device_ptrIiEEEESE_PS5_SF_jNS0_19identity_decomposerENS1_16block_id_wrapperIjLb1EEEEE10hipError_tT1_PNSt15iterator_traitsISK_E10value_typeET2_T3_PNSL_ISQ_E10value_typeET4_T5_PSV_SW_PNS1_23onesweep_lookback_stateEbbT6_jjT7_P12ihipStream_tbENKUlT_T0_SK_SP_E_clIPiSE_SF_SF_EEDaS13_S14_SK_SP_EUlS13_E_NS1_11comp_targetILNS1_3genE6ELNS1_11target_archE950ELNS1_3gpuE13ELNS1_3repE0EEENS1_47radix_sort_onesweep_sort_config_static_selectorELNS0_4arch9wavefront6targetE0EEEvSK_
                                        ; -- End function
	.set _ZN7rocprim17ROCPRIM_400000_NS6detail17trampoline_kernelINS0_14default_configENS1_35radix_sort_onesweep_config_selectorIiNS0_10empty_typeEEEZZNS1_29radix_sort_onesweep_iterationIS3_Lb1EN6thrust23THRUST_200600_302600_NS6detail15normal_iteratorINS9_10device_ptrIiEEEESE_PS5_SF_jNS0_19identity_decomposerENS1_16block_id_wrapperIjLb1EEEEE10hipError_tT1_PNSt15iterator_traitsISK_E10value_typeET2_T3_PNSL_ISQ_E10value_typeET4_T5_PSV_SW_PNS1_23onesweep_lookback_stateEbbT6_jjT7_P12ihipStream_tbENKUlT_T0_SK_SP_E_clIPiSE_SF_SF_EEDaS13_S14_SK_SP_EUlS13_E_NS1_11comp_targetILNS1_3genE6ELNS1_11target_archE950ELNS1_3gpuE13ELNS1_3repE0EEENS1_47radix_sort_onesweep_sort_config_static_selectorELNS0_4arch9wavefront6targetE0EEEvSK_.num_vgpr, 0
	.set _ZN7rocprim17ROCPRIM_400000_NS6detail17trampoline_kernelINS0_14default_configENS1_35radix_sort_onesweep_config_selectorIiNS0_10empty_typeEEEZZNS1_29radix_sort_onesweep_iterationIS3_Lb1EN6thrust23THRUST_200600_302600_NS6detail15normal_iteratorINS9_10device_ptrIiEEEESE_PS5_SF_jNS0_19identity_decomposerENS1_16block_id_wrapperIjLb1EEEEE10hipError_tT1_PNSt15iterator_traitsISK_E10value_typeET2_T3_PNSL_ISQ_E10value_typeET4_T5_PSV_SW_PNS1_23onesweep_lookback_stateEbbT6_jjT7_P12ihipStream_tbENKUlT_T0_SK_SP_E_clIPiSE_SF_SF_EEDaS13_S14_SK_SP_EUlS13_E_NS1_11comp_targetILNS1_3genE6ELNS1_11target_archE950ELNS1_3gpuE13ELNS1_3repE0EEENS1_47radix_sort_onesweep_sort_config_static_selectorELNS0_4arch9wavefront6targetE0EEEvSK_.num_agpr, 0
	.set _ZN7rocprim17ROCPRIM_400000_NS6detail17trampoline_kernelINS0_14default_configENS1_35radix_sort_onesweep_config_selectorIiNS0_10empty_typeEEEZZNS1_29radix_sort_onesweep_iterationIS3_Lb1EN6thrust23THRUST_200600_302600_NS6detail15normal_iteratorINS9_10device_ptrIiEEEESE_PS5_SF_jNS0_19identity_decomposerENS1_16block_id_wrapperIjLb1EEEEE10hipError_tT1_PNSt15iterator_traitsISK_E10value_typeET2_T3_PNSL_ISQ_E10value_typeET4_T5_PSV_SW_PNS1_23onesweep_lookback_stateEbbT6_jjT7_P12ihipStream_tbENKUlT_T0_SK_SP_E_clIPiSE_SF_SF_EEDaS13_S14_SK_SP_EUlS13_E_NS1_11comp_targetILNS1_3genE6ELNS1_11target_archE950ELNS1_3gpuE13ELNS1_3repE0EEENS1_47radix_sort_onesweep_sort_config_static_selectorELNS0_4arch9wavefront6targetE0EEEvSK_.numbered_sgpr, 0
	.set _ZN7rocprim17ROCPRIM_400000_NS6detail17trampoline_kernelINS0_14default_configENS1_35radix_sort_onesweep_config_selectorIiNS0_10empty_typeEEEZZNS1_29radix_sort_onesweep_iterationIS3_Lb1EN6thrust23THRUST_200600_302600_NS6detail15normal_iteratorINS9_10device_ptrIiEEEESE_PS5_SF_jNS0_19identity_decomposerENS1_16block_id_wrapperIjLb1EEEEE10hipError_tT1_PNSt15iterator_traitsISK_E10value_typeET2_T3_PNSL_ISQ_E10value_typeET4_T5_PSV_SW_PNS1_23onesweep_lookback_stateEbbT6_jjT7_P12ihipStream_tbENKUlT_T0_SK_SP_E_clIPiSE_SF_SF_EEDaS13_S14_SK_SP_EUlS13_E_NS1_11comp_targetILNS1_3genE6ELNS1_11target_archE950ELNS1_3gpuE13ELNS1_3repE0EEENS1_47radix_sort_onesweep_sort_config_static_selectorELNS0_4arch9wavefront6targetE0EEEvSK_.num_named_barrier, 0
	.set _ZN7rocprim17ROCPRIM_400000_NS6detail17trampoline_kernelINS0_14default_configENS1_35radix_sort_onesweep_config_selectorIiNS0_10empty_typeEEEZZNS1_29radix_sort_onesweep_iterationIS3_Lb1EN6thrust23THRUST_200600_302600_NS6detail15normal_iteratorINS9_10device_ptrIiEEEESE_PS5_SF_jNS0_19identity_decomposerENS1_16block_id_wrapperIjLb1EEEEE10hipError_tT1_PNSt15iterator_traitsISK_E10value_typeET2_T3_PNSL_ISQ_E10value_typeET4_T5_PSV_SW_PNS1_23onesweep_lookback_stateEbbT6_jjT7_P12ihipStream_tbENKUlT_T0_SK_SP_E_clIPiSE_SF_SF_EEDaS13_S14_SK_SP_EUlS13_E_NS1_11comp_targetILNS1_3genE6ELNS1_11target_archE950ELNS1_3gpuE13ELNS1_3repE0EEENS1_47radix_sort_onesweep_sort_config_static_selectorELNS0_4arch9wavefront6targetE0EEEvSK_.private_seg_size, 0
	.set _ZN7rocprim17ROCPRIM_400000_NS6detail17trampoline_kernelINS0_14default_configENS1_35radix_sort_onesweep_config_selectorIiNS0_10empty_typeEEEZZNS1_29radix_sort_onesweep_iterationIS3_Lb1EN6thrust23THRUST_200600_302600_NS6detail15normal_iteratorINS9_10device_ptrIiEEEESE_PS5_SF_jNS0_19identity_decomposerENS1_16block_id_wrapperIjLb1EEEEE10hipError_tT1_PNSt15iterator_traitsISK_E10value_typeET2_T3_PNSL_ISQ_E10value_typeET4_T5_PSV_SW_PNS1_23onesweep_lookback_stateEbbT6_jjT7_P12ihipStream_tbENKUlT_T0_SK_SP_E_clIPiSE_SF_SF_EEDaS13_S14_SK_SP_EUlS13_E_NS1_11comp_targetILNS1_3genE6ELNS1_11target_archE950ELNS1_3gpuE13ELNS1_3repE0EEENS1_47radix_sort_onesweep_sort_config_static_selectorELNS0_4arch9wavefront6targetE0EEEvSK_.uses_vcc, 0
	.set _ZN7rocprim17ROCPRIM_400000_NS6detail17trampoline_kernelINS0_14default_configENS1_35radix_sort_onesweep_config_selectorIiNS0_10empty_typeEEEZZNS1_29radix_sort_onesweep_iterationIS3_Lb1EN6thrust23THRUST_200600_302600_NS6detail15normal_iteratorINS9_10device_ptrIiEEEESE_PS5_SF_jNS0_19identity_decomposerENS1_16block_id_wrapperIjLb1EEEEE10hipError_tT1_PNSt15iterator_traitsISK_E10value_typeET2_T3_PNSL_ISQ_E10value_typeET4_T5_PSV_SW_PNS1_23onesweep_lookback_stateEbbT6_jjT7_P12ihipStream_tbENKUlT_T0_SK_SP_E_clIPiSE_SF_SF_EEDaS13_S14_SK_SP_EUlS13_E_NS1_11comp_targetILNS1_3genE6ELNS1_11target_archE950ELNS1_3gpuE13ELNS1_3repE0EEENS1_47radix_sort_onesweep_sort_config_static_selectorELNS0_4arch9wavefront6targetE0EEEvSK_.uses_flat_scratch, 0
	.set _ZN7rocprim17ROCPRIM_400000_NS6detail17trampoline_kernelINS0_14default_configENS1_35radix_sort_onesweep_config_selectorIiNS0_10empty_typeEEEZZNS1_29radix_sort_onesweep_iterationIS3_Lb1EN6thrust23THRUST_200600_302600_NS6detail15normal_iteratorINS9_10device_ptrIiEEEESE_PS5_SF_jNS0_19identity_decomposerENS1_16block_id_wrapperIjLb1EEEEE10hipError_tT1_PNSt15iterator_traitsISK_E10value_typeET2_T3_PNSL_ISQ_E10value_typeET4_T5_PSV_SW_PNS1_23onesweep_lookback_stateEbbT6_jjT7_P12ihipStream_tbENKUlT_T0_SK_SP_E_clIPiSE_SF_SF_EEDaS13_S14_SK_SP_EUlS13_E_NS1_11comp_targetILNS1_3genE6ELNS1_11target_archE950ELNS1_3gpuE13ELNS1_3repE0EEENS1_47radix_sort_onesweep_sort_config_static_selectorELNS0_4arch9wavefront6targetE0EEEvSK_.has_dyn_sized_stack, 0
	.set _ZN7rocprim17ROCPRIM_400000_NS6detail17trampoline_kernelINS0_14default_configENS1_35radix_sort_onesweep_config_selectorIiNS0_10empty_typeEEEZZNS1_29radix_sort_onesweep_iterationIS3_Lb1EN6thrust23THRUST_200600_302600_NS6detail15normal_iteratorINS9_10device_ptrIiEEEESE_PS5_SF_jNS0_19identity_decomposerENS1_16block_id_wrapperIjLb1EEEEE10hipError_tT1_PNSt15iterator_traitsISK_E10value_typeET2_T3_PNSL_ISQ_E10value_typeET4_T5_PSV_SW_PNS1_23onesweep_lookback_stateEbbT6_jjT7_P12ihipStream_tbENKUlT_T0_SK_SP_E_clIPiSE_SF_SF_EEDaS13_S14_SK_SP_EUlS13_E_NS1_11comp_targetILNS1_3genE6ELNS1_11target_archE950ELNS1_3gpuE13ELNS1_3repE0EEENS1_47radix_sort_onesweep_sort_config_static_selectorELNS0_4arch9wavefront6targetE0EEEvSK_.has_recursion, 0
	.set _ZN7rocprim17ROCPRIM_400000_NS6detail17trampoline_kernelINS0_14default_configENS1_35radix_sort_onesweep_config_selectorIiNS0_10empty_typeEEEZZNS1_29radix_sort_onesweep_iterationIS3_Lb1EN6thrust23THRUST_200600_302600_NS6detail15normal_iteratorINS9_10device_ptrIiEEEESE_PS5_SF_jNS0_19identity_decomposerENS1_16block_id_wrapperIjLb1EEEEE10hipError_tT1_PNSt15iterator_traitsISK_E10value_typeET2_T3_PNSL_ISQ_E10value_typeET4_T5_PSV_SW_PNS1_23onesweep_lookback_stateEbbT6_jjT7_P12ihipStream_tbENKUlT_T0_SK_SP_E_clIPiSE_SF_SF_EEDaS13_S14_SK_SP_EUlS13_E_NS1_11comp_targetILNS1_3genE6ELNS1_11target_archE950ELNS1_3gpuE13ELNS1_3repE0EEENS1_47radix_sort_onesweep_sort_config_static_selectorELNS0_4arch9wavefront6targetE0EEEvSK_.has_indirect_call, 0
	.section	.AMDGPU.csdata,"",@progbits
; Kernel info:
; codeLenInByte = 0
; TotalNumSgprs: 0
; NumVgprs: 0
; ScratchSize: 0
; MemoryBound: 0
; FloatMode: 240
; IeeeMode: 1
; LDSByteSize: 0 bytes/workgroup (compile time only)
; SGPRBlocks: 0
; VGPRBlocks: 0
; NumSGPRsForWavesPerEU: 1
; NumVGPRsForWavesPerEU: 1
; Occupancy: 16
; WaveLimiterHint : 0
; COMPUTE_PGM_RSRC2:SCRATCH_EN: 0
; COMPUTE_PGM_RSRC2:USER_SGPR: 6
; COMPUTE_PGM_RSRC2:TRAP_HANDLER: 0
; COMPUTE_PGM_RSRC2:TGID_X_EN: 1
; COMPUTE_PGM_RSRC2:TGID_Y_EN: 0
; COMPUTE_PGM_RSRC2:TGID_Z_EN: 0
; COMPUTE_PGM_RSRC2:TIDIG_COMP_CNT: 0
	.section	.text._ZN7rocprim17ROCPRIM_400000_NS6detail17trampoline_kernelINS0_14default_configENS1_35radix_sort_onesweep_config_selectorIiNS0_10empty_typeEEEZZNS1_29radix_sort_onesweep_iterationIS3_Lb1EN6thrust23THRUST_200600_302600_NS6detail15normal_iteratorINS9_10device_ptrIiEEEESE_PS5_SF_jNS0_19identity_decomposerENS1_16block_id_wrapperIjLb1EEEEE10hipError_tT1_PNSt15iterator_traitsISK_E10value_typeET2_T3_PNSL_ISQ_E10value_typeET4_T5_PSV_SW_PNS1_23onesweep_lookback_stateEbbT6_jjT7_P12ihipStream_tbENKUlT_T0_SK_SP_E_clIPiSE_SF_SF_EEDaS13_S14_SK_SP_EUlS13_E_NS1_11comp_targetILNS1_3genE5ELNS1_11target_archE942ELNS1_3gpuE9ELNS1_3repE0EEENS1_47radix_sort_onesweep_sort_config_static_selectorELNS0_4arch9wavefront6targetE0EEEvSK_,"axG",@progbits,_ZN7rocprim17ROCPRIM_400000_NS6detail17trampoline_kernelINS0_14default_configENS1_35radix_sort_onesweep_config_selectorIiNS0_10empty_typeEEEZZNS1_29radix_sort_onesweep_iterationIS3_Lb1EN6thrust23THRUST_200600_302600_NS6detail15normal_iteratorINS9_10device_ptrIiEEEESE_PS5_SF_jNS0_19identity_decomposerENS1_16block_id_wrapperIjLb1EEEEE10hipError_tT1_PNSt15iterator_traitsISK_E10value_typeET2_T3_PNSL_ISQ_E10value_typeET4_T5_PSV_SW_PNS1_23onesweep_lookback_stateEbbT6_jjT7_P12ihipStream_tbENKUlT_T0_SK_SP_E_clIPiSE_SF_SF_EEDaS13_S14_SK_SP_EUlS13_E_NS1_11comp_targetILNS1_3genE5ELNS1_11target_archE942ELNS1_3gpuE9ELNS1_3repE0EEENS1_47radix_sort_onesweep_sort_config_static_selectorELNS0_4arch9wavefront6targetE0EEEvSK_,comdat
	.protected	_ZN7rocprim17ROCPRIM_400000_NS6detail17trampoline_kernelINS0_14default_configENS1_35radix_sort_onesweep_config_selectorIiNS0_10empty_typeEEEZZNS1_29radix_sort_onesweep_iterationIS3_Lb1EN6thrust23THRUST_200600_302600_NS6detail15normal_iteratorINS9_10device_ptrIiEEEESE_PS5_SF_jNS0_19identity_decomposerENS1_16block_id_wrapperIjLb1EEEEE10hipError_tT1_PNSt15iterator_traitsISK_E10value_typeET2_T3_PNSL_ISQ_E10value_typeET4_T5_PSV_SW_PNS1_23onesweep_lookback_stateEbbT6_jjT7_P12ihipStream_tbENKUlT_T0_SK_SP_E_clIPiSE_SF_SF_EEDaS13_S14_SK_SP_EUlS13_E_NS1_11comp_targetILNS1_3genE5ELNS1_11target_archE942ELNS1_3gpuE9ELNS1_3repE0EEENS1_47radix_sort_onesweep_sort_config_static_selectorELNS0_4arch9wavefront6targetE0EEEvSK_ ; -- Begin function _ZN7rocprim17ROCPRIM_400000_NS6detail17trampoline_kernelINS0_14default_configENS1_35radix_sort_onesweep_config_selectorIiNS0_10empty_typeEEEZZNS1_29radix_sort_onesweep_iterationIS3_Lb1EN6thrust23THRUST_200600_302600_NS6detail15normal_iteratorINS9_10device_ptrIiEEEESE_PS5_SF_jNS0_19identity_decomposerENS1_16block_id_wrapperIjLb1EEEEE10hipError_tT1_PNSt15iterator_traitsISK_E10value_typeET2_T3_PNSL_ISQ_E10value_typeET4_T5_PSV_SW_PNS1_23onesweep_lookback_stateEbbT6_jjT7_P12ihipStream_tbENKUlT_T0_SK_SP_E_clIPiSE_SF_SF_EEDaS13_S14_SK_SP_EUlS13_E_NS1_11comp_targetILNS1_3genE5ELNS1_11target_archE942ELNS1_3gpuE9ELNS1_3repE0EEENS1_47radix_sort_onesweep_sort_config_static_selectorELNS0_4arch9wavefront6targetE0EEEvSK_
	.globl	_ZN7rocprim17ROCPRIM_400000_NS6detail17trampoline_kernelINS0_14default_configENS1_35radix_sort_onesweep_config_selectorIiNS0_10empty_typeEEEZZNS1_29radix_sort_onesweep_iterationIS3_Lb1EN6thrust23THRUST_200600_302600_NS6detail15normal_iteratorINS9_10device_ptrIiEEEESE_PS5_SF_jNS0_19identity_decomposerENS1_16block_id_wrapperIjLb1EEEEE10hipError_tT1_PNSt15iterator_traitsISK_E10value_typeET2_T3_PNSL_ISQ_E10value_typeET4_T5_PSV_SW_PNS1_23onesweep_lookback_stateEbbT6_jjT7_P12ihipStream_tbENKUlT_T0_SK_SP_E_clIPiSE_SF_SF_EEDaS13_S14_SK_SP_EUlS13_E_NS1_11comp_targetILNS1_3genE5ELNS1_11target_archE942ELNS1_3gpuE9ELNS1_3repE0EEENS1_47radix_sort_onesweep_sort_config_static_selectorELNS0_4arch9wavefront6targetE0EEEvSK_
	.p2align	8
	.type	_ZN7rocprim17ROCPRIM_400000_NS6detail17trampoline_kernelINS0_14default_configENS1_35radix_sort_onesweep_config_selectorIiNS0_10empty_typeEEEZZNS1_29radix_sort_onesweep_iterationIS3_Lb1EN6thrust23THRUST_200600_302600_NS6detail15normal_iteratorINS9_10device_ptrIiEEEESE_PS5_SF_jNS0_19identity_decomposerENS1_16block_id_wrapperIjLb1EEEEE10hipError_tT1_PNSt15iterator_traitsISK_E10value_typeET2_T3_PNSL_ISQ_E10value_typeET4_T5_PSV_SW_PNS1_23onesweep_lookback_stateEbbT6_jjT7_P12ihipStream_tbENKUlT_T0_SK_SP_E_clIPiSE_SF_SF_EEDaS13_S14_SK_SP_EUlS13_E_NS1_11comp_targetILNS1_3genE5ELNS1_11target_archE942ELNS1_3gpuE9ELNS1_3repE0EEENS1_47radix_sort_onesweep_sort_config_static_selectorELNS0_4arch9wavefront6targetE0EEEvSK_,@function
_ZN7rocprim17ROCPRIM_400000_NS6detail17trampoline_kernelINS0_14default_configENS1_35radix_sort_onesweep_config_selectorIiNS0_10empty_typeEEEZZNS1_29radix_sort_onesweep_iterationIS3_Lb1EN6thrust23THRUST_200600_302600_NS6detail15normal_iteratorINS9_10device_ptrIiEEEESE_PS5_SF_jNS0_19identity_decomposerENS1_16block_id_wrapperIjLb1EEEEE10hipError_tT1_PNSt15iterator_traitsISK_E10value_typeET2_T3_PNSL_ISQ_E10value_typeET4_T5_PSV_SW_PNS1_23onesweep_lookback_stateEbbT6_jjT7_P12ihipStream_tbENKUlT_T0_SK_SP_E_clIPiSE_SF_SF_EEDaS13_S14_SK_SP_EUlS13_E_NS1_11comp_targetILNS1_3genE5ELNS1_11target_archE942ELNS1_3gpuE9ELNS1_3repE0EEENS1_47radix_sort_onesweep_sort_config_static_selectorELNS0_4arch9wavefront6targetE0EEEvSK_: ; @_ZN7rocprim17ROCPRIM_400000_NS6detail17trampoline_kernelINS0_14default_configENS1_35radix_sort_onesweep_config_selectorIiNS0_10empty_typeEEEZZNS1_29radix_sort_onesweep_iterationIS3_Lb1EN6thrust23THRUST_200600_302600_NS6detail15normal_iteratorINS9_10device_ptrIiEEEESE_PS5_SF_jNS0_19identity_decomposerENS1_16block_id_wrapperIjLb1EEEEE10hipError_tT1_PNSt15iterator_traitsISK_E10value_typeET2_T3_PNSL_ISQ_E10value_typeET4_T5_PSV_SW_PNS1_23onesweep_lookback_stateEbbT6_jjT7_P12ihipStream_tbENKUlT_T0_SK_SP_E_clIPiSE_SF_SF_EEDaS13_S14_SK_SP_EUlS13_E_NS1_11comp_targetILNS1_3genE5ELNS1_11target_archE942ELNS1_3gpuE9ELNS1_3repE0EEENS1_47radix_sort_onesweep_sort_config_static_selectorELNS0_4arch9wavefront6targetE0EEEvSK_
; %bb.0:
	.section	.rodata,"a",@progbits
	.p2align	6, 0x0
	.amdhsa_kernel _ZN7rocprim17ROCPRIM_400000_NS6detail17trampoline_kernelINS0_14default_configENS1_35radix_sort_onesweep_config_selectorIiNS0_10empty_typeEEEZZNS1_29radix_sort_onesweep_iterationIS3_Lb1EN6thrust23THRUST_200600_302600_NS6detail15normal_iteratorINS9_10device_ptrIiEEEESE_PS5_SF_jNS0_19identity_decomposerENS1_16block_id_wrapperIjLb1EEEEE10hipError_tT1_PNSt15iterator_traitsISK_E10value_typeET2_T3_PNSL_ISQ_E10value_typeET4_T5_PSV_SW_PNS1_23onesweep_lookback_stateEbbT6_jjT7_P12ihipStream_tbENKUlT_T0_SK_SP_E_clIPiSE_SF_SF_EEDaS13_S14_SK_SP_EUlS13_E_NS1_11comp_targetILNS1_3genE5ELNS1_11target_archE942ELNS1_3gpuE9ELNS1_3repE0EEENS1_47radix_sort_onesweep_sort_config_static_selectorELNS0_4arch9wavefront6targetE0EEEvSK_
		.amdhsa_group_segment_fixed_size 0
		.amdhsa_private_segment_fixed_size 0
		.amdhsa_kernarg_size 88
		.amdhsa_user_sgpr_count 6
		.amdhsa_user_sgpr_private_segment_buffer 1
		.amdhsa_user_sgpr_dispatch_ptr 0
		.amdhsa_user_sgpr_queue_ptr 0
		.amdhsa_user_sgpr_kernarg_segment_ptr 1
		.amdhsa_user_sgpr_dispatch_id 0
		.amdhsa_user_sgpr_flat_scratch_init 0
		.amdhsa_user_sgpr_private_segment_size 0
		.amdhsa_wavefront_size32 1
		.amdhsa_uses_dynamic_stack 0
		.amdhsa_system_sgpr_private_segment_wavefront_offset 0
		.amdhsa_system_sgpr_workgroup_id_x 1
		.amdhsa_system_sgpr_workgroup_id_y 0
		.amdhsa_system_sgpr_workgroup_id_z 0
		.amdhsa_system_sgpr_workgroup_info 0
		.amdhsa_system_vgpr_workitem_id 0
		.amdhsa_next_free_vgpr 1
		.amdhsa_next_free_sgpr 1
		.amdhsa_reserve_vcc 0
		.amdhsa_reserve_flat_scratch 0
		.amdhsa_float_round_mode_32 0
		.amdhsa_float_round_mode_16_64 0
		.amdhsa_float_denorm_mode_32 3
		.amdhsa_float_denorm_mode_16_64 3
		.amdhsa_dx10_clamp 1
		.amdhsa_ieee_mode 1
		.amdhsa_fp16_overflow 0
		.amdhsa_workgroup_processor_mode 1
		.amdhsa_memory_ordered 1
		.amdhsa_forward_progress 1
		.amdhsa_shared_vgpr_count 0
		.amdhsa_exception_fp_ieee_invalid_op 0
		.amdhsa_exception_fp_denorm_src 0
		.amdhsa_exception_fp_ieee_div_zero 0
		.amdhsa_exception_fp_ieee_overflow 0
		.amdhsa_exception_fp_ieee_underflow 0
		.amdhsa_exception_fp_ieee_inexact 0
		.amdhsa_exception_int_div_zero 0
	.end_amdhsa_kernel
	.section	.text._ZN7rocprim17ROCPRIM_400000_NS6detail17trampoline_kernelINS0_14default_configENS1_35radix_sort_onesweep_config_selectorIiNS0_10empty_typeEEEZZNS1_29radix_sort_onesweep_iterationIS3_Lb1EN6thrust23THRUST_200600_302600_NS6detail15normal_iteratorINS9_10device_ptrIiEEEESE_PS5_SF_jNS0_19identity_decomposerENS1_16block_id_wrapperIjLb1EEEEE10hipError_tT1_PNSt15iterator_traitsISK_E10value_typeET2_T3_PNSL_ISQ_E10value_typeET4_T5_PSV_SW_PNS1_23onesweep_lookback_stateEbbT6_jjT7_P12ihipStream_tbENKUlT_T0_SK_SP_E_clIPiSE_SF_SF_EEDaS13_S14_SK_SP_EUlS13_E_NS1_11comp_targetILNS1_3genE5ELNS1_11target_archE942ELNS1_3gpuE9ELNS1_3repE0EEENS1_47radix_sort_onesweep_sort_config_static_selectorELNS0_4arch9wavefront6targetE0EEEvSK_,"axG",@progbits,_ZN7rocprim17ROCPRIM_400000_NS6detail17trampoline_kernelINS0_14default_configENS1_35radix_sort_onesweep_config_selectorIiNS0_10empty_typeEEEZZNS1_29radix_sort_onesweep_iterationIS3_Lb1EN6thrust23THRUST_200600_302600_NS6detail15normal_iteratorINS9_10device_ptrIiEEEESE_PS5_SF_jNS0_19identity_decomposerENS1_16block_id_wrapperIjLb1EEEEE10hipError_tT1_PNSt15iterator_traitsISK_E10value_typeET2_T3_PNSL_ISQ_E10value_typeET4_T5_PSV_SW_PNS1_23onesweep_lookback_stateEbbT6_jjT7_P12ihipStream_tbENKUlT_T0_SK_SP_E_clIPiSE_SF_SF_EEDaS13_S14_SK_SP_EUlS13_E_NS1_11comp_targetILNS1_3genE5ELNS1_11target_archE942ELNS1_3gpuE9ELNS1_3repE0EEENS1_47radix_sort_onesweep_sort_config_static_selectorELNS0_4arch9wavefront6targetE0EEEvSK_,comdat
.Lfunc_end356:
	.size	_ZN7rocprim17ROCPRIM_400000_NS6detail17trampoline_kernelINS0_14default_configENS1_35radix_sort_onesweep_config_selectorIiNS0_10empty_typeEEEZZNS1_29radix_sort_onesweep_iterationIS3_Lb1EN6thrust23THRUST_200600_302600_NS6detail15normal_iteratorINS9_10device_ptrIiEEEESE_PS5_SF_jNS0_19identity_decomposerENS1_16block_id_wrapperIjLb1EEEEE10hipError_tT1_PNSt15iterator_traitsISK_E10value_typeET2_T3_PNSL_ISQ_E10value_typeET4_T5_PSV_SW_PNS1_23onesweep_lookback_stateEbbT6_jjT7_P12ihipStream_tbENKUlT_T0_SK_SP_E_clIPiSE_SF_SF_EEDaS13_S14_SK_SP_EUlS13_E_NS1_11comp_targetILNS1_3genE5ELNS1_11target_archE942ELNS1_3gpuE9ELNS1_3repE0EEENS1_47radix_sort_onesweep_sort_config_static_selectorELNS0_4arch9wavefront6targetE0EEEvSK_, .Lfunc_end356-_ZN7rocprim17ROCPRIM_400000_NS6detail17trampoline_kernelINS0_14default_configENS1_35radix_sort_onesweep_config_selectorIiNS0_10empty_typeEEEZZNS1_29radix_sort_onesweep_iterationIS3_Lb1EN6thrust23THRUST_200600_302600_NS6detail15normal_iteratorINS9_10device_ptrIiEEEESE_PS5_SF_jNS0_19identity_decomposerENS1_16block_id_wrapperIjLb1EEEEE10hipError_tT1_PNSt15iterator_traitsISK_E10value_typeET2_T3_PNSL_ISQ_E10value_typeET4_T5_PSV_SW_PNS1_23onesweep_lookback_stateEbbT6_jjT7_P12ihipStream_tbENKUlT_T0_SK_SP_E_clIPiSE_SF_SF_EEDaS13_S14_SK_SP_EUlS13_E_NS1_11comp_targetILNS1_3genE5ELNS1_11target_archE942ELNS1_3gpuE9ELNS1_3repE0EEENS1_47radix_sort_onesweep_sort_config_static_selectorELNS0_4arch9wavefront6targetE0EEEvSK_
                                        ; -- End function
	.set _ZN7rocprim17ROCPRIM_400000_NS6detail17trampoline_kernelINS0_14default_configENS1_35radix_sort_onesweep_config_selectorIiNS0_10empty_typeEEEZZNS1_29radix_sort_onesweep_iterationIS3_Lb1EN6thrust23THRUST_200600_302600_NS6detail15normal_iteratorINS9_10device_ptrIiEEEESE_PS5_SF_jNS0_19identity_decomposerENS1_16block_id_wrapperIjLb1EEEEE10hipError_tT1_PNSt15iterator_traitsISK_E10value_typeET2_T3_PNSL_ISQ_E10value_typeET4_T5_PSV_SW_PNS1_23onesweep_lookback_stateEbbT6_jjT7_P12ihipStream_tbENKUlT_T0_SK_SP_E_clIPiSE_SF_SF_EEDaS13_S14_SK_SP_EUlS13_E_NS1_11comp_targetILNS1_3genE5ELNS1_11target_archE942ELNS1_3gpuE9ELNS1_3repE0EEENS1_47radix_sort_onesweep_sort_config_static_selectorELNS0_4arch9wavefront6targetE0EEEvSK_.num_vgpr, 0
	.set _ZN7rocprim17ROCPRIM_400000_NS6detail17trampoline_kernelINS0_14default_configENS1_35radix_sort_onesweep_config_selectorIiNS0_10empty_typeEEEZZNS1_29radix_sort_onesweep_iterationIS3_Lb1EN6thrust23THRUST_200600_302600_NS6detail15normal_iteratorINS9_10device_ptrIiEEEESE_PS5_SF_jNS0_19identity_decomposerENS1_16block_id_wrapperIjLb1EEEEE10hipError_tT1_PNSt15iterator_traitsISK_E10value_typeET2_T3_PNSL_ISQ_E10value_typeET4_T5_PSV_SW_PNS1_23onesweep_lookback_stateEbbT6_jjT7_P12ihipStream_tbENKUlT_T0_SK_SP_E_clIPiSE_SF_SF_EEDaS13_S14_SK_SP_EUlS13_E_NS1_11comp_targetILNS1_3genE5ELNS1_11target_archE942ELNS1_3gpuE9ELNS1_3repE0EEENS1_47radix_sort_onesweep_sort_config_static_selectorELNS0_4arch9wavefront6targetE0EEEvSK_.num_agpr, 0
	.set _ZN7rocprim17ROCPRIM_400000_NS6detail17trampoline_kernelINS0_14default_configENS1_35radix_sort_onesweep_config_selectorIiNS0_10empty_typeEEEZZNS1_29radix_sort_onesweep_iterationIS3_Lb1EN6thrust23THRUST_200600_302600_NS6detail15normal_iteratorINS9_10device_ptrIiEEEESE_PS5_SF_jNS0_19identity_decomposerENS1_16block_id_wrapperIjLb1EEEEE10hipError_tT1_PNSt15iterator_traitsISK_E10value_typeET2_T3_PNSL_ISQ_E10value_typeET4_T5_PSV_SW_PNS1_23onesweep_lookback_stateEbbT6_jjT7_P12ihipStream_tbENKUlT_T0_SK_SP_E_clIPiSE_SF_SF_EEDaS13_S14_SK_SP_EUlS13_E_NS1_11comp_targetILNS1_3genE5ELNS1_11target_archE942ELNS1_3gpuE9ELNS1_3repE0EEENS1_47radix_sort_onesweep_sort_config_static_selectorELNS0_4arch9wavefront6targetE0EEEvSK_.numbered_sgpr, 0
	.set _ZN7rocprim17ROCPRIM_400000_NS6detail17trampoline_kernelINS0_14default_configENS1_35radix_sort_onesweep_config_selectorIiNS0_10empty_typeEEEZZNS1_29radix_sort_onesweep_iterationIS3_Lb1EN6thrust23THRUST_200600_302600_NS6detail15normal_iteratorINS9_10device_ptrIiEEEESE_PS5_SF_jNS0_19identity_decomposerENS1_16block_id_wrapperIjLb1EEEEE10hipError_tT1_PNSt15iterator_traitsISK_E10value_typeET2_T3_PNSL_ISQ_E10value_typeET4_T5_PSV_SW_PNS1_23onesweep_lookback_stateEbbT6_jjT7_P12ihipStream_tbENKUlT_T0_SK_SP_E_clIPiSE_SF_SF_EEDaS13_S14_SK_SP_EUlS13_E_NS1_11comp_targetILNS1_3genE5ELNS1_11target_archE942ELNS1_3gpuE9ELNS1_3repE0EEENS1_47radix_sort_onesweep_sort_config_static_selectorELNS0_4arch9wavefront6targetE0EEEvSK_.num_named_barrier, 0
	.set _ZN7rocprim17ROCPRIM_400000_NS6detail17trampoline_kernelINS0_14default_configENS1_35radix_sort_onesweep_config_selectorIiNS0_10empty_typeEEEZZNS1_29radix_sort_onesweep_iterationIS3_Lb1EN6thrust23THRUST_200600_302600_NS6detail15normal_iteratorINS9_10device_ptrIiEEEESE_PS5_SF_jNS0_19identity_decomposerENS1_16block_id_wrapperIjLb1EEEEE10hipError_tT1_PNSt15iterator_traitsISK_E10value_typeET2_T3_PNSL_ISQ_E10value_typeET4_T5_PSV_SW_PNS1_23onesweep_lookback_stateEbbT6_jjT7_P12ihipStream_tbENKUlT_T0_SK_SP_E_clIPiSE_SF_SF_EEDaS13_S14_SK_SP_EUlS13_E_NS1_11comp_targetILNS1_3genE5ELNS1_11target_archE942ELNS1_3gpuE9ELNS1_3repE0EEENS1_47radix_sort_onesweep_sort_config_static_selectorELNS0_4arch9wavefront6targetE0EEEvSK_.private_seg_size, 0
	.set _ZN7rocprim17ROCPRIM_400000_NS6detail17trampoline_kernelINS0_14default_configENS1_35radix_sort_onesweep_config_selectorIiNS0_10empty_typeEEEZZNS1_29radix_sort_onesweep_iterationIS3_Lb1EN6thrust23THRUST_200600_302600_NS6detail15normal_iteratorINS9_10device_ptrIiEEEESE_PS5_SF_jNS0_19identity_decomposerENS1_16block_id_wrapperIjLb1EEEEE10hipError_tT1_PNSt15iterator_traitsISK_E10value_typeET2_T3_PNSL_ISQ_E10value_typeET4_T5_PSV_SW_PNS1_23onesweep_lookback_stateEbbT6_jjT7_P12ihipStream_tbENKUlT_T0_SK_SP_E_clIPiSE_SF_SF_EEDaS13_S14_SK_SP_EUlS13_E_NS1_11comp_targetILNS1_3genE5ELNS1_11target_archE942ELNS1_3gpuE9ELNS1_3repE0EEENS1_47radix_sort_onesweep_sort_config_static_selectorELNS0_4arch9wavefront6targetE0EEEvSK_.uses_vcc, 0
	.set _ZN7rocprim17ROCPRIM_400000_NS6detail17trampoline_kernelINS0_14default_configENS1_35radix_sort_onesweep_config_selectorIiNS0_10empty_typeEEEZZNS1_29radix_sort_onesweep_iterationIS3_Lb1EN6thrust23THRUST_200600_302600_NS6detail15normal_iteratorINS9_10device_ptrIiEEEESE_PS5_SF_jNS0_19identity_decomposerENS1_16block_id_wrapperIjLb1EEEEE10hipError_tT1_PNSt15iterator_traitsISK_E10value_typeET2_T3_PNSL_ISQ_E10value_typeET4_T5_PSV_SW_PNS1_23onesweep_lookback_stateEbbT6_jjT7_P12ihipStream_tbENKUlT_T0_SK_SP_E_clIPiSE_SF_SF_EEDaS13_S14_SK_SP_EUlS13_E_NS1_11comp_targetILNS1_3genE5ELNS1_11target_archE942ELNS1_3gpuE9ELNS1_3repE0EEENS1_47radix_sort_onesweep_sort_config_static_selectorELNS0_4arch9wavefront6targetE0EEEvSK_.uses_flat_scratch, 0
	.set _ZN7rocprim17ROCPRIM_400000_NS6detail17trampoline_kernelINS0_14default_configENS1_35radix_sort_onesweep_config_selectorIiNS0_10empty_typeEEEZZNS1_29radix_sort_onesweep_iterationIS3_Lb1EN6thrust23THRUST_200600_302600_NS6detail15normal_iteratorINS9_10device_ptrIiEEEESE_PS5_SF_jNS0_19identity_decomposerENS1_16block_id_wrapperIjLb1EEEEE10hipError_tT1_PNSt15iterator_traitsISK_E10value_typeET2_T3_PNSL_ISQ_E10value_typeET4_T5_PSV_SW_PNS1_23onesweep_lookback_stateEbbT6_jjT7_P12ihipStream_tbENKUlT_T0_SK_SP_E_clIPiSE_SF_SF_EEDaS13_S14_SK_SP_EUlS13_E_NS1_11comp_targetILNS1_3genE5ELNS1_11target_archE942ELNS1_3gpuE9ELNS1_3repE0EEENS1_47radix_sort_onesweep_sort_config_static_selectorELNS0_4arch9wavefront6targetE0EEEvSK_.has_dyn_sized_stack, 0
	.set _ZN7rocprim17ROCPRIM_400000_NS6detail17trampoline_kernelINS0_14default_configENS1_35radix_sort_onesweep_config_selectorIiNS0_10empty_typeEEEZZNS1_29radix_sort_onesweep_iterationIS3_Lb1EN6thrust23THRUST_200600_302600_NS6detail15normal_iteratorINS9_10device_ptrIiEEEESE_PS5_SF_jNS0_19identity_decomposerENS1_16block_id_wrapperIjLb1EEEEE10hipError_tT1_PNSt15iterator_traitsISK_E10value_typeET2_T3_PNSL_ISQ_E10value_typeET4_T5_PSV_SW_PNS1_23onesweep_lookback_stateEbbT6_jjT7_P12ihipStream_tbENKUlT_T0_SK_SP_E_clIPiSE_SF_SF_EEDaS13_S14_SK_SP_EUlS13_E_NS1_11comp_targetILNS1_3genE5ELNS1_11target_archE942ELNS1_3gpuE9ELNS1_3repE0EEENS1_47radix_sort_onesweep_sort_config_static_selectorELNS0_4arch9wavefront6targetE0EEEvSK_.has_recursion, 0
	.set _ZN7rocprim17ROCPRIM_400000_NS6detail17trampoline_kernelINS0_14default_configENS1_35radix_sort_onesweep_config_selectorIiNS0_10empty_typeEEEZZNS1_29radix_sort_onesweep_iterationIS3_Lb1EN6thrust23THRUST_200600_302600_NS6detail15normal_iteratorINS9_10device_ptrIiEEEESE_PS5_SF_jNS0_19identity_decomposerENS1_16block_id_wrapperIjLb1EEEEE10hipError_tT1_PNSt15iterator_traitsISK_E10value_typeET2_T3_PNSL_ISQ_E10value_typeET4_T5_PSV_SW_PNS1_23onesweep_lookback_stateEbbT6_jjT7_P12ihipStream_tbENKUlT_T0_SK_SP_E_clIPiSE_SF_SF_EEDaS13_S14_SK_SP_EUlS13_E_NS1_11comp_targetILNS1_3genE5ELNS1_11target_archE942ELNS1_3gpuE9ELNS1_3repE0EEENS1_47radix_sort_onesweep_sort_config_static_selectorELNS0_4arch9wavefront6targetE0EEEvSK_.has_indirect_call, 0
	.section	.AMDGPU.csdata,"",@progbits
; Kernel info:
; codeLenInByte = 0
; TotalNumSgprs: 0
; NumVgprs: 0
; ScratchSize: 0
; MemoryBound: 0
; FloatMode: 240
; IeeeMode: 1
; LDSByteSize: 0 bytes/workgroup (compile time only)
; SGPRBlocks: 0
; VGPRBlocks: 0
; NumSGPRsForWavesPerEU: 1
; NumVGPRsForWavesPerEU: 1
; Occupancy: 16
; WaveLimiterHint : 0
; COMPUTE_PGM_RSRC2:SCRATCH_EN: 0
; COMPUTE_PGM_RSRC2:USER_SGPR: 6
; COMPUTE_PGM_RSRC2:TRAP_HANDLER: 0
; COMPUTE_PGM_RSRC2:TGID_X_EN: 1
; COMPUTE_PGM_RSRC2:TGID_Y_EN: 0
; COMPUTE_PGM_RSRC2:TGID_Z_EN: 0
; COMPUTE_PGM_RSRC2:TIDIG_COMP_CNT: 0
	.section	.text._ZN7rocprim17ROCPRIM_400000_NS6detail17trampoline_kernelINS0_14default_configENS1_35radix_sort_onesweep_config_selectorIiNS0_10empty_typeEEEZZNS1_29radix_sort_onesweep_iterationIS3_Lb1EN6thrust23THRUST_200600_302600_NS6detail15normal_iteratorINS9_10device_ptrIiEEEESE_PS5_SF_jNS0_19identity_decomposerENS1_16block_id_wrapperIjLb1EEEEE10hipError_tT1_PNSt15iterator_traitsISK_E10value_typeET2_T3_PNSL_ISQ_E10value_typeET4_T5_PSV_SW_PNS1_23onesweep_lookback_stateEbbT6_jjT7_P12ihipStream_tbENKUlT_T0_SK_SP_E_clIPiSE_SF_SF_EEDaS13_S14_SK_SP_EUlS13_E_NS1_11comp_targetILNS1_3genE2ELNS1_11target_archE906ELNS1_3gpuE6ELNS1_3repE0EEENS1_47radix_sort_onesweep_sort_config_static_selectorELNS0_4arch9wavefront6targetE0EEEvSK_,"axG",@progbits,_ZN7rocprim17ROCPRIM_400000_NS6detail17trampoline_kernelINS0_14default_configENS1_35radix_sort_onesweep_config_selectorIiNS0_10empty_typeEEEZZNS1_29radix_sort_onesweep_iterationIS3_Lb1EN6thrust23THRUST_200600_302600_NS6detail15normal_iteratorINS9_10device_ptrIiEEEESE_PS5_SF_jNS0_19identity_decomposerENS1_16block_id_wrapperIjLb1EEEEE10hipError_tT1_PNSt15iterator_traitsISK_E10value_typeET2_T3_PNSL_ISQ_E10value_typeET4_T5_PSV_SW_PNS1_23onesweep_lookback_stateEbbT6_jjT7_P12ihipStream_tbENKUlT_T0_SK_SP_E_clIPiSE_SF_SF_EEDaS13_S14_SK_SP_EUlS13_E_NS1_11comp_targetILNS1_3genE2ELNS1_11target_archE906ELNS1_3gpuE6ELNS1_3repE0EEENS1_47radix_sort_onesweep_sort_config_static_selectorELNS0_4arch9wavefront6targetE0EEEvSK_,comdat
	.protected	_ZN7rocprim17ROCPRIM_400000_NS6detail17trampoline_kernelINS0_14default_configENS1_35radix_sort_onesweep_config_selectorIiNS0_10empty_typeEEEZZNS1_29radix_sort_onesweep_iterationIS3_Lb1EN6thrust23THRUST_200600_302600_NS6detail15normal_iteratorINS9_10device_ptrIiEEEESE_PS5_SF_jNS0_19identity_decomposerENS1_16block_id_wrapperIjLb1EEEEE10hipError_tT1_PNSt15iterator_traitsISK_E10value_typeET2_T3_PNSL_ISQ_E10value_typeET4_T5_PSV_SW_PNS1_23onesweep_lookback_stateEbbT6_jjT7_P12ihipStream_tbENKUlT_T0_SK_SP_E_clIPiSE_SF_SF_EEDaS13_S14_SK_SP_EUlS13_E_NS1_11comp_targetILNS1_3genE2ELNS1_11target_archE906ELNS1_3gpuE6ELNS1_3repE0EEENS1_47radix_sort_onesweep_sort_config_static_selectorELNS0_4arch9wavefront6targetE0EEEvSK_ ; -- Begin function _ZN7rocprim17ROCPRIM_400000_NS6detail17trampoline_kernelINS0_14default_configENS1_35radix_sort_onesweep_config_selectorIiNS0_10empty_typeEEEZZNS1_29radix_sort_onesweep_iterationIS3_Lb1EN6thrust23THRUST_200600_302600_NS6detail15normal_iteratorINS9_10device_ptrIiEEEESE_PS5_SF_jNS0_19identity_decomposerENS1_16block_id_wrapperIjLb1EEEEE10hipError_tT1_PNSt15iterator_traitsISK_E10value_typeET2_T3_PNSL_ISQ_E10value_typeET4_T5_PSV_SW_PNS1_23onesweep_lookback_stateEbbT6_jjT7_P12ihipStream_tbENKUlT_T0_SK_SP_E_clIPiSE_SF_SF_EEDaS13_S14_SK_SP_EUlS13_E_NS1_11comp_targetILNS1_3genE2ELNS1_11target_archE906ELNS1_3gpuE6ELNS1_3repE0EEENS1_47radix_sort_onesweep_sort_config_static_selectorELNS0_4arch9wavefront6targetE0EEEvSK_
	.globl	_ZN7rocprim17ROCPRIM_400000_NS6detail17trampoline_kernelINS0_14default_configENS1_35radix_sort_onesweep_config_selectorIiNS0_10empty_typeEEEZZNS1_29radix_sort_onesweep_iterationIS3_Lb1EN6thrust23THRUST_200600_302600_NS6detail15normal_iteratorINS9_10device_ptrIiEEEESE_PS5_SF_jNS0_19identity_decomposerENS1_16block_id_wrapperIjLb1EEEEE10hipError_tT1_PNSt15iterator_traitsISK_E10value_typeET2_T3_PNSL_ISQ_E10value_typeET4_T5_PSV_SW_PNS1_23onesweep_lookback_stateEbbT6_jjT7_P12ihipStream_tbENKUlT_T0_SK_SP_E_clIPiSE_SF_SF_EEDaS13_S14_SK_SP_EUlS13_E_NS1_11comp_targetILNS1_3genE2ELNS1_11target_archE906ELNS1_3gpuE6ELNS1_3repE0EEENS1_47radix_sort_onesweep_sort_config_static_selectorELNS0_4arch9wavefront6targetE0EEEvSK_
	.p2align	8
	.type	_ZN7rocprim17ROCPRIM_400000_NS6detail17trampoline_kernelINS0_14default_configENS1_35radix_sort_onesweep_config_selectorIiNS0_10empty_typeEEEZZNS1_29radix_sort_onesweep_iterationIS3_Lb1EN6thrust23THRUST_200600_302600_NS6detail15normal_iteratorINS9_10device_ptrIiEEEESE_PS5_SF_jNS0_19identity_decomposerENS1_16block_id_wrapperIjLb1EEEEE10hipError_tT1_PNSt15iterator_traitsISK_E10value_typeET2_T3_PNSL_ISQ_E10value_typeET4_T5_PSV_SW_PNS1_23onesweep_lookback_stateEbbT6_jjT7_P12ihipStream_tbENKUlT_T0_SK_SP_E_clIPiSE_SF_SF_EEDaS13_S14_SK_SP_EUlS13_E_NS1_11comp_targetILNS1_3genE2ELNS1_11target_archE906ELNS1_3gpuE6ELNS1_3repE0EEENS1_47radix_sort_onesweep_sort_config_static_selectorELNS0_4arch9wavefront6targetE0EEEvSK_,@function
_ZN7rocprim17ROCPRIM_400000_NS6detail17trampoline_kernelINS0_14default_configENS1_35radix_sort_onesweep_config_selectorIiNS0_10empty_typeEEEZZNS1_29radix_sort_onesweep_iterationIS3_Lb1EN6thrust23THRUST_200600_302600_NS6detail15normal_iteratorINS9_10device_ptrIiEEEESE_PS5_SF_jNS0_19identity_decomposerENS1_16block_id_wrapperIjLb1EEEEE10hipError_tT1_PNSt15iterator_traitsISK_E10value_typeET2_T3_PNSL_ISQ_E10value_typeET4_T5_PSV_SW_PNS1_23onesweep_lookback_stateEbbT6_jjT7_P12ihipStream_tbENKUlT_T0_SK_SP_E_clIPiSE_SF_SF_EEDaS13_S14_SK_SP_EUlS13_E_NS1_11comp_targetILNS1_3genE2ELNS1_11target_archE906ELNS1_3gpuE6ELNS1_3repE0EEENS1_47radix_sort_onesweep_sort_config_static_selectorELNS0_4arch9wavefront6targetE0EEEvSK_: ; @_ZN7rocprim17ROCPRIM_400000_NS6detail17trampoline_kernelINS0_14default_configENS1_35radix_sort_onesweep_config_selectorIiNS0_10empty_typeEEEZZNS1_29radix_sort_onesweep_iterationIS3_Lb1EN6thrust23THRUST_200600_302600_NS6detail15normal_iteratorINS9_10device_ptrIiEEEESE_PS5_SF_jNS0_19identity_decomposerENS1_16block_id_wrapperIjLb1EEEEE10hipError_tT1_PNSt15iterator_traitsISK_E10value_typeET2_T3_PNSL_ISQ_E10value_typeET4_T5_PSV_SW_PNS1_23onesweep_lookback_stateEbbT6_jjT7_P12ihipStream_tbENKUlT_T0_SK_SP_E_clIPiSE_SF_SF_EEDaS13_S14_SK_SP_EUlS13_E_NS1_11comp_targetILNS1_3genE2ELNS1_11target_archE906ELNS1_3gpuE6ELNS1_3repE0EEENS1_47radix_sort_onesweep_sort_config_static_selectorELNS0_4arch9wavefront6targetE0EEEvSK_
; %bb.0:
	.section	.rodata,"a",@progbits
	.p2align	6, 0x0
	.amdhsa_kernel _ZN7rocprim17ROCPRIM_400000_NS6detail17trampoline_kernelINS0_14default_configENS1_35radix_sort_onesweep_config_selectorIiNS0_10empty_typeEEEZZNS1_29radix_sort_onesweep_iterationIS3_Lb1EN6thrust23THRUST_200600_302600_NS6detail15normal_iteratorINS9_10device_ptrIiEEEESE_PS5_SF_jNS0_19identity_decomposerENS1_16block_id_wrapperIjLb1EEEEE10hipError_tT1_PNSt15iterator_traitsISK_E10value_typeET2_T3_PNSL_ISQ_E10value_typeET4_T5_PSV_SW_PNS1_23onesweep_lookback_stateEbbT6_jjT7_P12ihipStream_tbENKUlT_T0_SK_SP_E_clIPiSE_SF_SF_EEDaS13_S14_SK_SP_EUlS13_E_NS1_11comp_targetILNS1_3genE2ELNS1_11target_archE906ELNS1_3gpuE6ELNS1_3repE0EEENS1_47radix_sort_onesweep_sort_config_static_selectorELNS0_4arch9wavefront6targetE0EEEvSK_
		.amdhsa_group_segment_fixed_size 0
		.amdhsa_private_segment_fixed_size 0
		.amdhsa_kernarg_size 88
		.amdhsa_user_sgpr_count 6
		.amdhsa_user_sgpr_private_segment_buffer 1
		.amdhsa_user_sgpr_dispatch_ptr 0
		.amdhsa_user_sgpr_queue_ptr 0
		.amdhsa_user_sgpr_kernarg_segment_ptr 1
		.amdhsa_user_sgpr_dispatch_id 0
		.amdhsa_user_sgpr_flat_scratch_init 0
		.amdhsa_user_sgpr_private_segment_size 0
		.amdhsa_wavefront_size32 1
		.amdhsa_uses_dynamic_stack 0
		.amdhsa_system_sgpr_private_segment_wavefront_offset 0
		.amdhsa_system_sgpr_workgroup_id_x 1
		.amdhsa_system_sgpr_workgroup_id_y 0
		.amdhsa_system_sgpr_workgroup_id_z 0
		.amdhsa_system_sgpr_workgroup_info 0
		.amdhsa_system_vgpr_workitem_id 0
		.amdhsa_next_free_vgpr 1
		.amdhsa_next_free_sgpr 1
		.amdhsa_reserve_vcc 0
		.amdhsa_reserve_flat_scratch 0
		.amdhsa_float_round_mode_32 0
		.amdhsa_float_round_mode_16_64 0
		.amdhsa_float_denorm_mode_32 3
		.amdhsa_float_denorm_mode_16_64 3
		.amdhsa_dx10_clamp 1
		.amdhsa_ieee_mode 1
		.amdhsa_fp16_overflow 0
		.amdhsa_workgroup_processor_mode 1
		.amdhsa_memory_ordered 1
		.amdhsa_forward_progress 1
		.amdhsa_shared_vgpr_count 0
		.amdhsa_exception_fp_ieee_invalid_op 0
		.amdhsa_exception_fp_denorm_src 0
		.amdhsa_exception_fp_ieee_div_zero 0
		.amdhsa_exception_fp_ieee_overflow 0
		.amdhsa_exception_fp_ieee_underflow 0
		.amdhsa_exception_fp_ieee_inexact 0
		.amdhsa_exception_int_div_zero 0
	.end_amdhsa_kernel
	.section	.text._ZN7rocprim17ROCPRIM_400000_NS6detail17trampoline_kernelINS0_14default_configENS1_35radix_sort_onesweep_config_selectorIiNS0_10empty_typeEEEZZNS1_29radix_sort_onesweep_iterationIS3_Lb1EN6thrust23THRUST_200600_302600_NS6detail15normal_iteratorINS9_10device_ptrIiEEEESE_PS5_SF_jNS0_19identity_decomposerENS1_16block_id_wrapperIjLb1EEEEE10hipError_tT1_PNSt15iterator_traitsISK_E10value_typeET2_T3_PNSL_ISQ_E10value_typeET4_T5_PSV_SW_PNS1_23onesweep_lookback_stateEbbT6_jjT7_P12ihipStream_tbENKUlT_T0_SK_SP_E_clIPiSE_SF_SF_EEDaS13_S14_SK_SP_EUlS13_E_NS1_11comp_targetILNS1_3genE2ELNS1_11target_archE906ELNS1_3gpuE6ELNS1_3repE0EEENS1_47radix_sort_onesweep_sort_config_static_selectorELNS0_4arch9wavefront6targetE0EEEvSK_,"axG",@progbits,_ZN7rocprim17ROCPRIM_400000_NS6detail17trampoline_kernelINS0_14default_configENS1_35radix_sort_onesweep_config_selectorIiNS0_10empty_typeEEEZZNS1_29radix_sort_onesweep_iterationIS3_Lb1EN6thrust23THRUST_200600_302600_NS6detail15normal_iteratorINS9_10device_ptrIiEEEESE_PS5_SF_jNS0_19identity_decomposerENS1_16block_id_wrapperIjLb1EEEEE10hipError_tT1_PNSt15iterator_traitsISK_E10value_typeET2_T3_PNSL_ISQ_E10value_typeET4_T5_PSV_SW_PNS1_23onesweep_lookback_stateEbbT6_jjT7_P12ihipStream_tbENKUlT_T0_SK_SP_E_clIPiSE_SF_SF_EEDaS13_S14_SK_SP_EUlS13_E_NS1_11comp_targetILNS1_3genE2ELNS1_11target_archE906ELNS1_3gpuE6ELNS1_3repE0EEENS1_47radix_sort_onesweep_sort_config_static_selectorELNS0_4arch9wavefront6targetE0EEEvSK_,comdat
.Lfunc_end357:
	.size	_ZN7rocprim17ROCPRIM_400000_NS6detail17trampoline_kernelINS0_14default_configENS1_35radix_sort_onesweep_config_selectorIiNS0_10empty_typeEEEZZNS1_29radix_sort_onesweep_iterationIS3_Lb1EN6thrust23THRUST_200600_302600_NS6detail15normal_iteratorINS9_10device_ptrIiEEEESE_PS5_SF_jNS0_19identity_decomposerENS1_16block_id_wrapperIjLb1EEEEE10hipError_tT1_PNSt15iterator_traitsISK_E10value_typeET2_T3_PNSL_ISQ_E10value_typeET4_T5_PSV_SW_PNS1_23onesweep_lookback_stateEbbT6_jjT7_P12ihipStream_tbENKUlT_T0_SK_SP_E_clIPiSE_SF_SF_EEDaS13_S14_SK_SP_EUlS13_E_NS1_11comp_targetILNS1_3genE2ELNS1_11target_archE906ELNS1_3gpuE6ELNS1_3repE0EEENS1_47radix_sort_onesweep_sort_config_static_selectorELNS0_4arch9wavefront6targetE0EEEvSK_, .Lfunc_end357-_ZN7rocprim17ROCPRIM_400000_NS6detail17trampoline_kernelINS0_14default_configENS1_35radix_sort_onesweep_config_selectorIiNS0_10empty_typeEEEZZNS1_29radix_sort_onesweep_iterationIS3_Lb1EN6thrust23THRUST_200600_302600_NS6detail15normal_iteratorINS9_10device_ptrIiEEEESE_PS5_SF_jNS0_19identity_decomposerENS1_16block_id_wrapperIjLb1EEEEE10hipError_tT1_PNSt15iterator_traitsISK_E10value_typeET2_T3_PNSL_ISQ_E10value_typeET4_T5_PSV_SW_PNS1_23onesweep_lookback_stateEbbT6_jjT7_P12ihipStream_tbENKUlT_T0_SK_SP_E_clIPiSE_SF_SF_EEDaS13_S14_SK_SP_EUlS13_E_NS1_11comp_targetILNS1_3genE2ELNS1_11target_archE906ELNS1_3gpuE6ELNS1_3repE0EEENS1_47radix_sort_onesweep_sort_config_static_selectorELNS0_4arch9wavefront6targetE0EEEvSK_
                                        ; -- End function
	.set _ZN7rocprim17ROCPRIM_400000_NS6detail17trampoline_kernelINS0_14default_configENS1_35radix_sort_onesweep_config_selectorIiNS0_10empty_typeEEEZZNS1_29radix_sort_onesweep_iterationIS3_Lb1EN6thrust23THRUST_200600_302600_NS6detail15normal_iteratorINS9_10device_ptrIiEEEESE_PS5_SF_jNS0_19identity_decomposerENS1_16block_id_wrapperIjLb1EEEEE10hipError_tT1_PNSt15iterator_traitsISK_E10value_typeET2_T3_PNSL_ISQ_E10value_typeET4_T5_PSV_SW_PNS1_23onesweep_lookback_stateEbbT6_jjT7_P12ihipStream_tbENKUlT_T0_SK_SP_E_clIPiSE_SF_SF_EEDaS13_S14_SK_SP_EUlS13_E_NS1_11comp_targetILNS1_3genE2ELNS1_11target_archE906ELNS1_3gpuE6ELNS1_3repE0EEENS1_47radix_sort_onesweep_sort_config_static_selectorELNS0_4arch9wavefront6targetE0EEEvSK_.num_vgpr, 0
	.set _ZN7rocprim17ROCPRIM_400000_NS6detail17trampoline_kernelINS0_14default_configENS1_35radix_sort_onesweep_config_selectorIiNS0_10empty_typeEEEZZNS1_29radix_sort_onesweep_iterationIS3_Lb1EN6thrust23THRUST_200600_302600_NS6detail15normal_iteratorINS9_10device_ptrIiEEEESE_PS5_SF_jNS0_19identity_decomposerENS1_16block_id_wrapperIjLb1EEEEE10hipError_tT1_PNSt15iterator_traitsISK_E10value_typeET2_T3_PNSL_ISQ_E10value_typeET4_T5_PSV_SW_PNS1_23onesweep_lookback_stateEbbT6_jjT7_P12ihipStream_tbENKUlT_T0_SK_SP_E_clIPiSE_SF_SF_EEDaS13_S14_SK_SP_EUlS13_E_NS1_11comp_targetILNS1_3genE2ELNS1_11target_archE906ELNS1_3gpuE6ELNS1_3repE0EEENS1_47radix_sort_onesweep_sort_config_static_selectorELNS0_4arch9wavefront6targetE0EEEvSK_.num_agpr, 0
	.set _ZN7rocprim17ROCPRIM_400000_NS6detail17trampoline_kernelINS0_14default_configENS1_35radix_sort_onesweep_config_selectorIiNS0_10empty_typeEEEZZNS1_29radix_sort_onesweep_iterationIS3_Lb1EN6thrust23THRUST_200600_302600_NS6detail15normal_iteratorINS9_10device_ptrIiEEEESE_PS5_SF_jNS0_19identity_decomposerENS1_16block_id_wrapperIjLb1EEEEE10hipError_tT1_PNSt15iterator_traitsISK_E10value_typeET2_T3_PNSL_ISQ_E10value_typeET4_T5_PSV_SW_PNS1_23onesweep_lookback_stateEbbT6_jjT7_P12ihipStream_tbENKUlT_T0_SK_SP_E_clIPiSE_SF_SF_EEDaS13_S14_SK_SP_EUlS13_E_NS1_11comp_targetILNS1_3genE2ELNS1_11target_archE906ELNS1_3gpuE6ELNS1_3repE0EEENS1_47radix_sort_onesweep_sort_config_static_selectorELNS0_4arch9wavefront6targetE0EEEvSK_.numbered_sgpr, 0
	.set _ZN7rocprim17ROCPRIM_400000_NS6detail17trampoline_kernelINS0_14default_configENS1_35radix_sort_onesweep_config_selectorIiNS0_10empty_typeEEEZZNS1_29radix_sort_onesweep_iterationIS3_Lb1EN6thrust23THRUST_200600_302600_NS6detail15normal_iteratorINS9_10device_ptrIiEEEESE_PS5_SF_jNS0_19identity_decomposerENS1_16block_id_wrapperIjLb1EEEEE10hipError_tT1_PNSt15iterator_traitsISK_E10value_typeET2_T3_PNSL_ISQ_E10value_typeET4_T5_PSV_SW_PNS1_23onesweep_lookback_stateEbbT6_jjT7_P12ihipStream_tbENKUlT_T0_SK_SP_E_clIPiSE_SF_SF_EEDaS13_S14_SK_SP_EUlS13_E_NS1_11comp_targetILNS1_3genE2ELNS1_11target_archE906ELNS1_3gpuE6ELNS1_3repE0EEENS1_47radix_sort_onesweep_sort_config_static_selectorELNS0_4arch9wavefront6targetE0EEEvSK_.num_named_barrier, 0
	.set _ZN7rocprim17ROCPRIM_400000_NS6detail17trampoline_kernelINS0_14default_configENS1_35radix_sort_onesweep_config_selectorIiNS0_10empty_typeEEEZZNS1_29radix_sort_onesweep_iterationIS3_Lb1EN6thrust23THRUST_200600_302600_NS6detail15normal_iteratorINS9_10device_ptrIiEEEESE_PS5_SF_jNS0_19identity_decomposerENS1_16block_id_wrapperIjLb1EEEEE10hipError_tT1_PNSt15iterator_traitsISK_E10value_typeET2_T3_PNSL_ISQ_E10value_typeET4_T5_PSV_SW_PNS1_23onesweep_lookback_stateEbbT6_jjT7_P12ihipStream_tbENKUlT_T0_SK_SP_E_clIPiSE_SF_SF_EEDaS13_S14_SK_SP_EUlS13_E_NS1_11comp_targetILNS1_3genE2ELNS1_11target_archE906ELNS1_3gpuE6ELNS1_3repE0EEENS1_47radix_sort_onesweep_sort_config_static_selectorELNS0_4arch9wavefront6targetE0EEEvSK_.private_seg_size, 0
	.set _ZN7rocprim17ROCPRIM_400000_NS6detail17trampoline_kernelINS0_14default_configENS1_35radix_sort_onesweep_config_selectorIiNS0_10empty_typeEEEZZNS1_29radix_sort_onesweep_iterationIS3_Lb1EN6thrust23THRUST_200600_302600_NS6detail15normal_iteratorINS9_10device_ptrIiEEEESE_PS5_SF_jNS0_19identity_decomposerENS1_16block_id_wrapperIjLb1EEEEE10hipError_tT1_PNSt15iterator_traitsISK_E10value_typeET2_T3_PNSL_ISQ_E10value_typeET4_T5_PSV_SW_PNS1_23onesweep_lookback_stateEbbT6_jjT7_P12ihipStream_tbENKUlT_T0_SK_SP_E_clIPiSE_SF_SF_EEDaS13_S14_SK_SP_EUlS13_E_NS1_11comp_targetILNS1_3genE2ELNS1_11target_archE906ELNS1_3gpuE6ELNS1_3repE0EEENS1_47radix_sort_onesweep_sort_config_static_selectorELNS0_4arch9wavefront6targetE0EEEvSK_.uses_vcc, 0
	.set _ZN7rocprim17ROCPRIM_400000_NS6detail17trampoline_kernelINS0_14default_configENS1_35radix_sort_onesweep_config_selectorIiNS0_10empty_typeEEEZZNS1_29radix_sort_onesweep_iterationIS3_Lb1EN6thrust23THRUST_200600_302600_NS6detail15normal_iteratorINS9_10device_ptrIiEEEESE_PS5_SF_jNS0_19identity_decomposerENS1_16block_id_wrapperIjLb1EEEEE10hipError_tT1_PNSt15iterator_traitsISK_E10value_typeET2_T3_PNSL_ISQ_E10value_typeET4_T5_PSV_SW_PNS1_23onesweep_lookback_stateEbbT6_jjT7_P12ihipStream_tbENKUlT_T0_SK_SP_E_clIPiSE_SF_SF_EEDaS13_S14_SK_SP_EUlS13_E_NS1_11comp_targetILNS1_3genE2ELNS1_11target_archE906ELNS1_3gpuE6ELNS1_3repE0EEENS1_47radix_sort_onesweep_sort_config_static_selectorELNS0_4arch9wavefront6targetE0EEEvSK_.uses_flat_scratch, 0
	.set _ZN7rocprim17ROCPRIM_400000_NS6detail17trampoline_kernelINS0_14default_configENS1_35radix_sort_onesweep_config_selectorIiNS0_10empty_typeEEEZZNS1_29radix_sort_onesweep_iterationIS3_Lb1EN6thrust23THRUST_200600_302600_NS6detail15normal_iteratorINS9_10device_ptrIiEEEESE_PS5_SF_jNS0_19identity_decomposerENS1_16block_id_wrapperIjLb1EEEEE10hipError_tT1_PNSt15iterator_traitsISK_E10value_typeET2_T3_PNSL_ISQ_E10value_typeET4_T5_PSV_SW_PNS1_23onesweep_lookback_stateEbbT6_jjT7_P12ihipStream_tbENKUlT_T0_SK_SP_E_clIPiSE_SF_SF_EEDaS13_S14_SK_SP_EUlS13_E_NS1_11comp_targetILNS1_3genE2ELNS1_11target_archE906ELNS1_3gpuE6ELNS1_3repE0EEENS1_47radix_sort_onesweep_sort_config_static_selectorELNS0_4arch9wavefront6targetE0EEEvSK_.has_dyn_sized_stack, 0
	.set _ZN7rocprim17ROCPRIM_400000_NS6detail17trampoline_kernelINS0_14default_configENS1_35radix_sort_onesweep_config_selectorIiNS0_10empty_typeEEEZZNS1_29radix_sort_onesweep_iterationIS3_Lb1EN6thrust23THRUST_200600_302600_NS6detail15normal_iteratorINS9_10device_ptrIiEEEESE_PS5_SF_jNS0_19identity_decomposerENS1_16block_id_wrapperIjLb1EEEEE10hipError_tT1_PNSt15iterator_traitsISK_E10value_typeET2_T3_PNSL_ISQ_E10value_typeET4_T5_PSV_SW_PNS1_23onesweep_lookback_stateEbbT6_jjT7_P12ihipStream_tbENKUlT_T0_SK_SP_E_clIPiSE_SF_SF_EEDaS13_S14_SK_SP_EUlS13_E_NS1_11comp_targetILNS1_3genE2ELNS1_11target_archE906ELNS1_3gpuE6ELNS1_3repE0EEENS1_47radix_sort_onesweep_sort_config_static_selectorELNS0_4arch9wavefront6targetE0EEEvSK_.has_recursion, 0
	.set _ZN7rocprim17ROCPRIM_400000_NS6detail17trampoline_kernelINS0_14default_configENS1_35radix_sort_onesweep_config_selectorIiNS0_10empty_typeEEEZZNS1_29radix_sort_onesweep_iterationIS3_Lb1EN6thrust23THRUST_200600_302600_NS6detail15normal_iteratorINS9_10device_ptrIiEEEESE_PS5_SF_jNS0_19identity_decomposerENS1_16block_id_wrapperIjLb1EEEEE10hipError_tT1_PNSt15iterator_traitsISK_E10value_typeET2_T3_PNSL_ISQ_E10value_typeET4_T5_PSV_SW_PNS1_23onesweep_lookback_stateEbbT6_jjT7_P12ihipStream_tbENKUlT_T0_SK_SP_E_clIPiSE_SF_SF_EEDaS13_S14_SK_SP_EUlS13_E_NS1_11comp_targetILNS1_3genE2ELNS1_11target_archE906ELNS1_3gpuE6ELNS1_3repE0EEENS1_47radix_sort_onesweep_sort_config_static_selectorELNS0_4arch9wavefront6targetE0EEEvSK_.has_indirect_call, 0
	.section	.AMDGPU.csdata,"",@progbits
; Kernel info:
; codeLenInByte = 0
; TotalNumSgprs: 0
; NumVgprs: 0
; ScratchSize: 0
; MemoryBound: 0
; FloatMode: 240
; IeeeMode: 1
; LDSByteSize: 0 bytes/workgroup (compile time only)
; SGPRBlocks: 0
; VGPRBlocks: 0
; NumSGPRsForWavesPerEU: 1
; NumVGPRsForWavesPerEU: 1
; Occupancy: 16
; WaveLimiterHint : 0
; COMPUTE_PGM_RSRC2:SCRATCH_EN: 0
; COMPUTE_PGM_RSRC2:USER_SGPR: 6
; COMPUTE_PGM_RSRC2:TRAP_HANDLER: 0
; COMPUTE_PGM_RSRC2:TGID_X_EN: 1
; COMPUTE_PGM_RSRC2:TGID_Y_EN: 0
; COMPUTE_PGM_RSRC2:TGID_Z_EN: 0
; COMPUTE_PGM_RSRC2:TIDIG_COMP_CNT: 0
	.section	.text._ZN7rocprim17ROCPRIM_400000_NS6detail17trampoline_kernelINS0_14default_configENS1_35radix_sort_onesweep_config_selectorIiNS0_10empty_typeEEEZZNS1_29radix_sort_onesweep_iterationIS3_Lb1EN6thrust23THRUST_200600_302600_NS6detail15normal_iteratorINS9_10device_ptrIiEEEESE_PS5_SF_jNS0_19identity_decomposerENS1_16block_id_wrapperIjLb1EEEEE10hipError_tT1_PNSt15iterator_traitsISK_E10value_typeET2_T3_PNSL_ISQ_E10value_typeET4_T5_PSV_SW_PNS1_23onesweep_lookback_stateEbbT6_jjT7_P12ihipStream_tbENKUlT_T0_SK_SP_E_clIPiSE_SF_SF_EEDaS13_S14_SK_SP_EUlS13_E_NS1_11comp_targetILNS1_3genE4ELNS1_11target_archE910ELNS1_3gpuE8ELNS1_3repE0EEENS1_47radix_sort_onesweep_sort_config_static_selectorELNS0_4arch9wavefront6targetE0EEEvSK_,"axG",@progbits,_ZN7rocprim17ROCPRIM_400000_NS6detail17trampoline_kernelINS0_14default_configENS1_35radix_sort_onesweep_config_selectorIiNS0_10empty_typeEEEZZNS1_29radix_sort_onesweep_iterationIS3_Lb1EN6thrust23THRUST_200600_302600_NS6detail15normal_iteratorINS9_10device_ptrIiEEEESE_PS5_SF_jNS0_19identity_decomposerENS1_16block_id_wrapperIjLb1EEEEE10hipError_tT1_PNSt15iterator_traitsISK_E10value_typeET2_T3_PNSL_ISQ_E10value_typeET4_T5_PSV_SW_PNS1_23onesweep_lookback_stateEbbT6_jjT7_P12ihipStream_tbENKUlT_T0_SK_SP_E_clIPiSE_SF_SF_EEDaS13_S14_SK_SP_EUlS13_E_NS1_11comp_targetILNS1_3genE4ELNS1_11target_archE910ELNS1_3gpuE8ELNS1_3repE0EEENS1_47radix_sort_onesweep_sort_config_static_selectorELNS0_4arch9wavefront6targetE0EEEvSK_,comdat
	.protected	_ZN7rocprim17ROCPRIM_400000_NS6detail17trampoline_kernelINS0_14default_configENS1_35radix_sort_onesweep_config_selectorIiNS0_10empty_typeEEEZZNS1_29radix_sort_onesweep_iterationIS3_Lb1EN6thrust23THRUST_200600_302600_NS6detail15normal_iteratorINS9_10device_ptrIiEEEESE_PS5_SF_jNS0_19identity_decomposerENS1_16block_id_wrapperIjLb1EEEEE10hipError_tT1_PNSt15iterator_traitsISK_E10value_typeET2_T3_PNSL_ISQ_E10value_typeET4_T5_PSV_SW_PNS1_23onesweep_lookback_stateEbbT6_jjT7_P12ihipStream_tbENKUlT_T0_SK_SP_E_clIPiSE_SF_SF_EEDaS13_S14_SK_SP_EUlS13_E_NS1_11comp_targetILNS1_3genE4ELNS1_11target_archE910ELNS1_3gpuE8ELNS1_3repE0EEENS1_47radix_sort_onesweep_sort_config_static_selectorELNS0_4arch9wavefront6targetE0EEEvSK_ ; -- Begin function _ZN7rocprim17ROCPRIM_400000_NS6detail17trampoline_kernelINS0_14default_configENS1_35radix_sort_onesweep_config_selectorIiNS0_10empty_typeEEEZZNS1_29radix_sort_onesweep_iterationIS3_Lb1EN6thrust23THRUST_200600_302600_NS6detail15normal_iteratorINS9_10device_ptrIiEEEESE_PS5_SF_jNS0_19identity_decomposerENS1_16block_id_wrapperIjLb1EEEEE10hipError_tT1_PNSt15iterator_traitsISK_E10value_typeET2_T3_PNSL_ISQ_E10value_typeET4_T5_PSV_SW_PNS1_23onesweep_lookback_stateEbbT6_jjT7_P12ihipStream_tbENKUlT_T0_SK_SP_E_clIPiSE_SF_SF_EEDaS13_S14_SK_SP_EUlS13_E_NS1_11comp_targetILNS1_3genE4ELNS1_11target_archE910ELNS1_3gpuE8ELNS1_3repE0EEENS1_47radix_sort_onesweep_sort_config_static_selectorELNS0_4arch9wavefront6targetE0EEEvSK_
	.globl	_ZN7rocprim17ROCPRIM_400000_NS6detail17trampoline_kernelINS0_14default_configENS1_35radix_sort_onesweep_config_selectorIiNS0_10empty_typeEEEZZNS1_29radix_sort_onesweep_iterationIS3_Lb1EN6thrust23THRUST_200600_302600_NS6detail15normal_iteratorINS9_10device_ptrIiEEEESE_PS5_SF_jNS0_19identity_decomposerENS1_16block_id_wrapperIjLb1EEEEE10hipError_tT1_PNSt15iterator_traitsISK_E10value_typeET2_T3_PNSL_ISQ_E10value_typeET4_T5_PSV_SW_PNS1_23onesweep_lookback_stateEbbT6_jjT7_P12ihipStream_tbENKUlT_T0_SK_SP_E_clIPiSE_SF_SF_EEDaS13_S14_SK_SP_EUlS13_E_NS1_11comp_targetILNS1_3genE4ELNS1_11target_archE910ELNS1_3gpuE8ELNS1_3repE0EEENS1_47radix_sort_onesweep_sort_config_static_selectorELNS0_4arch9wavefront6targetE0EEEvSK_
	.p2align	8
	.type	_ZN7rocprim17ROCPRIM_400000_NS6detail17trampoline_kernelINS0_14default_configENS1_35radix_sort_onesweep_config_selectorIiNS0_10empty_typeEEEZZNS1_29radix_sort_onesweep_iterationIS3_Lb1EN6thrust23THRUST_200600_302600_NS6detail15normal_iteratorINS9_10device_ptrIiEEEESE_PS5_SF_jNS0_19identity_decomposerENS1_16block_id_wrapperIjLb1EEEEE10hipError_tT1_PNSt15iterator_traitsISK_E10value_typeET2_T3_PNSL_ISQ_E10value_typeET4_T5_PSV_SW_PNS1_23onesweep_lookback_stateEbbT6_jjT7_P12ihipStream_tbENKUlT_T0_SK_SP_E_clIPiSE_SF_SF_EEDaS13_S14_SK_SP_EUlS13_E_NS1_11comp_targetILNS1_3genE4ELNS1_11target_archE910ELNS1_3gpuE8ELNS1_3repE0EEENS1_47radix_sort_onesweep_sort_config_static_selectorELNS0_4arch9wavefront6targetE0EEEvSK_,@function
_ZN7rocprim17ROCPRIM_400000_NS6detail17trampoline_kernelINS0_14default_configENS1_35radix_sort_onesweep_config_selectorIiNS0_10empty_typeEEEZZNS1_29radix_sort_onesweep_iterationIS3_Lb1EN6thrust23THRUST_200600_302600_NS6detail15normal_iteratorINS9_10device_ptrIiEEEESE_PS5_SF_jNS0_19identity_decomposerENS1_16block_id_wrapperIjLb1EEEEE10hipError_tT1_PNSt15iterator_traitsISK_E10value_typeET2_T3_PNSL_ISQ_E10value_typeET4_T5_PSV_SW_PNS1_23onesweep_lookback_stateEbbT6_jjT7_P12ihipStream_tbENKUlT_T0_SK_SP_E_clIPiSE_SF_SF_EEDaS13_S14_SK_SP_EUlS13_E_NS1_11comp_targetILNS1_3genE4ELNS1_11target_archE910ELNS1_3gpuE8ELNS1_3repE0EEENS1_47radix_sort_onesweep_sort_config_static_selectorELNS0_4arch9wavefront6targetE0EEEvSK_: ; @_ZN7rocprim17ROCPRIM_400000_NS6detail17trampoline_kernelINS0_14default_configENS1_35radix_sort_onesweep_config_selectorIiNS0_10empty_typeEEEZZNS1_29radix_sort_onesweep_iterationIS3_Lb1EN6thrust23THRUST_200600_302600_NS6detail15normal_iteratorINS9_10device_ptrIiEEEESE_PS5_SF_jNS0_19identity_decomposerENS1_16block_id_wrapperIjLb1EEEEE10hipError_tT1_PNSt15iterator_traitsISK_E10value_typeET2_T3_PNSL_ISQ_E10value_typeET4_T5_PSV_SW_PNS1_23onesweep_lookback_stateEbbT6_jjT7_P12ihipStream_tbENKUlT_T0_SK_SP_E_clIPiSE_SF_SF_EEDaS13_S14_SK_SP_EUlS13_E_NS1_11comp_targetILNS1_3genE4ELNS1_11target_archE910ELNS1_3gpuE8ELNS1_3repE0EEENS1_47radix_sort_onesweep_sort_config_static_selectorELNS0_4arch9wavefront6targetE0EEEvSK_
; %bb.0:
	.section	.rodata,"a",@progbits
	.p2align	6, 0x0
	.amdhsa_kernel _ZN7rocprim17ROCPRIM_400000_NS6detail17trampoline_kernelINS0_14default_configENS1_35radix_sort_onesweep_config_selectorIiNS0_10empty_typeEEEZZNS1_29radix_sort_onesweep_iterationIS3_Lb1EN6thrust23THRUST_200600_302600_NS6detail15normal_iteratorINS9_10device_ptrIiEEEESE_PS5_SF_jNS0_19identity_decomposerENS1_16block_id_wrapperIjLb1EEEEE10hipError_tT1_PNSt15iterator_traitsISK_E10value_typeET2_T3_PNSL_ISQ_E10value_typeET4_T5_PSV_SW_PNS1_23onesweep_lookback_stateEbbT6_jjT7_P12ihipStream_tbENKUlT_T0_SK_SP_E_clIPiSE_SF_SF_EEDaS13_S14_SK_SP_EUlS13_E_NS1_11comp_targetILNS1_3genE4ELNS1_11target_archE910ELNS1_3gpuE8ELNS1_3repE0EEENS1_47radix_sort_onesweep_sort_config_static_selectorELNS0_4arch9wavefront6targetE0EEEvSK_
		.amdhsa_group_segment_fixed_size 0
		.amdhsa_private_segment_fixed_size 0
		.amdhsa_kernarg_size 88
		.amdhsa_user_sgpr_count 6
		.amdhsa_user_sgpr_private_segment_buffer 1
		.amdhsa_user_sgpr_dispatch_ptr 0
		.amdhsa_user_sgpr_queue_ptr 0
		.amdhsa_user_sgpr_kernarg_segment_ptr 1
		.amdhsa_user_sgpr_dispatch_id 0
		.amdhsa_user_sgpr_flat_scratch_init 0
		.amdhsa_user_sgpr_private_segment_size 0
		.amdhsa_wavefront_size32 1
		.amdhsa_uses_dynamic_stack 0
		.amdhsa_system_sgpr_private_segment_wavefront_offset 0
		.amdhsa_system_sgpr_workgroup_id_x 1
		.amdhsa_system_sgpr_workgroup_id_y 0
		.amdhsa_system_sgpr_workgroup_id_z 0
		.amdhsa_system_sgpr_workgroup_info 0
		.amdhsa_system_vgpr_workitem_id 0
		.amdhsa_next_free_vgpr 1
		.amdhsa_next_free_sgpr 1
		.amdhsa_reserve_vcc 0
		.amdhsa_reserve_flat_scratch 0
		.amdhsa_float_round_mode_32 0
		.amdhsa_float_round_mode_16_64 0
		.amdhsa_float_denorm_mode_32 3
		.amdhsa_float_denorm_mode_16_64 3
		.amdhsa_dx10_clamp 1
		.amdhsa_ieee_mode 1
		.amdhsa_fp16_overflow 0
		.amdhsa_workgroup_processor_mode 1
		.amdhsa_memory_ordered 1
		.amdhsa_forward_progress 1
		.amdhsa_shared_vgpr_count 0
		.amdhsa_exception_fp_ieee_invalid_op 0
		.amdhsa_exception_fp_denorm_src 0
		.amdhsa_exception_fp_ieee_div_zero 0
		.amdhsa_exception_fp_ieee_overflow 0
		.amdhsa_exception_fp_ieee_underflow 0
		.amdhsa_exception_fp_ieee_inexact 0
		.amdhsa_exception_int_div_zero 0
	.end_amdhsa_kernel
	.section	.text._ZN7rocprim17ROCPRIM_400000_NS6detail17trampoline_kernelINS0_14default_configENS1_35radix_sort_onesweep_config_selectorIiNS0_10empty_typeEEEZZNS1_29radix_sort_onesweep_iterationIS3_Lb1EN6thrust23THRUST_200600_302600_NS6detail15normal_iteratorINS9_10device_ptrIiEEEESE_PS5_SF_jNS0_19identity_decomposerENS1_16block_id_wrapperIjLb1EEEEE10hipError_tT1_PNSt15iterator_traitsISK_E10value_typeET2_T3_PNSL_ISQ_E10value_typeET4_T5_PSV_SW_PNS1_23onesweep_lookback_stateEbbT6_jjT7_P12ihipStream_tbENKUlT_T0_SK_SP_E_clIPiSE_SF_SF_EEDaS13_S14_SK_SP_EUlS13_E_NS1_11comp_targetILNS1_3genE4ELNS1_11target_archE910ELNS1_3gpuE8ELNS1_3repE0EEENS1_47radix_sort_onesweep_sort_config_static_selectorELNS0_4arch9wavefront6targetE0EEEvSK_,"axG",@progbits,_ZN7rocprim17ROCPRIM_400000_NS6detail17trampoline_kernelINS0_14default_configENS1_35radix_sort_onesweep_config_selectorIiNS0_10empty_typeEEEZZNS1_29radix_sort_onesweep_iterationIS3_Lb1EN6thrust23THRUST_200600_302600_NS6detail15normal_iteratorINS9_10device_ptrIiEEEESE_PS5_SF_jNS0_19identity_decomposerENS1_16block_id_wrapperIjLb1EEEEE10hipError_tT1_PNSt15iterator_traitsISK_E10value_typeET2_T3_PNSL_ISQ_E10value_typeET4_T5_PSV_SW_PNS1_23onesweep_lookback_stateEbbT6_jjT7_P12ihipStream_tbENKUlT_T0_SK_SP_E_clIPiSE_SF_SF_EEDaS13_S14_SK_SP_EUlS13_E_NS1_11comp_targetILNS1_3genE4ELNS1_11target_archE910ELNS1_3gpuE8ELNS1_3repE0EEENS1_47radix_sort_onesweep_sort_config_static_selectorELNS0_4arch9wavefront6targetE0EEEvSK_,comdat
.Lfunc_end358:
	.size	_ZN7rocprim17ROCPRIM_400000_NS6detail17trampoline_kernelINS0_14default_configENS1_35radix_sort_onesweep_config_selectorIiNS0_10empty_typeEEEZZNS1_29radix_sort_onesweep_iterationIS3_Lb1EN6thrust23THRUST_200600_302600_NS6detail15normal_iteratorINS9_10device_ptrIiEEEESE_PS5_SF_jNS0_19identity_decomposerENS1_16block_id_wrapperIjLb1EEEEE10hipError_tT1_PNSt15iterator_traitsISK_E10value_typeET2_T3_PNSL_ISQ_E10value_typeET4_T5_PSV_SW_PNS1_23onesweep_lookback_stateEbbT6_jjT7_P12ihipStream_tbENKUlT_T0_SK_SP_E_clIPiSE_SF_SF_EEDaS13_S14_SK_SP_EUlS13_E_NS1_11comp_targetILNS1_3genE4ELNS1_11target_archE910ELNS1_3gpuE8ELNS1_3repE0EEENS1_47radix_sort_onesweep_sort_config_static_selectorELNS0_4arch9wavefront6targetE0EEEvSK_, .Lfunc_end358-_ZN7rocprim17ROCPRIM_400000_NS6detail17trampoline_kernelINS0_14default_configENS1_35radix_sort_onesweep_config_selectorIiNS0_10empty_typeEEEZZNS1_29radix_sort_onesweep_iterationIS3_Lb1EN6thrust23THRUST_200600_302600_NS6detail15normal_iteratorINS9_10device_ptrIiEEEESE_PS5_SF_jNS0_19identity_decomposerENS1_16block_id_wrapperIjLb1EEEEE10hipError_tT1_PNSt15iterator_traitsISK_E10value_typeET2_T3_PNSL_ISQ_E10value_typeET4_T5_PSV_SW_PNS1_23onesweep_lookback_stateEbbT6_jjT7_P12ihipStream_tbENKUlT_T0_SK_SP_E_clIPiSE_SF_SF_EEDaS13_S14_SK_SP_EUlS13_E_NS1_11comp_targetILNS1_3genE4ELNS1_11target_archE910ELNS1_3gpuE8ELNS1_3repE0EEENS1_47radix_sort_onesweep_sort_config_static_selectorELNS0_4arch9wavefront6targetE0EEEvSK_
                                        ; -- End function
	.set _ZN7rocprim17ROCPRIM_400000_NS6detail17trampoline_kernelINS0_14default_configENS1_35radix_sort_onesweep_config_selectorIiNS0_10empty_typeEEEZZNS1_29radix_sort_onesweep_iterationIS3_Lb1EN6thrust23THRUST_200600_302600_NS6detail15normal_iteratorINS9_10device_ptrIiEEEESE_PS5_SF_jNS0_19identity_decomposerENS1_16block_id_wrapperIjLb1EEEEE10hipError_tT1_PNSt15iterator_traitsISK_E10value_typeET2_T3_PNSL_ISQ_E10value_typeET4_T5_PSV_SW_PNS1_23onesweep_lookback_stateEbbT6_jjT7_P12ihipStream_tbENKUlT_T0_SK_SP_E_clIPiSE_SF_SF_EEDaS13_S14_SK_SP_EUlS13_E_NS1_11comp_targetILNS1_3genE4ELNS1_11target_archE910ELNS1_3gpuE8ELNS1_3repE0EEENS1_47radix_sort_onesweep_sort_config_static_selectorELNS0_4arch9wavefront6targetE0EEEvSK_.num_vgpr, 0
	.set _ZN7rocprim17ROCPRIM_400000_NS6detail17trampoline_kernelINS0_14default_configENS1_35radix_sort_onesweep_config_selectorIiNS0_10empty_typeEEEZZNS1_29radix_sort_onesweep_iterationIS3_Lb1EN6thrust23THRUST_200600_302600_NS6detail15normal_iteratorINS9_10device_ptrIiEEEESE_PS5_SF_jNS0_19identity_decomposerENS1_16block_id_wrapperIjLb1EEEEE10hipError_tT1_PNSt15iterator_traitsISK_E10value_typeET2_T3_PNSL_ISQ_E10value_typeET4_T5_PSV_SW_PNS1_23onesweep_lookback_stateEbbT6_jjT7_P12ihipStream_tbENKUlT_T0_SK_SP_E_clIPiSE_SF_SF_EEDaS13_S14_SK_SP_EUlS13_E_NS1_11comp_targetILNS1_3genE4ELNS1_11target_archE910ELNS1_3gpuE8ELNS1_3repE0EEENS1_47radix_sort_onesweep_sort_config_static_selectorELNS0_4arch9wavefront6targetE0EEEvSK_.num_agpr, 0
	.set _ZN7rocprim17ROCPRIM_400000_NS6detail17trampoline_kernelINS0_14default_configENS1_35radix_sort_onesweep_config_selectorIiNS0_10empty_typeEEEZZNS1_29radix_sort_onesweep_iterationIS3_Lb1EN6thrust23THRUST_200600_302600_NS6detail15normal_iteratorINS9_10device_ptrIiEEEESE_PS5_SF_jNS0_19identity_decomposerENS1_16block_id_wrapperIjLb1EEEEE10hipError_tT1_PNSt15iterator_traitsISK_E10value_typeET2_T3_PNSL_ISQ_E10value_typeET4_T5_PSV_SW_PNS1_23onesweep_lookback_stateEbbT6_jjT7_P12ihipStream_tbENKUlT_T0_SK_SP_E_clIPiSE_SF_SF_EEDaS13_S14_SK_SP_EUlS13_E_NS1_11comp_targetILNS1_3genE4ELNS1_11target_archE910ELNS1_3gpuE8ELNS1_3repE0EEENS1_47radix_sort_onesweep_sort_config_static_selectorELNS0_4arch9wavefront6targetE0EEEvSK_.numbered_sgpr, 0
	.set _ZN7rocprim17ROCPRIM_400000_NS6detail17trampoline_kernelINS0_14default_configENS1_35radix_sort_onesweep_config_selectorIiNS0_10empty_typeEEEZZNS1_29radix_sort_onesweep_iterationIS3_Lb1EN6thrust23THRUST_200600_302600_NS6detail15normal_iteratorINS9_10device_ptrIiEEEESE_PS5_SF_jNS0_19identity_decomposerENS1_16block_id_wrapperIjLb1EEEEE10hipError_tT1_PNSt15iterator_traitsISK_E10value_typeET2_T3_PNSL_ISQ_E10value_typeET4_T5_PSV_SW_PNS1_23onesweep_lookback_stateEbbT6_jjT7_P12ihipStream_tbENKUlT_T0_SK_SP_E_clIPiSE_SF_SF_EEDaS13_S14_SK_SP_EUlS13_E_NS1_11comp_targetILNS1_3genE4ELNS1_11target_archE910ELNS1_3gpuE8ELNS1_3repE0EEENS1_47radix_sort_onesweep_sort_config_static_selectorELNS0_4arch9wavefront6targetE0EEEvSK_.num_named_barrier, 0
	.set _ZN7rocprim17ROCPRIM_400000_NS6detail17trampoline_kernelINS0_14default_configENS1_35radix_sort_onesweep_config_selectorIiNS0_10empty_typeEEEZZNS1_29radix_sort_onesweep_iterationIS3_Lb1EN6thrust23THRUST_200600_302600_NS6detail15normal_iteratorINS9_10device_ptrIiEEEESE_PS5_SF_jNS0_19identity_decomposerENS1_16block_id_wrapperIjLb1EEEEE10hipError_tT1_PNSt15iterator_traitsISK_E10value_typeET2_T3_PNSL_ISQ_E10value_typeET4_T5_PSV_SW_PNS1_23onesweep_lookback_stateEbbT6_jjT7_P12ihipStream_tbENKUlT_T0_SK_SP_E_clIPiSE_SF_SF_EEDaS13_S14_SK_SP_EUlS13_E_NS1_11comp_targetILNS1_3genE4ELNS1_11target_archE910ELNS1_3gpuE8ELNS1_3repE0EEENS1_47radix_sort_onesweep_sort_config_static_selectorELNS0_4arch9wavefront6targetE0EEEvSK_.private_seg_size, 0
	.set _ZN7rocprim17ROCPRIM_400000_NS6detail17trampoline_kernelINS0_14default_configENS1_35radix_sort_onesweep_config_selectorIiNS0_10empty_typeEEEZZNS1_29radix_sort_onesweep_iterationIS3_Lb1EN6thrust23THRUST_200600_302600_NS6detail15normal_iteratorINS9_10device_ptrIiEEEESE_PS5_SF_jNS0_19identity_decomposerENS1_16block_id_wrapperIjLb1EEEEE10hipError_tT1_PNSt15iterator_traitsISK_E10value_typeET2_T3_PNSL_ISQ_E10value_typeET4_T5_PSV_SW_PNS1_23onesweep_lookback_stateEbbT6_jjT7_P12ihipStream_tbENKUlT_T0_SK_SP_E_clIPiSE_SF_SF_EEDaS13_S14_SK_SP_EUlS13_E_NS1_11comp_targetILNS1_3genE4ELNS1_11target_archE910ELNS1_3gpuE8ELNS1_3repE0EEENS1_47radix_sort_onesweep_sort_config_static_selectorELNS0_4arch9wavefront6targetE0EEEvSK_.uses_vcc, 0
	.set _ZN7rocprim17ROCPRIM_400000_NS6detail17trampoline_kernelINS0_14default_configENS1_35radix_sort_onesweep_config_selectorIiNS0_10empty_typeEEEZZNS1_29radix_sort_onesweep_iterationIS3_Lb1EN6thrust23THRUST_200600_302600_NS6detail15normal_iteratorINS9_10device_ptrIiEEEESE_PS5_SF_jNS0_19identity_decomposerENS1_16block_id_wrapperIjLb1EEEEE10hipError_tT1_PNSt15iterator_traitsISK_E10value_typeET2_T3_PNSL_ISQ_E10value_typeET4_T5_PSV_SW_PNS1_23onesweep_lookback_stateEbbT6_jjT7_P12ihipStream_tbENKUlT_T0_SK_SP_E_clIPiSE_SF_SF_EEDaS13_S14_SK_SP_EUlS13_E_NS1_11comp_targetILNS1_3genE4ELNS1_11target_archE910ELNS1_3gpuE8ELNS1_3repE0EEENS1_47radix_sort_onesweep_sort_config_static_selectorELNS0_4arch9wavefront6targetE0EEEvSK_.uses_flat_scratch, 0
	.set _ZN7rocprim17ROCPRIM_400000_NS6detail17trampoline_kernelINS0_14default_configENS1_35radix_sort_onesweep_config_selectorIiNS0_10empty_typeEEEZZNS1_29radix_sort_onesweep_iterationIS3_Lb1EN6thrust23THRUST_200600_302600_NS6detail15normal_iteratorINS9_10device_ptrIiEEEESE_PS5_SF_jNS0_19identity_decomposerENS1_16block_id_wrapperIjLb1EEEEE10hipError_tT1_PNSt15iterator_traitsISK_E10value_typeET2_T3_PNSL_ISQ_E10value_typeET4_T5_PSV_SW_PNS1_23onesweep_lookback_stateEbbT6_jjT7_P12ihipStream_tbENKUlT_T0_SK_SP_E_clIPiSE_SF_SF_EEDaS13_S14_SK_SP_EUlS13_E_NS1_11comp_targetILNS1_3genE4ELNS1_11target_archE910ELNS1_3gpuE8ELNS1_3repE0EEENS1_47radix_sort_onesweep_sort_config_static_selectorELNS0_4arch9wavefront6targetE0EEEvSK_.has_dyn_sized_stack, 0
	.set _ZN7rocprim17ROCPRIM_400000_NS6detail17trampoline_kernelINS0_14default_configENS1_35radix_sort_onesweep_config_selectorIiNS0_10empty_typeEEEZZNS1_29radix_sort_onesweep_iterationIS3_Lb1EN6thrust23THRUST_200600_302600_NS6detail15normal_iteratorINS9_10device_ptrIiEEEESE_PS5_SF_jNS0_19identity_decomposerENS1_16block_id_wrapperIjLb1EEEEE10hipError_tT1_PNSt15iterator_traitsISK_E10value_typeET2_T3_PNSL_ISQ_E10value_typeET4_T5_PSV_SW_PNS1_23onesweep_lookback_stateEbbT6_jjT7_P12ihipStream_tbENKUlT_T0_SK_SP_E_clIPiSE_SF_SF_EEDaS13_S14_SK_SP_EUlS13_E_NS1_11comp_targetILNS1_3genE4ELNS1_11target_archE910ELNS1_3gpuE8ELNS1_3repE0EEENS1_47radix_sort_onesweep_sort_config_static_selectorELNS0_4arch9wavefront6targetE0EEEvSK_.has_recursion, 0
	.set _ZN7rocprim17ROCPRIM_400000_NS6detail17trampoline_kernelINS0_14default_configENS1_35radix_sort_onesweep_config_selectorIiNS0_10empty_typeEEEZZNS1_29radix_sort_onesweep_iterationIS3_Lb1EN6thrust23THRUST_200600_302600_NS6detail15normal_iteratorINS9_10device_ptrIiEEEESE_PS5_SF_jNS0_19identity_decomposerENS1_16block_id_wrapperIjLb1EEEEE10hipError_tT1_PNSt15iterator_traitsISK_E10value_typeET2_T3_PNSL_ISQ_E10value_typeET4_T5_PSV_SW_PNS1_23onesweep_lookback_stateEbbT6_jjT7_P12ihipStream_tbENKUlT_T0_SK_SP_E_clIPiSE_SF_SF_EEDaS13_S14_SK_SP_EUlS13_E_NS1_11comp_targetILNS1_3genE4ELNS1_11target_archE910ELNS1_3gpuE8ELNS1_3repE0EEENS1_47radix_sort_onesweep_sort_config_static_selectorELNS0_4arch9wavefront6targetE0EEEvSK_.has_indirect_call, 0
	.section	.AMDGPU.csdata,"",@progbits
; Kernel info:
; codeLenInByte = 0
; TotalNumSgprs: 0
; NumVgprs: 0
; ScratchSize: 0
; MemoryBound: 0
; FloatMode: 240
; IeeeMode: 1
; LDSByteSize: 0 bytes/workgroup (compile time only)
; SGPRBlocks: 0
; VGPRBlocks: 0
; NumSGPRsForWavesPerEU: 1
; NumVGPRsForWavesPerEU: 1
; Occupancy: 16
; WaveLimiterHint : 0
; COMPUTE_PGM_RSRC2:SCRATCH_EN: 0
; COMPUTE_PGM_RSRC2:USER_SGPR: 6
; COMPUTE_PGM_RSRC2:TRAP_HANDLER: 0
; COMPUTE_PGM_RSRC2:TGID_X_EN: 1
; COMPUTE_PGM_RSRC2:TGID_Y_EN: 0
; COMPUTE_PGM_RSRC2:TGID_Z_EN: 0
; COMPUTE_PGM_RSRC2:TIDIG_COMP_CNT: 0
	.section	.text._ZN7rocprim17ROCPRIM_400000_NS6detail17trampoline_kernelINS0_14default_configENS1_35radix_sort_onesweep_config_selectorIiNS0_10empty_typeEEEZZNS1_29radix_sort_onesweep_iterationIS3_Lb1EN6thrust23THRUST_200600_302600_NS6detail15normal_iteratorINS9_10device_ptrIiEEEESE_PS5_SF_jNS0_19identity_decomposerENS1_16block_id_wrapperIjLb1EEEEE10hipError_tT1_PNSt15iterator_traitsISK_E10value_typeET2_T3_PNSL_ISQ_E10value_typeET4_T5_PSV_SW_PNS1_23onesweep_lookback_stateEbbT6_jjT7_P12ihipStream_tbENKUlT_T0_SK_SP_E_clIPiSE_SF_SF_EEDaS13_S14_SK_SP_EUlS13_E_NS1_11comp_targetILNS1_3genE3ELNS1_11target_archE908ELNS1_3gpuE7ELNS1_3repE0EEENS1_47radix_sort_onesweep_sort_config_static_selectorELNS0_4arch9wavefront6targetE0EEEvSK_,"axG",@progbits,_ZN7rocprim17ROCPRIM_400000_NS6detail17trampoline_kernelINS0_14default_configENS1_35radix_sort_onesweep_config_selectorIiNS0_10empty_typeEEEZZNS1_29radix_sort_onesweep_iterationIS3_Lb1EN6thrust23THRUST_200600_302600_NS6detail15normal_iteratorINS9_10device_ptrIiEEEESE_PS5_SF_jNS0_19identity_decomposerENS1_16block_id_wrapperIjLb1EEEEE10hipError_tT1_PNSt15iterator_traitsISK_E10value_typeET2_T3_PNSL_ISQ_E10value_typeET4_T5_PSV_SW_PNS1_23onesweep_lookback_stateEbbT6_jjT7_P12ihipStream_tbENKUlT_T0_SK_SP_E_clIPiSE_SF_SF_EEDaS13_S14_SK_SP_EUlS13_E_NS1_11comp_targetILNS1_3genE3ELNS1_11target_archE908ELNS1_3gpuE7ELNS1_3repE0EEENS1_47radix_sort_onesweep_sort_config_static_selectorELNS0_4arch9wavefront6targetE0EEEvSK_,comdat
	.protected	_ZN7rocprim17ROCPRIM_400000_NS6detail17trampoline_kernelINS0_14default_configENS1_35radix_sort_onesweep_config_selectorIiNS0_10empty_typeEEEZZNS1_29radix_sort_onesweep_iterationIS3_Lb1EN6thrust23THRUST_200600_302600_NS6detail15normal_iteratorINS9_10device_ptrIiEEEESE_PS5_SF_jNS0_19identity_decomposerENS1_16block_id_wrapperIjLb1EEEEE10hipError_tT1_PNSt15iterator_traitsISK_E10value_typeET2_T3_PNSL_ISQ_E10value_typeET4_T5_PSV_SW_PNS1_23onesweep_lookback_stateEbbT6_jjT7_P12ihipStream_tbENKUlT_T0_SK_SP_E_clIPiSE_SF_SF_EEDaS13_S14_SK_SP_EUlS13_E_NS1_11comp_targetILNS1_3genE3ELNS1_11target_archE908ELNS1_3gpuE7ELNS1_3repE0EEENS1_47radix_sort_onesweep_sort_config_static_selectorELNS0_4arch9wavefront6targetE0EEEvSK_ ; -- Begin function _ZN7rocprim17ROCPRIM_400000_NS6detail17trampoline_kernelINS0_14default_configENS1_35radix_sort_onesweep_config_selectorIiNS0_10empty_typeEEEZZNS1_29radix_sort_onesweep_iterationIS3_Lb1EN6thrust23THRUST_200600_302600_NS6detail15normal_iteratorINS9_10device_ptrIiEEEESE_PS5_SF_jNS0_19identity_decomposerENS1_16block_id_wrapperIjLb1EEEEE10hipError_tT1_PNSt15iterator_traitsISK_E10value_typeET2_T3_PNSL_ISQ_E10value_typeET4_T5_PSV_SW_PNS1_23onesweep_lookback_stateEbbT6_jjT7_P12ihipStream_tbENKUlT_T0_SK_SP_E_clIPiSE_SF_SF_EEDaS13_S14_SK_SP_EUlS13_E_NS1_11comp_targetILNS1_3genE3ELNS1_11target_archE908ELNS1_3gpuE7ELNS1_3repE0EEENS1_47radix_sort_onesweep_sort_config_static_selectorELNS0_4arch9wavefront6targetE0EEEvSK_
	.globl	_ZN7rocprim17ROCPRIM_400000_NS6detail17trampoline_kernelINS0_14default_configENS1_35radix_sort_onesweep_config_selectorIiNS0_10empty_typeEEEZZNS1_29radix_sort_onesweep_iterationIS3_Lb1EN6thrust23THRUST_200600_302600_NS6detail15normal_iteratorINS9_10device_ptrIiEEEESE_PS5_SF_jNS0_19identity_decomposerENS1_16block_id_wrapperIjLb1EEEEE10hipError_tT1_PNSt15iterator_traitsISK_E10value_typeET2_T3_PNSL_ISQ_E10value_typeET4_T5_PSV_SW_PNS1_23onesweep_lookback_stateEbbT6_jjT7_P12ihipStream_tbENKUlT_T0_SK_SP_E_clIPiSE_SF_SF_EEDaS13_S14_SK_SP_EUlS13_E_NS1_11comp_targetILNS1_3genE3ELNS1_11target_archE908ELNS1_3gpuE7ELNS1_3repE0EEENS1_47radix_sort_onesweep_sort_config_static_selectorELNS0_4arch9wavefront6targetE0EEEvSK_
	.p2align	8
	.type	_ZN7rocprim17ROCPRIM_400000_NS6detail17trampoline_kernelINS0_14default_configENS1_35radix_sort_onesweep_config_selectorIiNS0_10empty_typeEEEZZNS1_29radix_sort_onesweep_iterationIS3_Lb1EN6thrust23THRUST_200600_302600_NS6detail15normal_iteratorINS9_10device_ptrIiEEEESE_PS5_SF_jNS0_19identity_decomposerENS1_16block_id_wrapperIjLb1EEEEE10hipError_tT1_PNSt15iterator_traitsISK_E10value_typeET2_T3_PNSL_ISQ_E10value_typeET4_T5_PSV_SW_PNS1_23onesweep_lookback_stateEbbT6_jjT7_P12ihipStream_tbENKUlT_T0_SK_SP_E_clIPiSE_SF_SF_EEDaS13_S14_SK_SP_EUlS13_E_NS1_11comp_targetILNS1_3genE3ELNS1_11target_archE908ELNS1_3gpuE7ELNS1_3repE0EEENS1_47radix_sort_onesweep_sort_config_static_selectorELNS0_4arch9wavefront6targetE0EEEvSK_,@function
_ZN7rocprim17ROCPRIM_400000_NS6detail17trampoline_kernelINS0_14default_configENS1_35radix_sort_onesweep_config_selectorIiNS0_10empty_typeEEEZZNS1_29radix_sort_onesweep_iterationIS3_Lb1EN6thrust23THRUST_200600_302600_NS6detail15normal_iteratorINS9_10device_ptrIiEEEESE_PS5_SF_jNS0_19identity_decomposerENS1_16block_id_wrapperIjLb1EEEEE10hipError_tT1_PNSt15iterator_traitsISK_E10value_typeET2_T3_PNSL_ISQ_E10value_typeET4_T5_PSV_SW_PNS1_23onesweep_lookback_stateEbbT6_jjT7_P12ihipStream_tbENKUlT_T0_SK_SP_E_clIPiSE_SF_SF_EEDaS13_S14_SK_SP_EUlS13_E_NS1_11comp_targetILNS1_3genE3ELNS1_11target_archE908ELNS1_3gpuE7ELNS1_3repE0EEENS1_47radix_sort_onesweep_sort_config_static_selectorELNS0_4arch9wavefront6targetE0EEEvSK_: ; @_ZN7rocprim17ROCPRIM_400000_NS6detail17trampoline_kernelINS0_14default_configENS1_35radix_sort_onesweep_config_selectorIiNS0_10empty_typeEEEZZNS1_29radix_sort_onesweep_iterationIS3_Lb1EN6thrust23THRUST_200600_302600_NS6detail15normal_iteratorINS9_10device_ptrIiEEEESE_PS5_SF_jNS0_19identity_decomposerENS1_16block_id_wrapperIjLb1EEEEE10hipError_tT1_PNSt15iterator_traitsISK_E10value_typeET2_T3_PNSL_ISQ_E10value_typeET4_T5_PSV_SW_PNS1_23onesweep_lookback_stateEbbT6_jjT7_P12ihipStream_tbENKUlT_T0_SK_SP_E_clIPiSE_SF_SF_EEDaS13_S14_SK_SP_EUlS13_E_NS1_11comp_targetILNS1_3genE3ELNS1_11target_archE908ELNS1_3gpuE7ELNS1_3repE0EEENS1_47radix_sort_onesweep_sort_config_static_selectorELNS0_4arch9wavefront6targetE0EEEvSK_
; %bb.0:
	.section	.rodata,"a",@progbits
	.p2align	6, 0x0
	.amdhsa_kernel _ZN7rocprim17ROCPRIM_400000_NS6detail17trampoline_kernelINS0_14default_configENS1_35radix_sort_onesweep_config_selectorIiNS0_10empty_typeEEEZZNS1_29radix_sort_onesweep_iterationIS3_Lb1EN6thrust23THRUST_200600_302600_NS6detail15normal_iteratorINS9_10device_ptrIiEEEESE_PS5_SF_jNS0_19identity_decomposerENS1_16block_id_wrapperIjLb1EEEEE10hipError_tT1_PNSt15iterator_traitsISK_E10value_typeET2_T3_PNSL_ISQ_E10value_typeET4_T5_PSV_SW_PNS1_23onesweep_lookback_stateEbbT6_jjT7_P12ihipStream_tbENKUlT_T0_SK_SP_E_clIPiSE_SF_SF_EEDaS13_S14_SK_SP_EUlS13_E_NS1_11comp_targetILNS1_3genE3ELNS1_11target_archE908ELNS1_3gpuE7ELNS1_3repE0EEENS1_47radix_sort_onesweep_sort_config_static_selectorELNS0_4arch9wavefront6targetE0EEEvSK_
		.amdhsa_group_segment_fixed_size 0
		.amdhsa_private_segment_fixed_size 0
		.amdhsa_kernarg_size 88
		.amdhsa_user_sgpr_count 6
		.amdhsa_user_sgpr_private_segment_buffer 1
		.amdhsa_user_sgpr_dispatch_ptr 0
		.amdhsa_user_sgpr_queue_ptr 0
		.amdhsa_user_sgpr_kernarg_segment_ptr 1
		.amdhsa_user_sgpr_dispatch_id 0
		.amdhsa_user_sgpr_flat_scratch_init 0
		.amdhsa_user_sgpr_private_segment_size 0
		.amdhsa_wavefront_size32 1
		.amdhsa_uses_dynamic_stack 0
		.amdhsa_system_sgpr_private_segment_wavefront_offset 0
		.amdhsa_system_sgpr_workgroup_id_x 1
		.amdhsa_system_sgpr_workgroup_id_y 0
		.amdhsa_system_sgpr_workgroup_id_z 0
		.amdhsa_system_sgpr_workgroup_info 0
		.amdhsa_system_vgpr_workitem_id 0
		.amdhsa_next_free_vgpr 1
		.amdhsa_next_free_sgpr 1
		.amdhsa_reserve_vcc 0
		.amdhsa_reserve_flat_scratch 0
		.amdhsa_float_round_mode_32 0
		.amdhsa_float_round_mode_16_64 0
		.amdhsa_float_denorm_mode_32 3
		.amdhsa_float_denorm_mode_16_64 3
		.amdhsa_dx10_clamp 1
		.amdhsa_ieee_mode 1
		.amdhsa_fp16_overflow 0
		.amdhsa_workgroup_processor_mode 1
		.amdhsa_memory_ordered 1
		.amdhsa_forward_progress 1
		.amdhsa_shared_vgpr_count 0
		.amdhsa_exception_fp_ieee_invalid_op 0
		.amdhsa_exception_fp_denorm_src 0
		.amdhsa_exception_fp_ieee_div_zero 0
		.amdhsa_exception_fp_ieee_overflow 0
		.amdhsa_exception_fp_ieee_underflow 0
		.amdhsa_exception_fp_ieee_inexact 0
		.amdhsa_exception_int_div_zero 0
	.end_amdhsa_kernel
	.section	.text._ZN7rocprim17ROCPRIM_400000_NS6detail17trampoline_kernelINS0_14default_configENS1_35radix_sort_onesweep_config_selectorIiNS0_10empty_typeEEEZZNS1_29radix_sort_onesweep_iterationIS3_Lb1EN6thrust23THRUST_200600_302600_NS6detail15normal_iteratorINS9_10device_ptrIiEEEESE_PS5_SF_jNS0_19identity_decomposerENS1_16block_id_wrapperIjLb1EEEEE10hipError_tT1_PNSt15iterator_traitsISK_E10value_typeET2_T3_PNSL_ISQ_E10value_typeET4_T5_PSV_SW_PNS1_23onesweep_lookback_stateEbbT6_jjT7_P12ihipStream_tbENKUlT_T0_SK_SP_E_clIPiSE_SF_SF_EEDaS13_S14_SK_SP_EUlS13_E_NS1_11comp_targetILNS1_3genE3ELNS1_11target_archE908ELNS1_3gpuE7ELNS1_3repE0EEENS1_47radix_sort_onesweep_sort_config_static_selectorELNS0_4arch9wavefront6targetE0EEEvSK_,"axG",@progbits,_ZN7rocprim17ROCPRIM_400000_NS6detail17trampoline_kernelINS0_14default_configENS1_35radix_sort_onesweep_config_selectorIiNS0_10empty_typeEEEZZNS1_29radix_sort_onesweep_iterationIS3_Lb1EN6thrust23THRUST_200600_302600_NS6detail15normal_iteratorINS9_10device_ptrIiEEEESE_PS5_SF_jNS0_19identity_decomposerENS1_16block_id_wrapperIjLb1EEEEE10hipError_tT1_PNSt15iterator_traitsISK_E10value_typeET2_T3_PNSL_ISQ_E10value_typeET4_T5_PSV_SW_PNS1_23onesweep_lookback_stateEbbT6_jjT7_P12ihipStream_tbENKUlT_T0_SK_SP_E_clIPiSE_SF_SF_EEDaS13_S14_SK_SP_EUlS13_E_NS1_11comp_targetILNS1_3genE3ELNS1_11target_archE908ELNS1_3gpuE7ELNS1_3repE0EEENS1_47radix_sort_onesweep_sort_config_static_selectorELNS0_4arch9wavefront6targetE0EEEvSK_,comdat
.Lfunc_end359:
	.size	_ZN7rocprim17ROCPRIM_400000_NS6detail17trampoline_kernelINS0_14default_configENS1_35radix_sort_onesweep_config_selectorIiNS0_10empty_typeEEEZZNS1_29radix_sort_onesweep_iterationIS3_Lb1EN6thrust23THRUST_200600_302600_NS6detail15normal_iteratorINS9_10device_ptrIiEEEESE_PS5_SF_jNS0_19identity_decomposerENS1_16block_id_wrapperIjLb1EEEEE10hipError_tT1_PNSt15iterator_traitsISK_E10value_typeET2_T3_PNSL_ISQ_E10value_typeET4_T5_PSV_SW_PNS1_23onesweep_lookback_stateEbbT6_jjT7_P12ihipStream_tbENKUlT_T0_SK_SP_E_clIPiSE_SF_SF_EEDaS13_S14_SK_SP_EUlS13_E_NS1_11comp_targetILNS1_3genE3ELNS1_11target_archE908ELNS1_3gpuE7ELNS1_3repE0EEENS1_47radix_sort_onesweep_sort_config_static_selectorELNS0_4arch9wavefront6targetE0EEEvSK_, .Lfunc_end359-_ZN7rocprim17ROCPRIM_400000_NS6detail17trampoline_kernelINS0_14default_configENS1_35radix_sort_onesweep_config_selectorIiNS0_10empty_typeEEEZZNS1_29radix_sort_onesweep_iterationIS3_Lb1EN6thrust23THRUST_200600_302600_NS6detail15normal_iteratorINS9_10device_ptrIiEEEESE_PS5_SF_jNS0_19identity_decomposerENS1_16block_id_wrapperIjLb1EEEEE10hipError_tT1_PNSt15iterator_traitsISK_E10value_typeET2_T3_PNSL_ISQ_E10value_typeET4_T5_PSV_SW_PNS1_23onesweep_lookback_stateEbbT6_jjT7_P12ihipStream_tbENKUlT_T0_SK_SP_E_clIPiSE_SF_SF_EEDaS13_S14_SK_SP_EUlS13_E_NS1_11comp_targetILNS1_3genE3ELNS1_11target_archE908ELNS1_3gpuE7ELNS1_3repE0EEENS1_47radix_sort_onesweep_sort_config_static_selectorELNS0_4arch9wavefront6targetE0EEEvSK_
                                        ; -- End function
	.set _ZN7rocprim17ROCPRIM_400000_NS6detail17trampoline_kernelINS0_14default_configENS1_35radix_sort_onesweep_config_selectorIiNS0_10empty_typeEEEZZNS1_29radix_sort_onesweep_iterationIS3_Lb1EN6thrust23THRUST_200600_302600_NS6detail15normal_iteratorINS9_10device_ptrIiEEEESE_PS5_SF_jNS0_19identity_decomposerENS1_16block_id_wrapperIjLb1EEEEE10hipError_tT1_PNSt15iterator_traitsISK_E10value_typeET2_T3_PNSL_ISQ_E10value_typeET4_T5_PSV_SW_PNS1_23onesweep_lookback_stateEbbT6_jjT7_P12ihipStream_tbENKUlT_T0_SK_SP_E_clIPiSE_SF_SF_EEDaS13_S14_SK_SP_EUlS13_E_NS1_11comp_targetILNS1_3genE3ELNS1_11target_archE908ELNS1_3gpuE7ELNS1_3repE0EEENS1_47radix_sort_onesweep_sort_config_static_selectorELNS0_4arch9wavefront6targetE0EEEvSK_.num_vgpr, 0
	.set _ZN7rocprim17ROCPRIM_400000_NS6detail17trampoline_kernelINS0_14default_configENS1_35radix_sort_onesweep_config_selectorIiNS0_10empty_typeEEEZZNS1_29radix_sort_onesweep_iterationIS3_Lb1EN6thrust23THRUST_200600_302600_NS6detail15normal_iteratorINS9_10device_ptrIiEEEESE_PS5_SF_jNS0_19identity_decomposerENS1_16block_id_wrapperIjLb1EEEEE10hipError_tT1_PNSt15iterator_traitsISK_E10value_typeET2_T3_PNSL_ISQ_E10value_typeET4_T5_PSV_SW_PNS1_23onesweep_lookback_stateEbbT6_jjT7_P12ihipStream_tbENKUlT_T0_SK_SP_E_clIPiSE_SF_SF_EEDaS13_S14_SK_SP_EUlS13_E_NS1_11comp_targetILNS1_3genE3ELNS1_11target_archE908ELNS1_3gpuE7ELNS1_3repE0EEENS1_47radix_sort_onesweep_sort_config_static_selectorELNS0_4arch9wavefront6targetE0EEEvSK_.num_agpr, 0
	.set _ZN7rocprim17ROCPRIM_400000_NS6detail17trampoline_kernelINS0_14default_configENS1_35radix_sort_onesweep_config_selectorIiNS0_10empty_typeEEEZZNS1_29radix_sort_onesweep_iterationIS3_Lb1EN6thrust23THRUST_200600_302600_NS6detail15normal_iteratorINS9_10device_ptrIiEEEESE_PS5_SF_jNS0_19identity_decomposerENS1_16block_id_wrapperIjLb1EEEEE10hipError_tT1_PNSt15iterator_traitsISK_E10value_typeET2_T3_PNSL_ISQ_E10value_typeET4_T5_PSV_SW_PNS1_23onesweep_lookback_stateEbbT6_jjT7_P12ihipStream_tbENKUlT_T0_SK_SP_E_clIPiSE_SF_SF_EEDaS13_S14_SK_SP_EUlS13_E_NS1_11comp_targetILNS1_3genE3ELNS1_11target_archE908ELNS1_3gpuE7ELNS1_3repE0EEENS1_47radix_sort_onesweep_sort_config_static_selectorELNS0_4arch9wavefront6targetE0EEEvSK_.numbered_sgpr, 0
	.set _ZN7rocprim17ROCPRIM_400000_NS6detail17trampoline_kernelINS0_14default_configENS1_35radix_sort_onesweep_config_selectorIiNS0_10empty_typeEEEZZNS1_29radix_sort_onesweep_iterationIS3_Lb1EN6thrust23THRUST_200600_302600_NS6detail15normal_iteratorINS9_10device_ptrIiEEEESE_PS5_SF_jNS0_19identity_decomposerENS1_16block_id_wrapperIjLb1EEEEE10hipError_tT1_PNSt15iterator_traitsISK_E10value_typeET2_T3_PNSL_ISQ_E10value_typeET4_T5_PSV_SW_PNS1_23onesweep_lookback_stateEbbT6_jjT7_P12ihipStream_tbENKUlT_T0_SK_SP_E_clIPiSE_SF_SF_EEDaS13_S14_SK_SP_EUlS13_E_NS1_11comp_targetILNS1_3genE3ELNS1_11target_archE908ELNS1_3gpuE7ELNS1_3repE0EEENS1_47radix_sort_onesweep_sort_config_static_selectorELNS0_4arch9wavefront6targetE0EEEvSK_.num_named_barrier, 0
	.set _ZN7rocprim17ROCPRIM_400000_NS6detail17trampoline_kernelINS0_14default_configENS1_35radix_sort_onesweep_config_selectorIiNS0_10empty_typeEEEZZNS1_29radix_sort_onesweep_iterationIS3_Lb1EN6thrust23THRUST_200600_302600_NS6detail15normal_iteratorINS9_10device_ptrIiEEEESE_PS5_SF_jNS0_19identity_decomposerENS1_16block_id_wrapperIjLb1EEEEE10hipError_tT1_PNSt15iterator_traitsISK_E10value_typeET2_T3_PNSL_ISQ_E10value_typeET4_T5_PSV_SW_PNS1_23onesweep_lookback_stateEbbT6_jjT7_P12ihipStream_tbENKUlT_T0_SK_SP_E_clIPiSE_SF_SF_EEDaS13_S14_SK_SP_EUlS13_E_NS1_11comp_targetILNS1_3genE3ELNS1_11target_archE908ELNS1_3gpuE7ELNS1_3repE0EEENS1_47radix_sort_onesweep_sort_config_static_selectorELNS0_4arch9wavefront6targetE0EEEvSK_.private_seg_size, 0
	.set _ZN7rocprim17ROCPRIM_400000_NS6detail17trampoline_kernelINS0_14default_configENS1_35radix_sort_onesweep_config_selectorIiNS0_10empty_typeEEEZZNS1_29radix_sort_onesweep_iterationIS3_Lb1EN6thrust23THRUST_200600_302600_NS6detail15normal_iteratorINS9_10device_ptrIiEEEESE_PS5_SF_jNS0_19identity_decomposerENS1_16block_id_wrapperIjLb1EEEEE10hipError_tT1_PNSt15iterator_traitsISK_E10value_typeET2_T3_PNSL_ISQ_E10value_typeET4_T5_PSV_SW_PNS1_23onesweep_lookback_stateEbbT6_jjT7_P12ihipStream_tbENKUlT_T0_SK_SP_E_clIPiSE_SF_SF_EEDaS13_S14_SK_SP_EUlS13_E_NS1_11comp_targetILNS1_3genE3ELNS1_11target_archE908ELNS1_3gpuE7ELNS1_3repE0EEENS1_47radix_sort_onesweep_sort_config_static_selectorELNS0_4arch9wavefront6targetE0EEEvSK_.uses_vcc, 0
	.set _ZN7rocprim17ROCPRIM_400000_NS6detail17trampoline_kernelINS0_14default_configENS1_35radix_sort_onesweep_config_selectorIiNS0_10empty_typeEEEZZNS1_29radix_sort_onesweep_iterationIS3_Lb1EN6thrust23THRUST_200600_302600_NS6detail15normal_iteratorINS9_10device_ptrIiEEEESE_PS5_SF_jNS0_19identity_decomposerENS1_16block_id_wrapperIjLb1EEEEE10hipError_tT1_PNSt15iterator_traitsISK_E10value_typeET2_T3_PNSL_ISQ_E10value_typeET4_T5_PSV_SW_PNS1_23onesweep_lookback_stateEbbT6_jjT7_P12ihipStream_tbENKUlT_T0_SK_SP_E_clIPiSE_SF_SF_EEDaS13_S14_SK_SP_EUlS13_E_NS1_11comp_targetILNS1_3genE3ELNS1_11target_archE908ELNS1_3gpuE7ELNS1_3repE0EEENS1_47radix_sort_onesweep_sort_config_static_selectorELNS0_4arch9wavefront6targetE0EEEvSK_.uses_flat_scratch, 0
	.set _ZN7rocprim17ROCPRIM_400000_NS6detail17trampoline_kernelINS0_14default_configENS1_35radix_sort_onesweep_config_selectorIiNS0_10empty_typeEEEZZNS1_29radix_sort_onesweep_iterationIS3_Lb1EN6thrust23THRUST_200600_302600_NS6detail15normal_iteratorINS9_10device_ptrIiEEEESE_PS5_SF_jNS0_19identity_decomposerENS1_16block_id_wrapperIjLb1EEEEE10hipError_tT1_PNSt15iterator_traitsISK_E10value_typeET2_T3_PNSL_ISQ_E10value_typeET4_T5_PSV_SW_PNS1_23onesweep_lookback_stateEbbT6_jjT7_P12ihipStream_tbENKUlT_T0_SK_SP_E_clIPiSE_SF_SF_EEDaS13_S14_SK_SP_EUlS13_E_NS1_11comp_targetILNS1_3genE3ELNS1_11target_archE908ELNS1_3gpuE7ELNS1_3repE0EEENS1_47radix_sort_onesweep_sort_config_static_selectorELNS0_4arch9wavefront6targetE0EEEvSK_.has_dyn_sized_stack, 0
	.set _ZN7rocprim17ROCPRIM_400000_NS6detail17trampoline_kernelINS0_14default_configENS1_35radix_sort_onesweep_config_selectorIiNS0_10empty_typeEEEZZNS1_29radix_sort_onesweep_iterationIS3_Lb1EN6thrust23THRUST_200600_302600_NS6detail15normal_iteratorINS9_10device_ptrIiEEEESE_PS5_SF_jNS0_19identity_decomposerENS1_16block_id_wrapperIjLb1EEEEE10hipError_tT1_PNSt15iterator_traitsISK_E10value_typeET2_T3_PNSL_ISQ_E10value_typeET4_T5_PSV_SW_PNS1_23onesweep_lookback_stateEbbT6_jjT7_P12ihipStream_tbENKUlT_T0_SK_SP_E_clIPiSE_SF_SF_EEDaS13_S14_SK_SP_EUlS13_E_NS1_11comp_targetILNS1_3genE3ELNS1_11target_archE908ELNS1_3gpuE7ELNS1_3repE0EEENS1_47radix_sort_onesweep_sort_config_static_selectorELNS0_4arch9wavefront6targetE0EEEvSK_.has_recursion, 0
	.set _ZN7rocprim17ROCPRIM_400000_NS6detail17trampoline_kernelINS0_14default_configENS1_35radix_sort_onesweep_config_selectorIiNS0_10empty_typeEEEZZNS1_29radix_sort_onesweep_iterationIS3_Lb1EN6thrust23THRUST_200600_302600_NS6detail15normal_iteratorINS9_10device_ptrIiEEEESE_PS5_SF_jNS0_19identity_decomposerENS1_16block_id_wrapperIjLb1EEEEE10hipError_tT1_PNSt15iterator_traitsISK_E10value_typeET2_T3_PNSL_ISQ_E10value_typeET4_T5_PSV_SW_PNS1_23onesweep_lookback_stateEbbT6_jjT7_P12ihipStream_tbENKUlT_T0_SK_SP_E_clIPiSE_SF_SF_EEDaS13_S14_SK_SP_EUlS13_E_NS1_11comp_targetILNS1_3genE3ELNS1_11target_archE908ELNS1_3gpuE7ELNS1_3repE0EEENS1_47radix_sort_onesweep_sort_config_static_selectorELNS0_4arch9wavefront6targetE0EEEvSK_.has_indirect_call, 0
	.section	.AMDGPU.csdata,"",@progbits
; Kernel info:
; codeLenInByte = 0
; TotalNumSgprs: 0
; NumVgprs: 0
; ScratchSize: 0
; MemoryBound: 0
; FloatMode: 240
; IeeeMode: 1
; LDSByteSize: 0 bytes/workgroup (compile time only)
; SGPRBlocks: 0
; VGPRBlocks: 0
; NumSGPRsForWavesPerEU: 1
; NumVGPRsForWavesPerEU: 1
; Occupancy: 16
; WaveLimiterHint : 0
; COMPUTE_PGM_RSRC2:SCRATCH_EN: 0
; COMPUTE_PGM_RSRC2:USER_SGPR: 6
; COMPUTE_PGM_RSRC2:TRAP_HANDLER: 0
; COMPUTE_PGM_RSRC2:TGID_X_EN: 1
; COMPUTE_PGM_RSRC2:TGID_Y_EN: 0
; COMPUTE_PGM_RSRC2:TGID_Z_EN: 0
; COMPUTE_PGM_RSRC2:TIDIG_COMP_CNT: 0
	.section	.text._ZN7rocprim17ROCPRIM_400000_NS6detail17trampoline_kernelINS0_14default_configENS1_35radix_sort_onesweep_config_selectorIiNS0_10empty_typeEEEZZNS1_29radix_sort_onesweep_iterationIS3_Lb1EN6thrust23THRUST_200600_302600_NS6detail15normal_iteratorINS9_10device_ptrIiEEEESE_PS5_SF_jNS0_19identity_decomposerENS1_16block_id_wrapperIjLb1EEEEE10hipError_tT1_PNSt15iterator_traitsISK_E10value_typeET2_T3_PNSL_ISQ_E10value_typeET4_T5_PSV_SW_PNS1_23onesweep_lookback_stateEbbT6_jjT7_P12ihipStream_tbENKUlT_T0_SK_SP_E_clIPiSE_SF_SF_EEDaS13_S14_SK_SP_EUlS13_E_NS1_11comp_targetILNS1_3genE10ELNS1_11target_archE1201ELNS1_3gpuE5ELNS1_3repE0EEENS1_47radix_sort_onesweep_sort_config_static_selectorELNS0_4arch9wavefront6targetE0EEEvSK_,"axG",@progbits,_ZN7rocprim17ROCPRIM_400000_NS6detail17trampoline_kernelINS0_14default_configENS1_35radix_sort_onesweep_config_selectorIiNS0_10empty_typeEEEZZNS1_29radix_sort_onesweep_iterationIS3_Lb1EN6thrust23THRUST_200600_302600_NS6detail15normal_iteratorINS9_10device_ptrIiEEEESE_PS5_SF_jNS0_19identity_decomposerENS1_16block_id_wrapperIjLb1EEEEE10hipError_tT1_PNSt15iterator_traitsISK_E10value_typeET2_T3_PNSL_ISQ_E10value_typeET4_T5_PSV_SW_PNS1_23onesweep_lookback_stateEbbT6_jjT7_P12ihipStream_tbENKUlT_T0_SK_SP_E_clIPiSE_SF_SF_EEDaS13_S14_SK_SP_EUlS13_E_NS1_11comp_targetILNS1_3genE10ELNS1_11target_archE1201ELNS1_3gpuE5ELNS1_3repE0EEENS1_47radix_sort_onesweep_sort_config_static_selectorELNS0_4arch9wavefront6targetE0EEEvSK_,comdat
	.protected	_ZN7rocprim17ROCPRIM_400000_NS6detail17trampoline_kernelINS0_14default_configENS1_35radix_sort_onesweep_config_selectorIiNS0_10empty_typeEEEZZNS1_29radix_sort_onesweep_iterationIS3_Lb1EN6thrust23THRUST_200600_302600_NS6detail15normal_iteratorINS9_10device_ptrIiEEEESE_PS5_SF_jNS0_19identity_decomposerENS1_16block_id_wrapperIjLb1EEEEE10hipError_tT1_PNSt15iterator_traitsISK_E10value_typeET2_T3_PNSL_ISQ_E10value_typeET4_T5_PSV_SW_PNS1_23onesweep_lookback_stateEbbT6_jjT7_P12ihipStream_tbENKUlT_T0_SK_SP_E_clIPiSE_SF_SF_EEDaS13_S14_SK_SP_EUlS13_E_NS1_11comp_targetILNS1_3genE10ELNS1_11target_archE1201ELNS1_3gpuE5ELNS1_3repE0EEENS1_47radix_sort_onesweep_sort_config_static_selectorELNS0_4arch9wavefront6targetE0EEEvSK_ ; -- Begin function _ZN7rocprim17ROCPRIM_400000_NS6detail17trampoline_kernelINS0_14default_configENS1_35radix_sort_onesweep_config_selectorIiNS0_10empty_typeEEEZZNS1_29radix_sort_onesweep_iterationIS3_Lb1EN6thrust23THRUST_200600_302600_NS6detail15normal_iteratorINS9_10device_ptrIiEEEESE_PS5_SF_jNS0_19identity_decomposerENS1_16block_id_wrapperIjLb1EEEEE10hipError_tT1_PNSt15iterator_traitsISK_E10value_typeET2_T3_PNSL_ISQ_E10value_typeET4_T5_PSV_SW_PNS1_23onesweep_lookback_stateEbbT6_jjT7_P12ihipStream_tbENKUlT_T0_SK_SP_E_clIPiSE_SF_SF_EEDaS13_S14_SK_SP_EUlS13_E_NS1_11comp_targetILNS1_3genE10ELNS1_11target_archE1201ELNS1_3gpuE5ELNS1_3repE0EEENS1_47radix_sort_onesweep_sort_config_static_selectorELNS0_4arch9wavefront6targetE0EEEvSK_
	.globl	_ZN7rocprim17ROCPRIM_400000_NS6detail17trampoline_kernelINS0_14default_configENS1_35radix_sort_onesweep_config_selectorIiNS0_10empty_typeEEEZZNS1_29radix_sort_onesweep_iterationIS3_Lb1EN6thrust23THRUST_200600_302600_NS6detail15normal_iteratorINS9_10device_ptrIiEEEESE_PS5_SF_jNS0_19identity_decomposerENS1_16block_id_wrapperIjLb1EEEEE10hipError_tT1_PNSt15iterator_traitsISK_E10value_typeET2_T3_PNSL_ISQ_E10value_typeET4_T5_PSV_SW_PNS1_23onesweep_lookback_stateEbbT6_jjT7_P12ihipStream_tbENKUlT_T0_SK_SP_E_clIPiSE_SF_SF_EEDaS13_S14_SK_SP_EUlS13_E_NS1_11comp_targetILNS1_3genE10ELNS1_11target_archE1201ELNS1_3gpuE5ELNS1_3repE0EEENS1_47radix_sort_onesweep_sort_config_static_selectorELNS0_4arch9wavefront6targetE0EEEvSK_
	.p2align	8
	.type	_ZN7rocprim17ROCPRIM_400000_NS6detail17trampoline_kernelINS0_14default_configENS1_35radix_sort_onesweep_config_selectorIiNS0_10empty_typeEEEZZNS1_29radix_sort_onesweep_iterationIS3_Lb1EN6thrust23THRUST_200600_302600_NS6detail15normal_iteratorINS9_10device_ptrIiEEEESE_PS5_SF_jNS0_19identity_decomposerENS1_16block_id_wrapperIjLb1EEEEE10hipError_tT1_PNSt15iterator_traitsISK_E10value_typeET2_T3_PNSL_ISQ_E10value_typeET4_T5_PSV_SW_PNS1_23onesweep_lookback_stateEbbT6_jjT7_P12ihipStream_tbENKUlT_T0_SK_SP_E_clIPiSE_SF_SF_EEDaS13_S14_SK_SP_EUlS13_E_NS1_11comp_targetILNS1_3genE10ELNS1_11target_archE1201ELNS1_3gpuE5ELNS1_3repE0EEENS1_47radix_sort_onesweep_sort_config_static_selectorELNS0_4arch9wavefront6targetE0EEEvSK_,@function
_ZN7rocprim17ROCPRIM_400000_NS6detail17trampoline_kernelINS0_14default_configENS1_35radix_sort_onesweep_config_selectorIiNS0_10empty_typeEEEZZNS1_29radix_sort_onesweep_iterationIS3_Lb1EN6thrust23THRUST_200600_302600_NS6detail15normal_iteratorINS9_10device_ptrIiEEEESE_PS5_SF_jNS0_19identity_decomposerENS1_16block_id_wrapperIjLb1EEEEE10hipError_tT1_PNSt15iterator_traitsISK_E10value_typeET2_T3_PNSL_ISQ_E10value_typeET4_T5_PSV_SW_PNS1_23onesweep_lookback_stateEbbT6_jjT7_P12ihipStream_tbENKUlT_T0_SK_SP_E_clIPiSE_SF_SF_EEDaS13_S14_SK_SP_EUlS13_E_NS1_11comp_targetILNS1_3genE10ELNS1_11target_archE1201ELNS1_3gpuE5ELNS1_3repE0EEENS1_47radix_sort_onesweep_sort_config_static_selectorELNS0_4arch9wavefront6targetE0EEEvSK_: ; @_ZN7rocprim17ROCPRIM_400000_NS6detail17trampoline_kernelINS0_14default_configENS1_35radix_sort_onesweep_config_selectorIiNS0_10empty_typeEEEZZNS1_29radix_sort_onesweep_iterationIS3_Lb1EN6thrust23THRUST_200600_302600_NS6detail15normal_iteratorINS9_10device_ptrIiEEEESE_PS5_SF_jNS0_19identity_decomposerENS1_16block_id_wrapperIjLb1EEEEE10hipError_tT1_PNSt15iterator_traitsISK_E10value_typeET2_T3_PNSL_ISQ_E10value_typeET4_T5_PSV_SW_PNS1_23onesweep_lookback_stateEbbT6_jjT7_P12ihipStream_tbENKUlT_T0_SK_SP_E_clIPiSE_SF_SF_EEDaS13_S14_SK_SP_EUlS13_E_NS1_11comp_targetILNS1_3genE10ELNS1_11target_archE1201ELNS1_3gpuE5ELNS1_3repE0EEENS1_47radix_sort_onesweep_sort_config_static_selectorELNS0_4arch9wavefront6targetE0EEEvSK_
; %bb.0:
	.section	.rodata,"a",@progbits
	.p2align	6, 0x0
	.amdhsa_kernel _ZN7rocprim17ROCPRIM_400000_NS6detail17trampoline_kernelINS0_14default_configENS1_35radix_sort_onesweep_config_selectorIiNS0_10empty_typeEEEZZNS1_29radix_sort_onesweep_iterationIS3_Lb1EN6thrust23THRUST_200600_302600_NS6detail15normal_iteratorINS9_10device_ptrIiEEEESE_PS5_SF_jNS0_19identity_decomposerENS1_16block_id_wrapperIjLb1EEEEE10hipError_tT1_PNSt15iterator_traitsISK_E10value_typeET2_T3_PNSL_ISQ_E10value_typeET4_T5_PSV_SW_PNS1_23onesweep_lookback_stateEbbT6_jjT7_P12ihipStream_tbENKUlT_T0_SK_SP_E_clIPiSE_SF_SF_EEDaS13_S14_SK_SP_EUlS13_E_NS1_11comp_targetILNS1_3genE10ELNS1_11target_archE1201ELNS1_3gpuE5ELNS1_3repE0EEENS1_47radix_sort_onesweep_sort_config_static_selectorELNS0_4arch9wavefront6targetE0EEEvSK_
		.amdhsa_group_segment_fixed_size 0
		.amdhsa_private_segment_fixed_size 0
		.amdhsa_kernarg_size 88
		.amdhsa_user_sgpr_count 6
		.amdhsa_user_sgpr_private_segment_buffer 1
		.amdhsa_user_sgpr_dispatch_ptr 0
		.amdhsa_user_sgpr_queue_ptr 0
		.amdhsa_user_sgpr_kernarg_segment_ptr 1
		.amdhsa_user_sgpr_dispatch_id 0
		.amdhsa_user_sgpr_flat_scratch_init 0
		.amdhsa_user_sgpr_private_segment_size 0
		.amdhsa_wavefront_size32 1
		.amdhsa_uses_dynamic_stack 0
		.amdhsa_system_sgpr_private_segment_wavefront_offset 0
		.amdhsa_system_sgpr_workgroup_id_x 1
		.amdhsa_system_sgpr_workgroup_id_y 0
		.amdhsa_system_sgpr_workgroup_id_z 0
		.amdhsa_system_sgpr_workgroup_info 0
		.amdhsa_system_vgpr_workitem_id 0
		.amdhsa_next_free_vgpr 1
		.amdhsa_next_free_sgpr 1
		.amdhsa_reserve_vcc 0
		.amdhsa_reserve_flat_scratch 0
		.amdhsa_float_round_mode_32 0
		.amdhsa_float_round_mode_16_64 0
		.amdhsa_float_denorm_mode_32 3
		.amdhsa_float_denorm_mode_16_64 3
		.amdhsa_dx10_clamp 1
		.amdhsa_ieee_mode 1
		.amdhsa_fp16_overflow 0
		.amdhsa_workgroup_processor_mode 1
		.amdhsa_memory_ordered 1
		.amdhsa_forward_progress 1
		.amdhsa_shared_vgpr_count 0
		.amdhsa_exception_fp_ieee_invalid_op 0
		.amdhsa_exception_fp_denorm_src 0
		.amdhsa_exception_fp_ieee_div_zero 0
		.amdhsa_exception_fp_ieee_overflow 0
		.amdhsa_exception_fp_ieee_underflow 0
		.amdhsa_exception_fp_ieee_inexact 0
		.amdhsa_exception_int_div_zero 0
	.end_amdhsa_kernel
	.section	.text._ZN7rocprim17ROCPRIM_400000_NS6detail17trampoline_kernelINS0_14default_configENS1_35radix_sort_onesweep_config_selectorIiNS0_10empty_typeEEEZZNS1_29radix_sort_onesweep_iterationIS3_Lb1EN6thrust23THRUST_200600_302600_NS6detail15normal_iteratorINS9_10device_ptrIiEEEESE_PS5_SF_jNS0_19identity_decomposerENS1_16block_id_wrapperIjLb1EEEEE10hipError_tT1_PNSt15iterator_traitsISK_E10value_typeET2_T3_PNSL_ISQ_E10value_typeET4_T5_PSV_SW_PNS1_23onesweep_lookback_stateEbbT6_jjT7_P12ihipStream_tbENKUlT_T0_SK_SP_E_clIPiSE_SF_SF_EEDaS13_S14_SK_SP_EUlS13_E_NS1_11comp_targetILNS1_3genE10ELNS1_11target_archE1201ELNS1_3gpuE5ELNS1_3repE0EEENS1_47radix_sort_onesweep_sort_config_static_selectorELNS0_4arch9wavefront6targetE0EEEvSK_,"axG",@progbits,_ZN7rocprim17ROCPRIM_400000_NS6detail17trampoline_kernelINS0_14default_configENS1_35radix_sort_onesweep_config_selectorIiNS0_10empty_typeEEEZZNS1_29radix_sort_onesweep_iterationIS3_Lb1EN6thrust23THRUST_200600_302600_NS6detail15normal_iteratorINS9_10device_ptrIiEEEESE_PS5_SF_jNS0_19identity_decomposerENS1_16block_id_wrapperIjLb1EEEEE10hipError_tT1_PNSt15iterator_traitsISK_E10value_typeET2_T3_PNSL_ISQ_E10value_typeET4_T5_PSV_SW_PNS1_23onesweep_lookback_stateEbbT6_jjT7_P12ihipStream_tbENKUlT_T0_SK_SP_E_clIPiSE_SF_SF_EEDaS13_S14_SK_SP_EUlS13_E_NS1_11comp_targetILNS1_3genE10ELNS1_11target_archE1201ELNS1_3gpuE5ELNS1_3repE0EEENS1_47radix_sort_onesweep_sort_config_static_selectorELNS0_4arch9wavefront6targetE0EEEvSK_,comdat
.Lfunc_end360:
	.size	_ZN7rocprim17ROCPRIM_400000_NS6detail17trampoline_kernelINS0_14default_configENS1_35radix_sort_onesweep_config_selectorIiNS0_10empty_typeEEEZZNS1_29radix_sort_onesweep_iterationIS3_Lb1EN6thrust23THRUST_200600_302600_NS6detail15normal_iteratorINS9_10device_ptrIiEEEESE_PS5_SF_jNS0_19identity_decomposerENS1_16block_id_wrapperIjLb1EEEEE10hipError_tT1_PNSt15iterator_traitsISK_E10value_typeET2_T3_PNSL_ISQ_E10value_typeET4_T5_PSV_SW_PNS1_23onesweep_lookback_stateEbbT6_jjT7_P12ihipStream_tbENKUlT_T0_SK_SP_E_clIPiSE_SF_SF_EEDaS13_S14_SK_SP_EUlS13_E_NS1_11comp_targetILNS1_3genE10ELNS1_11target_archE1201ELNS1_3gpuE5ELNS1_3repE0EEENS1_47radix_sort_onesweep_sort_config_static_selectorELNS0_4arch9wavefront6targetE0EEEvSK_, .Lfunc_end360-_ZN7rocprim17ROCPRIM_400000_NS6detail17trampoline_kernelINS0_14default_configENS1_35radix_sort_onesweep_config_selectorIiNS0_10empty_typeEEEZZNS1_29radix_sort_onesweep_iterationIS3_Lb1EN6thrust23THRUST_200600_302600_NS6detail15normal_iteratorINS9_10device_ptrIiEEEESE_PS5_SF_jNS0_19identity_decomposerENS1_16block_id_wrapperIjLb1EEEEE10hipError_tT1_PNSt15iterator_traitsISK_E10value_typeET2_T3_PNSL_ISQ_E10value_typeET4_T5_PSV_SW_PNS1_23onesweep_lookback_stateEbbT6_jjT7_P12ihipStream_tbENKUlT_T0_SK_SP_E_clIPiSE_SF_SF_EEDaS13_S14_SK_SP_EUlS13_E_NS1_11comp_targetILNS1_3genE10ELNS1_11target_archE1201ELNS1_3gpuE5ELNS1_3repE0EEENS1_47radix_sort_onesweep_sort_config_static_selectorELNS0_4arch9wavefront6targetE0EEEvSK_
                                        ; -- End function
	.set _ZN7rocprim17ROCPRIM_400000_NS6detail17trampoline_kernelINS0_14default_configENS1_35radix_sort_onesweep_config_selectorIiNS0_10empty_typeEEEZZNS1_29radix_sort_onesweep_iterationIS3_Lb1EN6thrust23THRUST_200600_302600_NS6detail15normal_iteratorINS9_10device_ptrIiEEEESE_PS5_SF_jNS0_19identity_decomposerENS1_16block_id_wrapperIjLb1EEEEE10hipError_tT1_PNSt15iterator_traitsISK_E10value_typeET2_T3_PNSL_ISQ_E10value_typeET4_T5_PSV_SW_PNS1_23onesweep_lookback_stateEbbT6_jjT7_P12ihipStream_tbENKUlT_T0_SK_SP_E_clIPiSE_SF_SF_EEDaS13_S14_SK_SP_EUlS13_E_NS1_11comp_targetILNS1_3genE10ELNS1_11target_archE1201ELNS1_3gpuE5ELNS1_3repE0EEENS1_47radix_sort_onesweep_sort_config_static_selectorELNS0_4arch9wavefront6targetE0EEEvSK_.num_vgpr, 0
	.set _ZN7rocprim17ROCPRIM_400000_NS6detail17trampoline_kernelINS0_14default_configENS1_35radix_sort_onesweep_config_selectorIiNS0_10empty_typeEEEZZNS1_29radix_sort_onesweep_iterationIS3_Lb1EN6thrust23THRUST_200600_302600_NS6detail15normal_iteratorINS9_10device_ptrIiEEEESE_PS5_SF_jNS0_19identity_decomposerENS1_16block_id_wrapperIjLb1EEEEE10hipError_tT1_PNSt15iterator_traitsISK_E10value_typeET2_T3_PNSL_ISQ_E10value_typeET4_T5_PSV_SW_PNS1_23onesweep_lookback_stateEbbT6_jjT7_P12ihipStream_tbENKUlT_T0_SK_SP_E_clIPiSE_SF_SF_EEDaS13_S14_SK_SP_EUlS13_E_NS1_11comp_targetILNS1_3genE10ELNS1_11target_archE1201ELNS1_3gpuE5ELNS1_3repE0EEENS1_47radix_sort_onesweep_sort_config_static_selectorELNS0_4arch9wavefront6targetE0EEEvSK_.num_agpr, 0
	.set _ZN7rocprim17ROCPRIM_400000_NS6detail17trampoline_kernelINS0_14default_configENS1_35radix_sort_onesweep_config_selectorIiNS0_10empty_typeEEEZZNS1_29radix_sort_onesweep_iterationIS3_Lb1EN6thrust23THRUST_200600_302600_NS6detail15normal_iteratorINS9_10device_ptrIiEEEESE_PS5_SF_jNS0_19identity_decomposerENS1_16block_id_wrapperIjLb1EEEEE10hipError_tT1_PNSt15iterator_traitsISK_E10value_typeET2_T3_PNSL_ISQ_E10value_typeET4_T5_PSV_SW_PNS1_23onesweep_lookback_stateEbbT6_jjT7_P12ihipStream_tbENKUlT_T0_SK_SP_E_clIPiSE_SF_SF_EEDaS13_S14_SK_SP_EUlS13_E_NS1_11comp_targetILNS1_3genE10ELNS1_11target_archE1201ELNS1_3gpuE5ELNS1_3repE0EEENS1_47radix_sort_onesweep_sort_config_static_selectorELNS0_4arch9wavefront6targetE0EEEvSK_.numbered_sgpr, 0
	.set _ZN7rocprim17ROCPRIM_400000_NS6detail17trampoline_kernelINS0_14default_configENS1_35radix_sort_onesweep_config_selectorIiNS0_10empty_typeEEEZZNS1_29radix_sort_onesweep_iterationIS3_Lb1EN6thrust23THRUST_200600_302600_NS6detail15normal_iteratorINS9_10device_ptrIiEEEESE_PS5_SF_jNS0_19identity_decomposerENS1_16block_id_wrapperIjLb1EEEEE10hipError_tT1_PNSt15iterator_traitsISK_E10value_typeET2_T3_PNSL_ISQ_E10value_typeET4_T5_PSV_SW_PNS1_23onesweep_lookback_stateEbbT6_jjT7_P12ihipStream_tbENKUlT_T0_SK_SP_E_clIPiSE_SF_SF_EEDaS13_S14_SK_SP_EUlS13_E_NS1_11comp_targetILNS1_3genE10ELNS1_11target_archE1201ELNS1_3gpuE5ELNS1_3repE0EEENS1_47radix_sort_onesweep_sort_config_static_selectorELNS0_4arch9wavefront6targetE0EEEvSK_.num_named_barrier, 0
	.set _ZN7rocprim17ROCPRIM_400000_NS6detail17trampoline_kernelINS0_14default_configENS1_35radix_sort_onesweep_config_selectorIiNS0_10empty_typeEEEZZNS1_29radix_sort_onesweep_iterationIS3_Lb1EN6thrust23THRUST_200600_302600_NS6detail15normal_iteratorINS9_10device_ptrIiEEEESE_PS5_SF_jNS0_19identity_decomposerENS1_16block_id_wrapperIjLb1EEEEE10hipError_tT1_PNSt15iterator_traitsISK_E10value_typeET2_T3_PNSL_ISQ_E10value_typeET4_T5_PSV_SW_PNS1_23onesweep_lookback_stateEbbT6_jjT7_P12ihipStream_tbENKUlT_T0_SK_SP_E_clIPiSE_SF_SF_EEDaS13_S14_SK_SP_EUlS13_E_NS1_11comp_targetILNS1_3genE10ELNS1_11target_archE1201ELNS1_3gpuE5ELNS1_3repE0EEENS1_47radix_sort_onesweep_sort_config_static_selectorELNS0_4arch9wavefront6targetE0EEEvSK_.private_seg_size, 0
	.set _ZN7rocprim17ROCPRIM_400000_NS6detail17trampoline_kernelINS0_14default_configENS1_35radix_sort_onesweep_config_selectorIiNS0_10empty_typeEEEZZNS1_29radix_sort_onesweep_iterationIS3_Lb1EN6thrust23THRUST_200600_302600_NS6detail15normal_iteratorINS9_10device_ptrIiEEEESE_PS5_SF_jNS0_19identity_decomposerENS1_16block_id_wrapperIjLb1EEEEE10hipError_tT1_PNSt15iterator_traitsISK_E10value_typeET2_T3_PNSL_ISQ_E10value_typeET4_T5_PSV_SW_PNS1_23onesweep_lookback_stateEbbT6_jjT7_P12ihipStream_tbENKUlT_T0_SK_SP_E_clIPiSE_SF_SF_EEDaS13_S14_SK_SP_EUlS13_E_NS1_11comp_targetILNS1_3genE10ELNS1_11target_archE1201ELNS1_3gpuE5ELNS1_3repE0EEENS1_47radix_sort_onesweep_sort_config_static_selectorELNS0_4arch9wavefront6targetE0EEEvSK_.uses_vcc, 0
	.set _ZN7rocprim17ROCPRIM_400000_NS6detail17trampoline_kernelINS0_14default_configENS1_35radix_sort_onesweep_config_selectorIiNS0_10empty_typeEEEZZNS1_29radix_sort_onesweep_iterationIS3_Lb1EN6thrust23THRUST_200600_302600_NS6detail15normal_iteratorINS9_10device_ptrIiEEEESE_PS5_SF_jNS0_19identity_decomposerENS1_16block_id_wrapperIjLb1EEEEE10hipError_tT1_PNSt15iterator_traitsISK_E10value_typeET2_T3_PNSL_ISQ_E10value_typeET4_T5_PSV_SW_PNS1_23onesweep_lookback_stateEbbT6_jjT7_P12ihipStream_tbENKUlT_T0_SK_SP_E_clIPiSE_SF_SF_EEDaS13_S14_SK_SP_EUlS13_E_NS1_11comp_targetILNS1_3genE10ELNS1_11target_archE1201ELNS1_3gpuE5ELNS1_3repE0EEENS1_47radix_sort_onesweep_sort_config_static_selectorELNS0_4arch9wavefront6targetE0EEEvSK_.uses_flat_scratch, 0
	.set _ZN7rocprim17ROCPRIM_400000_NS6detail17trampoline_kernelINS0_14default_configENS1_35radix_sort_onesweep_config_selectorIiNS0_10empty_typeEEEZZNS1_29radix_sort_onesweep_iterationIS3_Lb1EN6thrust23THRUST_200600_302600_NS6detail15normal_iteratorINS9_10device_ptrIiEEEESE_PS5_SF_jNS0_19identity_decomposerENS1_16block_id_wrapperIjLb1EEEEE10hipError_tT1_PNSt15iterator_traitsISK_E10value_typeET2_T3_PNSL_ISQ_E10value_typeET4_T5_PSV_SW_PNS1_23onesweep_lookback_stateEbbT6_jjT7_P12ihipStream_tbENKUlT_T0_SK_SP_E_clIPiSE_SF_SF_EEDaS13_S14_SK_SP_EUlS13_E_NS1_11comp_targetILNS1_3genE10ELNS1_11target_archE1201ELNS1_3gpuE5ELNS1_3repE0EEENS1_47radix_sort_onesweep_sort_config_static_selectorELNS0_4arch9wavefront6targetE0EEEvSK_.has_dyn_sized_stack, 0
	.set _ZN7rocprim17ROCPRIM_400000_NS6detail17trampoline_kernelINS0_14default_configENS1_35radix_sort_onesweep_config_selectorIiNS0_10empty_typeEEEZZNS1_29radix_sort_onesweep_iterationIS3_Lb1EN6thrust23THRUST_200600_302600_NS6detail15normal_iteratorINS9_10device_ptrIiEEEESE_PS5_SF_jNS0_19identity_decomposerENS1_16block_id_wrapperIjLb1EEEEE10hipError_tT1_PNSt15iterator_traitsISK_E10value_typeET2_T3_PNSL_ISQ_E10value_typeET4_T5_PSV_SW_PNS1_23onesweep_lookback_stateEbbT6_jjT7_P12ihipStream_tbENKUlT_T0_SK_SP_E_clIPiSE_SF_SF_EEDaS13_S14_SK_SP_EUlS13_E_NS1_11comp_targetILNS1_3genE10ELNS1_11target_archE1201ELNS1_3gpuE5ELNS1_3repE0EEENS1_47radix_sort_onesweep_sort_config_static_selectorELNS0_4arch9wavefront6targetE0EEEvSK_.has_recursion, 0
	.set _ZN7rocprim17ROCPRIM_400000_NS6detail17trampoline_kernelINS0_14default_configENS1_35radix_sort_onesweep_config_selectorIiNS0_10empty_typeEEEZZNS1_29radix_sort_onesweep_iterationIS3_Lb1EN6thrust23THRUST_200600_302600_NS6detail15normal_iteratorINS9_10device_ptrIiEEEESE_PS5_SF_jNS0_19identity_decomposerENS1_16block_id_wrapperIjLb1EEEEE10hipError_tT1_PNSt15iterator_traitsISK_E10value_typeET2_T3_PNSL_ISQ_E10value_typeET4_T5_PSV_SW_PNS1_23onesweep_lookback_stateEbbT6_jjT7_P12ihipStream_tbENKUlT_T0_SK_SP_E_clIPiSE_SF_SF_EEDaS13_S14_SK_SP_EUlS13_E_NS1_11comp_targetILNS1_3genE10ELNS1_11target_archE1201ELNS1_3gpuE5ELNS1_3repE0EEENS1_47radix_sort_onesweep_sort_config_static_selectorELNS0_4arch9wavefront6targetE0EEEvSK_.has_indirect_call, 0
	.section	.AMDGPU.csdata,"",@progbits
; Kernel info:
; codeLenInByte = 0
; TotalNumSgprs: 0
; NumVgprs: 0
; ScratchSize: 0
; MemoryBound: 0
; FloatMode: 240
; IeeeMode: 1
; LDSByteSize: 0 bytes/workgroup (compile time only)
; SGPRBlocks: 0
; VGPRBlocks: 0
; NumSGPRsForWavesPerEU: 1
; NumVGPRsForWavesPerEU: 1
; Occupancy: 16
; WaveLimiterHint : 0
; COMPUTE_PGM_RSRC2:SCRATCH_EN: 0
; COMPUTE_PGM_RSRC2:USER_SGPR: 6
; COMPUTE_PGM_RSRC2:TRAP_HANDLER: 0
; COMPUTE_PGM_RSRC2:TGID_X_EN: 1
; COMPUTE_PGM_RSRC2:TGID_Y_EN: 0
; COMPUTE_PGM_RSRC2:TGID_Z_EN: 0
; COMPUTE_PGM_RSRC2:TIDIG_COMP_CNT: 0
	.section	.text._ZN7rocprim17ROCPRIM_400000_NS6detail17trampoline_kernelINS0_14default_configENS1_35radix_sort_onesweep_config_selectorIiNS0_10empty_typeEEEZZNS1_29radix_sort_onesweep_iterationIS3_Lb1EN6thrust23THRUST_200600_302600_NS6detail15normal_iteratorINS9_10device_ptrIiEEEESE_PS5_SF_jNS0_19identity_decomposerENS1_16block_id_wrapperIjLb1EEEEE10hipError_tT1_PNSt15iterator_traitsISK_E10value_typeET2_T3_PNSL_ISQ_E10value_typeET4_T5_PSV_SW_PNS1_23onesweep_lookback_stateEbbT6_jjT7_P12ihipStream_tbENKUlT_T0_SK_SP_E_clIPiSE_SF_SF_EEDaS13_S14_SK_SP_EUlS13_E_NS1_11comp_targetILNS1_3genE9ELNS1_11target_archE1100ELNS1_3gpuE3ELNS1_3repE0EEENS1_47radix_sort_onesweep_sort_config_static_selectorELNS0_4arch9wavefront6targetE0EEEvSK_,"axG",@progbits,_ZN7rocprim17ROCPRIM_400000_NS6detail17trampoline_kernelINS0_14default_configENS1_35radix_sort_onesweep_config_selectorIiNS0_10empty_typeEEEZZNS1_29radix_sort_onesweep_iterationIS3_Lb1EN6thrust23THRUST_200600_302600_NS6detail15normal_iteratorINS9_10device_ptrIiEEEESE_PS5_SF_jNS0_19identity_decomposerENS1_16block_id_wrapperIjLb1EEEEE10hipError_tT1_PNSt15iterator_traitsISK_E10value_typeET2_T3_PNSL_ISQ_E10value_typeET4_T5_PSV_SW_PNS1_23onesweep_lookback_stateEbbT6_jjT7_P12ihipStream_tbENKUlT_T0_SK_SP_E_clIPiSE_SF_SF_EEDaS13_S14_SK_SP_EUlS13_E_NS1_11comp_targetILNS1_3genE9ELNS1_11target_archE1100ELNS1_3gpuE3ELNS1_3repE0EEENS1_47radix_sort_onesweep_sort_config_static_selectorELNS0_4arch9wavefront6targetE0EEEvSK_,comdat
	.protected	_ZN7rocprim17ROCPRIM_400000_NS6detail17trampoline_kernelINS0_14default_configENS1_35radix_sort_onesweep_config_selectorIiNS0_10empty_typeEEEZZNS1_29radix_sort_onesweep_iterationIS3_Lb1EN6thrust23THRUST_200600_302600_NS6detail15normal_iteratorINS9_10device_ptrIiEEEESE_PS5_SF_jNS0_19identity_decomposerENS1_16block_id_wrapperIjLb1EEEEE10hipError_tT1_PNSt15iterator_traitsISK_E10value_typeET2_T3_PNSL_ISQ_E10value_typeET4_T5_PSV_SW_PNS1_23onesweep_lookback_stateEbbT6_jjT7_P12ihipStream_tbENKUlT_T0_SK_SP_E_clIPiSE_SF_SF_EEDaS13_S14_SK_SP_EUlS13_E_NS1_11comp_targetILNS1_3genE9ELNS1_11target_archE1100ELNS1_3gpuE3ELNS1_3repE0EEENS1_47radix_sort_onesweep_sort_config_static_selectorELNS0_4arch9wavefront6targetE0EEEvSK_ ; -- Begin function _ZN7rocprim17ROCPRIM_400000_NS6detail17trampoline_kernelINS0_14default_configENS1_35radix_sort_onesweep_config_selectorIiNS0_10empty_typeEEEZZNS1_29radix_sort_onesweep_iterationIS3_Lb1EN6thrust23THRUST_200600_302600_NS6detail15normal_iteratorINS9_10device_ptrIiEEEESE_PS5_SF_jNS0_19identity_decomposerENS1_16block_id_wrapperIjLb1EEEEE10hipError_tT1_PNSt15iterator_traitsISK_E10value_typeET2_T3_PNSL_ISQ_E10value_typeET4_T5_PSV_SW_PNS1_23onesweep_lookback_stateEbbT6_jjT7_P12ihipStream_tbENKUlT_T0_SK_SP_E_clIPiSE_SF_SF_EEDaS13_S14_SK_SP_EUlS13_E_NS1_11comp_targetILNS1_3genE9ELNS1_11target_archE1100ELNS1_3gpuE3ELNS1_3repE0EEENS1_47radix_sort_onesweep_sort_config_static_selectorELNS0_4arch9wavefront6targetE0EEEvSK_
	.globl	_ZN7rocprim17ROCPRIM_400000_NS6detail17trampoline_kernelINS0_14default_configENS1_35radix_sort_onesweep_config_selectorIiNS0_10empty_typeEEEZZNS1_29radix_sort_onesweep_iterationIS3_Lb1EN6thrust23THRUST_200600_302600_NS6detail15normal_iteratorINS9_10device_ptrIiEEEESE_PS5_SF_jNS0_19identity_decomposerENS1_16block_id_wrapperIjLb1EEEEE10hipError_tT1_PNSt15iterator_traitsISK_E10value_typeET2_T3_PNSL_ISQ_E10value_typeET4_T5_PSV_SW_PNS1_23onesweep_lookback_stateEbbT6_jjT7_P12ihipStream_tbENKUlT_T0_SK_SP_E_clIPiSE_SF_SF_EEDaS13_S14_SK_SP_EUlS13_E_NS1_11comp_targetILNS1_3genE9ELNS1_11target_archE1100ELNS1_3gpuE3ELNS1_3repE0EEENS1_47radix_sort_onesweep_sort_config_static_selectorELNS0_4arch9wavefront6targetE0EEEvSK_
	.p2align	8
	.type	_ZN7rocprim17ROCPRIM_400000_NS6detail17trampoline_kernelINS0_14default_configENS1_35radix_sort_onesweep_config_selectorIiNS0_10empty_typeEEEZZNS1_29radix_sort_onesweep_iterationIS3_Lb1EN6thrust23THRUST_200600_302600_NS6detail15normal_iteratorINS9_10device_ptrIiEEEESE_PS5_SF_jNS0_19identity_decomposerENS1_16block_id_wrapperIjLb1EEEEE10hipError_tT1_PNSt15iterator_traitsISK_E10value_typeET2_T3_PNSL_ISQ_E10value_typeET4_T5_PSV_SW_PNS1_23onesweep_lookback_stateEbbT6_jjT7_P12ihipStream_tbENKUlT_T0_SK_SP_E_clIPiSE_SF_SF_EEDaS13_S14_SK_SP_EUlS13_E_NS1_11comp_targetILNS1_3genE9ELNS1_11target_archE1100ELNS1_3gpuE3ELNS1_3repE0EEENS1_47radix_sort_onesweep_sort_config_static_selectorELNS0_4arch9wavefront6targetE0EEEvSK_,@function
_ZN7rocprim17ROCPRIM_400000_NS6detail17trampoline_kernelINS0_14default_configENS1_35radix_sort_onesweep_config_selectorIiNS0_10empty_typeEEEZZNS1_29radix_sort_onesweep_iterationIS3_Lb1EN6thrust23THRUST_200600_302600_NS6detail15normal_iteratorINS9_10device_ptrIiEEEESE_PS5_SF_jNS0_19identity_decomposerENS1_16block_id_wrapperIjLb1EEEEE10hipError_tT1_PNSt15iterator_traitsISK_E10value_typeET2_T3_PNSL_ISQ_E10value_typeET4_T5_PSV_SW_PNS1_23onesweep_lookback_stateEbbT6_jjT7_P12ihipStream_tbENKUlT_T0_SK_SP_E_clIPiSE_SF_SF_EEDaS13_S14_SK_SP_EUlS13_E_NS1_11comp_targetILNS1_3genE9ELNS1_11target_archE1100ELNS1_3gpuE3ELNS1_3repE0EEENS1_47radix_sort_onesweep_sort_config_static_selectorELNS0_4arch9wavefront6targetE0EEEvSK_: ; @_ZN7rocprim17ROCPRIM_400000_NS6detail17trampoline_kernelINS0_14default_configENS1_35radix_sort_onesweep_config_selectorIiNS0_10empty_typeEEEZZNS1_29radix_sort_onesweep_iterationIS3_Lb1EN6thrust23THRUST_200600_302600_NS6detail15normal_iteratorINS9_10device_ptrIiEEEESE_PS5_SF_jNS0_19identity_decomposerENS1_16block_id_wrapperIjLb1EEEEE10hipError_tT1_PNSt15iterator_traitsISK_E10value_typeET2_T3_PNSL_ISQ_E10value_typeET4_T5_PSV_SW_PNS1_23onesweep_lookback_stateEbbT6_jjT7_P12ihipStream_tbENKUlT_T0_SK_SP_E_clIPiSE_SF_SF_EEDaS13_S14_SK_SP_EUlS13_E_NS1_11comp_targetILNS1_3genE9ELNS1_11target_archE1100ELNS1_3gpuE3ELNS1_3repE0EEENS1_47radix_sort_onesweep_sort_config_static_selectorELNS0_4arch9wavefront6targetE0EEEvSK_
; %bb.0:
	.section	.rodata,"a",@progbits
	.p2align	6, 0x0
	.amdhsa_kernel _ZN7rocprim17ROCPRIM_400000_NS6detail17trampoline_kernelINS0_14default_configENS1_35radix_sort_onesweep_config_selectorIiNS0_10empty_typeEEEZZNS1_29radix_sort_onesweep_iterationIS3_Lb1EN6thrust23THRUST_200600_302600_NS6detail15normal_iteratorINS9_10device_ptrIiEEEESE_PS5_SF_jNS0_19identity_decomposerENS1_16block_id_wrapperIjLb1EEEEE10hipError_tT1_PNSt15iterator_traitsISK_E10value_typeET2_T3_PNSL_ISQ_E10value_typeET4_T5_PSV_SW_PNS1_23onesweep_lookback_stateEbbT6_jjT7_P12ihipStream_tbENKUlT_T0_SK_SP_E_clIPiSE_SF_SF_EEDaS13_S14_SK_SP_EUlS13_E_NS1_11comp_targetILNS1_3genE9ELNS1_11target_archE1100ELNS1_3gpuE3ELNS1_3repE0EEENS1_47radix_sort_onesweep_sort_config_static_selectorELNS0_4arch9wavefront6targetE0EEEvSK_
		.amdhsa_group_segment_fixed_size 0
		.amdhsa_private_segment_fixed_size 0
		.amdhsa_kernarg_size 88
		.amdhsa_user_sgpr_count 6
		.amdhsa_user_sgpr_private_segment_buffer 1
		.amdhsa_user_sgpr_dispatch_ptr 0
		.amdhsa_user_sgpr_queue_ptr 0
		.amdhsa_user_sgpr_kernarg_segment_ptr 1
		.amdhsa_user_sgpr_dispatch_id 0
		.amdhsa_user_sgpr_flat_scratch_init 0
		.amdhsa_user_sgpr_private_segment_size 0
		.amdhsa_wavefront_size32 1
		.amdhsa_uses_dynamic_stack 0
		.amdhsa_system_sgpr_private_segment_wavefront_offset 0
		.amdhsa_system_sgpr_workgroup_id_x 1
		.amdhsa_system_sgpr_workgroup_id_y 0
		.amdhsa_system_sgpr_workgroup_id_z 0
		.amdhsa_system_sgpr_workgroup_info 0
		.amdhsa_system_vgpr_workitem_id 0
		.amdhsa_next_free_vgpr 1
		.amdhsa_next_free_sgpr 1
		.amdhsa_reserve_vcc 0
		.amdhsa_reserve_flat_scratch 0
		.amdhsa_float_round_mode_32 0
		.amdhsa_float_round_mode_16_64 0
		.amdhsa_float_denorm_mode_32 3
		.amdhsa_float_denorm_mode_16_64 3
		.amdhsa_dx10_clamp 1
		.amdhsa_ieee_mode 1
		.amdhsa_fp16_overflow 0
		.amdhsa_workgroup_processor_mode 1
		.amdhsa_memory_ordered 1
		.amdhsa_forward_progress 1
		.amdhsa_shared_vgpr_count 0
		.amdhsa_exception_fp_ieee_invalid_op 0
		.amdhsa_exception_fp_denorm_src 0
		.amdhsa_exception_fp_ieee_div_zero 0
		.amdhsa_exception_fp_ieee_overflow 0
		.amdhsa_exception_fp_ieee_underflow 0
		.amdhsa_exception_fp_ieee_inexact 0
		.amdhsa_exception_int_div_zero 0
	.end_amdhsa_kernel
	.section	.text._ZN7rocprim17ROCPRIM_400000_NS6detail17trampoline_kernelINS0_14default_configENS1_35radix_sort_onesweep_config_selectorIiNS0_10empty_typeEEEZZNS1_29radix_sort_onesweep_iterationIS3_Lb1EN6thrust23THRUST_200600_302600_NS6detail15normal_iteratorINS9_10device_ptrIiEEEESE_PS5_SF_jNS0_19identity_decomposerENS1_16block_id_wrapperIjLb1EEEEE10hipError_tT1_PNSt15iterator_traitsISK_E10value_typeET2_T3_PNSL_ISQ_E10value_typeET4_T5_PSV_SW_PNS1_23onesweep_lookback_stateEbbT6_jjT7_P12ihipStream_tbENKUlT_T0_SK_SP_E_clIPiSE_SF_SF_EEDaS13_S14_SK_SP_EUlS13_E_NS1_11comp_targetILNS1_3genE9ELNS1_11target_archE1100ELNS1_3gpuE3ELNS1_3repE0EEENS1_47radix_sort_onesweep_sort_config_static_selectorELNS0_4arch9wavefront6targetE0EEEvSK_,"axG",@progbits,_ZN7rocprim17ROCPRIM_400000_NS6detail17trampoline_kernelINS0_14default_configENS1_35radix_sort_onesweep_config_selectorIiNS0_10empty_typeEEEZZNS1_29radix_sort_onesweep_iterationIS3_Lb1EN6thrust23THRUST_200600_302600_NS6detail15normal_iteratorINS9_10device_ptrIiEEEESE_PS5_SF_jNS0_19identity_decomposerENS1_16block_id_wrapperIjLb1EEEEE10hipError_tT1_PNSt15iterator_traitsISK_E10value_typeET2_T3_PNSL_ISQ_E10value_typeET4_T5_PSV_SW_PNS1_23onesweep_lookback_stateEbbT6_jjT7_P12ihipStream_tbENKUlT_T0_SK_SP_E_clIPiSE_SF_SF_EEDaS13_S14_SK_SP_EUlS13_E_NS1_11comp_targetILNS1_3genE9ELNS1_11target_archE1100ELNS1_3gpuE3ELNS1_3repE0EEENS1_47radix_sort_onesweep_sort_config_static_selectorELNS0_4arch9wavefront6targetE0EEEvSK_,comdat
.Lfunc_end361:
	.size	_ZN7rocprim17ROCPRIM_400000_NS6detail17trampoline_kernelINS0_14default_configENS1_35radix_sort_onesweep_config_selectorIiNS0_10empty_typeEEEZZNS1_29radix_sort_onesweep_iterationIS3_Lb1EN6thrust23THRUST_200600_302600_NS6detail15normal_iteratorINS9_10device_ptrIiEEEESE_PS5_SF_jNS0_19identity_decomposerENS1_16block_id_wrapperIjLb1EEEEE10hipError_tT1_PNSt15iterator_traitsISK_E10value_typeET2_T3_PNSL_ISQ_E10value_typeET4_T5_PSV_SW_PNS1_23onesweep_lookback_stateEbbT6_jjT7_P12ihipStream_tbENKUlT_T0_SK_SP_E_clIPiSE_SF_SF_EEDaS13_S14_SK_SP_EUlS13_E_NS1_11comp_targetILNS1_3genE9ELNS1_11target_archE1100ELNS1_3gpuE3ELNS1_3repE0EEENS1_47radix_sort_onesweep_sort_config_static_selectorELNS0_4arch9wavefront6targetE0EEEvSK_, .Lfunc_end361-_ZN7rocprim17ROCPRIM_400000_NS6detail17trampoline_kernelINS0_14default_configENS1_35radix_sort_onesweep_config_selectorIiNS0_10empty_typeEEEZZNS1_29radix_sort_onesweep_iterationIS3_Lb1EN6thrust23THRUST_200600_302600_NS6detail15normal_iteratorINS9_10device_ptrIiEEEESE_PS5_SF_jNS0_19identity_decomposerENS1_16block_id_wrapperIjLb1EEEEE10hipError_tT1_PNSt15iterator_traitsISK_E10value_typeET2_T3_PNSL_ISQ_E10value_typeET4_T5_PSV_SW_PNS1_23onesweep_lookback_stateEbbT6_jjT7_P12ihipStream_tbENKUlT_T0_SK_SP_E_clIPiSE_SF_SF_EEDaS13_S14_SK_SP_EUlS13_E_NS1_11comp_targetILNS1_3genE9ELNS1_11target_archE1100ELNS1_3gpuE3ELNS1_3repE0EEENS1_47radix_sort_onesweep_sort_config_static_selectorELNS0_4arch9wavefront6targetE0EEEvSK_
                                        ; -- End function
	.set _ZN7rocprim17ROCPRIM_400000_NS6detail17trampoline_kernelINS0_14default_configENS1_35radix_sort_onesweep_config_selectorIiNS0_10empty_typeEEEZZNS1_29radix_sort_onesweep_iterationIS3_Lb1EN6thrust23THRUST_200600_302600_NS6detail15normal_iteratorINS9_10device_ptrIiEEEESE_PS5_SF_jNS0_19identity_decomposerENS1_16block_id_wrapperIjLb1EEEEE10hipError_tT1_PNSt15iterator_traitsISK_E10value_typeET2_T3_PNSL_ISQ_E10value_typeET4_T5_PSV_SW_PNS1_23onesweep_lookback_stateEbbT6_jjT7_P12ihipStream_tbENKUlT_T0_SK_SP_E_clIPiSE_SF_SF_EEDaS13_S14_SK_SP_EUlS13_E_NS1_11comp_targetILNS1_3genE9ELNS1_11target_archE1100ELNS1_3gpuE3ELNS1_3repE0EEENS1_47radix_sort_onesweep_sort_config_static_selectorELNS0_4arch9wavefront6targetE0EEEvSK_.num_vgpr, 0
	.set _ZN7rocprim17ROCPRIM_400000_NS6detail17trampoline_kernelINS0_14default_configENS1_35radix_sort_onesweep_config_selectorIiNS0_10empty_typeEEEZZNS1_29radix_sort_onesweep_iterationIS3_Lb1EN6thrust23THRUST_200600_302600_NS6detail15normal_iteratorINS9_10device_ptrIiEEEESE_PS5_SF_jNS0_19identity_decomposerENS1_16block_id_wrapperIjLb1EEEEE10hipError_tT1_PNSt15iterator_traitsISK_E10value_typeET2_T3_PNSL_ISQ_E10value_typeET4_T5_PSV_SW_PNS1_23onesweep_lookback_stateEbbT6_jjT7_P12ihipStream_tbENKUlT_T0_SK_SP_E_clIPiSE_SF_SF_EEDaS13_S14_SK_SP_EUlS13_E_NS1_11comp_targetILNS1_3genE9ELNS1_11target_archE1100ELNS1_3gpuE3ELNS1_3repE0EEENS1_47radix_sort_onesweep_sort_config_static_selectorELNS0_4arch9wavefront6targetE0EEEvSK_.num_agpr, 0
	.set _ZN7rocprim17ROCPRIM_400000_NS6detail17trampoline_kernelINS0_14default_configENS1_35radix_sort_onesweep_config_selectorIiNS0_10empty_typeEEEZZNS1_29radix_sort_onesweep_iterationIS3_Lb1EN6thrust23THRUST_200600_302600_NS6detail15normal_iteratorINS9_10device_ptrIiEEEESE_PS5_SF_jNS0_19identity_decomposerENS1_16block_id_wrapperIjLb1EEEEE10hipError_tT1_PNSt15iterator_traitsISK_E10value_typeET2_T3_PNSL_ISQ_E10value_typeET4_T5_PSV_SW_PNS1_23onesweep_lookback_stateEbbT6_jjT7_P12ihipStream_tbENKUlT_T0_SK_SP_E_clIPiSE_SF_SF_EEDaS13_S14_SK_SP_EUlS13_E_NS1_11comp_targetILNS1_3genE9ELNS1_11target_archE1100ELNS1_3gpuE3ELNS1_3repE0EEENS1_47radix_sort_onesweep_sort_config_static_selectorELNS0_4arch9wavefront6targetE0EEEvSK_.numbered_sgpr, 0
	.set _ZN7rocprim17ROCPRIM_400000_NS6detail17trampoline_kernelINS0_14default_configENS1_35radix_sort_onesweep_config_selectorIiNS0_10empty_typeEEEZZNS1_29radix_sort_onesweep_iterationIS3_Lb1EN6thrust23THRUST_200600_302600_NS6detail15normal_iteratorINS9_10device_ptrIiEEEESE_PS5_SF_jNS0_19identity_decomposerENS1_16block_id_wrapperIjLb1EEEEE10hipError_tT1_PNSt15iterator_traitsISK_E10value_typeET2_T3_PNSL_ISQ_E10value_typeET4_T5_PSV_SW_PNS1_23onesweep_lookback_stateEbbT6_jjT7_P12ihipStream_tbENKUlT_T0_SK_SP_E_clIPiSE_SF_SF_EEDaS13_S14_SK_SP_EUlS13_E_NS1_11comp_targetILNS1_3genE9ELNS1_11target_archE1100ELNS1_3gpuE3ELNS1_3repE0EEENS1_47radix_sort_onesweep_sort_config_static_selectorELNS0_4arch9wavefront6targetE0EEEvSK_.num_named_barrier, 0
	.set _ZN7rocprim17ROCPRIM_400000_NS6detail17trampoline_kernelINS0_14default_configENS1_35radix_sort_onesweep_config_selectorIiNS0_10empty_typeEEEZZNS1_29radix_sort_onesweep_iterationIS3_Lb1EN6thrust23THRUST_200600_302600_NS6detail15normal_iteratorINS9_10device_ptrIiEEEESE_PS5_SF_jNS0_19identity_decomposerENS1_16block_id_wrapperIjLb1EEEEE10hipError_tT1_PNSt15iterator_traitsISK_E10value_typeET2_T3_PNSL_ISQ_E10value_typeET4_T5_PSV_SW_PNS1_23onesweep_lookback_stateEbbT6_jjT7_P12ihipStream_tbENKUlT_T0_SK_SP_E_clIPiSE_SF_SF_EEDaS13_S14_SK_SP_EUlS13_E_NS1_11comp_targetILNS1_3genE9ELNS1_11target_archE1100ELNS1_3gpuE3ELNS1_3repE0EEENS1_47radix_sort_onesweep_sort_config_static_selectorELNS0_4arch9wavefront6targetE0EEEvSK_.private_seg_size, 0
	.set _ZN7rocprim17ROCPRIM_400000_NS6detail17trampoline_kernelINS0_14default_configENS1_35radix_sort_onesweep_config_selectorIiNS0_10empty_typeEEEZZNS1_29radix_sort_onesweep_iterationIS3_Lb1EN6thrust23THRUST_200600_302600_NS6detail15normal_iteratorINS9_10device_ptrIiEEEESE_PS5_SF_jNS0_19identity_decomposerENS1_16block_id_wrapperIjLb1EEEEE10hipError_tT1_PNSt15iterator_traitsISK_E10value_typeET2_T3_PNSL_ISQ_E10value_typeET4_T5_PSV_SW_PNS1_23onesweep_lookback_stateEbbT6_jjT7_P12ihipStream_tbENKUlT_T0_SK_SP_E_clIPiSE_SF_SF_EEDaS13_S14_SK_SP_EUlS13_E_NS1_11comp_targetILNS1_3genE9ELNS1_11target_archE1100ELNS1_3gpuE3ELNS1_3repE0EEENS1_47radix_sort_onesweep_sort_config_static_selectorELNS0_4arch9wavefront6targetE0EEEvSK_.uses_vcc, 0
	.set _ZN7rocprim17ROCPRIM_400000_NS6detail17trampoline_kernelINS0_14default_configENS1_35radix_sort_onesweep_config_selectorIiNS0_10empty_typeEEEZZNS1_29radix_sort_onesweep_iterationIS3_Lb1EN6thrust23THRUST_200600_302600_NS6detail15normal_iteratorINS9_10device_ptrIiEEEESE_PS5_SF_jNS0_19identity_decomposerENS1_16block_id_wrapperIjLb1EEEEE10hipError_tT1_PNSt15iterator_traitsISK_E10value_typeET2_T3_PNSL_ISQ_E10value_typeET4_T5_PSV_SW_PNS1_23onesweep_lookback_stateEbbT6_jjT7_P12ihipStream_tbENKUlT_T0_SK_SP_E_clIPiSE_SF_SF_EEDaS13_S14_SK_SP_EUlS13_E_NS1_11comp_targetILNS1_3genE9ELNS1_11target_archE1100ELNS1_3gpuE3ELNS1_3repE0EEENS1_47radix_sort_onesweep_sort_config_static_selectorELNS0_4arch9wavefront6targetE0EEEvSK_.uses_flat_scratch, 0
	.set _ZN7rocprim17ROCPRIM_400000_NS6detail17trampoline_kernelINS0_14default_configENS1_35radix_sort_onesweep_config_selectorIiNS0_10empty_typeEEEZZNS1_29radix_sort_onesweep_iterationIS3_Lb1EN6thrust23THRUST_200600_302600_NS6detail15normal_iteratorINS9_10device_ptrIiEEEESE_PS5_SF_jNS0_19identity_decomposerENS1_16block_id_wrapperIjLb1EEEEE10hipError_tT1_PNSt15iterator_traitsISK_E10value_typeET2_T3_PNSL_ISQ_E10value_typeET4_T5_PSV_SW_PNS1_23onesweep_lookback_stateEbbT6_jjT7_P12ihipStream_tbENKUlT_T0_SK_SP_E_clIPiSE_SF_SF_EEDaS13_S14_SK_SP_EUlS13_E_NS1_11comp_targetILNS1_3genE9ELNS1_11target_archE1100ELNS1_3gpuE3ELNS1_3repE0EEENS1_47radix_sort_onesweep_sort_config_static_selectorELNS0_4arch9wavefront6targetE0EEEvSK_.has_dyn_sized_stack, 0
	.set _ZN7rocprim17ROCPRIM_400000_NS6detail17trampoline_kernelINS0_14default_configENS1_35radix_sort_onesweep_config_selectorIiNS0_10empty_typeEEEZZNS1_29radix_sort_onesweep_iterationIS3_Lb1EN6thrust23THRUST_200600_302600_NS6detail15normal_iteratorINS9_10device_ptrIiEEEESE_PS5_SF_jNS0_19identity_decomposerENS1_16block_id_wrapperIjLb1EEEEE10hipError_tT1_PNSt15iterator_traitsISK_E10value_typeET2_T3_PNSL_ISQ_E10value_typeET4_T5_PSV_SW_PNS1_23onesweep_lookback_stateEbbT6_jjT7_P12ihipStream_tbENKUlT_T0_SK_SP_E_clIPiSE_SF_SF_EEDaS13_S14_SK_SP_EUlS13_E_NS1_11comp_targetILNS1_3genE9ELNS1_11target_archE1100ELNS1_3gpuE3ELNS1_3repE0EEENS1_47radix_sort_onesweep_sort_config_static_selectorELNS0_4arch9wavefront6targetE0EEEvSK_.has_recursion, 0
	.set _ZN7rocprim17ROCPRIM_400000_NS6detail17trampoline_kernelINS0_14default_configENS1_35radix_sort_onesweep_config_selectorIiNS0_10empty_typeEEEZZNS1_29radix_sort_onesweep_iterationIS3_Lb1EN6thrust23THRUST_200600_302600_NS6detail15normal_iteratorINS9_10device_ptrIiEEEESE_PS5_SF_jNS0_19identity_decomposerENS1_16block_id_wrapperIjLb1EEEEE10hipError_tT1_PNSt15iterator_traitsISK_E10value_typeET2_T3_PNSL_ISQ_E10value_typeET4_T5_PSV_SW_PNS1_23onesweep_lookback_stateEbbT6_jjT7_P12ihipStream_tbENKUlT_T0_SK_SP_E_clIPiSE_SF_SF_EEDaS13_S14_SK_SP_EUlS13_E_NS1_11comp_targetILNS1_3genE9ELNS1_11target_archE1100ELNS1_3gpuE3ELNS1_3repE0EEENS1_47radix_sort_onesweep_sort_config_static_selectorELNS0_4arch9wavefront6targetE0EEEvSK_.has_indirect_call, 0
	.section	.AMDGPU.csdata,"",@progbits
; Kernel info:
; codeLenInByte = 0
; TotalNumSgprs: 0
; NumVgprs: 0
; ScratchSize: 0
; MemoryBound: 0
; FloatMode: 240
; IeeeMode: 1
; LDSByteSize: 0 bytes/workgroup (compile time only)
; SGPRBlocks: 0
; VGPRBlocks: 0
; NumSGPRsForWavesPerEU: 1
; NumVGPRsForWavesPerEU: 1
; Occupancy: 16
; WaveLimiterHint : 0
; COMPUTE_PGM_RSRC2:SCRATCH_EN: 0
; COMPUTE_PGM_RSRC2:USER_SGPR: 6
; COMPUTE_PGM_RSRC2:TRAP_HANDLER: 0
; COMPUTE_PGM_RSRC2:TGID_X_EN: 1
; COMPUTE_PGM_RSRC2:TGID_Y_EN: 0
; COMPUTE_PGM_RSRC2:TGID_Z_EN: 0
; COMPUTE_PGM_RSRC2:TIDIG_COMP_CNT: 0
	.section	.text._ZN7rocprim17ROCPRIM_400000_NS6detail17trampoline_kernelINS0_14default_configENS1_35radix_sort_onesweep_config_selectorIiNS0_10empty_typeEEEZZNS1_29radix_sort_onesweep_iterationIS3_Lb1EN6thrust23THRUST_200600_302600_NS6detail15normal_iteratorINS9_10device_ptrIiEEEESE_PS5_SF_jNS0_19identity_decomposerENS1_16block_id_wrapperIjLb1EEEEE10hipError_tT1_PNSt15iterator_traitsISK_E10value_typeET2_T3_PNSL_ISQ_E10value_typeET4_T5_PSV_SW_PNS1_23onesweep_lookback_stateEbbT6_jjT7_P12ihipStream_tbENKUlT_T0_SK_SP_E_clIPiSE_SF_SF_EEDaS13_S14_SK_SP_EUlS13_E_NS1_11comp_targetILNS1_3genE8ELNS1_11target_archE1030ELNS1_3gpuE2ELNS1_3repE0EEENS1_47radix_sort_onesweep_sort_config_static_selectorELNS0_4arch9wavefront6targetE0EEEvSK_,"axG",@progbits,_ZN7rocprim17ROCPRIM_400000_NS6detail17trampoline_kernelINS0_14default_configENS1_35radix_sort_onesweep_config_selectorIiNS0_10empty_typeEEEZZNS1_29radix_sort_onesweep_iterationIS3_Lb1EN6thrust23THRUST_200600_302600_NS6detail15normal_iteratorINS9_10device_ptrIiEEEESE_PS5_SF_jNS0_19identity_decomposerENS1_16block_id_wrapperIjLb1EEEEE10hipError_tT1_PNSt15iterator_traitsISK_E10value_typeET2_T3_PNSL_ISQ_E10value_typeET4_T5_PSV_SW_PNS1_23onesweep_lookback_stateEbbT6_jjT7_P12ihipStream_tbENKUlT_T0_SK_SP_E_clIPiSE_SF_SF_EEDaS13_S14_SK_SP_EUlS13_E_NS1_11comp_targetILNS1_3genE8ELNS1_11target_archE1030ELNS1_3gpuE2ELNS1_3repE0EEENS1_47radix_sort_onesweep_sort_config_static_selectorELNS0_4arch9wavefront6targetE0EEEvSK_,comdat
	.protected	_ZN7rocprim17ROCPRIM_400000_NS6detail17trampoline_kernelINS0_14default_configENS1_35radix_sort_onesweep_config_selectorIiNS0_10empty_typeEEEZZNS1_29radix_sort_onesweep_iterationIS3_Lb1EN6thrust23THRUST_200600_302600_NS6detail15normal_iteratorINS9_10device_ptrIiEEEESE_PS5_SF_jNS0_19identity_decomposerENS1_16block_id_wrapperIjLb1EEEEE10hipError_tT1_PNSt15iterator_traitsISK_E10value_typeET2_T3_PNSL_ISQ_E10value_typeET4_T5_PSV_SW_PNS1_23onesweep_lookback_stateEbbT6_jjT7_P12ihipStream_tbENKUlT_T0_SK_SP_E_clIPiSE_SF_SF_EEDaS13_S14_SK_SP_EUlS13_E_NS1_11comp_targetILNS1_3genE8ELNS1_11target_archE1030ELNS1_3gpuE2ELNS1_3repE0EEENS1_47radix_sort_onesweep_sort_config_static_selectorELNS0_4arch9wavefront6targetE0EEEvSK_ ; -- Begin function _ZN7rocprim17ROCPRIM_400000_NS6detail17trampoline_kernelINS0_14default_configENS1_35radix_sort_onesweep_config_selectorIiNS0_10empty_typeEEEZZNS1_29radix_sort_onesweep_iterationIS3_Lb1EN6thrust23THRUST_200600_302600_NS6detail15normal_iteratorINS9_10device_ptrIiEEEESE_PS5_SF_jNS0_19identity_decomposerENS1_16block_id_wrapperIjLb1EEEEE10hipError_tT1_PNSt15iterator_traitsISK_E10value_typeET2_T3_PNSL_ISQ_E10value_typeET4_T5_PSV_SW_PNS1_23onesweep_lookback_stateEbbT6_jjT7_P12ihipStream_tbENKUlT_T0_SK_SP_E_clIPiSE_SF_SF_EEDaS13_S14_SK_SP_EUlS13_E_NS1_11comp_targetILNS1_3genE8ELNS1_11target_archE1030ELNS1_3gpuE2ELNS1_3repE0EEENS1_47radix_sort_onesweep_sort_config_static_selectorELNS0_4arch9wavefront6targetE0EEEvSK_
	.globl	_ZN7rocprim17ROCPRIM_400000_NS6detail17trampoline_kernelINS0_14default_configENS1_35radix_sort_onesweep_config_selectorIiNS0_10empty_typeEEEZZNS1_29radix_sort_onesweep_iterationIS3_Lb1EN6thrust23THRUST_200600_302600_NS6detail15normal_iteratorINS9_10device_ptrIiEEEESE_PS5_SF_jNS0_19identity_decomposerENS1_16block_id_wrapperIjLb1EEEEE10hipError_tT1_PNSt15iterator_traitsISK_E10value_typeET2_T3_PNSL_ISQ_E10value_typeET4_T5_PSV_SW_PNS1_23onesweep_lookback_stateEbbT6_jjT7_P12ihipStream_tbENKUlT_T0_SK_SP_E_clIPiSE_SF_SF_EEDaS13_S14_SK_SP_EUlS13_E_NS1_11comp_targetILNS1_3genE8ELNS1_11target_archE1030ELNS1_3gpuE2ELNS1_3repE0EEENS1_47radix_sort_onesweep_sort_config_static_selectorELNS0_4arch9wavefront6targetE0EEEvSK_
	.p2align	8
	.type	_ZN7rocprim17ROCPRIM_400000_NS6detail17trampoline_kernelINS0_14default_configENS1_35radix_sort_onesweep_config_selectorIiNS0_10empty_typeEEEZZNS1_29radix_sort_onesweep_iterationIS3_Lb1EN6thrust23THRUST_200600_302600_NS6detail15normal_iteratorINS9_10device_ptrIiEEEESE_PS5_SF_jNS0_19identity_decomposerENS1_16block_id_wrapperIjLb1EEEEE10hipError_tT1_PNSt15iterator_traitsISK_E10value_typeET2_T3_PNSL_ISQ_E10value_typeET4_T5_PSV_SW_PNS1_23onesweep_lookback_stateEbbT6_jjT7_P12ihipStream_tbENKUlT_T0_SK_SP_E_clIPiSE_SF_SF_EEDaS13_S14_SK_SP_EUlS13_E_NS1_11comp_targetILNS1_3genE8ELNS1_11target_archE1030ELNS1_3gpuE2ELNS1_3repE0EEENS1_47radix_sort_onesweep_sort_config_static_selectorELNS0_4arch9wavefront6targetE0EEEvSK_,@function
_ZN7rocprim17ROCPRIM_400000_NS6detail17trampoline_kernelINS0_14default_configENS1_35radix_sort_onesweep_config_selectorIiNS0_10empty_typeEEEZZNS1_29radix_sort_onesweep_iterationIS3_Lb1EN6thrust23THRUST_200600_302600_NS6detail15normal_iteratorINS9_10device_ptrIiEEEESE_PS5_SF_jNS0_19identity_decomposerENS1_16block_id_wrapperIjLb1EEEEE10hipError_tT1_PNSt15iterator_traitsISK_E10value_typeET2_T3_PNSL_ISQ_E10value_typeET4_T5_PSV_SW_PNS1_23onesweep_lookback_stateEbbT6_jjT7_P12ihipStream_tbENKUlT_T0_SK_SP_E_clIPiSE_SF_SF_EEDaS13_S14_SK_SP_EUlS13_E_NS1_11comp_targetILNS1_3genE8ELNS1_11target_archE1030ELNS1_3gpuE2ELNS1_3repE0EEENS1_47radix_sort_onesweep_sort_config_static_selectorELNS0_4arch9wavefront6targetE0EEEvSK_: ; @_ZN7rocprim17ROCPRIM_400000_NS6detail17trampoline_kernelINS0_14default_configENS1_35radix_sort_onesweep_config_selectorIiNS0_10empty_typeEEEZZNS1_29radix_sort_onesweep_iterationIS3_Lb1EN6thrust23THRUST_200600_302600_NS6detail15normal_iteratorINS9_10device_ptrIiEEEESE_PS5_SF_jNS0_19identity_decomposerENS1_16block_id_wrapperIjLb1EEEEE10hipError_tT1_PNSt15iterator_traitsISK_E10value_typeET2_T3_PNSL_ISQ_E10value_typeET4_T5_PSV_SW_PNS1_23onesweep_lookback_stateEbbT6_jjT7_P12ihipStream_tbENKUlT_T0_SK_SP_E_clIPiSE_SF_SF_EEDaS13_S14_SK_SP_EUlS13_E_NS1_11comp_targetILNS1_3genE8ELNS1_11target_archE1030ELNS1_3gpuE2ELNS1_3repE0EEENS1_47radix_sort_onesweep_sort_config_static_selectorELNS0_4arch9wavefront6targetE0EEEvSK_
; %bb.0:
	s_clause 0x2
	s_load_dwordx4 s[12:15], s[4:5], 0x28
	s_load_dwordx2 s[10:11], s[4:5], 0x38
	s_load_dwordx4 s[20:23], s[4:5], 0x44
	v_cmp_eq_u32_e64 s0, 0, v0
	s_and_saveexec_b32 s1, s0
	s_cbranch_execz .LBB362_4
; %bb.1:
	s_mov_b32 s3, exec_lo
	s_mov_b32 s2, exec_lo
	v_mbcnt_lo_u32_b32 v3, s3, 0
                                        ; implicit-def: $vgpr4
	v_cmpx_eq_u32_e32 0, v3
	s_cbranch_execz .LBB362_3
; %bb.2:
	s_load_dwordx2 s[8:9], s[4:5], 0x50
	s_bcnt1_i32_b32 s3, s3
	v_mov_b32_e32 v4, 0
	v_mov_b32_e32 v5, s3
	s_waitcnt lgkmcnt(0)
	global_atomic_add v4, v4, v5, s[8:9] glc
.LBB362_3:
	s_or_b32 exec_lo, exec_lo, s2
	s_waitcnt vmcnt(0)
	v_readfirstlane_b32 s2, v4
	v_mov_b32_e32 v4, 0
	v_add_nc_u32_e32 v3, s2, v3
	ds_write_b32 v4, v3 offset:36992
.LBB362_4:
	s_or_b32 exec_lo, exec_lo, s1
	v_mov_b32_e32 v3, 0
	s_clause 0x1
	s_load_dwordx4 s[16:19], s[4:5], 0x0
	s_load_dword s1, s[4:5], 0x20
	s_waitcnt lgkmcnt(0)
	s_barrier
	buffer_gl0_inv
	ds_read_b32 v3, v3 offset:36992
	v_mbcnt_lo_u32_b32 v12, -1, 0
	v_lshlrev_b32_e32 v11, 2, v0
	s_mov_b32 s2, -1
	s_waitcnt lgkmcnt(0)
	s_barrier
	buffer_gl0_inv
	v_cmp_le_u32_e32 vcc_lo, s22, v3
	v_readfirstlane_b32 s23, v3
	s_cbranch_vccz .LBB362_52
; %bb.5:
	s_lshl_b32 s3, s22, 12
	s_lshl_b32 s2, s23, 12
	s_sub_i32 s22, s1, s3
	s_mov_b32 s3, 0
	v_and_b32_e32 v3, 0xf80, v11
	v_lshlrev_b32_e32 v4, 2, v12
	s_lshl_b64 s[2:3], s[2:3], 2
	s_add_u32 s1, s16, s2
	s_addc_u32 s2, s17, s3
	v_lshlrev_b32_e32 v5, 2, v3
	v_add_co_u32 v4, s1, s1, v4
	v_add_co_ci_u32_e64 v6, null, s2, 0, s1
	v_or_b32_e32 v9, v12, v3
	v_bfrev_b32_e32 v3, 1
	v_add_co_u32 v7, vcc_lo, v4, v5
	v_add_co_ci_u32_e64 v8, null, 0, v6, vcc_lo
	v_mov_b32_e32 v4, v3
	v_mov_b32_e32 v5, v3
	;; [unrolled: 1-line block ×3, first 2 shown]
	s_mov_b32 s1, exec_lo
	v_cmpx_gt_u32_e64 s22, v9
	s_cbranch_execz .LBB362_7
; %bb.6:
	global_load_dword v13, v[7:8], off
	v_mov_b32_e32 v14, v3
	v_mov_b32_e32 v15, v3
	;; [unrolled: 1-line block ×3, first 2 shown]
	s_waitcnt vmcnt(0)
	v_mov_b32_e32 v3, v13
	v_mov_b32_e32 v4, v14
	;; [unrolled: 1-line block ×4, first 2 shown]
.LBB362_7:
	s_or_b32 exec_lo, exec_lo, s1
	v_or_b32_e32 v10, 32, v9
	s_mov_b32 s1, exec_lo
	v_cmpx_gt_u32_e64 s22, v10
	s_cbranch_execz .LBB362_9
; %bb.8:
	global_load_dword v4, v[7:8], off offset:128
.LBB362_9:
	s_or_b32 exec_lo, exec_lo, s1
	v_or_b32_e32 v10, 64, v9
	s_mov_b32 s1, exec_lo
	v_cmpx_gt_u32_e64 s22, v10
	s_cbranch_execz .LBB362_11
; %bb.10:
	global_load_dword v5, v[7:8], off offset:256
.LBB362_11:
	;; [unrolled: 8-line block ×3, first 2 shown]
	s_or_b32 exec_lo, exec_lo, s1
	s_clause 0x1
	s_load_dword s1, s[4:5], 0x64
	s_load_dword s24, s[4:5], 0x58
	s_add_u32 s2, s4, 0x58
	s_addc_u32 s3, s5, 0
	v_mov_b32_e32 v10, 0
	v_xor_b32_e32 v13, 0x7fffffff, v3
	v_lshrrev_b32_e32 v3, s20, v13
	s_waitcnt lgkmcnt(0)
	s_lshr_b32 s7, s1, 16
	s_cmp_lt_u32 s6, s24
	s_cselect_b32 s1, 12, 18
	s_add_u32 s2, s2, s1
	s_addc_u32 s3, s3, 0
	s_lshl_b32 s1, -1, s21
	global_load_ushort v7, v10, s[2:3]
	s_not_b32 s25, s1
	v_and_b32_e32 v3, s25, v3
	v_and_b32_e32 v8, 1, v3
	v_lshlrev_b32_e32 v9, 30, v3
	v_lshlrev_b32_e32 v14, 29, v3
	;; [unrolled: 1-line block ×4, first 2 shown]
	v_add_co_u32 v8, s1, v8, -1
	v_cndmask_b32_e64 v15, 0, 1, s1
	v_not_b32_e32 v19, v9
	v_cmp_gt_i32_e64 s1, 0, v9
	v_not_b32_e32 v9, v14
	v_lshlrev_b32_e32 v18, 26, v3
	v_cmp_ne_u32_e32 vcc_lo, 0, v15
	v_ashrrev_i32_e32 v19, 31, v19
	v_lshlrev_b32_e32 v15, 25, v3
	v_ashrrev_i32_e32 v9, 31, v9
	v_xor_b32_e32 v8, vcc_lo, v8
	v_cmp_gt_i32_e32 vcc_lo, 0, v14
	v_not_b32_e32 v14, v16
	v_xor_b32_e32 v19, s1, v19
	v_cmp_gt_i32_e64 s1, 0, v16
	v_and_b32_e32 v8, exec_lo, v8
	v_not_b32_e32 v16, v17
	v_ashrrev_i32_e32 v14, 31, v14
	v_xor_b32_e32 v9, vcc_lo, v9
	v_cmp_gt_i32_e32 vcc_lo, 0, v17
	v_and_b32_e32 v8, v8, v19
	v_not_b32_e32 v17, v18
	v_ashrrev_i32_e32 v16, 31, v16
	v_xor_b32_e32 v14, s1, v14
	v_cmp_gt_i32_e64 s1, 0, v18
	v_and_b32_e32 v8, v8, v9
	v_not_b32_e32 v9, v15
	v_ashrrev_i32_e32 v17, 31, v17
	v_xor_b32_e32 v16, vcc_lo, v16
	v_cmp_gt_i32_e32 vcc_lo, 0, v15
	v_and_b32_e32 v8, v8, v14
	v_lshlrev_b32_e32 v14, 24, v3
	v_ashrrev_i32_e32 v9, 31, v9
	v_xor_b32_e32 v15, s1, v17
	v_and_b32_e32 v8, v8, v16
	v_not_b32_e32 v16, v14
	v_xor_b32_e32 v9, vcc_lo, v9
	v_cmp_gt_i32_e32 vcc_lo, 0, v14
	v_and_b32_e32 v8, v8, v15
	v_mad_u32_u24 v15, v2, s7, v1
	v_ashrrev_i32_e32 v14, 31, v16
	v_mul_u32_u24_e32 v16, 36, v0
	v_and_b32_e32 v17, v8, v9
	ds_write2_b32 v16, v10, v10 offset0:32 offset1:33
	ds_write2_b32 v16, v10, v10 offset0:34 offset1:35
	;; [unrolled: 1-line block ×4, first 2 shown]
	ds_write_b32 v16, v10 offset:160
	s_waitcnt vmcnt(0) lgkmcnt(0)
	s_barrier
	buffer_gl0_inv
	; wave barrier
	v_mad_u64_u32 v[8:9], null, v15, v7, v[0:1]
	v_xor_b32_e32 v7, vcc_lo, v14
	v_mul_lo_u32 v9, 0x84, v3
	v_and_b32_e32 v7, v17, v7
	v_lshrrev_b32_e32 v8, 3, v8
	v_mbcnt_lo_u32_b32 v14, v7, 0
	v_and_b32_e32 v3, 0x1ffffffc, v8
	v_cmp_ne_u32_e64 s1, 0, v7
	v_cmp_eq_u32_e32 vcc_lo, 0, v14
	v_add_nc_u32_e32 v17, v3, v9
	s_and_b32 s2, s1, vcc_lo
	s_and_saveexec_b32 s1, s2
; %bb.14:
	v_bcnt_u32_b32 v7, v7, 0
	ds_write_b32 v17, v7 offset:128
; %bb.15:
	s_or_b32 exec_lo, exec_lo, s1
	v_xor_b32_e32 v15, 0x7fffffff, v4
	; wave barrier
	v_lshrrev_b32_e32 v4, s20, v15
	v_and_b32_e32 v4, s25, v4
	v_and_b32_e32 v8, 1, v4
	v_lshlrev_b32_e32 v9, 30, v4
	v_lshlrev_b32_e32 v10, 29, v4
	v_lshlrev_b32_e32 v18, 28, v4
	v_lshlrev_b32_e32 v20, 27, v4
	v_add_co_u32 v8, s1, v8, -1
	v_cndmask_b32_e64 v19, 0, 1, s1
	v_not_b32_e32 v23, v9
	v_cmp_gt_i32_e64 s1, 0, v9
	v_not_b32_e32 v9, v10
	v_lshlrev_b32_e32 v21, 26, v4
	v_cmp_ne_u32_e32 vcc_lo, 0, v19
	v_ashrrev_i32_e32 v19, 31, v23
	v_lshlrev_b32_e32 v22, 25, v4
	v_ashrrev_i32_e32 v9, 31, v9
	v_mul_lo_u32 v7, 0x84, v4
	v_xor_b32_e32 v8, vcc_lo, v8
	v_cmp_gt_i32_e32 vcc_lo, 0, v10
	v_not_b32_e32 v10, v18
	v_xor_b32_e32 v19, s1, v19
	v_cmp_gt_i32_e64 s1, 0, v18
	v_and_b32_e32 v8, exec_lo, v8
	v_not_b32_e32 v18, v20
	v_ashrrev_i32_e32 v10, 31, v10
	v_xor_b32_e32 v9, vcc_lo, v9
	v_cmp_gt_i32_e32 vcc_lo, 0, v20
	v_and_b32_e32 v8, v8, v19
	v_not_b32_e32 v19, v21
	v_ashrrev_i32_e32 v18, 31, v18
	v_xor_b32_e32 v10, s1, v10
	v_lshlrev_b32_e32 v4, 24, v4
	v_and_b32_e32 v8, v8, v9
	v_cmp_gt_i32_e64 s1, 0, v21
	v_not_b32_e32 v9, v22
	v_ashrrev_i32_e32 v19, 31, v19
	v_xor_b32_e32 v18, vcc_lo, v18
	v_and_b32_e32 v8, v8, v10
	v_cmp_gt_i32_e32 vcc_lo, 0, v22
	v_not_b32_e32 v10, v4
	v_ashrrev_i32_e32 v9, 31, v9
	v_xor_b32_e32 v19, s1, v19
	v_and_b32_e32 v8, v8, v18
	v_cmp_gt_i32_e64 s1, 0, v4
	v_ashrrev_i32_e32 v4, 31, v10
	v_xor_b32_e32 v9, vcc_lo, v9
	v_add_nc_u32_e32 v21, v3, v7
	v_and_b32_e32 v8, v8, v19
	v_xor_b32_e32 v4, s1, v4
	ds_read_b32 v18, v21 offset:128
	v_and_b32_e32 v7, v8, v9
	; wave barrier
	v_and_b32_e32 v4, v7, v4
	v_mbcnt_lo_u32_b32 v20, v4, 0
	v_cmp_ne_u32_e64 s1, 0, v4
	v_cmp_eq_u32_e32 vcc_lo, 0, v20
	s_and_b32 s2, s1, vcc_lo
	s_and_saveexec_b32 s1, s2
	s_cbranch_execz .LBB362_17
; %bb.16:
	s_waitcnt lgkmcnt(0)
	v_bcnt_u32_b32 v4, v4, v18
	ds_write_b32 v21, v4 offset:128
.LBB362_17:
	s_or_b32 exec_lo, exec_lo, s1
	v_xor_b32_e32 v19, 0x7fffffff, v5
	; wave barrier
	v_lshrrev_b32_e32 v4, s20, v19
	v_and_b32_e32 v4, s25, v4
	v_and_b32_e32 v7, 1, v4
	v_lshlrev_b32_e32 v8, 30, v4
	v_lshlrev_b32_e32 v9, 29, v4
	;; [unrolled: 1-line block ×4, first 2 shown]
	v_add_co_u32 v7, s1, v7, -1
	v_cndmask_b32_e64 v22, 0, 1, s1
	v_not_b32_e32 v26, v8
	v_cmp_gt_i32_e64 s1, 0, v8
	v_not_b32_e32 v8, v9
	v_lshlrev_b32_e32 v24, 26, v4
	v_cmp_ne_u32_e32 vcc_lo, 0, v22
	v_ashrrev_i32_e32 v22, 31, v26
	v_lshlrev_b32_e32 v25, 25, v4
	v_ashrrev_i32_e32 v8, 31, v8
	v_mul_lo_u32 v5, 0x84, v4
	v_xor_b32_e32 v7, vcc_lo, v7
	v_cmp_gt_i32_e32 vcc_lo, 0, v9
	v_not_b32_e32 v9, v10
	v_xor_b32_e32 v22, s1, v22
	v_cmp_gt_i32_e64 s1, 0, v10
	v_and_b32_e32 v7, exec_lo, v7
	v_not_b32_e32 v10, v23
	v_ashrrev_i32_e32 v9, 31, v9
	v_xor_b32_e32 v8, vcc_lo, v8
	v_cmp_gt_i32_e32 vcc_lo, 0, v23
	v_and_b32_e32 v7, v7, v22
	v_not_b32_e32 v22, v24
	v_ashrrev_i32_e32 v10, 31, v10
	v_xor_b32_e32 v9, s1, v9
	v_lshlrev_b32_e32 v4, 24, v4
	v_and_b32_e32 v7, v7, v8
	v_cmp_gt_i32_e64 s1, 0, v24
	v_not_b32_e32 v8, v25
	v_ashrrev_i32_e32 v22, 31, v22
	v_xor_b32_e32 v10, vcc_lo, v10
	v_and_b32_e32 v7, v7, v9
	v_cmp_gt_i32_e32 vcc_lo, 0, v25
	v_not_b32_e32 v9, v4
	v_ashrrev_i32_e32 v8, 31, v8
	v_xor_b32_e32 v22, s1, v22
	v_and_b32_e32 v7, v7, v10
	v_cmp_gt_i32_e64 s1, 0, v4
	v_ashrrev_i32_e32 v4, 31, v9
	v_xor_b32_e32 v8, vcc_lo, v8
	v_add_nc_u32_e32 v25, v3, v5
	v_and_b32_e32 v7, v7, v22
	v_xor_b32_e32 v4, s1, v4
	ds_read_b32 v22, v25 offset:128
	v_and_b32_e32 v5, v7, v8
	; wave barrier
	v_and_b32_e32 v4, v5, v4
	v_mbcnt_lo_u32_b32 v24, v4, 0
	v_cmp_ne_u32_e64 s1, 0, v4
	v_cmp_eq_u32_e32 vcc_lo, 0, v24
	s_and_b32 s2, s1, vcc_lo
	s_and_saveexec_b32 s1, s2
	s_cbranch_execz .LBB362_19
; %bb.18:
	s_waitcnt lgkmcnt(0)
	v_bcnt_u32_b32 v4, v4, v22
	ds_write_b32 v25, v4 offset:128
.LBB362_19:
	s_or_b32 exec_lo, exec_lo, s1
	v_xor_b32_e32 v23, 0x7fffffff, v6
	; wave barrier
	v_lshrrev_b32_e32 v4, s20, v23
	v_and_b32_e32 v4, s25, v4
	v_and_b32_e32 v6, 1, v4
	v_lshlrev_b32_e32 v7, 30, v4
	v_lshlrev_b32_e32 v8, 29, v4
	v_lshlrev_b32_e32 v9, 28, v4
	v_lshlrev_b32_e32 v26, 27, v4
	v_add_co_u32 v6, s1, v6, -1
	v_cndmask_b32_e64 v10, 0, 1, s1
	v_not_b32_e32 v29, v7
	v_cmp_gt_i32_e64 s1, 0, v7
	v_not_b32_e32 v7, v8
	v_lshlrev_b32_e32 v27, 26, v4
	v_cmp_ne_u32_e32 vcc_lo, 0, v10
	v_ashrrev_i32_e32 v10, 31, v29
	v_lshlrev_b32_e32 v28, 25, v4
	v_ashrrev_i32_e32 v7, 31, v7
	v_mul_lo_u32 v5, 0x84, v4
	v_xor_b32_e32 v6, vcc_lo, v6
	v_cmp_gt_i32_e32 vcc_lo, 0, v8
	v_not_b32_e32 v8, v9
	v_xor_b32_e32 v10, s1, v10
	v_cmp_gt_i32_e64 s1, 0, v9
	v_and_b32_e32 v6, exec_lo, v6
	v_not_b32_e32 v9, v26
	v_ashrrev_i32_e32 v8, 31, v8
	v_xor_b32_e32 v7, vcc_lo, v7
	v_cmp_gt_i32_e32 vcc_lo, 0, v26
	v_and_b32_e32 v6, v6, v10
	v_not_b32_e32 v10, v27
	v_ashrrev_i32_e32 v9, 31, v9
	v_xor_b32_e32 v8, s1, v8
	v_lshlrev_b32_e32 v4, 24, v4
	v_and_b32_e32 v6, v6, v7
	v_cmp_gt_i32_e64 s1, 0, v27
	v_not_b32_e32 v7, v28
	v_ashrrev_i32_e32 v10, 31, v10
	v_xor_b32_e32 v9, vcc_lo, v9
	v_and_b32_e32 v6, v6, v8
	v_cmp_gt_i32_e32 vcc_lo, 0, v28
	v_not_b32_e32 v8, v4
	v_ashrrev_i32_e32 v7, 31, v7
	v_xor_b32_e32 v10, s1, v10
	v_and_b32_e32 v6, v6, v9
	v_cmp_gt_i32_e64 s1, 0, v4
	v_ashrrev_i32_e32 v4, 31, v8
	v_xor_b32_e32 v7, vcc_lo, v7
	v_add_nc_u32_e32 v28, v3, v5
	v_and_b32_e32 v6, v6, v10
	v_xor_b32_e32 v3, s1, v4
	ds_read_b32 v26, v28 offset:128
	v_and_b32_e32 v4, v6, v7
	; wave barrier
	v_and_b32_e32 v3, v4, v3
	v_mbcnt_lo_u32_b32 v27, v3, 0
	v_cmp_ne_u32_e64 s1, 0, v3
	v_cmp_eq_u32_e32 vcc_lo, 0, v27
	s_and_b32 s2, s1, vcc_lo
	s_and_saveexec_b32 s1, s2
	s_cbranch_execz .LBB362_21
; %bb.20:
	s_waitcnt lgkmcnt(0)
	v_bcnt_u32_b32 v3, v3, v26
	ds_write_b32 v28, v3 offset:128
.LBB362_21:
	s_or_b32 exec_lo, exec_lo, s1
	; wave barrier
	s_waitcnt lgkmcnt(0)
	s_barrier
	buffer_gl0_inv
	ds_read2_b32 v[9:10], v16 offset0:32 offset1:33
	ds_read2_b32 v[7:8], v16 offset0:34 offset1:35
	ds_read2_b32 v[5:6], v16 offset0:36 offset1:37
	ds_read2_b32 v[3:4], v16 offset0:38 offset1:39
	ds_read_b32 v29, v16 offset:160
	v_and_b32_e32 v32, 16, v12
	v_and_b32_e32 v33, 31, v0
	s_mov_b32 s9, exec_lo
	v_cmp_eq_u32_e64 s7, 0, v32
	s_waitcnt lgkmcnt(3)
	v_add3_u32 v30, v10, v9, v7
	s_waitcnt lgkmcnt(2)
	v_add3_u32 v30, v30, v8, v5
	;; [unrolled: 2-line block ×4, first 2 shown]
	v_and_b32_e32 v30, 15, v12
	v_mov_b32_dpp v31, v29 row_shr:1 row_mask:0xf bank_mask:0xf
	v_cmp_eq_u32_e32 vcc_lo, 0, v30
	v_cmp_lt_u32_e64 s1, 1, v30
	v_cmp_lt_u32_e64 s2, 3, v30
	;; [unrolled: 1-line block ×3, first 2 shown]
	v_cndmask_b32_e64 v31, v31, 0, vcc_lo
	v_add_nc_u32_e32 v29, v31, v29
	v_mov_b32_dpp v31, v29 row_shr:2 row_mask:0xf bank_mask:0xf
	v_cndmask_b32_e64 v31, 0, v31, s1
	v_add_nc_u32_e32 v29, v29, v31
	v_mov_b32_dpp v31, v29 row_shr:4 row_mask:0xf bank_mask:0xf
	v_cndmask_b32_e64 v31, 0, v31, s2
	;; [unrolled: 3-line block ×3, first 2 shown]
	v_bfe_i32 v31, v12, 4, 1
	v_add_nc_u32_e32 v29, v29, v30
	ds_swizzle_b32 v30, v29 offset:swizzle(BROADCAST,32,15)
	s_waitcnt lgkmcnt(0)
	v_and_b32_e32 v31, v31, v30
	v_lshrrev_b32_e32 v30, 5, v0
	v_add_nc_u32_e32 v29, v29, v31
	v_cmpx_eq_u32_e32 31, v33
; %bb.22:
	v_lshlrev_b32_e32 v31, 2, v30
	ds_write_b32 v31, v29
; %bb.23:
	s_or_b32 exec_lo, exec_lo, s9
	v_cmp_lt_u32_e64 s8, 31, v0
	s_mov_b32 s26, exec_lo
	s_waitcnt lgkmcnt(0)
	s_barrier
	buffer_gl0_inv
	v_cmpx_gt_u32_e32 32, v0
	s_cbranch_execz .LBB362_25
; %bb.24:
	ds_read_b32 v31, v11
	s_waitcnt lgkmcnt(0)
	v_mov_b32_dpp v32, v31 row_shr:1 row_mask:0xf bank_mask:0xf
	v_cndmask_b32_e64 v32, v32, 0, vcc_lo
	v_add_nc_u32_e32 v31, v32, v31
	v_mov_b32_dpp v32, v31 row_shr:2 row_mask:0xf bank_mask:0xf
	v_cndmask_b32_e64 v32, 0, v32, s1
	v_add_nc_u32_e32 v31, v31, v32
	v_mov_b32_dpp v32, v31 row_shr:4 row_mask:0xf bank_mask:0xf
	v_cndmask_b32_e64 v32, 0, v32, s2
	v_add_nc_u32_e32 v31, v31, v32
	v_mov_b32_dpp v32, v31 row_shr:8 row_mask:0xf bank_mask:0xf
	v_cndmask_b32_e64 v32, 0, v32, s3
	v_add_nc_u32_e32 v31, v31, v32
	ds_swizzle_b32 v32, v31 offset:swizzle(BROADCAST,32,15)
	s_waitcnt lgkmcnt(0)
	v_cndmask_b32_e64 v32, v32, 0, s7
	v_add_nc_u32_e32 v31, v31, v32
	ds_write_b32 v11, v31
.LBB362_25:
	s_or_b32 exec_lo, exec_lo, s26
	v_mov_b32_e32 v31, 0
	s_waitcnt lgkmcnt(0)
	s_barrier
	buffer_gl0_inv
	s_and_saveexec_b32 s1, s8
; %bb.26:
	v_lshl_add_u32 v30, v30, 2, -4
	ds_read_b32 v31, v30
; %bb.27:
	s_or_b32 exec_lo, exec_lo, s1
	v_sub_co_u32 v30, vcc_lo, v12, 1
	s_waitcnt lgkmcnt(0)
	v_add_nc_u32_e32 v29, v31, v29
	v_cmp_gt_i32_e64 s1, 0, v30
	v_cndmask_b32_e64 v30, v30, v12, s1
	v_cmp_gt_u32_e64 s1, 0x100, v0
	v_lshlrev_b32_e32 v30, 2, v30
	ds_bpermute_b32 v29, v30, v29
	s_waitcnt lgkmcnt(0)
	v_cndmask_b32_e32 v29, v29, v31, vcc_lo
	v_cmp_lt_u32_e32 vcc_lo, 0xff, v0
	v_cndmask_b32_e64 v29, v29, 0, s0
	v_add_nc_u32_e32 v9, v29, v9
	v_add_nc_u32_e32 v10, v9, v10
	;; [unrolled: 1-line block ×8, first 2 shown]
	ds_write2_b32 v16, v29, v9 offset0:32 offset1:33
	ds_write2_b32 v16, v10, v7 offset0:34 offset1:35
	;; [unrolled: 1-line block ×4, first 2 shown]
	ds_write_b32 v16, v4 offset:160
	s_waitcnt lgkmcnt(0)
	s_barrier
	buffer_gl0_inv
	ds_read_b32 v3, v17 offset:128
	ds_read_b32 v6, v21 offset:128
	;; [unrolled: 1-line block ×4, first 2 shown]
                                        ; implicit-def: $vgpr9
                                        ; implicit-def: $vgpr10
	s_and_saveexec_b32 s3, s1
	s_cbranch_execz .LBB362_31
; %bb.28:
	v_mul_u32_u24_e32 v7, 0x84, v0
	v_add_nc_u32_e32 v8, 1, v0
	s_mov_b32 s7, exec_lo
	ds_read_b32 v9, v7 offset:128
	v_mov_b32_e32 v7, 0x1000
	v_cmpx_ne_u32_e32 0x100, v8
; %bb.29:
	v_mul_u32_u24_e32 v7, 0x84, v8
	ds_read_b32 v7, v7 offset:128
; %bb.30:
	s_or_b32 exec_lo, exec_lo, s7
	s_waitcnt lgkmcnt(0)
	v_sub_nc_u32_e32 v10, v7, v9
.LBB362_31:
	s_or_b32 exec_lo, exec_lo, s3
	v_lshlrev_b32_e32 v7, 2, v14
	v_lshlrev_b32_e32 v8, 2, v20
	;; [unrolled: 1-line block ×5, first 2 shown]
	s_waitcnt lgkmcnt(0)
	v_lshlrev_b32_e32 v4, 2, v4
	v_lshlrev_b32_e32 v6, 2, v6
	;; [unrolled: 1-line block ×5, first 2 shown]
	v_lshl_add_u32 v3, v3, 2, v7
	v_add3_u32 v7, v18, v20, v4
	v_mov_b32_e32 v4, 0
	v_add3_u32 v6, v8, v14, v6
	v_add3_u32 v5, v16, v17, v5
	s_barrier
	buffer_gl0_inv
	ds_write_b32 v3, v13 offset:1024
	ds_write_b32 v6, v15 offset:1024
	ds_write_b32 v5, v19 offset:1024
	ds_write_b32 v7, v23 offset:1024
	s_and_saveexec_b32 s2, s1
	s_cbranch_execz .LBB362_41
; %bb.32:
	v_lshl_add_u32 v3, s23, 8, v0
	v_mov_b32_e32 v13, 0
	s_mov_b32 s3, 0
	s_mov_b32 s7, s23
	v_lshlrev_b64 v[5:6], 2, v[3:4]
	v_or_b32_e32 v3, 2.0, v10
	v_add_co_u32 v5, s1, s10, v5
	v_add_co_ci_u32_e64 v6, null, s11, v6, s1
                                        ; implicit-def: $sgpr1
	global_store_dword v[5:6], v3, off
	s_branch .LBB362_35
	.p2align	6
.LBB362_33:                             ;   in Loop: Header=BB362_35 Depth=1
	s_or_b32 exec_lo, exec_lo, s9
.LBB362_34:                             ;   in Loop: Header=BB362_35 Depth=1
	s_or_b32 exec_lo, exec_lo, s8
	v_and_b32_e32 v7, 0x3fffffff, v3
	v_cmp_gt_i32_e64 s1, -2.0, v3
	v_add_nc_u32_e32 v13, v7, v13
	s_and_b32 s8, exec_lo, s1
	s_or_b32 s3, s8, s3
	s_andn2_b32 exec_lo, exec_lo, s3
	s_cbranch_execz .LBB362_40
.LBB362_35:                             ; =>This Loop Header: Depth=1
                                        ;     Child Loop BB362_38 Depth 2
	s_or_b32 s1, s1, exec_lo
	s_cmp_eq_u32 s7, 0
	s_cbranch_scc1 .LBB362_39
; %bb.36:                               ;   in Loop: Header=BB362_35 Depth=1
	s_add_i32 s7, s7, -1
	s_mov_b32 s8, exec_lo
	v_lshl_or_b32 v3, s7, 8, v0
	v_lshlrev_b64 v[7:8], 2, v[3:4]
	v_add_co_u32 v7, s1, s10, v7
	v_add_co_ci_u32_e64 v8, null, s11, v8, s1
	global_load_dword v3, v[7:8], off glc dlc
	s_waitcnt vmcnt(0)
	v_cmpx_gt_u32_e32 2.0, v3
	s_cbranch_execz .LBB362_34
; %bb.37:                               ;   in Loop: Header=BB362_35 Depth=1
	s_mov_b32 s9, 0
.LBB362_38:                             ;   Parent Loop BB362_35 Depth=1
                                        ; =>  This Inner Loop Header: Depth=2
	global_load_dword v3, v[7:8], off glc dlc
	s_waitcnt vmcnt(0)
	v_cmp_lt_u32_e64 s1, 0x3fffffff, v3
	s_or_b32 s9, s1, s9
	s_andn2_b32 exec_lo, exec_lo, s9
	s_cbranch_execnz .LBB362_38
	s_branch .LBB362_33
.LBB362_39:                             ;   in Loop: Header=BB362_35 Depth=1
                                        ; implicit-def: $sgpr7
	s_and_b32 s8, exec_lo, s1
	s_or_b32 s3, s8, s3
	s_andn2_b32 exec_lo, exec_lo, s3
	s_cbranch_execnz .LBB362_35
.LBB362_40:
	s_or_b32 exec_lo, exec_lo, s3
	v_add_nc_u32_e32 v3, v13, v10
	v_sub_nc_u32_e32 v4, v13, v9
	v_or_b32_e32 v3, 0x80000000, v3
	global_store_dword v[5:6], v3, off
	global_load_dword v3, v11, s[12:13]
	s_waitcnt vmcnt(0)
	v_add_nc_u32_e32 v3, v4, v3
	ds_write_b32 v11, v3
.LBB362_41:
	s_or_b32 exec_lo, exec_lo, s2
	s_mov_b32 s2, exec_lo
	s_waitcnt lgkmcnt(0)
	s_waitcnt_vscnt null, 0x0
	s_barrier
	buffer_gl0_inv
	v_cmpx_gt_u32_e64 s22, v0
	s_cbranch_execz .LBB362_43
; %bb.42:
	ds_read_b32 v5, v11 offset:1024
	v_mov_b32_e32 v4, 0
	s_waitcnt lgkmcnt(0)
	v_lshrrev_b32_e32 v3, s20, v5
	v_xor_b32_e32 v5, 0x7fffffff, v5
	v_and_b32_e32 v3, s25, v3
	v_lshlrev_b32_e32 v3, 2, v3
	ds_read_b32 v3, v3
	s_waitcnt lgkmcnt(0)
	v_add_nc_u32_e32 v3, v3, v0
	v_lshlrev_b64 v[3:4], 2, v[3:4]
	v_add_co_u32 v3, s1, s18, v3
	v_add_co_ci_u32_e64 v4, null, s19, v4, s1
	global_store_dword v[3:4], v5, off
.LBB362_43:
	s_or_b32 exec_lo, exec_lo, s2
	v_or_b32_e32 v3, 0x400, v0
	s_mov_b32 s2, exec_lo
	v_cmpx_gt_u32_e64 s22, v3
	s_cbranch_execz .LBB362_45
; %bb.44:
	ds_read_b32 v5, v11 offset:5120
	s_waitcnt lgkmcnt(0)
	v_lshrrev_b32_e32 v4, s20, v5
	v_xor_b32_e32 v5, 0x7fffffff, v5
	v_and_b32_e32 v4, s25, v4
	v_lshlrev_b32_e32 v4, 2, v4
	ds_read_b32 v6, v4
	v_mov_b32_e32 v4, 0
	s_waitcnt lgkmcnt(0)
	v_add_nc_u32_e32 v3, v6, v3
	v_lshlrev_b64 v[3:4], 2, v[3:4]
	v_add_co_u32 v3, s1, s18, v3
	v_add_co_ci_u32_e64 v4, null, s19, v4, s1
	global_store_dword v[3:4], v5, off
.LBB362_45:
	s_or_b32 exec_lo, exec_lo, s2
	v_or_b32_e32 v3, 0x800, v0
	s_mov_b32 s2, exec_lo
	v_cmpx_gt_u32_e64 s22, v3
	s_cbranch_execz .LBB362_47
; %bb.46:
	ds_read_b32 v5, v11 offset:9216
	s_waitcnt lgkmcnt(0)
	v_lshrrev_b32_e32 v4, s20, v5
	v_xor_b32_e32 v5, 0x7fffffff, v5
	v_and_b32_e32 v4, s25, v4
	v_lshlrev_b32_e32 v4, 2, v4
	ds_read_b32 v6, v4
	v_mov_b32_e32 v4, 0
	s_waitcnt lgkmcnt(0)
	v_add_nc_u32_e32 v3, v6, v3
	v_lshlrev_b64 v[3:4], 2, v[3:4]
	v_add_co_u32 v3, s1, s18, v3
	v_add_co_ci_u32_e64 v4, null, s19, v4, s1
	global_store_dword v[3:4], v5, off
.LBB362_47:
	;; [unrolled: 21-line block ×3, first 2 shown]
	s_or_b32 exec_lo, exec_lo, s2
	s_add_i32 s24, s24, -1
	s_cmp_eq_u32 s23, s24
	s_cselect_b32 s1, -1, 0
	s_xor_b32 s2, vcc_lo, -1
	s_and_b32 s2, s2, s1
	s_and_saveexec_b32 s1, s2
	s_cbranch_execz .LBB362_51
; %bb.50:
	ds_read_b32 v3, v11
	s_waitcnt lgkmcnt(0)
	v_add3_u32 v3, v9, v10, v3
	global_store_dword v11, v3, s[14:15]
.LBB362_51:
	s_or_b32 exec_lo, exec_lo, s1
	s_mov_b32 s2, 0
.LBB362_52:
	s_and_b32 vcc_lo, exec_lo, s2
	s_cbranch_vccz .LBB362_83
; %bb.53:
	s_lshl_b32 s2, s23, 12
	s_mov_b32 s3, 0
	v_lshlrev_b32_e32 v3, 4, v0
	v_lshlrev_b32_e32 v4, 2, v12
	s_lshl_b64 s[2:3], s[2:3], 2
	v_mov_b32_e32 v13, 0
	s_add_u32 s1, s16, s2
	s_addc_u32 s2, s17, s3
	v_and_b32_e32 v3, 0x3e00, v3
	v_add_co_u32 v4, s1, s1, v4
	v_add_co_ci_u32_e64 v5, null, s2, 0, s1
	s_add_u32 s2, s4, 0x58
	v_add_co_u32 v6, vcc_lo, v4, v3
	v_add_co_ci_u32_e64 v7, null, 0, v5, vcc_lo
	s_addc_u32 s3, s5, 0
	global_load_dword v8, v[6:7], off
	s_clause 0x1
	s_load_dword s1, s[4:5], 0x64
	s_load_dword s7, s[4:5], 0x58
	s_waitcnt lgkmcnt(0)
	s_lshr_b32 s4, s1, 16
	s_cmp_lt_u32 s6, s7
	v_mad_u32_u24 v1, v2, s4, v1
	s_cselect_b32 s1, 12, 18
	s_add_u32 s2, s2, s1
	s_addc_u32 s3, s3, 0
	global_load_ushort v10, v13, s[2:3]
	s_clause 0x2
	global_load_dword v5, v[6:7], off offset:128
	global_load_dword v4, v[6:7], off offset:256
	;; [unrolled: 1-line block ×3, first 2 shown]
	s_lshl_b32 s1, -1, s21
	s_not_b32 s8, s1
	s_waitcnt vmcnt(4)
	v_xor_b32_e32 v9, 0x7fffffff, v8
	v_lshrrev_b32_e32 v6, s20, v9
	v_and_b32_e32 v6, s8, v6
	v_and_b32_e32 v7, 1, v6
	v_lshlrev_b32_e32 v8, 30, v6
	v_lshlrev_b32_e32 v14, 29, v6
	v_lshlrev_b32_e32 v15, 28, v6
	v_lshlrev_b32_e32 v17, 27, v6
	v_add_co_u32 v7, s1, v7, -1
	v_cndmask_b32_e64 v16, 0, 1, s1
	v_not_b32_e32 v20, v8
	v_cmp_gt_i32_e64 s1, 0, v8
	v_not_b32_e32 v8, v14
	v_lshlrev_b32_e32 v18, 26, v6
	v_cmp_ne_u32_e32 vcc_lo, 0, v16
	v_ashrrev_i32_e32 v20, 31, v20
	v_lshlrev_b32_e32 v19, 25, v6
	v_ashrrev_i32_e32 v8, 31, v8
	v_lshlrev_b32_e32 v16, 24, v6
	v_xor_b32_e32 v7, vcc_lo, v7
	v_cmp_gt_i32_e32 vcc_lo, 0, v14
	v_not_b32_e32 v14, v15
	v_xor_b32_e32 v20, s1, v20
	v_cmp_gt_i32_e64 s1, 0, v15
	v_and_b32_e32 v7, exec_lo, v7
	v_not_b32_e32 v15, v17
	v_ashrrev_i32_e32 v14, 31, v14
	v_xor_b32_e32 v8, vcc_lo, v8
	v_cmp_gt_i32_e32 vcc_lo, 0, v17
	v_and_b32_e32 v7, v7, v20
	v_not_b32_e32 v17, v18
	v_ashrrev_i32_e32 v15, 31, v15
	v_xor_b32_e32 v14, s1, v14
	v_cmp_gt_i32_e64 s1, 0, v18
	v_and_b32_e32 v7, v7, v8
	v_not_b32_e32 v8, v19
	v_ashrrev_i32_e32 v17, 31, v17
	v_xor_b32_e32 v15, vcc_lo, v15
	v_cmp_gt_i32_e32 vcc_lo, 0, v19
	v_and_b32_e32 v7, v7, v14
	v_not_b32_e32 v14, v16
	v_ashrrev_i32_e32 v8, 31, v8
	v_xor_b32_e32 v17, s1, v17
	v_cmp_gt_i32_e64 s1, 0, v16
	v_and_b32_e32 v7, v7, v15
	v_ashrrev_i32_e32 v15, 31, v14
	v_xor_b32_e32 v8, vcc_lo, v8
	s_waitcnt vmcnt(3)
	v_mad_u64_u32 v[1:2], null, v1, v10, v[0:1]
	v_and_b32_e32 v7, v7, v17
	v_xor_b32_e32 v2, s1, v15
	v_mul_lo_u32 v6, 0x84, v6
	v_mul_u32_u24_e32 v14, 36, v0
	v_and_b32_e32 v7, v7, v8
	v_lshrrev_b32_e32 v1, 3, v1
	ds_write2_b32 v14, v13, v13 offset0:32 offset1:33
	ds_write2_b32 v14, v13, v13 offset0:34 offset1:35
	;; [unrolled: 1-line block ×3, first 2 shown]
	v_and_b32_e32 v2, v7, v2
	v_and_b32_e32 v1, 0x1ffffffc, v1
	ds_write2_b32 v14, v13, v13 offset0:38 offset1:39
	ds_write_b32 v14, v13 offset:160
	s_waitcnt vmcnt(0) lgkmcnt(0)
	s_waitcnt_vscnt null, 0x0
	s_barrier
	v_mbcnt_lo_u32_b32 v10, v2, 0
	v_cmp_ne_u32_e64 s1, 0, v2
	v_add_nc_u32_e32 v15, v1, v6
	buffer_gl0_inv
	v_cmp_eq_u32_e32 vcc_lo, 0, v10
	; wave barrier
	s_and_b32 s2, s1, vcc_lo
	s_and_saveexec_b32 s1, s2
; %bb.54:
	v_bcnt_u32_b32 v2, v2, 0
	ds_write_b32 v15, v2 offset:128
; %bb.55:
	s_or_b32 exec_lo, exec_lo, s1
	v_xor_b32_e32 v13, 0x7fffffff, v5
	; wave barrier
	v_lshrrev_b32_e32 v2, s20, v13
	v_and_b32_e32 v2, s8, v2
	v_and_b32_e32 v6, 1, v2
	v_lshlrev_b32_e32 v7, 30, v2
	v_lshlrev_b32_e32 v8, 29, v2
	;; [unrolled: 1-line block ×4, first 2 shown]
	v_add_co_u32 v6, s1, v6, -1
	v_cndmask_b32_e64 v17, 0, 1, s1
	v_not_b32_e32 v21, v7
	v_cmp_gt_i32_e64 s1, 0, v7
	v_not_b32_e32 v7, v8
	v_lshlrev_b32_e32 v19, 26, v2
	v_cmp_ne_u32_e32 vcc_lo, 0, v17
	v_ashrrev_i32_e32 v17, 31, v21
	v_lshlrev_b32_e32 v20, 25, v2
	v_ashrrev_i32_e32 v7, 31, v7
	v_mul_lo_u32 v5, 0x84, v2
	v_xor_b32_e32 v6, vcc_lo, v6
	v_cmp_gt_i32_e32 vcc_lo, 0, v8
	v_not_b32_e32 v8, v16
	v_xor_b32_e32 v17, s1, v17
	v_cmp_gt_i32_e64 s1, 0, v16
	v_and_b32_e32 v6, exec_lo, v6
	v_not_b32_e32 v16, v18
	v_ashrrev_i32_e32 v8, 31, v8
	v_xor_b32_e32 v7, vcc_lo, v7
	v_cmp_gt_i32_e32 vcc_lo, 0, v18
	v_and_b32_e32 v6, v6, v17
	v_not_b32_e32 v17, v19
	v_ashrrev_i32_e32 v16, 31, v16
	v_xor_b32_e32 v8, s1, v8
	v_lshlrev_b32_e32 v2, 24, v2
	v_and_b32_e32 v6, v6, v7
	v_cmp_gt_i32_e64 s1, 0, v19
	v_not_b32_e32 v7, v20
	v_ashrrev_i32_e32 v17, 31, v17
	v_xor_b32_e32 v16, vcc_lo, v16
	v_and_b32_e32 v6, v6, v8
	v_cmp_gt_i32_e32 vcc_lo, 0, v20
	v_not_b32_e32 v8, v2
	v_ashrrev_i32_e32 v7, 31, v7
	v_xor_b32_e32 v17, s1, v17
	v_and_b32_e32 v6, v6, v16
	v_cmp_gt_i32_e64 s1, 0, v2
	v_ashrrev_i32_e32 v2, 31, v8
	v_xor_b32_e32 v7, vcc_lo, v7
	v_add_nc_u32_e32 v19, v1, v5
	v_and_b32_e32 v6, v6, v17
	v_xor_b32_e32 v2, s1, v2
	ds_read_b32 v16, v19 offset:128
	v_and_b32_e32 v5, v6, v7
	; wave barrier
	v_and_b32_e32 v2, v5, v2
	v_mbcnt_lo_u32_b32 v18, v2, 0
	v_cmp_ne_u32_e64 s1, 0, v2
	v_cmp_eq_u32_e32 vcc_lo, 0, v18
	s_and_b32 s2, s1, vcc_lo
	s_and_saveexec_b32 s1, s2
	s_cbranch_execz .LBB362_57
; %bb.56:
	s_waitcnt lgkmcnt(0)
	v_bcnt_u32_b32 v2, v2, v16
	ds_write_b32 v19, v2 offset:128
.LBB362_57:
	s_or_b32 exec_lo, exec_lo, s1
	v_xor_b32_e32 v17, 0x7fffffff, v4
	; wave barrier
	v_lshrrev_b32_e32 v2, s20, v17
	v_and_b32_e32 v2, s8, v2
	v_and_b32_e32 v5, 1, v2
	v_lshlrev_b32_e32 v6, 30, v2
	v_lshlrev_b32_e32 v7, 29, v2
	v_lshlrev_b32_e32 v8, 28, v2
	v_lshlrev_b32_e32 v21, 27, v2
	v_add_co_u32 v5, s1, v5, -1
	v_cndmask_b32_e64 v20, 0, 1, s1
	v_not_b32_e32 v24, v6
	v_cmp_gt_i32_e64 s1, 0, v6
	v_not_b32_e32 v6, v7
	v_lshlrev_b32_e32 v22, 26, v2
	v_cmp_ne_u32_e32 vcc_lo, 0, v20
	v_ashrrev_i32_e32 v20, 31, v24
	v_lshlrev_b32_e32 v23, 25, v2
	v_ashrrev_i32_e32 v6, 31, v6
	v_mul_lo_u32 v4, 0x84, v2
	v_xor_b32_e32 v5, vcc_lo, v5
	v_cmp_gt_i32_e32 vcc_lo, 0, v7
	v_not_b32_e32 v7, v8
	v_xor_b32_e32 v20, s1, v20
	v_cmp_gt_i32_e64 s1, 0, v8
	v_and_b32_e32 v5, exec_lo, v5
	v_not_b32_e32 v8, v21
	v_ashrrev_i32_e32 v7, 31, v7
	v_xor_b32_e32 v6, vcc_lo, v6
	v_cmp_gt_i32_e32 vcc_lo, 0, v21
	v_and_b32_e32 v5, v5, v20
	v_not_b32_e32 v20, v22
	v_ashrrev_i32_e32 v8, 31, v8
	v_xor_b32_e32 v7, s1, v7
	v_lshlrev_b32_e32 v2, 24, v2
	v_and_b32_e32 v5, v5, v6
	v_cmp_gt_i32_e64 s1, 0, v22
	v_not_b32_e32 v6, v23
	v_ashrrev_i32_e32 v20, 31, v20
	v_xor_b32_e32 v8, vcc_lo, v8
	v_and_b32_e32 v5, v5, v7
	v_cmp_gt_i32_e32 vcc_lo, 0, v23
	v_not_b32_e32 v7, v2
	v_ashrrev_i32_e32 v6, 31, v6
	v_xor_b32_e32 v20, s1, v20
	v_and_b32_e32 v5, v5, v8
	v_cmp_gt_i32_e64 s1, 0, v2
	v_ashrrev_i32_e32 v2, 31, v7
	v_xor_b32_e32 v6, vcc_lo, v6
	v_add_nc_u32_e32 v23, v1, v4
	v_and_b32_e32 v5, v5, v20
	v_xor_b32_e32 v2, s1, v2
	ds_read_b32 v20, v23 offset:128
	v_and_b32_e32 v4, v5, v6
	; wave barrier
	v_and_b32_e32 v2, v4, v2
	v_mbcnt_lo_u32_b32 v22, v2, 0
	v_cmp_ne_u32_e64 s1, 0, v2
	v_cmp_eq_u32_e32 vcc_lo, 0, v22
	s_and_b32 s2, s1, vcc_lo
	s_and_saveexec_b32 s1, s2
	s_cbranch_execz .LBB362_59
; %bb.58:
	s_waitcnt lgkmcnt(0)
	v_bcnt_u32_b32 v2, v2, v20
	ds_write_b32 v23, v2 offset:128
.LBB362_59:
	s_or_b32 exec_lo, exec_lo, s1
	v_xor_b32_e32 v21, 0x7fffffff, v3
	; wave barrier
	v_lshrrev_b32_e32 v2, s20, v21
	v_and_b32_e32 v2, s8, v2
	v_and_b32_e32 v4, 1, v2
	v_lshlrev_b32_e32 v5, 30, v2
	v_lshlrev_b32_e32 v6, 29, v2
	;; [unrolled: 1-line block ×4, first 2 shown]
	v_add_co_u32 v4, s1, v4, -1
	v_cndmask_b32_e64 v8, 0, 1, s1
	v_not_b32_e32 v27, v5
	v_cmp_gt_i32_e64 s1, 0, v5
	v_not_b32_e32 v5, v6
	v_lshlrev_b32_e32 v25, 26, v2
	v_cmp_ne_u32_e32 vcc_lo, 0, v8
	v_ashrrev_i32_e32 v8, 31, v27
	v_lshlrev_b32_e32 v26, 25, v2
	v_ashrrev_i32_e32 v5, 31, v5
	v_mul_lo_u32 v3, 0x84, v2
	v_xor_b32_e32 v4, vcc_lo, v4
	v_cmp_gt_i32_e32 vcc_lo, 0, v6
	v_not_b32_e32 v6, v7
	v_xor_b32_e32 v8, s1, v8
	v_cmp_gt_i32_e64 s1, 0, v7
	v_and_b32_e32 v4, exec_lo, v4
	v_not_b32_e32 v7, v24
	v_ashrrev_i32_e32 v6, 31, v6
	v_xor_b32_e32 v5, vcc_lo, v5
	v_cmp_gt_i32_e32 vcc_lo, 0, v24
	v_and_b32_e32 v4, v4, v8
	v_not_b32_e32 v8, v25
	v_ashrrev_i32_e32 v7, 31, v7
	v_xor_b32_e32 v6, s1, v6
	v_lshlrev_b32_e32 v2, 24, v2
	v_and_b32_e32 v4, v4, v5
	v_cmp_gt_i32_e64 s1, 0, v25
	v_not_b32_e32 v5, v26
	v_ashrrev_i32_e32 v8, 31, v8
	v_xor_b32_e32 v7, vcc_lo, v7
	v_and_b32_e32 v4, v4, v6
	v_cmp_gt_i32_e32 vcc_lo, 0, v26
	v_not_b32_e32 v6, v2
	v_ashrrev_i32_e32 v5, 31, v5
	v_xor_b32_e32 v8, s1, v8
	v_and_b32_e32 v4, v4, v7
	v_cmp_gt_i32_e64 s1, 0, v2
	v_ashrrev_i32_e32 v2, 31, v6
	v_xor_b32_e32 v5, vcc_lo, v5
	v_add_nc_u32_e32 v26, v1, v3
	v_and_b32_e32 v4, v4, v8
	v_xor_b32_e32 v1, s1, v2
	ds_read_b32 v24, v26 offset:128
	v_and_b32_e32 v2, v4, v5
	; wave barrier
	v_and_b32_e32 v1, v2, v1
	v_mbcnt_lo_u32_b32 v25, v1, 0
	v_cmp_ne_u32_e64 s1, 0, v1
	v_cmp_eq_u32_e32 vcc_lo, 0, v25
	s_and_b32 s2, s1, vcc_lo
	s_and_saveexec_b32 s1, s2
	s_cbranch_execz .LBB362_61
; %bb.60:
	s_waitcnt lgkmcnt(0)
	v_bcnt_u32_b32 v1, v1, v24
	ds_write_b32 v26, v1 offset:128
.LBB362_61:
	s_or_b32 exec_lo, exec_lo, s1
	; wave barrier
	s_waitcnt lgkmcnt(0)
	s_barrier
	buffer_gl0_inv
	ds_read2_b32 v[7:8], v14 offset0:32 offset1:33
	ds_read2_b32 v[5:6], v14 offset0:34 offset1:35
	;; [unrolled: 1-line block ×4, first 2 shown]
	ds_read_b32 v27, v14 offset:160
	v_and_b32_e32 v30, 16, v12
	v_and_b32_e32 v31, 31, v0
	s_mov_b32 s6, exec_lo
	v_cmp_eq_u32_e64 s4, 0, v30
	s_waitcnt lgkmcnt(3)
	v_add3_u32 v28, v8, v7, v5
	s_waitcnt lgkmcnt(2)
	v_add3_u32 v28, v28, v6, v3
	;; [unrolled: 2-line block ×4, first 2 shown]
	v_and_b32_e32 v28, 15, v12
	v_mov_b32_dpp v29, v27 row_shr:1 row_mask:0xf bank_mask:0xf
	v_cmp_eq_u32_e32 vcc_lo, 0, v28
	v_cmp_lt_u32_e64 s1, 1, v28
	v_cmp_lt_u32_e64 s2, 3, v28
	;; [unrolled: 1-line block ×3, first 2 shown]
	v_cndmask_b32_e64 v29, v29, 0, vcc_lo
	v_add_nc_u32_e32 v27, v29, v27
	v_mov_b32_dpp v29, v27 row_shr:2 row_mask:0xf bank_mask:0xf
	v_cndmask_b32_e64 v29, 0, v29, s1
	v_add_nc_u32_e32 v27, v27, v29
	v_mov_b32_dpp v29, v27 row_shr:4 row_mask:0xf bank_mask:0xf
	v_cndmask_b32_e64 v29, 0, v29, s2
	;; [unrolled: 3-line block ×3, first 2 shown]
	v_bfe_i32 v29, v12, 4, 1
	v_add_nc_u32_e32 v27, v27, v28
	ds_swizzle_b32 v28, v27 offset:swizzle(BROADCAST,32,15)
	s_waitcnt lgkmcnt(0)
	v_and_b32_e32 v29, v29, v28
	v_lshrrev_b32_e32 v28, 5, v0
	v_add_nc_u32_e32 v27, v27, v29
	v_cmpx_eq_u32_e32 31, v31
; %bb.62:
	v_lshlrev_b32_e32 v29, 2, v28
	ds_write_b32 v29, v27
; %bb.63:
	s_or_b32 exec_lo, exec_lo, s6
	v_cmp_lt_u32_e64 s5, 31, v0
	s_mov_b32 s9, exec_lo
	s_waitcnt lgkmcnt(0)
	s_barrier
	buffer_gl0_inv
	v_cmpx_gt_u32_e32 32, v0
	s_cbranch_execz .LBB362_65
; %bb.64:
	ds_read_b32 v29, v11
	s_waitcnt lgkmcnt(0)
	v_mov_b32_dpp v30, v29 row_shr:1 row_mask:0xf bank_mask:0xf
	v_cndmask_b32_e64 v30, v30, 0, vcc_lo
	v_add_nc_u32_e32 v29, v30, v29
	v_mov_b32_dpp v30, v29 row_shr:2 row_mask:0xf bank_mask:0xf
	v_cndmask_b32_e64 v30, 0, v30, s1
	v_add_nc_u32_e32 v29, v29, v30
	v_mov_b32_dpp v30, v29 row_shr:4 row_mask:0xf bank_mask:0xf
	v_cndmask_b32_e64 v30, 0, v30, s2
	;; [unrolled: 3-line block ×3, first 2 shown]
	v_add_nc_u32_e32 v29, v29, v30
	ds_swizzle_b32 v30, v29 offset:swizzle(BROADCAST,32,15)
	s_waitcnt lgkmcnt(0)
	v_cndmask_b32_e64 v30, v30, 0, s4
	v_add_nc_u32_e32 v29, v29, v30
	ds_write_b32 v11, v29
.LBB362_65:
	s_or_b32 exec_lo, exec_lo, s9
	v_mov_b32_e32 v29, 0
	s_waitcnt lgkmcnt(0)
	s_barrier
	buffer_gl0_inv
	s_and_saveexec_b32 s1, s5
; %bb.66:
	v_lshl_add_u32 v28, v28, 2, -4
	ds_read_b32 v29, v28
; %bb.67:
	s_or_b32 exec_lo, exec_lo, s1
	v_sub_co_u32 v28, vcc_lo, v12, 1
	s_waitcnt lgkmcnt(0)
	v_add_nc_u32_e32 v27, v29, v27
	v_cmp_gt_i32_e64 s1, 0, v28
	v_cndmask_b32_e64 v12, v28, v12, s1
	v_lshlrev_b32_e32 v12, 2, v12
	ds_bpermute_b32 v12, v12, v27
	s_waitcnt lgkmcnt(0)
	v_cndmask_b32_e32 v12, v12, v29, vcc_lo
	v_cmp_lt_u32_e32 vcc_lo, 0xff, v0
	v_cndmask_b32_e64 v12, v12, 0, s0
	v_cmp_gt_u32_e64 s0, 0x100, v0
	v_add_nc_u32_e32 v7, v12, v7
	v_add_nc_u32_e32 v8, v7, v8
	;; [unrolled: 1-line block ×8, first 2 shown]
	ds_write2_b32 v14, v12, v7 offset0:32 offset1:33
	ds_write2_b32 v14, v8, v5 offset0:34 offset1:35
	;; [unrolled: 1-line block ×4, first 2 shown]
	ds_write_b32 v14, v2 offset:160
	s_waitcnt lgkmcnt(0)
	s_barrier
	buffer_gl0_inv
	ds_read_b32 v1, v15 offset:128
	ds_read_b32 v4, v19 offset:128
	;; [unrolled: 1-line block ×4, first 2 shown]
                                        ; implicit-def: $vgpr7
                                        ; implicit-def: $vgpr8
	s_and_saveexec_b32 s2, s0
	s_cbranch_execz .LBB362_71
; %bb.68:
	v_mul_u32_u24_e32 v5, 0x84, v0
	v_add_nc_u32_e32 v6, 1, v0
	s_mov_b32 s3, exec_lo
	ds_read_b32 v7, v5 offset:128
	v_mov_b32_e32 v5, 0x1000
	v_cmpx_ne_u32_e32 0x100, v6
; %bb.69:
	v_mul_u32_u24_e32 v5, 0x84, v6
	ds_read_b32 v5, v5 offset:128
; %bb.70:
	s_or_b32 exec_lo, exec_lo, s3
	s_waitcnt lgkmcnt(0)
	v_sub_nc_u32_e32 v8, v5, v7
.LBB362_71:
	s_or_b32 exec_lo, exec_lo, s2
	v_lshlrev_b32_e32 v5, 2, v10
	v_lshlrev_b32_e32 v10, 2, v16
	;; [unrolled: 1-line block ×4, first 2 shown]
	s_waitcnt lgkmcnt(0)
	v_lshlrev_b32_e32 v2, 2, v2
	v_lshlrev_b32_e32 v6, 2, v18
	;; [unrolled: 1-line block ×6, first 2 shown]
	v_lshl_add_u32 v1, v1, 2, v5
	v_add3_u32 v5, v15, v16, v2
	v_mov_b32_e32 v2, 0
	v_add3_u32 v4, v6, v10, v4
	v_add3_u32 v3, v12, v14, v3
	s_barrier
	buffer_gl0_inv
	ds_write_b32 v1, v9 offset:1024
	ds_write_b32 v4, v13 offset:1024
	;; [unrolled: 1-line block ×4, first 2 shown]
	s_and_saveexec_b32 s1, s0
	s_cbranch_execz .LBB362_81
; %bb.72:
	v_lshl_add_u32 v1, s23, 8, v0
	v_mov_b32_e32 v9, 0
	s_mov_b32 s2, 0
	s_mov_b32 s3, s23
	v_lshlrev_b64 v[3:4], 2, v[1:2]
	v_or_b32_e32 v1, 2.0, v8
	v_add_co_u32 v3, s0, s10, v3
	v_add_co_ci_u32_e64 v4, null, s11, v4, s0
                                        ; implicit-def: $sgpr0
	global_store_dword v[3:4], v1, off
	s_branch .LBB362_75
	.p2align	6
.LBB362_73:                             ;   in Loop: Header=BB362_75 Depth=1
	s_or_b32 exec_lo, exec_lo, s5
.LBB362_74:                             ;   in Loop: Header=BB362_75 Depth=1
	s_or_b32 exec_lo, exec_lo, s4
	v_and_b32_e32 v5, 0x3fffffff, v1
	v_cmp_gt_i32_e64 s0, -2.0, v1
	v_add_nc_u32_e32 v9, v5, v9
	s_and_b32 s4, exec_lo, s0
	s_or_b32 s2, s4, s2
	s_andn2_b32 exec_lo, exec_lo, s2
	s_cbranch_execz .LBB362_80
.LBB362_75:                             ; =>This Loop Header: Depth=1
                                        ;     Child Loop BB362_78 Depth 2
	s_or_b32 s0, s0, exec_lo
	s_cmp_eq_u32 s3, 0
	s_cbranch_scc1 .LBB362_79
; %bb.76:                               ;   in Loop: Header=BB362_75 Depth=1
	s_add_i32 s3, s3, -1
	s_mov_b32 s4, exec_lo
	v_lshl_or_b32 v1, s3, 8, v0
	v_lshlrev_b64 v[5:6], 2, v[1:2]
	v_add_co_u32 v5, s0, s10, v5
	v_add_co_ci_u32_e64 v6, null, s11, v6, s0
	global_load_dword v1, v[5:6], off glc dlc
	s_waitcnt vmcnt(0)
	v_cmpx_gt_u32_e32 2.0, v1
	s_cbranch_execz .LBB362_74
; %bb.77:                               ;   in Loop: Header=BB362_75 Depth=1
	s_mov_b32 s5, 0
.LBB362_78:                             ;   Parent Loop BB362_75 Depth=1
                                        ; =>  This Inner Loop Header: Depth=2
	global_load_dword v1, v[5:6], off glc dlc
	s_waitcnt vmcnt(0)
	v_cmp_lt_u32_e64 s0, 0x3fffffff, v1
	s_or_b32 s5, s0, s5
	s_andn2_b32 exec_lo, exec_lo, s5
	s_cbranch_execnz .LBB362_78
	s_branch .LBB362_73
.LBB362_79:                             ;   in Loop: Header=BB362_75 Depth=1
                                        ; implicit-def: $sgpr3
	s_and_b32 s4, exec_lo, s0
	s_or_b32 s2, s4, s2
	s_andn2_b32 exec_lo, exec_lo, s2
	s_cbranch_execnz .LBB362_75
.LBB362_80:
	s_or_b32 exec_lo, exec_lo, s2
	v_add_nc_u32_e32 v1, v9, v8
	v_sub_nc_u32_e32 v2, v9, v7
	v_or_b32_e32 v1, 0x80000000, v1
	global_store_dword v[3:4], v1, off
	global_load_dword v1, v11, s[12:13]
	s_waitcnt vmcnt(0)
	v_add_nc_u32_e32 v1, v2, v1
	ds_write_b32 v11, v1
.LBB362_81:
	s_or_b32 exec_lo, exec_lo, s1
	s_waitcnt lgkmcnt(0)
	s_waitcnt_vscnt null, 0x0
	s_barrier
	buffer_gl0_inv
	ds_read2st64_b32 v[1:2], v11 offset0:4 offset1:20
	ds_read2st64_b32 v[3:4], v11 offset0:36 offset1:52
	s_add_i32 s7, s7, -1
	s_cmp_eq_u32 s23, s7
	s_waitcnt lgkmcnt(1)
	v_lshrrev_b32_e32 v5, s20, v1
	v_lshrrev_b32_e32 v6, s20, v2
	s_waitcnt lgkmcnt(0)
	v_lshrrev_b32_e32 v9, s20, v3
	v_lshrrev_b32_e32 v10, s20, v4
	v_xor_b32_e32 v15, 0x7fffffff, v1
	v_and_b32_e32 v5, s8, v5
	v_and_b32_e32 v6, s8, v6
	;; [unrolled: 1-line block ×3, first 2 shown]
	v_xor_b32_e32 v16, 0x7fffffff, v2
	v_xor_b32_e32 v4, 0x7fffffff, v4
	v_lshlrev_b32_e32 v5, 2, v5
	v_lshlrev_b32_e32 v6, 2, v6
	ds_read_b32 v5, v5
	ds_read_b32 v12, v6
	v_lshlrev_b32_e32 v6, 2, v9
	v_and_b32_e32 v9, s8, v10
	ds_read_b32 v13, v6
	v_lshlrev_b32_e32 v6, 2, v9
	ds_read_b32 v14, v6
	v_mov_b32_e32 v6, 0
	s_waitcnt lgkmcnt(3)
	v_add_nc_u32_e32 v5, v5, v0
	v_lshlrev_b64 v[9:10], 2, v[5:6]
	s_waitcnt lgkmcnt(2)
	v_add3_u32 v5, v12, v0, 0x400
	v_lshlrev_b64 v[1:2], 2, v[5:6]
	s_waitcnt lgkmcnt(1)
	v_add3_u32 v5, v13, v0, 0x800
	v_add_co_u32 v9, s0, s18, v9
	v_add_co_ci_u32_e64 v10, null, s19, v10, s0
	v_lshlrev_b64 v[12:13], 2, v[5:6]
	s_waitcnt lgkmcnt(0)
	v_add3_u32 v5, v14, v0, 0xc00
	v_add_co_u32 v0, s0, s18, v1
	v_add_co_ci_u32_e64 v1, null, s19, v2, s0
	v_xor_b32_e32 v14, 0x7fffffff, v3
	v_lshlrev_b64 v[2:3], 2, v[5:6]
	global_store_dword v[9:10], v15, off
	global_store_dword v[0:1], v16, off
	v_add_co_u32 v0, s0, s18, v12
	v_add_co_ci_u32_e64 v1, null, s19, v13, s0
	v_add_co_u32 v2, s0, s18, v2
	v_add_co_ci_u32_e64 v3, null, s19, v3, s0
	s_cselect_b32 s0, -1, 0
	s_xor_b32 s1, vcc_lo, -1
	global_store_dword v[0:1], v14, off
	s_and_b32 s0, s1, s0
	global_store_dword v[2:3], v4, off
	s_and_saveexec_b32 s1, s0
	s_cbranch_execz .LBB362_83
; %bb.82:
	ds_read_b32 v0, v11
	s_waitcnt lgkmcnt(0)
	v_add3_u32 v0, v7, v8, v0
	global_store_dword v11, v0, s[14:15]
.LBB362_83:
	s_endpgm
	.section	.rodata,"a",@progbits
	.p2align	6, 0x0
	.amdhsa_kernel _ZN7rocprim17ROCPRIM_400000_NS6detail17trampoline_kernelINS0_14default_configENS1_35radix_sort_onesweep_config_selectorIiNS0_10empty_typeEEEZZNS1_29radix_sort_onesweep_iterationIS3_Lb1EN6thrust23THRUST_200600_302600_NS6detail15normal_iteratorINS9_10device_ptrIiEEEESE_PS5_SF_jNS0_19identity_decomposerENS1_16block_id_wrapperIjLb1EEEEE10hipError_tT1_PNSt15iterator_traitsISK_E10value_typeET2_T3_PNSL_ISQ_E10value_typeET4_T5_PSV_SW_PNS1_23onesweep_lookback_stateEbbT6_jjT7_P12ihipStream_tbENKUlT_T0_SK_SP_E_clIPiSE_SF_SF_EEDaS13_S14_SK_SP_EUlS13_E_NS1_11comp_targetILNS1_3genE8ELNS1_11target_archE1030ELNS1_3gpuE2ELNS1_3repE0EEENS1_47radix_sort_onesweep_sort_config_static_selectorELNS0_4arch9wavefront6targetE0EEEvSK_
		.amdhsa_group_segment_fixed_size 37000
		.amdhsa_private_segment_fixed_size 0
		.amdhsa_kernarg_size 344
		.amdhsa_user_sgpr_count 6
		.amdhsa_user_sgpr_private_segment_buffer 1
		.amdhsa_user_sgpr_dispatch_ptr 0
		.amdhsa_user_sgpr_queue_ptr 0
		.amdhsa_user_sgpr_kernarg_segment_ptr 1
		.amdhsa_user_sgpr_dispatch_id 0
		.amdhsa_user_sgpr_flat_scratch_init 0
		.amdhsa_user_sgpr_private_segment_size 0
		.amdhsa_wavefront_size32 1
		.amdhsa_uses_dynamic_stack 0
		.amdhsa_system_sgpr_private_segment_wavefront_offset 0
		.amdhsa_system_sgpr_workgroup_id_x 1
		.amdhsa_system_sgpr_workgroup_id_y 0
		.amdhsa_system_sgpr_workgroup_id_z 0
		.amdhsa_system_sgpr_workgroup_info 0
		.amdhsa_system_vgpr_workitem_id 2
		.amdhsa_next_free_vgpr 34
		.amdhsa_next_free_sgpr 27
		.amdhsa_reserve_vcc 1
		.amdhsa_reserve_flat_scratch 0
		.amdhsa_float_round_mode_32 0
		.amdhsa_float_round_mode_16_64 0
		.amdhsa_float_denorm_mode_32 3
		.amdhsa_float_denorm_mode_16_64 3
		.amdhsa_dx10_clamp 1
		.amdhsa_ieee_mode 1
		.amdhsa_fp16_overflow 0
		.amdhsa_workgroup_processor_mode 1
		.amdhsa_memory_ordered 1
		.amdhsa_forward_progress 1
		.amdhsa_shared_vgpr_count 0
		.amdhsa_exception_fp_ieee_invalid_op 0
		.amdhsa_exception_fp_denorm_src 0
		.amdhsa_exception_fp_ieee_div_zero 0
		.amdhsa_exception_fp_ieee_overflow 0
		.amdhsa_exception_fp_ieee_underflow 0
		.amdhsa_exception_fp_ieee_inexact 0
		.amdhsa_exception_int_div_zero 0
	.end_amdhsa_kernel
	.section	.text._ZN7rocprim17ROCPRIM_400000_NS6detail17trampoline_kernelINS0_14default_configENS1_35radix_sort_onesweep_config_selectorIiNS0_10empty_typeEEEZZNS1_29radix_sort_onesweep_iterationIS3_Lb1EN6thrust23THRUST_200600_302600_NS6detail15normal_iteratorINS9_10device_ptrIiEEEESE_PS5_SF_jNS0_19identity_decomposerENS1_16block_id_wrapperIjLb1EEEEE10hipError_tT1_PNSt15iterator_traitsISK_E10value_typeET2_T3_PNSL_ISQ_E10value_typeET4_T5_PSV_SW_PNS1_23onesweep_lookback_stateEbbT6_jjT7_P12ihipStream_tbENKUlT_T0_SK_SP_E_clIPiSE_SF_SF_EEDaS13_S14_SK_SP_EUlS13_E_NS1_11comp_targetILNS1_3genE8ELNS1_11target_archE1030ELNS1_3gpuE2ELNS1_3repE0EEENS1_47radix_sort_onesweep_sort_config_static_selectorELNS0_4arch9wavefront6targetE0EEEvSK_,"axG",@progbits,_ZN7rocprim17ROCPRIM_400000_NS6detail17trampoline_kernelINS0_14default_configENS1_35radix_sort_onesweep_config_selectorIiNS0_10empty_typeEEEZZNS1_29radix_sort_onesweep_iterationIS3_Lb1EN6thrust23THRUST_200600_302600_NS6detail15normal_iteratorINS9_10device_ptrIiEEEESE_PS5_SF_jNS0_19identity_decomposerENS1_16block_id_wrapperIjLb1EEEEE10hipError_tT1_PNSt15iterator_traitsISK_E10value_typeET2_T3_PNSL_ISQ_E10value_typeET4_T5_PSV_SW_PNS1_23onesweep_lookback_stateEbbT6_jjT7_P12ihipStream_tbENKUlT_T0_SK_SP_E_clIPiSE_SF_SF_EEDaS13_S14_SK_SP_EUlS13_E_NS1_11comp_targetILNS1_3genE8ELNS1_11target_archE1030ELNS1_3gpuE2ELNS1_3repE0EEENS1_47radix_sort_onesweep_sort_config_static_selectorELNS0_4arch9wavefront6targetE0EEEvSK_,comdat
.Lfunc_end362:
	.size	_ZN7rocprim17ROCPRIM_400000_NS6detail17trampoline_kernelINS0_14default_configENS1_35radix_sort_onesweep_config_selectorIiNS0_10empty_typeEEEZZNS1_29radix_sort_onesweep_iterationIS3_Lb1EN6thrust23THRUST_200600_302600_NS6detail15normal_iteratorINS9_10device_ptrIiEEEESE_PS5_SF_jNS0_19identity_decomposerENS1_16block_id_wrapperIjLb1EEEEE10hipError_tT1_PNSt15iterator_traitsISK_E10value_typeET2_T3_PNSL_ISQ_E10value_typeET4_T5_PSV_SW_PNS1_23onesweep_lookback_stateEbbT6_jjT7_P12ihipStream_tbENKUlT_T0_SK_SP_E_clIPiSE_SF_SF_EEDaS13_S14_SK_SP_EUlS13_E_NS1_11comp_targetILNS1_3genE8ELNS1_11target_archE1030ELNS1_3gpuE2ELNS1_3repE0EEENS1_47radix_sort_onesweep_sort_config_static_selectorELNS0_4arch9wavefront6targetE0EEEvSK_, .Lfunc_end362-_ZN7rocprim17ROCPRIM_400000_NS6detail17trampoline_kernelINS0_14default_configENS1_35radix_sort_onesweep_config_selectorIiNS0_10empty_typeEEEZZNS1_29radix_sort_onesweep_iterationIS3_Lb1EN6thrust23THRUST_200600_302600_NS6detail15normal_iteratorINS9_10device_ptrIiEEEESE_PS5_SF_jNS0_19identity_decomposerENS1_16block_id_wrapperIjLb1EEEEE10hipError_tT1_PNSt15iterator_traitsISK_E10value_typeET2_T3_PNSL_ISQ_E10value_typeET4_T5_PSV_SW_PNS1_23onesweep_lookback_stateEbbT6_jjT7_P12ihipStream_tbENKUlT_T0_SK_SP_E_clIPiSE_SF_SF_EEDaS13_S14_SK_SP_EUlS13_E_NS1_11comp_targetILNS1_3genE8ELNS1_11target_archE1030ELNS1_3gpuE2ELNS1_3repE0EEENS1_47radix_sort_onesweep_sort_config_static_selectorELNS0_4arch9wavefront6targetE0EEEvSK_
                                        ; -- End function
	.set _ZN7rocprim17ROCPRIM_400000_NS6detail17trampoline_kernelINS0_14default_configENS1_35radix_sort_onesweep_config_selectorIiNS0_10empty_typeEEEZZNS1_29radix_sort_onesweep_iterationIS3_Lb1EN6thrust23THRUST_200600_302600_NS6detail15normal_iteratorINS9_10device_ptrIiEEEESE_PS5_SF_jNS0_19identity_decomposerENS1_16block_id_wrapperIjLb1EEEEE10hipError_tT1_PNSt15iterator_traitsISK_E10value_typeET2_T3_PNSL_ISQ_E10value_typeET4_T5_PSV_SW_PNS1_23onesweep_lookback_stateEbbT6_jjT7_P12ihipStream_tbENKUlT_T0_SK_SP_E_clIPiSE_SF_SF_EEDaS13_S14_SK_SP_EUlS13_E_NS1_11comp_targetILNS1_3genE8ELNS1_11target_archE1030ELNS1_3gpuE2ELNS1_3repE0EEENS1_47radix_sort_onesweep_sort_config_static_selectorELNS0_4arch9wavefront6targetE0EEEvSK_.num_vgpr, 34
	.set _ZN7rocprim17ROCPRIM_400000_NS6detail17trampoline_kernelINS0_14default_configENS1_35radix_sort_onesweep_config_selectorIiNS0_10empty_typeEEEZZNS1_29radix_sort_onesweep_iterationIS3_Lb1EN6thrust23THRUST_200600_302600_NS6detail15normal_iteratorINS9_10device_ptrIiEEEESE_PS5_SF_jNS0_19identity_decomposerENS1_16block_id_wrapperIjLb1EEEEE10hipError_tT1_PNSt15iterator_traitsISK_E10value_typeET2_T3_PNSL_ISQ_E10value_typeET4_T5_PSV_SW_PNS1_23onesweep_lookback_stateEbbT6_jjT7_P12ihipStream_tbENKUlT_T0_SK_SP_E_clIPiSE_SF_SF_EEDaS13_S14_SK_SP_EUlS13_E_NS1_11comp_targetILNS1_3genE8ELNS1_11target_archE1030ELNS1_3gpuE2ELNS1_3repE0EEENS1_47radix_sort_onesweep_sort_config_static_selectorELNS0_4arch9wavefront6targetE0EEEvSK_.num_agpr, 0
	.set _ZN7rocprim17ROCPRIM_400000_NS6detail17trampoline_kernelINS0_14default_configENS1_35radix_sort_onesweep_config_selectorIiNS0_10empty_typeEEEZZNS1_29radix_sort_onesweep_iterationIS3_Lb1EN6thrust23THRUST_200600_302600_NS6detail15normal_iteratorINS9_10device_ptrIiEEEESE_PS5_SF_jNS0_19identity_decomposerENS1_16block_id_wrapperIjLb1EEEEE10hipError_tT1_PNSt15iterator_traitsISK_E10value_typeET2_T3_PNSL_ISQ_E10value_typeET4_T5_PSV_SW_PNS1_23onesweep_lookback_stateEbbT6_jjT7_P12ihipStream_tbENKUlT_T0_SK_SP_E_clIPiSE_SF_SF_EEDaS13_S14_SK_SP_EUlS13_E_NS1_11comp_targetILNS1_3genE8ELNS1_11target_archE1030ELNS1_3gpuE2ELNS1_3repE0EEENS1_47radix_sort_onesweep_sort_config_static_selectorELNS0_4arch9wavefront6targetE0EEEvSK_.numbered_sgpr, 27
	.set _ZN7rocprim17ROCPRIM_400000_NS6detail17trampoline_kernelINS0_14default_configENS1_35radix_sort_onesweep_config_selectorIiNS0_10empty_typeEEEZZNS1_29radix_sort_onesweep_iterationIS3_Lb1EN6thrust23THRUST_200600_302600_NS6detail15normal_iteratorINS9_10device_ptrIiEEEESE_PS5_SF_jNS0_19identity_decomposerENS1_16block_id_wrapperIjLb1EEEEE10hipError_tT1_PNSt15iterator_traitsISK_E10value_typeET2_T3_PNSL_ISQ_E10value_typeET4_T5_PSV_SW_PNS1_23onesweep_lookback_stateEbbT6_jjT7_P12ihipStream_tbENKUlT_T0_SK_SP_E_clIPiSE_SF_SF_EEDaS13_S14_SK_SP_EUlS13_E_NS1_11comp_targetILNS1_3genE8ELNS1_11target_archE1030ELNS1_3gpuE2ELNS1_3repE0EEENS1_47radix_sort_onesweep_sort_config_static_selectorELNS0_4arch9wavefront6targetE0EEEvSK_.num_named_barrier, 0
	.set _ZN7rocprim17ROCPRIM_400000_NS6detail17trampoline_kernelINS0_14default_configENS1_35radix_sort_onesweep_config_selectorIiNS0_10empty_typeEEEZZNS1_29radix_sort_onesweep_iterationIS3_Lb1EN6thrust23THRUST_200600_302600_NS6detail15normal_iteratorINS9_10device_ptrIiEEEESE_PS5_SF_jNS0_19identity_decomposerENS1_16block_id_wrapperIjLb1EEEEE10hipError_tT1_PNSt15iterator_traitsISK_E10value_typeET2_T3_PNSL_ISQ_E10value_typeET4_T5_PSV_SW_PNS1_23onesweep_lookback_stateEbbT6_jjT7_P12ihipStream_tbENKUlT_T0_SK_SP_E_clIPiSE_SF_SF_EEDaS13_S14_SK_SP_EUlS13_E_NS1_11comp_targetILNS1_3genE8ELNS1_11target_archE1030ELNS1_3gpuE2ELNS1_3repE0EEENS1_47radix_sort_onesweep_sort_config_static_selectorELNS0_4arch9wavefront6targetE0EEEvSK_.private_seg_size, 0
	.set _ZN7rocprim17ROCPRIM_400000_NS6detail17trampoline_kernelINS0_14default_configENS1_35radix_sort_onesweep_config_selectorIiNS0_10empty_typeEEEZZNS1_29radix_sort_onesweep_iterationIS3_Lb1EN6thrust23THRUST_200600_302600_NS6detail15normal_iteratorINS9_10device_ptrIiEEEESE_PS5_SF_jNS0_19identity_decomposerENS1_16block_id_wrapperIjLb1EEEEE10hipError_tT1_PNSt15iterator_traitsISK_E10value_typeET2_T3_PNSL_ISQ_E10value_typeET4_T5_PSV_SW_PNS1_23onesweep_lookback_stateEbbT6_jjT7_P12ihipStream_tbENKUlT_T0_SK_SP_E_clIPiSE_SF_SF_EEDaS13_S14_SK_SP_EUlS13_E_NS1_11comp_targetILNS1_3genE8ELNS1_11target_archE1030ELNS1_3gpuE2ELNS1_3repE0EEENS1_47radix_sort_onesweep_sort_config_static_selectorELNS0_4arch9wavefront6targetE0EEEvSK_.uses_vcc, 1
	.set _ZN7rocprim17ROCPRIM_400000_NS6detail17trampoline_kernelINS0_14default_configENS1_35radix_sort_onesweep_config_selectorIiNS0_10empty_typeEEEZZNS1_29radix_sort_onesweep_iterationIS3_Lb1EN6thrust23THRUST_200600_302600_NS6detail15normal_iteratorINS9_10device_ptrIiEEEESE_PS5_SF_jNS0_19identity_decomposerENS1_16block_id_wrapperIjLb1EEEEE10hipError_tT1_PNSt15iterator_traitsISK_E10value_typeET2_T3_PNSL_ISQ_E10value_typeET4_T5_PSV_SW_PNS1_23onesweep_lookback_stateEbbT6_jjT7_P12ihipStream_tbENKUlT_T0_SK_SP_E_clIPiSE_SF_SF_EEDaS13_S14_SK_SP_EUlS13_E_NS1_11comp_targetILNS1_3genE8ELNS1_11target_archE1030ELNS1_3gpuE2ELNS1_3repE0EEENS1_47radix_sort_onesweep_sort_config_static_selectorELNS0_4arch9wavefront6targetE0EEEvSK_.uses_flat_scratch, 0
	.set _ZN7rocprim17ROCPRIM_400000_NS6detail17trampoline_kernelINS0_14default_configENS1_35radix_sort_onesweep_config_selectorIiNS0_10empty_typeEEEZZNS1_29radix_sort_onesweep_iterationIS3_Lb1EN6thrust23THRUST_200600_302600_NS6detail15normal_iteratorINS9_10device_ptrIiEEEESE_PS5_SF_jNS0_19identity_decomposerENS1_16block_id_wrapperIjLb1EEEEE10hipError_tT1_PNSt15iterator_traitsISK_E10value_typeET2_T3_PNSL_ISQ_E10value_typeET4_T5_PSV_SW_PNS1_23onesweep_lookback_stateEbbT6_jjT7_P12ihipStream_tbENKUlT_T0_SK_SP_E_clIPiSE_SF_SF_EEDaS13_S14_SK_SP_EUlS13_E_NS1_11comp_targetILNS1_3genE8ELNS1_11target_archE1030ELNS1_3gpuE2ELNS1_3repE0EEENS1_47radix_sort_onesweep_sort_config_static_selectorELNS0_4arch9wavefront6targetE0EEEvSK_.has_dyn_sized_stack, 0
	.set _ZN7rocprim17ROCPRIM_400000_NS6detail17trampoline_kernelINS0_14default_configENS1_35radix_sort_onesweep_config_selectorIiNS0_10empty_typeEEEZZNS1_29radix_sort_onesweep_iterationIS3_Lb1EN6thrust23THRUST_200600_302600_NS6detail15normal_iteratorINS9_10device_ptrIiEEEESE_PS5_SF_jNS0_19identity_decomposerENS1_16block_id_wrapperIjLb1EEEEE10hipError_tT1_PNSt15iterator_traitsISK_E10value_typeET2_T3_PNSL_ISQ_E10value_typeET4_T5_PSV_SW_PNS1_23onesweep_lookback_stateEbbT6_jjT7_P12ihipStream_tbENKUlT_T0_SK_SP_E_clIPiSE_SF_SF_EEDaS13_S14_SK_SP_EUlS13_E_NS1_11comp_targetILNS1_3genE8ELNS1_11target_archE1030ELNS1_3gpuE2ELNS1_3repE0EEENS1_47radix_sort_onesweep_sort_config_static_selectorELNS0_4arch9wavefront6targetE0EEEvSK_.has_recursion, 0
	.set _ZN7rocprim17ROCPRIM_400000_NS6detail17trampoline_kernelINS0_14default_configENS1_35radix_sort_onesweep_config_selectorIiNS0_10empty_typeEEEZZNS1_29radix_sort_onesweep_iterationIS3_Lb1EN6thrust23THRUST_200600_302600_NS6detail15normal_iteratorINS9_10device_ptrIiEEEESE_PS5_SF_jNS0_19identity_decomposerENS1_16block_id_wrapperIjLb1EEEEE10hipError_tT1_PNSt15iterator_traitsISK_E10value_typeET2_T3_PNSL_ISQ_E10value_typeET4_T5_PSV_SW_PNS1_23onesweep_lookback_stateEbbT6_jjT7_P12ihipStream_tbENKUlT_T0_SK_SP_E_clIPiSE_SF_SF_EEDaS13_S14_SK_SP_EUlS13_E_NS1_11comp_targetILNS1_3genE8ELNS1_11target_archE1030ELNS1_3gpuE2ELNS1_3repE0EEENS1_47radix_sort_onesweep_sort_config_static_selectorELNS0_4arch9wavefront6targetE0EEEvSK_.has_indirect_call, 0
	.section	.AMDGPU.csdata,"",@progbits
; Kernel info:
; codeLenInByte = 6780
; TotalNumSgprs: 29
; NumVgprs: 34
; ScratchSize: 0
; MemoryBound: 0
; FloatMode: 240
; IeeeMode: 1
; LDSByteSize: 37000 bytes/workgroup (compile time only)
; SGPRBlocks: 0
; VGPRBlocks: 4
; NumSGPRsForWavesPerEU: 29
; NumVGPRsForWavesPerEU: 34
; Occupancy: 16
; WaveLimiterHint : 1
; COMPUTE_PGM_RSRC2:SCRATCH_EN: 0
; COMPUTE_PGM_RSRC2:USER_SGPR: 6
; COMPUTE_PGM_RSRC2:TRAP_HANDLER: 0
; COMPUTE_PGM_RSRC2:TGID_X_EN: 1
; COMPUTE_PGM_RSRC2:TGID_Y_EN: 0
; COMPUTE_PGM_RSRC2:TGID_Z_EN: 0
; COMPUTE_PGM_RSRC2:TIDIG_COMP_CNT: 2
	.section	.text._ZN7rocprim17ROCPRIM_400000_NS6detail17trampoline_kernelINS0_14default_configENS1_35radix_sort_onesweep_config_selectorIiNS0_10empty_typeEEEZZNS1_29radix_sort_onesweep_iterationIS3_Lb1EN6thrust23THRUST_200600_302600_NS6detail15normal_iteratorINS9_10device_ptrIiEEEESE_PS5_SF_jNS0_19identity_decomposerENS1_16block_id_wrapperIjLb0EEEEE10hipError_tT1_PNSt15iterator_traitsISK_E10value_typeET2_T3_PNSL_ISQ_E10value_typeET4_T5_PSV_SW_PNS1_23onesweep_lookback_stateEbbT6_jjT7_P12ihipStream_tbENKUlT_T0_SK_SP_E_clISE_SE_SF_SF_EEDaS13_S14_SK_SP_EUlS13_E_NS1_11comp_targetILNS1_3genE0ELNS1_11target_archE4294967295ELNS1_3gpuE0ELNS1_3repE0EEENS1_47radix_sort_onesweep_sort_config_static_selectorELNS0_4arch9wavefront6targetE0EEEvSK_,"axG",@progbits,_ZN7rocprim17ROCPRIM_400000_NS6detail17trampoline_kernelINS0_14default_configENS1_35radix_sort_onesweep_config_selectorIiNS0_10empty_typeEEEZZNS1_29radix_sort_onesweep_iterationIS3_Lb1EN6thrust23THRUST_200600_302600_NS6detail15normal_iteratorINS9_10device_ptrIiEEEESE_PS5_SF_jNS0_19identity_decomposerENS1_16block_id_wrapperIjLb0EEEEE10hipError_tT1_PNSt15iterator_traitsISK_E10value_typeET2_T3_PNSL_ISQ_E10value_typeET4_T5_PSV_SW_PNS1_23onesweep_lookback_stateEbbT6_jjT7_P12ihipStream_tbENKUlT_T0_SK_SP_E_clISE_SE_SF_SF_EEDaS13_S14_SK_SP_EUlS13_E_NS1_11comp_targetILNS1_3genE0ELNS1_11target_archE4294967295ELNS1_3gpuE0ELNS1_3repE0EEENS1_47radix_sort_onesweep_sort_config_static_selectorELNS0_4arch9wavefront6targetE0EEEvSK_,comdat
	.protected	_ZN7rocprim17ROCPRIM_400000_NS6detail17trampoline_kernelINS0_14default_configENS1_35radix_sort_onesweep_config_selectorIiNS0_10empty_typeEEEZZNS1_29radix_sort_onesweep_iterationIS3_Lb1EN6thrust23THRUST_200600_302600_NS6detail15normal_iteratorINS9_10device_ptrIiEEEESE_PS5_SF_jNS0_19identity_decomposerENS1_16block_id_wrapperIjLb0EEEEE10hipError_tT1_PNSt15iterator_traitsISK_E10value_typeET2_T3_PNSL_ISQ_E10value_typeET4_T5_PSV_SW_PNS1_23onesweep_lookback_stateEbbT6_jjT7_P12ihipStream_tbENKUlT_T0_SK_SP_E_clISE_SE_SF_SF_EEDaS13_S14_SK_SP_EUlS13_E_NS1_11comp_targetILNS1_3genE0ELNS1_11target_archE4294967295ELNS1_3gpuE0ELNS1_3repE0EEENS1_47radix_sort_onesweep_sort_config_static_selectorELNS0_4arch9wavefront6targetE0EEEvSK_ ; -- Begin function _ZN7rocprim17ROCPRIM_400000_NS6detail17trampoline_kernelINS0_14default_configENS1_35radix_sort_onesweep_config_selectorIiNS0_10empty_typeEEEZZNS1_29radix_sort_onesweep_iterationIS3_Lb1EN6thrust23THRUST_200600_302600_NS6detail15normal_iteratorINS9_10device_ptrIiEEEESE_PS5_SF_jNS0_19identity_decomposerENS1_16block_id_wrapperIjLb0EEEEE10hipError_tT1_PNSt15iterator_traitsISK_E10value_typeET2_T3_PNSL_ISQ_E10value_typeET4_T5_PSV_SW_PNS1_23onesweep_lookback_stateEbbT6_jjT7_P12ihipStream_tbENKUlT_T0_SK_SP_E_clISE_SE_SF_SF_EEDaS13_S14_SK_SP_EUlS13_E_NS1_11comp_targetILNS1_3genE0ELNS1_11target_archE4294967295ELNS1_3gpuE0ELNS1_3repE0EEENS1_47radix_sort_onesweep_sort_config_static_selectorELNS0_4arch9wavefront6targetE0EEEvSK_
	.globl	_ZN7rocprim17ROCPRIM_400000_NS6detail17trampoline_kernelINS0_14default_configENS1_35radix_sort_onesweep_config_selectorIiNS0_10empty_typeEEEZZNS1_29radix_sort_onesweep_iterationIS3_Lb1EN6thrust23THRUST_200600_302600_NS6detail15normal_iteratorINS9_10device_ptrIiEEEESE_PS5_SF_jNS0_19identity_decomposerENS1_16block_id_wrapperIjLb0EEEEE10hipError_tT1_PNSt15iterator_traitsISK_E10value_typeET2_T3_PNSL_ISQ_E10value_typeET4_T5_PSV_SW_PNS1_23onesweep_lookback_stateEbbT6_jjT7_P12ihipStream_tbENKUlT_T0_SK_SP_E_clISE_SE_SF_SF_EEDaS13_S14_SK_SP_EUlS13_E_NS1_11comp_targetILNS1_3genE0ELNS1_11target_archE4294967295ELNS1_3gpuE0ELNS1_3repE0EEENS1_47radix_sort_onesweep_sort_config_static_selectorELNS0_4arch9wavefront6targetE0EEEvSK_
	.p2align	8
	.type	_ZN7rocprim17ROCPRIM_400000_NS6detail17trampoline_kernelINS0_14default_configENS1_35radix_sort_onesweep_config_selectorIiNS0_10empty_typeEEEZZNS1_29radix_sort_onesweep_iterationIS3_Lb1EN6thrust23THRUST_200600_302600_NS6detail15normal_iteratorINS9_10device_ptrIiEEEESE_PS5_SF_jNS0_19identity_decomposerENS1_16block_id_wrapperIjLb0EEEEE10hipError_tT1_PNSt15iterator_traitsISK_E10value_typeET2_T3_PNSL_ISQ_E10value_typeET4_T5_PSV_SW_PNS1_23onesweep_lookback_stateEbbT6_jjT7_P12ihipStream_tbENKUlT_T0_SK_SP_E_clISE_SE_SF_SF_EEDaS13_S14_SK_SP_EUlS13_E_NS1_11comp_targetILNS1_3genE0ELNS1_11target_archE4294967295ELNS1_3gpuE0ELNS1_3repE0EEENS1_47radix_sort_onesweep_sort_config_static_selectorELNS0_4arch9wavefront6targetE0EEEvSK_,@function
_ZN7rocprim17ROCPRIM_400000_NS6detail17trampoline_kernelINS0_14default_configENS1_35radix_sort_onesweep_config_selectorIiNS0_10empty_typeEEEZZNS1_29radix_sort_onesweep_iterationIS3_Lb1EN6thrust23THRUST_200600_302600_NS6detail15normal_iteratorINS9_10device_ptrIiEEEESE_PS5_SF_jNS0_19identity_decomposerENS1_16block_id_wrapperIjLb0EEEEE10hipError_tT1_PNSt15iterator_traitsISK_E10value_typeET2_T3_PNSL_ISQ_E10value_typeET4_T5_PSV_SW_PNS1_23onesweep_lookback_stateEbbT6_jjT7_P12ihipStream_tbENKUlT_T0_SK_SP_E_clISE_SE_SF_SF_EEDaS13_S14_SK_SP_EUlS13_E_NS1_11comp_targetILNS1_3genE0ELNS1_11target_archE4294967295ELNS1_3gpuE0ELNS1_3repE0EEENS1_47radix_sort_onesweep_sort_config_static_selectorELNS0_4arch9wavefront6targetE0EEEvSK_: ; @_ZN7rocprim17ROCPRIM_400000_NS6detail17trampoline_kernelINS0_14default_configENS1_35radix_sort_onesweep_config_selectorIiNS0_10empty_typeEEEZZNS1_29radix_sort_onesweep_iterationIS3_Lb1EN6thrust23THRUST_200600_302600_NS6detail15normal_iteratorINS9_10device_ptrIiEEEESE_PS5_SF_jNS0_19identity_decomposerENS1_16block_id_wrapperIjLb0EEEEE10hipError_tT1_PNSt15iterator_traitsISK_E10value_typeET2_T3_PNSL_ISQ_E10value_typeET4_T5_PSV_SW_PNS1_23onesweep_lookback_stateEbbT6_jjT7_P12ihipStream_tbENKUlT_T0_SK_SP_E_clISE_SE_SF_SF_EEDaS13_S14_SK_SP_EUlS13_E_NS1_11comp_targetILNS1_3genE0ELNS1_11target_archE4294967295ELNS1_3gpuE0ELNS1_3repE0EEENS1_47radix_sort_onesweep_sort_config_static_selectorELNS0_4arch9wavefront6targetE0EEEvSK_
; %bb.0:
	.section	.rodata,"a",@progbits
	.p2align	6, 0x0
	.amdhsa_kernel _ZN7rocprim17ROCPRIM_400000_NS6detail17trampoline_kernelINS0_14default_configENS1_35radix_sort_onesweep_config_selectorIiNS0_10empty_typeEEEZZNS1_29radix_sort_onesweep_iterationIS3_Lb1EN6thrust23THRUST_200600_302600_NS6detail15normal_iteratorINS9_10device_ptrIiEEEESE_PS5_SF_jNS0_19identity_decomposerENS1_16block_id_wrapperIjLb0EEEEE10hipError_tT1_PNSt15iterator_traitsISK_E10value_typeET2_T3_PNSL_ISQ_E10value_typeET4_T5_PSV_SW_PNS1_23onesweep_lookback_stateEbbT6_jjT7_P12ihipStream_tbENKUlT_T0_SK_SP_E_clISE_SE_SF_SF_EEDaS13_S14_SK_SP_EUlS13_E_NS1_11comp_targetILNS1_3genE0ELNS1_11target_archE4294967295ELNS1_3gpuE0ELNS1_3repE0EEENS1_47radix_sort_onesweep_sort_config_static_selectorELNS0_4arch9wavefront6targetE0EEEvSK_
		.amdhsa_group_segment_fixed_size 0
		.amdhsa_private_segment_fixed_size 0
		.amdhsa_kernarg_size 88
		.amdhsa_user_sgpr_count 6
		.amdhsa_user_sgpr_private_segment_buffer 1
		.amdhsa_user_sgpr_dispatch_ptr 0
		.amdhsa_user_sgpr_queue_ptr 0
		.amdhsa_user_sgpr_kernarg_segment_ptr 1
		.amdhsa_user_sgpr_dispatch_id 0
		.amdhsa_user_sgpr_flat_scratch_init 0
		.amdhsa_user_sgpr_private_segment_size 0
		.amdhsa_wavefront_size32 1
		.amdhsa_uses_dynamic_stack 0
		.amdhsa_system_sgpr_private_segment_wavefront_offset 0
		.amdhsa_system_sgpr_workgroup_id_x 1
		.amdhsa_system_sgpr_workgroup_id_y 0
		.amdhsa_system_sgpr_workgroup_id_z 0
		.amdhsa_system_sgpr_workgroup_info 0
		.amdhsa_system_vgpr_workitem_id 0
		.amdhsa_next_free_vgpr 1
		.amdhsa_next_free_sgpr 1
		.amdhsa_reserve_vcc 0
		.amdhsa_reserve_flat_scratch 0
		.amdhsa_float_round_mode_32 0
		.amdhsa_float_round_mode_16_64 0
		.amdhsa_float_denorm_mode_32 3
		.amdhsa_float_denorm_mode_16_64 3
		.amdhsa_dx10_clamp 1
		.amdhsa_ieee_mode 1
		.amdhsa_fp16_overflow 0
		.amdhsa_workgroup_processor_mode 1
		.amdhsa_memory_ordered 1
		.amdhsa_forward_progress 1
		.amdhsa_shared_vgpr_count 0
		.amdhsa_exception_fp_ieee_invalid_op 0
		.amdhsa_exception_fp_denorm_src 0
		.amdhsa_exception_fp_ieee_div_zero 0
		.amdhsa_exception_fp_ieee_overflow 0
		.amdhsa_exception_fp_ieee_underflow 0
		.amdhsa_exception_fp_ieee_inexact 0
		.amdhsa_exception_int_div_zero 0
	.end_amdhsa_kernel
	.section	.text._ZN7rocprim17ROCPRIM_400000_NS6detail17trampoline_kernelINS0_14default_configENS1_35radix_sort_onesweep_config_selectorIiNS0_10empty_typeEEEZZNS1_29radix_sort_onesweep_iterationIS3_Lb1EN6thrust23THRUST_200600_302600_NS6detail15normal_iteratorINS9_10device_ptrIiEEEESE_PS5_SF_jNS0_19identity_decomposerENS1_16block_id_wrapperIjLb0EEEEE10hipError_tT1_PNSt15iterator_traitsISK_E10value_typeET2_T3_PNSL_ISQ_E10value_typeET4_T5_PSV_SW_PNS1_23onesweep_lookback_stateEbbT6_jjT7_P12ihipStream_tbENKUlT_T0_SK_SP_E_clISE_SE_SF_SF_EEDaS13_S14_SK_SP_EUlS13_E_NS1_11comp_targetILNS1_3genE0ELNS1_11target_archE4294967295ELNS1_3gpuE0ELNS1_3repE0EEENS1_47radix_sort_onesweep_sort_config_static_selectorELNS0_4arch9wavefront6targetE0EEEvSK_,"axG",@progbits,_ZN7rocprim17ROCPRIM_400000_NS6detail17trampoline_kernelINS0_14default_configENS1_35radix_sort_onesweep_config_selectorIiNS0_10empty_typeEEEZZNS1_29radix_sort_onesweep_iterationIS3_Lb1EN6thrust23THRUST_200600_302600_NS6detail15normal_iteratorINS9_10device_ptrIiEEEESE_PS5_SF_jNS0_19identity_decomposerENS1_16block_id_wrapperIjLb0EEEEE10hipError_tT1_PNSt15iterator_traitsISK_E10value_typeET2_T3_PNSL_ISQ_E10value_typeET4_T5_PSV_SW_PNS1_23onesweep_lookback_stateEbbT6_jjT7_P12ihipStream_tbENKUlT_T0_SK_SP_E_clISE_SE_SF_SF_EEDaS13_S14_SK_SP_EUlS13_E_NS1_11comp_targetILNS1_3genE0ELNS1_11target_archE4294967295ELNS1_3gpuE0ELNS1_3repE0EEENS1_47radix_sort_onesweep_sort_config_static_selectorELNS0_4arch9wavefront6targetE0EEEvSK_,comdat
.Lfunc_end363:
	.size	_ZN7rocprim17ROCPRIM_400000_NS6detail17trampoline_kernelINS0_14default_configENS1_35radix_sort_onesweep_config_selectorIiNS0_10empty_typeEEEZZNS1_29radix_sort_onesweep_iterationIS3_Lb1EN6thrust23THRUST_200600_302600_NS6detail15normal_iteratorINS9_10device_ptrIiEEEESE_PS5_SF_jNS0_19identity_decomposerENS1_16block_id_wrapperIjLb0EEEEE10hipError_tT1_PNSt15iterator_traitsISK_E10value_typeET2_T3_PNSL_ISQ_E10value_typeET4_T5_PSV_SW_PNS1_23onesweep_lookback_stateEbbT6_jjT7_P12ihipStream_tbENKUlT_T0_SK_SP_E_clISE_SE_SF_SF_EEDaS13_S14_SK_SP_EUlS13_E_NS1_11comp_targetILNS1_3genE0ELNS1_11target_archE4294967295ELNS1_3gpuE0ELNS1_3repE0EEENS1_47radix_sort_onesweep_sort_config_static_selectorELNS0_4arch9wavefront6targetE0EEEvSK_, .Lfunc_end363-_ZN7rocprim17ROCPRIM_400000_NS6detail17trampoline_kernelINS0_14default_configENS1_35radix_sort_onesweep_config_selectorIiNS0_10empty_typeEEEZZNS1_29radix_sort_onesweep_iterationIS3_Lb1EN6thrust23THRUST_200600_302600_NS6detail15normal_iteratorINS9_10device_ptrIiEEEESE_PS5_SF_jNS0_19identity_decomposerENS1_16block_id_wrapperIjLb0EEEEE10hipError_tT1_PNSt15iterator_traitsISK_E10value_typeET2_T3_PNSL_ISQ_E10value_typeET4_T5_PSV_SW_PNS1_23onesweep_lookback_stateEbbT6_jjT7_P12ihipStream_tbENKUlT_T0_SK_SP_E_clISE_SE_SF_SF_EEDaS13_S14_SK_SP_EUlS13_E_NS1_11comp_targetILNS1_3genE0ELNS1_11target_archE4294967295ELNS1_3gpuE0ELNS1_3repE0EEENS1_47radix_sort_onesweep_sort_config_static_selectorELNS0_4arch9wavefront6targetE0EEEvSK_
                                        ; -- End function
	.set _ZN7rocprim17ROCPRIM_400000_NS6detail17trampoline_kernelINS0_14default_configENS1_35radix_sort_onesweep_config_selectorIiNS0_10empty_typeEEEZZNS1_29radix_sort_onesweep_iterationIS3_Lb1EN6thrust23THRUST_200600_302600_NS6detail15normal_iteratorINS9_10device_ptrIiEEEESE_PS5_SF_jNS0_19identity_decomposerENS1_16block_id_wrapperIjLb0EEEEE10hipError_tT1_PNSt15iterator_traitsISK_E10value_typeET2_T3_PNSL_ISQ_E10value_typeET4_T5_PSV_SW_PNS1_23onesweep_lookback_stateEbbT6_jjT7_P12ihipStream_tbENKUlT_T0_SK_SP_E_clISE_SE_SF_SF_EEDaS13_S14_SK_SP_EUlS13_E_NS1_11comp_targetILNS1_3genE0ELNS1_11target_archE4294967295ELNS1_3gpuE0ELNS1_3repE0EEENS1_47radix_sort_onesweep_sort_config_static_selectorELNS0_4arch9wavefront6targetE0EEEvSK_.num_vgpr, 0
	.set _ZN7rocprim17ROCPRIM_400000_NS6detail17trampoline_kernelINS0_14default_configENS1_35radix_sort_onesweep_config_selectorIiNS0_10empty_typeEEEZZNS1_29radix_sort_onesweep_iterationIS3_Lb1EN6thrust23THRUST_200600_302600_NS6detail15normal_iteratorINS9_10device_ptrIiEEEESE_PS5_SF_jNS0_19identity_decomposerENS1_16block_id_wrapperIjLb0EEEEE10hipError_tT1_PNSt15iterator_traitsISK_E10value_typeET2_T3_PNSL_ISQ_E10value_typeET4_T5_PSV_SW_PNS1_23onesweep_lookback_stateEbbT6_jjT7_P12ihipStream_tbENKUlT_T0_SK_SP_E_clISE_SE_SF_SF_EEDaS13_S14_SK_SP_EUlS13_E_NS1_11comp_targetILNS1_3genE0ELNS1_11target_archE4294967295ELNS1_3gpuE0ELNS1_3repE0EEENS1_47radix_sort_onesweep_sort_config_static_selectorELNS0_4arch9wavefront6targetE0EEEvSK_.num_agpr, 0
	.set _ZN7rocprim17ROCPRIM_400000_NS6detail17trampoline_kernelINS0_14default_configENS1_35radix_sort_onesweep_config_selectorIiNS0_10empty_typeEEEZZNS1_29radix_sort_onesweep_iterationIS3_Lb1EN6thrust23THRUST_200600_302600_NS6detail15normal_iteratorINS9_10device_ptrIiEEEESE_PS5_SF_jNS0_19identity_decomposerENS1_16block_id_wrapperIjLb0EEEEE10hipError_tT1_PNSt15iterator_traitsISK_E10value_typeET2_T3_PNSL_ISQ_E10value_typeET4_T5_PSV_SW_PNS1_23onesweep_lookback_stateEbbT6_jjT7_P12ihipStream_tbENKUlT_T0_SK_SP_E_clISE_SE_SF_SF_EEDaS13_S14_SK_SP_EUlS13_E_NS1_11comp_targetILNS1_3genE0ELNS1_11target_archE4294967295ELNS1_3gpuE0ELNS1_3repE0EEENS1_47radix_sort_onesweep_sort_config_static_selectorELNS0_4arch9wavefront6targetE0EEEvSK_.numbered_sgpr, 0
	.set _ZN7rocprim17ROCPRIM_400000_NS6detail17trampoline_kernelINS0_14default_configENS1_35radix_sort_onesweep_config_selectorIiNS0_10empty_typeEEEZZNS1_29radix_sort_onesweep_iterationIS3_Lb1EN6thrust23THRUST_200600_302600_NS6detail15normal_iteratorINS9_10device_ptrIiEEEESE_PS5_SF_jNS0_19identity_decomposerENS1_16block_id_wrapperIjLb0EEEEE10hipError_tT1_PNSt15iterator_traitsISK_E10value_typeET2_T3_PNSL_ISQ_E10value_typeET4_T5_PSV_SW_PNS1_23onesweep_lookback_stateEbbT6_jjT7_P12ihipStream_tbENKUlT_T0_SK_SP_E_clISE_SE_SF_SF_EEDaS13_S14_SK_SP_EUlS13_E_NS1_11comp_targetILNS1_3genE0ELNS1_11target_archE4294967295ELNS1_3gpuE0ELNS1_3repE0EEENS1_47radix_sort_onesweep_sort_config_static_selectorELNS0_4arch9wavefront6targetE0EEEvSK_.num_named_barrier, 0
	.set _ZN7rocprim17ROCPRIM_400000_NS6detail17trampoline_kernelINS0_14default_configENS1_35radix_sort_onesweep_config_selectorIiNS0_10empty_typeEEEZZNS1_29radix_sort_onesweep_iterationIS3_Lb1EN6thrust23THRUST_200600_302600_NS6detail15normal_iteratorINS9_10device_ptrIiEEEESE_PS5_SF_jNS0_19identity_decomposerENS1_16block_id_wrapperIjLb0EEEEE10hipError_tT1_PNSt15iterator_traitsISK_E10value_typeET2_T3_PNSL_ISQ_E10value_typeET4_T5_PSV_SW_PNS1_23onesweep_lookback_stateEbbT6_jjT7_P12ihipStream_tbENKUlT_T0_SK_SP_E_clISE_SE_SF_SF_EEDaS13_S14_SK_SP_EUlS13_E_NS1_11comp_targetILNS1_3genE0ELNS1_11target_archE4294967295ELNS1_3gpuE0ELNS1_3repE0EEENS1_47radix_sort_onesweep_sort_config_static_selectorELNS0_4arch9wavefront6targetE0EEEvSK_.private_seg_size, 0
	.set _ZN7rocprim17ROCPRIM_400000_NS6detail17trampoline_kernelINS0_14default_configENS1_35radix_sort_onesweep_config_selectorIiNS0_10empty_typeEEEZZNS1_29radix_sort_onesweep_iterationIS3_Lb1EN6thrust23THRUST_200600_302600_NS6detail15normal_iteratorINS9_10device_ptrIiEEEESE_PS5_SF_jNS0_19identity_decomposerENS1_16block_id_wrapperIjLb0EEEEE10hipError_tT1_PNSt15iterator_traitsISK_E10value_typeET2_T3_PNSL_ISQ_E10value_typeET4_T5_PSV_SW_PNS1_23onesweep_lookback_stateEbbT6_jjT7_P12ihipStream_tbENKUlT_T0_SK_SP_E_clISE_SE_SF_SF_EEDaS13_S14_SK_SP_EUlS13_E_NS1_11comp_targetILNS1_3genE0ELNS1_11target_archE4294967295ELNS1_3gpuE0ELNS1_3repE0EEENS1_47radix_sort_onesweep_sort_config_static_selectorELNS0_4arch9wavefront6targetE0EEEvSK_.uses_vcc, 0
	.set _ZN7rocprim17ROCPRIM_400000_NS6detail17trampoline_kernelINS0_14default_configENS1_35radix_sort_onesweep_config_selectorIiNS0_10empty_typeEEEZZNS1_29radix_sort_onesweep_iterationIS3_Lb1EN6thrust23THRUST_200600_302600_NS6detail15normal_iteratorINS9_10device_ptrIiEEEESE_PS5_SF_jNS0_19identity_decomposerENS1_16block_id_wrapperIjLb0EEEEE10hipError_tT1_PNSt15iterator_traitsISK_E10value_typeET2_T3_PNSL_ISQ_E10value_typeET4_T5_PSV_SW_PNS1_23onesweep_lookback_stateEbbT6_jjT7_P12ihipStream_tbENKUlT_T0_SK_SP_E_clISE_SE_SF_SF_EEDaS13_S14_SK_SP_EUlS13_E_NS1_11comp_targetILNS1_3genE0ELNS1_11target_archE4294967295ELNS1_3gpuE0ELNS1_3repE0EEENS1_47radix_sort_onesweep_sort_config_static_selectorELNS0_4arch9wavefront6targetE0EEEvSK_.uses_flat_scratch, 0
	.set _ZN7rocprim17ROCPRIM_400000_NS6detail17trampoline_kernelINS0_14default_configENS1_35radix_sort_onesweep_config_selectorIiNS0_10empty_typeEEEZZNS1_29radix_sort_onesweep_iterationIS3_Lb1EN6thrust23THRUST_200600_302600_NS6detail15normal_iteratorINS9_10device_ptrIiEEEESE_PS5_SF_jNS0_19identity_decomposerENS1_16block_id_wrapperIjLb0EEEEE10hipError_tT1_PNSt15iterator_traitsISK_E10value_typeET2_T3_PNSL_ISQ_E10value_typeET4_T5_PSV_SW_PNS1_23onesweep_lookback_stateEbbT6_jjT7_P12ihipStream_tbENKUlT_T0_SK_SP_E_clISE_SE_SF_SF_EEDaS13_S14_SK_SP_EUlS13_E_NS1_11comp_targetILNS1_3genE0ELNS1_11target_archE4294967295ELNS1_3gpuE0ELNS1_3repE0EEENS1_47radix_sort_onesweep_sort_config_static_selectorELNS0_4arch9wavefront6targetE0EEEvSK_.has_dyn_sized_stack, 0
	.set _ZN7rocprim17ROCPRIM_400000_NS6detail17trampoline_kernelINS0_14default_configENS1_35radix_sort_onesweep_config_selectorIiNS0_10empty_typeEEEZZNS1_29radix_sort_onesweep_iterationIS3_Lb1EN6thrust23THRUST_200600_302600_NS6detail15normal_iteratorINS9_10device_ptrIiEEEESE_PS5_SF_jNS0_19identity_decomposerENS1_16block_id_wrapperIjLb0EEEEE10hipError_tT1_PNSt15iterator_traitsISK_E10value_typeET2_T3_PNSL_ISQ_E10value_typeET4_T5_PSV_SW_PNS1_23onesweep_lookback_stateEbbT6_jjT7_P12ihipStream_tbENKUlT_T0_SK_SP_E_clISE_SE_SF_SF_EEDaS13_S14_SK_SP_EUlS13_E_NS1_11comp_targetILNS1_3genE0ELNS1_11target_archE4294967295ELNS1_3gpuE0ELNS1_3repE0EEENS1_47radix_sort_onesweep_sort_config_static_selectorELNS0_4arch9wavefront6targetE0EEEvSK_.has_recursion, 0
	.set _ZN7rocprim17ROCPRIM_400000_NS6detail17trampoline_kernelINS0_14default_configENS1_35radix_sort_onesweep_config_selectorIiNS0_10empty_typeEEEZZNS1_29radix_sort_onesweep_iterationIS3_Lb1EN6thrust23THRUST_200600_302600_NS6detail15normal_iteratorINS9_10device_ptrIiEEEESE_PS5_SF_jNS0_19identity_decomposerENS1_16block_id_wrapperIjLb0EEEEE10hipError_tT1_PNSt15iterator_traitsISK_E10value_typeET2_T3_PNSL_ISQ_E10value_typeET4_T5_PSV_SW_PNS1_23onesweep_lookback_stateEbbT6_jjT7_P12ihipStream_tbENKUlT_T0_SK_SP_E_clISE_SE_SF_SF_EEDaS13_S14_SK_SP_EUlS13_E_NS1_11comp_targetILNS1_3genE0ELNS1_11target_archE4294967295ELNS1_3gpuE0ELNS1_3repE0EEENS1_47radix_sort_onesweep_sort_config_static_selectorELNS0_4arch9wavefront6targetE0EEEvSK_.has_indirect_call, 0
	.section	.AMDGPU.csdata,"",@progbits
; Kernel info:
; codeLenInByte = 0
; TotalNumSgprs: 0
; NumVgprs: 0
; ScratchSize: 0
; MemoryBound: 0
; FloatMode: 240
; IeeeMode: 1
; LDSByteSize: 0 bytes/workgroup (compile time only)
; SGPRBlocks: 0
; VGPRBlocks: 0
; NumSGPRsForWavesPerEU: 1
; NumVGPRsForWavesPerEU: 1
; Occupancy: 16
; WaveLimiterHint : 0
; COMPUTE_PGM_RSRC2:SCRATCH_EN: 0
; COMPUTE_PGM_RSRC2:USER_SGPR: 6
; COMPUTE_PGM_RSRC2:TRAP_HANDLER: 0
; COMPUTE_PGM_RSRC2:TGID_X_EN: 1
; COMPUTE_PGM_RSRC2:TGID_Y_EN: 0
; COMPUTE_PGM_RSRC2:TGID_Z_EN: 0
; COMPUTE_PGM_RSRC2:TIDIG_COMP_CNT: 0
	.section	.text._ZN7rocprim17ROCPRIM_400000_NS6detail17trampoline_kernelINS0_14default_configENS1_35radix_sort_onesweep_config_selectorIiNS0_10empty_typeEEEZZNS1_29radix_sort_onesweep_iterationIS3_Lb1EN6thrust23THRUST_200600_302600_NS6detail15normal_iteratorINS9_10device_ptrIiEEEESE_PS5_SF_jNS0_19identity_decomposerENS1_16block_id_wrapperIjLb0EEEEE10hipError_tT1_PNSt15iterator_traitsISK_E10value_typeET2_T3_PNSL_ISQ_E10value_typeET4_T5_PSV_SW_PNS1_23onesweep_lookback_stateEbbT6_jjT7_P12ihipStream_tbENKUlT_T0_SK_SP_E_clISE_SE_SF_SF_EEDaS13_S14_SK_SP_EUlS13_E_NS1_11comp_targetILNS1_3genE6ELNS1_11target_archE950ELNS1_3gpuE13ELNS1_3repE0EEENS1_47radix_sort_onesweep_sort_config_static_selectorELNS0_4arch9wavefront6targetE0EEEvSK_,"axG",@progbits,_ZN7rocprim17ROCPRIM_400000_NS6detail17trampoline_kernelINS0_14default_configENS1_35radix_sort_onesweep_config_selectorIiNS0_10empty_typeEEEZZNS1_29radix_sort_onesweep_iterationIS3_Lb1EN6thrust23THRUST_200600_302600_NS6detail15normal_iteratorINS9_10device_ptrIiEEEESE_PS5_SF_jNS0_19identity_decomposerENS1_16block_id_wrapperIjLb0EEEEE10hipError_tT1_PNSt15iterator_traitsISK_E10value_typeET2_T3_PNSL_ISQ_E10value_typeET4_T5_PSV_SW_PNS1_23onesweep_lookback_stateEbbT6_jjT7_P12ihipStream_tbENKUlT_T0_SK_SP_E_clISE_SE_SF_SF_EEDaS13_S14_SK_SP_EUlS13_E_NS1_11comp_targetILNS1_3genE6ELNS1_11target_archE950ELNS1_3gpuE13ELNS1_3repE0EEENS1_47radix_sort_onesweep_sort_config_static_selectorELNS0_4arch9wavefront6targetE0EEEvSK_,comdat
	.protected	_ZN7rocprim17ROCPRIM_400000_NS6detail17trampoline_kernelINS0_14default_configENS1_35radix_sort_onesweep_config_selectorIiNS0_10empty_typeEEEZZNS1_29radix_sort_onesweep_iterationIS3_Lb1EN6thrust23THRUST_200600_302600_NS6detail15normal_iteratorINS9_10device_ptrIiEEEESE_PS5_SF_jNS0_19identity_decomposerENS1_16block_id_wrapperIjLb0EEEEE10hipError_tT1_PNSt15iterator_traitsISK_E10value_typeET2_T3_PNSL_ISQ_E10value_typeET4_T5_PSV_SW_PNS1_23onesweep_lookback_stateEbbT6_jjT7_P12ihipStream_tbENKUlT_T0_SK_SP_E_clISE_SE_SF_SF_EEDaS13_S14_SK_SP_EUlS13_E_NS1_11comp_targetILNS1_3genE6ELNS1_11target_archE950ELNS1_3gpuE13ELNS1_3repE0EEENS1_47radix_sort_onesweep_sort_config_static_selectorELNS0_4arch9wavefront6targetE0EEEvSK_ ; -- Begin function _ZN7rocprim17ROCPRIM_400000_NS6detail17trampoline_kernelINS0_14default_configENS1_35radix_sort_onesweep_config_selectorIiNS0_10empty_typeEEEZZNS1_29radix_sort_onesweep_iterationIS3_Lb1EN6thrust23THRUST_200600_302600_NS6detail15normal_iteratorINS9_10device_ptrIiEEEESE_PS5_SF_jNS0_19identity_decomposerENS1_16block_id_wrapperIjLb0EEEEE10hipError_tT1_PNSt15iterator_traitsISK_E10value_typeET2_T3_PNSL_ISQ_E10value_typeET4_T5_PSV_SW_PNS1_23onesweep_lookback_stateEbbT6_jjT7_P12ihipStream_tbENKUlT_T0_SK_SP_E_clISE_SE_SF_SF_EEDaS13_S14_SK_SP_EUlS13_E_NS1_11comp_targetILNS1_3genE6ELNS1_11target_archE950ELNS1_3gpuE13ELNS1_3repE0EEENS1_47radix_sort_onesweep_sort_config_static_selectorELNS0_4arch9wavefront6targetE0EEEvSK_
	.globl	_ZN7rocprim17ROCPRIM_400000_NS6detail17trampoline_kernelINS0_14default_configENS1_35radix_sort_onesweep_config_selectorIiNS0_10empty_typeEEEZZNS1_29radix_sort_onesweep_iterationIS3_Lb1EN6thrust23THRUST_200600_302600_NS6detail15normal_iteratorINS9_10device_ptrIiEEEESE_PS5_SF_jNS0_19identity_decomposerENS1_16block_id_wrapperIjLb0EEEEE10hipError_tT1_PNSt15iterator_traitsISK_E10value_typeET2_T3_PNSL_ISQ_E10value_typeET4_T5_PSV_SW_PNS1_23onesweep_lookback_stateEbbT6_jjT7_P12ihipStream_tbENKUlT_T0_SK_SP_E_clISE_SE_SF_SF_EEDaS13_S14_SK_SP_EUlS13_E_NS1_11comp_targetILNS1_3genE6ELNS1_11target_archE950ELNS1_3gpuE13ELNS1_3repE0EEENS1_47radix_sort_onesweep_sort_config_static_selectorELNS0_4arch9wavefront6targetE0EEEvSK_
	.p2align	8
	.type	_ZN7rocprim17ROCPRIM_400000_NS6detail17trampoline_kernelINS0_14default_configENS1_35radix_sort_onesweep_config_selectorIiNS0_10empty_typeEEEZZNS1_29radix_sort_onesweep_iterationIS3_Lb1EN6thrust23THRUST_200600_302600_NS6detail15normal_iteratorINS9_10device_ptrIiEEEESE_PS5_SF_jNS0_19identity_decomposerENS1_16block_id_wrapperIjLb0EEEEE10hipError_tT1_PNSt15iterator_traitsISK_E10value_typeET2_T3_PNSL_ISQ_E10value_typeET4_T5_PSV_SW_PNS1_23onesweep_lookback_stateEbbT6_jjT7_P12ihipStream_tbENKUlT_T0_SK_SP_E_clISE_SE_SF_SF_EEDaS13_S14_SK_SP_EUlS13_E_NS1_11comp_targetILNS1_3genE6ELNS1_11target_archE950ELNS1_3gpuE13ELNS1_3repE0EEENS1_47radix_sort_onesweep_sort_config_static_selectorELNS0_4arch9wavefront6targetE0EEEvSK_,@function
_ZN7rocprim17ROCPRIM_400000_NS6detail17trampoline_kernelINS0_14default_configENS1_35radix_sort_onesweep_config_selectorIiNS0_10empty_typeEEEZZNS1_29radix_sort_onesweep_iterationIS3_Lb1EN6thrust23THRUST_200600_302600_NS6detail15normal_iteratorINS9_10device_ptrIiEEEESE_PS5_SF_jNS0_19identity_decomposerENS1_16block_id_wrapperIjLb0EEEEE10hipError_tT1_PNSt15iterator_traitsISK_E10value_typeET2_T3_PNSL_ISQ_E10value_typeET4_T5_PSV_SW_PNS1_23onesweep_lookback_stateEbbT6_jjT7_P12ihipStream_tbENKUlT_T0_SK_SP_E_clISE_SE_SF_SF_EEDaS13_S14_SK_SP_EUlS13_E_NS1_11comp_targetILNS1_3genE6ELNS1_11target_archE950ELNS1_3gpuE13ELNS1_3repE0EEENS1_47radix_sort_onesweep_sort_config_static_selectorELNS0_4arch9wavefront6targetE0EEEvSK_: ; @_ZN7rocprim17ROCPRIM_400000_NS6detail17trampoline_kernelINS0_14default_configENS1_35radix_sort_onesweep_config_selectorIiNS0_10empty_typeEEEZZNS1_29radix_sort_onesweep_iterationIS3_Lb1EN6thrust23THRUST_200600_302600_NS6detail15normal_iteratorINS9_10device_ptrIiEEEESE_PS5_SF_jNS0_19identity_decomposerENS1_16block_id_wrapperIjLb0EEEEE10hipError_tT1_PNSt15iterator_traitsISK_E10value_typeET2_T3_PNSL_ISQ_E10value_typeET4_T5_PSV_SW_PNS1_23onesweep_lookback_stateEbbT6_jjT7_P12ihipStream_tbENKUlT_T0_SK_SP_E_clISE_SE_SF_SF_EEDaS13_S14_SK_SP_EUlS13_E_NS1_11comp_targetILNS1_3genE6ELNS1_11target_archE950ELNS1_3gpuE13ELNS1_3repE0EEENS1_47radix_sort_onesweep_sort_config_static_selectorELNS0_4arch9wavefront6targetE0EEEvSK_
; %bb.0:
	.section	.rodata,"a",@progbits
	.p2align	6, 0x0
	.amdhsa_kernel _ZN7rocprim17ROCPRIM_400000_NS6detail17trampoline_kernelINS0_14default_configENS1_35radix_sort_onesweep_config_selectorIiNS0_10empty_typeEEEZZNS1_29radix_sort_onesweep_iterationIS3_Lb1EN6thrust23THRUST_200600_302600_NS6detail15normal_iteratorINS9_10device_ptrIiEEEESE_PS5_SF_jNS0_19identity_decomposerENS1_16block_id_wrapperIjLb0EEEEE10hipError_tT1_PNSt15iterator_traitsISK_E10value_typeET2_T3_PNSL_ISQ_E10value_typeET4_T5_PSV_SW_PNS1_23onesweep_lookback_stateEbbT6_jjT7_P12ihipStream_tbENKUlT_T0_SK_SP_E_clISE_SE_SF_SF_EEDaS13_S14_SK_SP_EUlS13_E_NS1_11comp_targetILNS1_3genE6ELNS1_11target_archE950ELNS1_3gpuE13ELNS1_3repE0EEENS1_47radix_sort_onesweep_sort_config_static_selectorELNS0_4arch9wavefront6targetE0EEEvSK_
		.amdhsa_group_segment_fixed_size 0
		.amdhsa_private_segment_fixed_size 0
		.amdhsa_kernarg_size 88
		.amdhsa_user_sgpr_count 6
		.amdhsa_user_sgpr_private_segment_buffer 1
		.amdhsa_user_sgpr_dispatch_ptr 0
		.amdhsa_user_sgpr_queue_ptr 0
		.amdhsa_user_sgpr_kernarg_segment_ptr 1
		.amdhsa_user_sgpr_dispatch_id 0
		.amdhsa_user_sgpr_flat_scratch_init 0
		.amdhsa_user_sgpr_private_segment_size 0
		.amdhsa_wavefront_size32 1
		.amdhsa_uses_dynamic_stack 0
		.amdhsa_system_sgpr_private_segment_wavefront_offset 0
		.amdhsa_system_sgpr_workgroup_id_x 1
		.amdhsa_system_sgpr_workgroup_id_y 0
		.amdhsa_system_sgpr_workgroup_id_z 0
		.amdhsa_system_sgpr_workgroup_info 0
		.amdhsa_system_vgpr_workitem_id 0
		.amdhsa_next_free_vgpr 1
		.amdhsa_next_free_sgpr 1
		.amdhsa_reserve_vcc 0
		.amdhsa_reserve_flat_scratch 0
		.amdhsa_float_round_mode_32 0
		.amdhsa_float_round_mode_16_64 0
		.amdhsa_float_denorm_mode_32 3
		.amdhsa_float_denorm_mode_16_64 3
		.amdhsa_dx10_clamp 1
		.amdhsa_ieee_mode 1
		.amdhsa_fp16_overflow 0
		.amdhsa_workgroup_processor_mode 1
		.amdhsa_memory_ordered 1
		.amdhsa_forward_progress 1
		.amdhsa_shared_vgpr_count 0
		.amdhsa_exception_fp_ieee_invalid_op 0
		.amdhsa_exception_fp_denorm_src 0
		.amdhsa_exception_fp_ieee_div_zero 0
		.amdhsa_exception_fp_ieee_overflow 0
		.amdhsa_exception_fp_ieee_underflow 0
		.amdhsa_exception_fp_ieee_inexact 0
		.amdhsa_exception_int_div_zero 0
	.end_amdhsa_kernel
	.section	.text._ZN7rocprim17ROCPRIM_400000_NS6detail17trampoline_kernelINS0_14default_configENS1_35radix_sort_onesweep_config_selectorIiNS0_10empty_typeEEEZZNS1_29radix_sort_onesweep_iterationIS3_Lb1EN6thrust23THRUST_200600_302600_NS6detail15normal_iteratorINS9_10device_ptrIiEEEESE_PS5_SF_jNS0_19identity_decomposerENS1_16block_id_wrapperIjLb0EEEEE10hipError_tT1_PNSt15iterator_traitsISK_E10value_typeET2_T3_PNSL_ISQ_E10value_typeET4_T5_PSV_SW_PNS1_23onesweep_lookback_stateEbbT6_jjT7_P12ihipStream_tbENKUlT_T0_SK_SP_E_clISE_SE_SF_SF_EEDaS13_S14_SK_SP_EUlS13_E_NS1_11comp_targetILNS1_3genE6ELNS1_11target_archE950ELNS1_3gpuE13ELNS1_3repE0EEENS1_47radix_sort_onesweep_sort_config_static_selectorELNS0_4arch9wavefront6targetE0EEEvSK_,"axG",@progbits,_ZN7rocprim17ROCPRIM_400000_NS6detail17trampoline_kernelINS0_14default_configENS1_35radix_sort_onesweep_config_selectorIiNS0_10empty_typeEEEZZNS1_29radix_sort_onesweep_iterationIS3_Lb1EN6thrust23THRUST_200600_302600_NS6detail15normal_iteratorINS9_10device_ptrIiEEEESE_PS5_SF_jNS0_19identity_decomposerENS1_16block_id_wrapperIjLb0EEEEE10hipError_tT1_PNSt15iterator_traitsISK_E10value_typeET2_T3_PNSL_ISQ_E10value_typeET4_T5_PSV_SW_PNS1_23onesweep_lookback_stateEbbT6_jjT7_P12ihipStream_tbENKUlT_T0_SK_SP_E_clISE_SE_SF_SF_EEDaS13_S14_SK_SP_EUlS13_E_NS1_11comp_targetILNS1_3genE6ELNS1_11target_archE950ELNS1_3gpuE13ELNS1_3repE0EEENS1_47radix_sort_onesweep_sort_config_static_selectorELNS0_4arch9wavefront6targetE0EEEvSK_,comdat
.Lfunc_end364:
	.size	_ZN7rocprim17ROCPRIM_400000_NS6detail17trampoline_kernelINS0_14default_configENS1_35radix_sort_onesweep_config_selectorIiNS0_10empty_typeEEEZZNS1_29radix_sort_onesweep_iterationIS3_Lb1EN6thrust23THRUST_200600_302600_NS6detail15normal_iteratorINS9_10device_ptrIiEEEESE_PS5_SF_jNS0_19identity_decomposerENS1_16block_id_wrapperIjLb0EEEEE10hipError_tT1_PNSt15iterator_traitsISK_E10value_typeET2_T3_PNSL_ISQ_E10value_typeET4_T5_PSV_SW_PNS1_23onesweep_lookback_stateEbbT6_jjT7_P12ihipStream_tbENKUlT_T0_SK_SP_E_clISE_SE_SF_SF_EEDaS13_S14_SK_SP_EUlS13_E_NS1_11comp_targetILNS1_3genE6ELNS1_11target_archE950ELNS1_3gpuE13ELNS1_3repE0EEENS1_47radix_sort_onesweep_sort_config_static_selectorELNS0_4arch9wavefront6targetE0EEEvSK_, .Lfunc_end364-_ZN7rocprim17ROCPRIM_400000_NS6detail17trampoline_kernelINS0_14default_configENS1_35radix_sort_onesweep_config_selectorIiNS0_10empty_typeEEEZZNS1_29radix_sort_onesweep_iterationIS3_Lb1EN6thrust23THRUST_200600_302600_NS6detail15normal_iteratorINS9_10device_ptrIiEEEESE_PS5_SF_jNS0_19identity_decomposerENS1_16block_id_wrapperIjLb0EEEEE10hipError_tT1_PNSt15iterator_traitsISK_E10value_typeET2_T3_PNSL_ISQ_E10value_typeET4_T5_PSV_SW_PNS1_23onesweep_lookback_stateEbbT6_jjT7_P12ihipStream_tbENKUlT_T0_SK_SP_E_clISE_SE_SF_SF_EEDaS13_S14_SK_SP_EUlS13_E_NS1_11comp_targetILNS1_3genE6ELNS1_11target_archE950ELNS1_3gpuE13ELNS1_3repE0EEENS1_47radix_sort_onesweep_sort_config_static_selectorELNS0_4arch9wavefront6targetE0EEEvSK_
                                        ; -- End function
	.set _ZN7rocprim17ROCPRIM_400000_NS6detail17trampoline_kernelINS0_14default_configENS1_35radix_sort_onesweep_config_selectorIiNS0_10empty_typeEEEZZNS1_29radix_sort_onesweep_iterationIS3_Lb1EN6thrust23THRUST_200600_302600_NS6detail15normal_iteratorINS9_10device_ptrIiEEEESE_PS5_SF_jNS0_19identity_decomposerENS1_16block_id_wrapperIjLb0EEEEE10hipError_tT1_PNSt15iterator_traitsISK_E10value_typeET2_T3_PNSL_ISQ_E10value_typeET4_T5_PSV_SW_PNS1_23onesweep_lookback_stateEbbT6_jjT7_P12ihipStream_tbENKUlT_T0_SK_SP_E_clISE_SE_SF_SF_EEDaS13_S14_SK_SP_EUlS13_E_NS1_11comp_targetILNS1_3genE6ELNS1_11target_archE950ELNS1_3gpuE13ELNS1_3repE0EEENS1_47radix_sort_onesweep_sort_config_static_selectorELNS0_4arch9wavefront6targetE0EEEvSK_.num_vgpr, 0
	.set _ZN7rocprim17ROCPRIM_400000_NS6detail17trampoline_kernelINS0_14default_configENS1_35radix_sort_onesweep_config_selectorIiNS0_10empty_typeEEEZZNS1_29radix_sort_onesweep_iterationIS3_Lb1EN6thrust23THRUST_200600_302600_NS6detail15normal_iteratorINS9_10device_ptrIiEEEESE_PS5_SF_jNS0_19identity_decomposerENS1_16block_id_wrapperIjLb0EEEEE10hipError_tT1_PNSt15iterator_traitsISK_E10value_typeET2_T3_PNSL_ISQ_E10value_typeET4_T5_PSV_SW_PNS1_23onesweep_lookback_stateEbbT6_jjT7_P12ihipStream_tbENKUlT_T0_SK_SP_E_clISE_SE_SF_SF_EEDaS13_S14_SK_SP_EUlS13_E_NS1_11comp_targetILNS1_3genE6ELNS1_11target_archE950ELNS1_3gpuE13ELNS1_3repE0EEENS1_47radix_sort_onesweep_sort_config_static_selectorELNS0_4arch9wavefront6targetE0EEEvSK_.num_agpr, 0
	.set _ZN7rocprim17ROCPRIM_400000_NS6detail17trampoline_kernelINS0_14default_configENS1_35radix_sort_onesweep_config_selectorIiNS0_10empty_typeEEEZZNS1_29radix_sort_onesweep_iterationIS3_Lb1EN6thrust23THRUST_200600_302600_NS6detail15normal_iteratorINS9_10device_ptrIiEEEESE_PS5_SF_jNS0_19identity_decomposerENS1_16block_id_wrapperIjLb0EEEEE10hipError_tT1_PNSt15iterator_traitsISK_E10value_typeET2_T3_PNSL_ISQ_E10value_typeET4_T5_PSV_SW_PNS1_23onesweep_lookback_stateEbbT6_jjT7_P12ihipStream_tbENKUlT_T0_SK_SP_E_clISE_SE_SF_SF_EEDaS13_S14_SK_SP_EUlS13_E_NS1_11comp_targetILNS1_3genE6ELNS1_11target_archE950ELNS1_3gpuE13ELNS1_3repE0EEENS1_47radix_sort_onesweep_sort_config_static_selectorELNS0_4arch9wavefront6targetE0EEEvSK_.numbered_sgpr, 0
	.set _ZN7rocprim17ROCPRIM_400000_NS6detail17trampoline_kernelINS0_14default_configENS1_35radix_sort_onesweep_config_selectorIiNS0_10empty_typeEEEZZNS1_29radix_sort_onesweep_iterationIS3_Lb1EN6thrust23THRUST_200600_302600_NS6detail15normal_iteratorINS9_10device_ptrIiEEEESE_PS5_SF_jNS0_19identity_decomposerENS1_16block_id_wrapperIjLb0EEEEE10hipError_tT1_PNSt15iterator_traitsISK_E10value_typeET2_T3_PNSL_ISQ_E10value_typeET4_T5_PSV_SW_PNS1_23onesweep_lookback_stateEbbT6_jjT7_P12ihipStream_tbENKUlT_T0_SK_SP_E_clISE_SE_SF_SF_EEDaS13_S14_SK_SP_EUlS13_E_NS1_11comp_targetILNS1_3genE6ELNS1_11target_archE950ELNS1_3gpuE13ELNS1_3repE0EEENS1_47radix_sort_onesweep_sort_config_static_selectorELNS0_4arch9wavefront6targetE0EEEvSK_.num_named_barrier, 0
	.set _ZN7rocprim17ROCPRIM_400000_NS6detail17trampoline_kernelINS0_14default_configENS1_35radix_sort_onesweep_config_selectorIiNS0_10empty_typeEEEZZNS1_29radix_sort_onesweep_iterationIS3_Lb1EN6thrust23THRUST_200600_302600_NS6detail15normal_iteratorINS9_10device_ptrIiEEEESE_PS5_SF_jNS0_19identity_decomposerENS1_16block_id_wrapperIjLb0EEEEE10hipError_tT1_PNSt15iterator_traitsISK_E10value_typeET2_T3_PNSL_ISQ_E10value_typeET4_T5_PSV_SW_PNS1_23onesweep_lookback_stateEbbT6_jjT7_P12ihipStream_tbENKUlT_T0_SK_SP_E_clISE_SE_SF_SF_EEDaS13_S14_SK_SP_EUlS13_E_NS1_11comp_targetILNS1_3genE6ELNS1_11target_archE950ELNS1_3gpuE13ELNS1_3repE0EEENS1_47radix_sort_onesweep_sort_config_static_selectorELNS0_4arch9wavefront6targetE0EEEvSK_.private_seg_size, 0
	.set _ZN7rocprim17ROCPRIM_400000_NS6detail17trampoline_kernelINS0_14default_configENS1_35radix_sort_onesweep_config_selectorIiNS0_10empty_typeEEEZZNS1_29radix_sort_onesweep_iterationIS3_Lb1EN6thrust23THRUST_200600_302600_NS6detail15normal_iteratorINS9_10device_ptrIiEEEESE_PS5_SF_jNS0_19identity_decomposerENS1_16block_id_wrapperIjLb0EEEEE10hipError_tT1_PNSt15iterator_traitsISK_E10value_typeET2_T3_PNSL_ISQ_E10value_typeET4_T5_PSV_SW_PNS1_23onesweep_lookback_stateEbbT6_jjT7_P12ihipStream_tbENKUlT_T0_SK_SP_E_clISE_SE_SF_SF_EEDaS13_S14_SK_SP_EUlS13_E_NS1_11comp_targetILNS1_3genE6ELNS1_11target_archE950ELNS1_3gpuE13ELNS1_3repE0EEENS1_47radix_sort_onesweep_sort_config_static_selectorELNS0_4arch9wavefront6targetE0EEEvSK_.uses_vcc, 0
	.set _ZN7rocprim17ROCPRIM_400000_NS6detail17trampoline_kernelINS0_14default_configENS1_35radix_sort_onesweep_config_selectorIiNS0_10empty_typeEEEZZNS1_29radix_sort_onesweep_iterationIS3_Lb1EN6thrust23THRUST_200600_302600_NS6detail15normal_iteratorINS9_10device_ptrIiEEEESE_PS5_SF_jNS0_19identity_decomposerENS1_16block_id_wrapperIjLb0EEEEE10hipError_tT1_PNSt15iterator_traitsISK_E10value_typeET2_T3_PNSL_ISQ_E10value_typeET4_T5_PSV_SW_PNS1_23onesweep_lookback_stateEbbT6_jjT7_P12ihipStream_tbENKUlT_T0_SK_SP_E_clISE_SE_SF_SF_EEDaS13_S14_SK_SP_EUlS13_E_NS1_11comp_targetILNS1_3genE6ELNS1_11target_archE950ELNS1_3gpuE13ELNS1_3repE0EEENS1_47radix_sort_onesweep_sort_config_static_selectorELNS0_4arch9wavefront6targetE0EEEvSK_.uses_flat_scratch, 0
	.set _ZN7rocprim17ROCPRIM_400000_NS6detail17trampoline_kernelINS0_14default_configENS1_35radix_sort_onesweep_config_selectorIiNS0_10empty_typeEEEZZNS1_29radix_sort_onesweep_iterationIS3_Lb1EN6thrust23THRUST_200600_302600_NS6detail15normal_iteratorINS9_10device_ptrIiEEEESE_PS5_SF_jNS0_19identity_decomposerENS1_16block_id_wrapperIjLb0EEEEE10hipError_tT1_PNSt15iterator_traitsISK_E10value_typeET2_T3_PNSL_ISQ_E10value_typeET4_T5_PSV_SW_PNS1_23onesweep_lookback_stateEbbT6_jjT7_P12ihipStream_tbENKUlT_T0_SK_SP_E_clISE_SE_SF_SF_EEDaS13_S14_SK_SP_EUlS13_E_NS1_11comp_targetILNS1_3genE6ELNS1_11target_archE950ELNS1_3gpuE13ELNS1_3repE0EEENS1_47radix_sort_onesweep_sort_config_static_selectorELNS0_4arch9wavefront6targetE0EEEvSK_.has_dyn_sized_stack, 0
	.set _ZN7rocprim17ROCPRIM_400000_NS6detail17trampoline_kernelINS0_14default_configENS1_35radix_sort_onesweep_config_selectorIiNS0_10empty_typeEEEZZNS1_29radix_sort_onesweep_iterationIS3_Lb1EN6thrust23THRUST_200600_302600_NS6detail15normal_iteratorINS9_10device_ptrIiEEEESE_PS5_SF_jNS0_19identity_decomposerENS1_16block_id_wrapperIjLb0EEEEE10hipError_tT1_PNSt15iterator_traitsISK_E10value_typeET2_T3_PNSL_ISQ_E10value_typeET4_T5_PSV_SW_PNS1_23onesweep_lookback_stateEbbT6_jjT7_P12ihipStream_tbENKUlT_T0_SK_SP_E_clISE_SE_SF_SF_EEDaS13_S14_SK_SP_EUlS13_E_NS1_11comp_targetILNS1_3genE6ELNS1_11target_archE950ELNS1_3gpuE13ELNS1_3repE0EEENS1_47radix_sort_onesweep_sort_config_static_selectorELNS0_4arch9wavefront6targetE0EEEvSK_.has_recursion, 0
	.set _ZN7rocprim17ROCPRIM_400000_NS6detail17trampoline_kernelINS0_14default_configENS1_35radix_sort_onesweep_config_selectorIiNS0_10empty_typeEEEZZNS1_29radix_sort_onesweep_iterationIS3_Lb1EN6thrust23THRUST_200600_302600_NS6detail15normal_iteratorINS9_10device_ptrIiEEEESE_PS5_SF_jNS0_19identity_decomposerENS1_16block_id_wrapperIjLb0EEEEE10hipError_tT1_PNSt15iterator_traitsISK_E10value_typeET2_T3_PNSL_ISQ_E10value_typeET4_T5_PSV_SW_PNS1_23onesweep_lookback_stateEbbT6_jjT7_P12ihipStream_tbENKUlT_T0_SK_SP_E_clISE_SE_SF_SF_EEDaS13_S14_SK_SP_EUlS13_E_NS1_11comp_targetILNS1_3genE6ELNS1_11target_archE950ELNS1_3gpuE13ELNS1_3repE0EEENS1_47radix_sort_onesweep_sort_config_static_selectorELNS0_4arch9wavefront6targetE0EEEvSK_.has_indirect_call, 0
	.section	.AMDGPU.csdata,"",@progbits
; Kernel info:
; codeLenInByte = 0
; TotalNumSgprs: 0
; NumVgprs: 0
; ScratchSize: 0
; MemoryBound: 0
; FloatMode: 240
; IeeeMode: 1
; LDSByteSize: 0 bytes/workgroup (compile time only)
; SGPRBlocks: 0
; VGPRBlocks: 0
; NumSGPRsForWavesPerEU: 1
; NumVGPRsForWavesPerEU: 1
; Occupancy: 16
; WaveLimiterHint : 0
; COMPUTE_PGM_RSRC2:SCRATCH_EN: 0
; COMPUTE_PGM_RSRC2:USER_SGPR: 6
; COMPUTE_PGM_RSRC2:TRAP_HANDLER: 0
; COMPUTE_PGM_RSRC2:TGID_X_EN: 1
; COMPUTE_PGM_RSRC2:TGID_Y_EN: 0
; COMPUTE_PGM_RSRC2:TGID_Z_EN: 0
; COMPUTE_PGM_RSRC2:TIDIG_COMP_CNT: 0
	.section	.text._ZN7rocprim17ROCPRIM_400000_NS6detail17trampoline_kernelINS0_14default_configENS1_35radix_sort_onesweep_config_selectorIiNS0_10empty_typeEEEZZNS1_29radix_sort_onesweep_iterationIS3_Lb1EN6thrust23THRUST_200600_302600_NS6detail15normal_iteratorINS9_10device_ptrIiEEEESE_PS5_SF_jNS0_19identity_decomposerENS1_16block_id_wrapperIjLb0EEEEE10hipError_tT1_PNSt15iterator_traitsISK_E10value_typeET2_T3_PNSL_ISQ_E10value_typeET4_T5_PSV_SW_PNS1_23onesweep_lookback_stateEbbT6_jjT7_P12ihipStream_tbENKUlT_T0_SK_SP_E_clISE_SE_SF_SF_EEDaS13_S14_SK_SP_EUlS13_E_NS1_11comp_targetILNS1_3genE5ELNS1_11target_archE942ELNS1_3gpuE9ELNS1_3repE0EEENS1_47radix_sort_onesweep_sort_config_static_selectorELNS0_4arch9wavefront6targetE0EEEvSK_,"axG",@progbits,_ZN7rocprim17ROCPRIM_400000_NS6detail17trampoline_kernelINS0_14default_configENS1_35radix_sort_onesweep_config_selectorIiNS0_10empty_typeEEEZZNS1_29radix_sort_onesweep_iterationIS3_Lb1EN6thrust23THRUST_200600_302600_NS6detail15normal_iteratorINS9_10device_ptrIiEEEESE_PS5_SF_jNS0_19identity_decomposerENS1_16block_id_wrapperIjLb0EEEEE10hipError_tT1_PNSt15iterator_traitsISK_E10value_typeET2_T3_PNSL_ISQ_E10value_typeET4_T5_PSV_SW_PNS1_23onesweep_lookback_stateEbbT6_jjT7_P12ihipStream_tbENKUlT_T0_SK_SP_E_clISE_SE_SF_SF_EEDaS13_S14_SK_SP_EUlS13_E_NS1_11comp_targetILNS1_3genE5ELNS1_11target_archE942ELNS1_3gpuE9ELNS1_3repE0EEENS1_47radix_sort_onesweep_sort_config_static_selectorELNS0_4arch9wavefront6targetE0EEEvSK_,comdat
	.protected	_ZN7rocprim17ROCPRIM_400000_NS6detail17trampoline_kernelINS0_14default_configENS1_35radix_sort_onesweep_config_selectorIiNS0_10empty_typeEEEZZNS1_29radix_sort_onesweep_iterationIS3_Lb1EN6thrust23THRUST_200600_302600_NS6detail15normal_iteratorINS9_10device_ptrIiEEEESE_PS5_SF_jNS0_19identity_decomposerENS1_16block_id_wrapperIjLb0EEEEE10hipError_tT1_PNSt15iterator_traitsISK_E10value_typeET2_T3_PNSL_ISQ_E10value_typeET4_T5_PSV_SW_PNS1_23onesweep_lookback_stateEbbT6_jjT7_P12ihipStream_tbENKUlT_T0_SK_SP_E_clISE_SE_SF_SF_EEDaS13_S14_SK_SP_EUlS13_E_NS1_11comp_targetILNS1_3genE5ELNS1_11target_archE942ELNS1_3gpuE9ELNS1_3repE0EEENS1_47radix_sort_onesweep_sort_config_static_selectorELNS0_4arch9wavefront6targetE0EEEvSK_ ; -- Begin function _ZN7rocprim17ROCPRIM_400000_NS6detail17trampoline_kernelINS0_14default_configENS1_35radix_sort_onesweep_config_selectorIiNS0_10empty_typeEEEZZNS1_29radix_sort_onesweep_iterationIS3_Lb1EN6thrust23THRUST_200600_302600_NS6detail15normal_iteratorINS9_10device_ptrIiEEEESE_PS5_SF_jNS0_19identity_decomposerENS1_16block_id_wrapperIjLb0EEEEE10hipError_tT1_PNSt15iterator_traitsISK_E10value_typeET2_T3_PNSL_ISQ_E10value_typeET4_T5_PSV_SW_PNS1_23onesweep_lookback_stateEbbT6_jjT7_P12ihipStream_tbENKUlT_T0_SK_SP_E_clISE_SE_SF_SF_EEDaS13_S14_SK_SP_EUlS13_E_NS1_11comp_targetILNS1_3genE5ELNS1_11target_archE942ELNS1_3gpuE9ELNS1_3repE0EEENS1_47radix_sort_onesweep_sort_config_static_selectorELNS0_4arch9wavefront6targetE0EEEvSK_
	.globl	_ZN7rocprim17ROCPRIM_400000_NS6detail17trampoline_kernelINS0_14default_configENS1_35radix_sort_onesweep_config_selectorIiNS0_10empty_typeEEEZZNS1_29radix_sort_onesweep_iterationIS3_Lb1EN6thrust23THRUST_200600_302600_NS6detail15normal_iteratorINS9_10device_ptrIiEEEESE_PS5_SF_jNS0_19identity_decomposerENS1_16block_id_wrapperIjLb0EEEEE10hipError_tT1_PNSt15iterator_traitsISK_E10value_typeET2_T3_PNSL_ISQ_E10value_typeET4_T5_PSV_SW_PNS1_23onesweep_lookback_stateEbbT6_jjT7_P12ihipStream_tbENKUlT_T0_SK_SP_E_clISE_SE_SF_SF_EEDaS13_S14_SK_SP_EUlS13_E_NS1_11comp_targetILNS1_3genE5ELNS1_11target_archE942ELNS1_3gpuE9ELNS1_3repE0EEENS1_47radix_sort_onesweep_sort_config_static_selectorELNS0_4arch9wavefront6targetE0EEEvSK_
	.p2align	8
	.type	_ZN7rocprim17ROCPRIM_400000_NS6detail17trampoline_kernelINS0_14default_configENS1_35radix_sort_onesweep_config_selectorIiNS0_10empty_typeEEEZZNS1_29radix_sort_onesweep_iterationIS3_Lb1EN6thrust23THRUST_200600_302600_NS6detail15normal_iteratorINS9_10device_ptrIiEEEESE_PS5_SF_jNS0_19identity_decomposerENS1_16block_id_wrapperIjLb0EEEEE10hipError_tT1_PNSt15iterator_traitsISK_E10value_typeET2_T3_PNSL_ISQ_E10value_typeET4_T5_PSV_SW_PNS1_23onesweep_lookback_stateEbbT6_jjT7_P12ihipStream_tbENKUlT_T0_SK_SP_E_clISE_SE_SF_SF_EEDaS13_S14_SK_SP_EUlS13_E_NS1_11comp_targetILNS1_3genE5ELNS1_11target_archE942ELNS1_3gpuE9ELNS1_3repE0EEENS1_47radix_sort_onesweep_sort_config_static_selectorELNS0_4arch9wavefront6targetE0EEEvSK_,@function
_ZN7rocprim17ROCPRIM_400000_NS6detail17trampoline_kernelINS0_14default_configENS1_35radix_sort_onesweep_config_selectorIiNS0_10empty_typeEEEZZNS1_29radix_sort_onesweep_iterationIS3_Lb1EN6thrust23THRUST_200600_302600_NS6detail15normal_iteratorINS9_10device_ptrIiEEEESE_PS5_SF_jNS0_19identity_decomposerENS1_16block_id_wrapperIjLb0EEEEE10hipError_tT1_PNSt15iterator_traitsISK_E10value_typeET2_T3_PNSL_ISQ_E10value_typeET4_T5_PSV_SW_PNS1_23onesweep_lookback_stateEbbT6_jjT7_P12ihipStream_tbENKUlT_T0_SK_SP_E_clISE_SE_SF_SF_EEDaS13_S14_SK_SP_EUlS13_E_NS1_11comp_targetILNS1_3genE5ELNS1_11target_archE942ELNS1_3gpuE9ELNS1_3repE0EEENS1_47radix_sort_onesweep_sort_config_static_selectorELNS0_4arch9wavefront6targetE0EEEvSK_: ; @_ZN7rocprim17ROCPRIM_400000_NS6detail17trampoline_kernelINS0_14default_configENS1_35radix_sort_onesweep_config_selectorIiNS0_10empty_typeEEEZZNS1_29radix_sort_onesweep_iterationIS3_Lb1EN6thrust23THRUST_200600_302600_NS6detail15normal_iteratorINS9_10device_ptrIiEEEESE_PS5_SF_jNS0_19identity_decomposerENS1_16block_id_wrapperIjLb0EEEEE10hipError_tT1_PNSt15iterator_traitsISK_E10value_typeET2_T3_PNSL_ISQ_E10value_typeET4_T5_PSV_SW_PNS1_23onesweep_lookback_stateEbbT6_jjT7_P12ihipStream_tbENKUlT_T0_SK_SP_E_clISE_SE_SF_SF_EEDaS13_S14_SK_SP_EUlS13_E_NS1_11comp_targetILNS1_3genE5ELNS1_11target_archE942ELNS1_3gpuE9ELNS1_3repE0EEENS1_47radix_sort_onesweep_sort_config_static_selectorELNS0_4arch9wavefront6targetE0EEEvSK_
; %bb.0:
	.section	.rodata,"a",@progbits
	.p2align	6, 0x0
	.amdhsa_kernel _ZN7rocprim17ROCPRIM_400000_NS6detail17trampoline_kernelINS0_14default_configENS1_35radix_sort_onesweep_config_selectorIiNS0_10empty_typeEEEZZNS1_29radix_sort_onesweep_iterationIS3_Lb1EN6thrust23THRUST_200600_302600_NS6detail15normal_iteratorINS9_10device_ptrIiEEEESE_PS5_SF_jNS0_19identity_decomposerENS1_16block_id_wrapperIjLb0EEEEE10hipError_tT1_PNSt15iterator_traitsISK_E10value_typeET2_T3_PNSL_ISQ_E10value_typeET4_T5_PSV_SW_PNS1_23onesweep_lookback_stateEbbT6_jjT7_P12ihipStream_tbENKUlT_T0_SK_SP_E_clISE_SE_SF_SF_EEDaS13_S14_SK_SP_EUlS13_E_NS1_11comp_targetILNS1_3genE5ELNS1_11target_archE942ELNS1_3gpuE9ELNS1_3repE0EEENS1_47radix_sort_onesweep_sort_config_static_selectorELNS0_4arch9wavefront6targetE0EEEvSK_
		.amdhsa_group_segment_fixed_size 0
		.amdhsa_private_segment_fixed_size 0
		.amdhsa_kernarg_size 88
		.amdhsa_user_sgpr_count 6
		.amdhsa_user_sgpr_private_segment_buffer 1
		.amdhsa_user_sgpr_dispatch_ptr 0
		.amdhsa_user_sgpr_queue_ptr 0
		.amdhsa_user_sgpr_kernarg_segment_ptr 1
		.amdhsa_user_sgpr_dispatch_id 0
		.amdhsa_user_sgpr_flat_scratch_init 0
		.amdhsa_user_sgpr_private_segment_size 0
		.amdhsa_wavefront_size32 1
		.amdhsa_uses_dynamic_stack 0
		.amdhsa_system_sgpr_private_segment_wavefront_offset 0
		.amdhsa_system_sgpr_workgroup_id_x 1
		.amdhsa_system_sgpr_workgroup_id_y 0
		.amdhsa_system_sgpr_workgroup_id_z 0
		.amdhsa_system_sgpr_workgroup_info 0
		.amdhsa_system_vgpr_workitem_id 0
		.amdhsa_next_free_vgpr 1
		.amdhsa_next_free_sgpr 1
		.amdhsa_reserve_vcc 0
		.amdhsa_reserve_flat_scratch 0
		.amdhsa_float_round_mode_32 0
		.amdhsa_float_round_mode_16_64 0
		.amdhsa_float_denorm_mode_32 3
		.amdhsa_float_denorm_mode_16_64 3
		.amdhsa_dx10_clamp 1
		.amdhsa_ieee_mode 1
		.amdhsa_fp16_overflow 0
		.amdhsa_workgroup_processor_mode 1
		.amdhsa_memory_ordered 1
		.amdhsa_forward_progress 1
		.amdhsa_shared_vgpr_count 0
		.amdhsa_exception_fp_ieee_invalid_op 0
		.amdhsa_exception_fp_denorm_src 0
		.amdhsa_exception_fp_ieee_div_zero 0
		.amdhsa_exception_fp_ieee_overflow 0
		.amdhsa_exception_fp_ieee_underflow 0
		.amdhsa_exception_fp_ieee_inexact 0
		.amdhsa_exception_int_div_zero 0
	.end_amdhsa_kernel
	.section	.text._ZN7rocprim17ROCPRIM_400000_NS6detail17trampoline_kernelINS0_14default_configENS1_35radix_sort_onesweep_config_selectorIiNS0_10empty_typeEEEZZNS1_29radix_sort_onesweep_iterationIS3_Lb1EN6thrust23THRUST_200600_302600_NS6detail15normal_iteratorINS9_10device_ptrIiEEEESE_PS5_SF_jNS0_19identity_decomposerENS1_16block_id_wrapperIjLb0EEEEE10hipError_tT1_PNSt15iterator_traitsISK_E10value_typeET2_T3_PNSL_ISQ_E10value_typeET4_T5_PSV_SW_PNS1_23onesweep_lookback_stateEbbT6_jjT7_P12ihipStream_tbENKUlT_T0_SK_SP_E_clISE_SE_SF_SF_EEDaS13_S14_SK_SP_EUlS13_E_NS1_11comp_targetILNS1_3genE5ELNS1_11target_archE942ELNS1_3gpuE9ELNS1_3repE0EEENS1_47radix_sort_onesweep_sort_config_static_selectorELNS0_4arch9wavefront6targetE0EEEvSK_,"axG",@progbits,_ZN7rocprim17ROCPRIM_400000_NS6detail17trampoline_kernelINS0_14default_configENS1_35radix_sort_onesweep_config_selectorIiNS0_10empty_typeEEEZZNS1_29radix_sort_onesweep_iterationIS3_Lb1EN6thrust23THRUST_200600_302600_NS6detail15normal_iteratorINS9_10device_ptrIiEEEESE_PS5_SF_jNS0_19identity_decomposerENS1_16block_id_wrapperIjLb0EEEEE10hipError_tT1_PNSt15iterator_traitsISK_E10value_typeET2_T3_PNSL_ISQ_E10value_typeET4_T5_PSV_SW_PNS1_23onesweep_lookback_stateEbbT6_jjT7_P12ihipStream_tbENKUlT_T0_SK_SP_E_clISE_SE_SF_SF_EEDaS13_S14_SK_SP_EUlS13_E_NS1_11comp_targetILNS1_3genE5ELNS1_11target_archE942ELNS1_3gpuE9ELNS1_3repE0EEENS1_47radix_sort_onesweep_sort_config_static_selectorELNS0_4arch9wavefront6targetE0EEEvSK_,comdat
.Lfunc_end365:
	.size	_ZN7rocprim17ROCPRIM_400000_NS6detail17trampoline_kernelINS0_14default_configENS1_35radix_sort_onesweep_config_selectorIiNS0_10empty_typeEEEZZNS1_29radix_sort_onesweep_iterationIS3_Lb1EN6thrust23THRUST_200600_302600_NS6detail15normal_iteratorINS9_10device_ptrIiEEEESE_PS5_SF_jNS0_19identity_decomposerENS1_16block_id_wrapperIjLb0EEEEE10hipError_tT1_PNSt15iterator_traitsISK_E10value_typeET2_T3_PNSL_ISQ_E10value_typeET4_T5_PSV_SW_PNS1_23onesweep_lookback_stateEbbT6_jjT7_P12ihipStream_tbENKUlT_T0_SK_SP_E_clISE_SE_SF_SF_EEDaS13_S14_SK_SP_EUlS13_E_NS1_11comp_targetILNS1_3genE5ELNS1_11target_archE942ELNS1_3gpuE9ELNS1_3repE0EEENS1_47radix_sort_onesweep_sort_config_static_selectorELNS0_4arch9wavefront6targetE0EEEvSK_, .Lfunc_end365-_ZN7rocprim17ROCPRIM_400000_NS6detail17trampoline_kernelINS0_14default_configENS1_35radix_sort_onesweep_config_selectorIiNS0_10empty_typeEEEZZNS1_29radix_sort_onesweep_iterationIS3_Lb1EN6thrust23THRUST_200600_302600_NS6detail15normal_iteratorINS9_10device_ptrIiEEEESE_PS5_SF_jNS0_19identity_decomposerENS1_16block_id_wrapperIjLb0EEEEE10hipError_tT1_PNSt15iterator_traitsISK_E10value_typeET2_T3_PNSL_ISQ_E10value_typeET4_T5_PSV_SW_PNS1_23onesweep_lookback_stateEbbT6_jjT7_P12ihipStream_tbENKUlT_T0_SK_SP_E_clISE_SE_SF_SF_EEDaS13_S14_SK_SP_EUlS13_E_NS1_11comp_targetILNS1_3genE5ELNS1_11target_archE942ELNS1_3gpuE9ELNS1_3repE0EEENS1_47radix_sort_onesweep_sort_config_static_selectorELNS0_4arch9wavefront6targetE0EEEvSK_
                                        ; -- End function
	.set _ZN7rocprim17ROCPRIM_400000_NS6detail17trampoline_kernelINS0_14default_configENS1_35radix_sort_onesweep_config_selectorIiNS0_10empty_typeEEEZZNS1_29radix_sort_onesweep_iterationIS3_Lb1EN6thrust23THRUST_200600_302600_NS6detail15normal_iteratorINS9_10device_ptrIiEEEESE_PS5_SF_jNS0_19identity_decomposerENS1_16block_id_wrapperIjLb0EEEEE10hipError_tT1_PNSt15iterator_traitsISK_E10value_typeET2_T3_PNSL_ISQ_E10value_typeET4_T5_PSV_SW_PNS1_23onesweep_lookback_stateEbbT6_jjT7_P12ihipStream_tbENKUlT_T0_SK_SP_E_clISE_SE_SF_SF_EEDaS13_S14_SK_SP_EUlS13_E_NS1_11comp_targetILNS1_3genE5ELNS1_11target_archE942ELNS1_3gpuE9ELNS1_3repE0EEENS1_47radix_sort_onesweep_sort_config_static_selectorELNS0_4arch9wavefront6targetE0EEEvSK_.num_vgpr, 0
	.set _ZN7rocprim17ROCPRIM_400000_NS6detail17trampoline_kernelINS0_14default_configENS1_35radix_sort_onesweep_config_selectorIiNS0_10empty_typeEEEZZNS1_29radix_sort_onesweep_iterationIS3_Lb1EN6thrust23THRUST_200600_302600_NS6detail15normal_iteratorINS9_10device_ptrIiEEEESE_PS5_SF_jNS0_19identity_decomposerENS1_16block_id_wrapperIjLb0EEEEE10hipError_tT1_PNSt15iterator_traitsISK_E10value_typeET2_T3_PNSL_ISQ_E10value_typeET4_T5_PSV_SW_PNS1_23onesweep_lookback_stateEbbT6_jjT7_P12ihipStream_tbENKUlT_T0_SK_SP_E_clISE_SE_SF_SF_EEDaS13_S14_SK_SP_EUlS13_E_NS1_11comp_targetILNS1_3genE5ELNS1_11target_archE942ELNS1_3gpuE9ELNS1_3repE0EEENS1_47radix_sort_onesweep_sort_config_static_selectorELNS0_4arch9wavefront6targetE0EEEvSK_.num_agpr, 0
	.set _ZN7rocprim17ROCPRIM_400000_NS6detail17trampoline_kernelINS0_14default_configENS1_35radix_sort_onesweep_config_selectorIiNS0_10empty_typeEEEZZNS1_29radix_sort_onesweep_iterationIS3_Lb1EN6thrust23THRUST_200600_302600_NS6detail15normal_iteratorINS9_10device_ptrIiEEEESE_PS5_SF_jNS0_19identity_decomposerENS1_16block_id_wrapperIjLb0EEEEE10hipError_tT1_PNSt15iterator_traitsISK_E10value_typeET2_T3_PNSL_ISQ_E10value_typeET4_T5_PSV_SW_PNS1_23onesweep_lookback_stateEbbT6_jjT7_P12ihipStream_tbENKUlT_T0_SK_SP_E_clISE_SE_SF_SF_EEDaS13_S14_SK_SP_EUlS13_E_NS1_11comp_targetILNS1_3genE5ELNS1_11target_archE942ELNS1_3gpuE9ELNS1_3repE0EEENS1_47radix_sort_onesweep_sort_config_static_selectorELNS0_4arch9wavefront6targetE0EEEvSK_.numbered_sgpr, 0
	.set _ZN7rocprim17ROCPRIM_400000_NS6detail17trampoline_kernelINS0_14default_configENS1_35radix_sort_onesweep_config_selectorIiNS0_10empty_typeEEEZZNS1_29radix_sort_onesweep_iterationIS3_Lb1EN6thrust23THRUST_200600_302600_NS6detail15normal_iteratorINS9_10device_ptrIiEEEESE_PS5_SF_jNS0_19identity_decomposerENS1_16block_id_wrapperIjLb0EEEEE10hipError_tT1_PNSt15iterator_traitsISK_E10value_typeET2_T3_PNSL_ISQ_E10value_typeET4_T5_PSV_SW_PNS1_23onesweep_lookback_stateEbbT6_jjT7_P12ihipStream_tbENKUlT_T0_SK_SP_E_clISE_SE_SF_SF_EEDaS13_S14_SK_SP_EUlS13_E_NS1_11comp_targetILNS1_3genE5ELNS1_11target_archE942ELNS1_3gpuE9ELNS1_3repE0EEENS1_47radix_sort_onesweep_sort_config_static_selectorELNS0_4arch9wavefront6targetE0EEEvSK_.num_named_barrier, 0
	.set _ZN7rocprim17ROCPRIM_400000_NS6detail17trampoline_kernelINS0_14default_configENS1_35radix_sort_onesweep_config_selectorIiNS0_10empty_typeEEEZZNS1_29radix_sort_onesweep_iterationIS3_Lb1EN6thrust23THRUST_200600_302600_NS6detail15normal_iteratorINS9_10device_ptrIiEEEESE_PS5_SF_jNS0_19identity_decomposerENS1_16block_id_wrapperIjLb0EEEEE10hipError_tT1_PNSt15iterator_traitsISK_E10value_typeET2_T3_PNSL_ISQ_E10value_typeET4_T5_PSV_SW_PNS1_23onesweep_lookback_stateEbbT6_jjT7_P12ihipStream_tbENKUlT_T0_SK_SP_E_clISE_SE_SF_SF_EEDaS13_S14_SK_SP_EUlS13_E_NS1_11comp_targetILNS1_3genE5ELNS1_11target_archE942ELNS1_3gpuE9ELNS1_3repE0EEENS1_47radix_sort_onesweep_sort_config_static_selectorELNS0_4arch9wavefront6targetE0EEEvSK_.private_seg_size, 0
	.set _ZN7rocprim17ROCPRIM_400000_NS6detail17trampoline_kernelINS0_14default_configENS1_35radix_sort_onesweep_config_selectorIiNS0_10empty_typeEEEZZNS1_29radix_sort_onesweep_iterationIS3_Lb1EN6thrust23THRUST_200600_302600_NS6detail15normal_iteratorINS9_10device_ptrIiEEEESE_PS5_SF_jNS0_19identity_decomposerENS1_16block_id_wrapperIjLb0EEEEE10hipError_tT1_PNSt15iterator_traitsISK_E10value_typeET2_T3_PNSL_ISQ_E10value_typeET4_T5_PSV_SW_PNS1_23onesweep_lookback_stateEbbT6_jjT7_P12ihipStream_tbENKUlT_T0_SK_SP_E_clISE_SE_SF_SF_EEDaS13_S14_SK_SP_EUlS13_E_NS1_11comp_targetILNS1_3genE5ELNS1_11target_archE942ELNS1_3gpuE9ELNS1_3repE0EEENS1_47radix_sort_onesweep_sort_config_static_selectorELNS0_4arch9wavefront6targetE0EEEvSK_.uses_vcc, 0
	.set _ZN7rocprim17ROCPRIM_400000_NS6detail17trampoline_kernelINS0_14default_configENS1_35radix_sort_onesweep_config_selectorIiNS0_10empty_typeEEEZZNS1_29radix_sort_onesweep_iterationIS3_Lb1EN6thrust23THRUST_200600_302600_NS6detail15normal_iteratorINS9_10device_ptrIiEEEESE_PS5_SF_jNS0_19identity_decomposerENS1_16block_id_wrapperIjLb0EEEEE10hipError_tT1_PNSt15iterator_traitsISK_E10value_typeET2_T3_PNSL_ISQ_E10value_typeET4_T5_PSV_SW_PNS1_23onesweep_lookback_stateEbbT6_jjT7_P12ihipStream_tbENKUlT_T0_SK_SP_E_clISE_SE_SF_SF_EEDaS13_S14_SK_SP_EUlS13_E_NS1_11comp_targetILNS1_3genE5ELNS1_11target_archE942ELNS1_3gpuE9ELNS1_3repE0EEENS1_47radix_sort_onesweep_sort_config_static_selectorELNS0_4arch9wavefront6targetE0EEEvSK_.uses_flat_scratch, 0
	.set _ZN7rocprim17ROCPRIM_400000_NS6detail17trampoline_kernelINS0_14default_configENS1_35radix_sort_onesweep_config_selectorIiNS0_10empty_typeEEEZZNS1_29radix_sort_onesweep_iterationIS3_Lb1EN6thrust23THRUST_200600_302600_NS6detail15normal_iteratorINS9_10device_ptrIiEEEESE_PS5_SF_jNS0_19identity_decomposerENS1_16block_id_wrapperIjLb0EEEEE10hipError_tT1_PNSt15iterator_traitsISK_E10value_typeET2_T3_PNSL_ISQ_E10value_typeET4_T5_PSV_SW_PNS1_23onesweep_lookback_stateEbbT6_jjT7_P12ihipStream_tbENKUlT_T0_SK_SP_E_clISE_SE_SF_SF_EEDaS13_S14_SK_SP_EUlS13_E_NS1_11comp_targetILNS1_3genE5ELNS1_11target_archE942ELNS1_3gpuE9ELNS1_3repE0EEENS1_47radix_sort_onesweep_sort_config_static_selectorELNS0_4arch9wavefront6targetE0EEEvSK_.has_dyn_sized_stack, 0
	.set _ZN7rocprim17ROCPRIM_400000_NS6detail17trampoline_kernelINS0_14default_configENS1_35radix_sort_onesweep_config_selectorIiNS0_10empty_typeEEEZZNS1_29radix_sort_onesweep_iterationIS3_Lb1EN6thrust23THRUST_200600_302600_NS6detail15normal_iteratorINS9_10device_ptrIiEEEESE_PS5_SF_jNS0_19identity_decomposerENS1_16block_id_wrapperIjLb0EEEEE10hipError_tT1_PNSt15iterator_traitsISK_E10value_typeET2_T3_PNSL_ISQ_E10value_typeET4_T5_PSV_SW_PNS1_23onesweep_lookback_stateEbbT6_jjT7_P12ihipStream_tbENKUlT_T0_SK_SP_E_clISE_SE_SF_SF_EEDaS13_S14_SK_SP_EUlS13_E_NS1_11comp_targetILNS1_3genE5ELNS1_11target_archE942ELNS1_3gpuE9ELNS1_3repE0EEENS1_47radix_sort_onesweep_sort_config_static_selectorELNS0_4arch9wavefront6targetE0EEEvSK_.has_recursion, 0
	.set _ZN7rocprim17ROCPRIM_400000_NS6detail17trampoline_kernelINS0_14default_configENS1_35radix_sort_onesweep_config_selectorIiNS0_10empty_typeEEEZZNS1_29radix_sort_onesweep_iterationIS3_Lb1EN6thrust23THRUST_200600_302600_NS6detail15normal_iteratorINS9_10device_ptrIiEEEESE_PS5_SF_jNS0_19identity_decomposerENS1_16block_id_wrapperIjLb0EEEEE10hipError_tT1_PNSt15iterator_traitsISK_E10value_typeET2_T3_PNSL_ISQ_E10value_typeET4_T5_PSV_SW_PNS1_23onesweep_lookback_stateEbbT6_jjT7_P12ihipStream_tbENKUlT_T0_SK_SP_E_clISE_SE_SF_SF_EEDaS13_S14_SK_SP_EUlS13_E_NS1_11comp_targetILNS1_3genE5ELNS1_11target_archE942ELNS1_3gpuE9ELNS1_3repE0EEENS1_47radix_sort_onesweep_sort_config_static_selectorELNS0_4arch9wavefront6targetE0EEEvSK_.has_indirect_call, 0
	.section	.AMDGPU.csdata,"",@progbits
; Kernel info:
; codeLenInByte = 0
; TotalNumSgprs: 0
; NumVgprs: 0
; ScratchSize: 0
; MemoryBound: 0
; FloatMode: 240
; IeeeMode: 1
; LDSByteSize: 0 bytes/workgroup (compile time only)
; SGPRBlocks: 0
; VGPRBlocks: 0
; NumSGPRsForWavesPerEU: 1
; NumVGPRsForWavesPerEU: 1
; Occupancy: 16
; WaveLimiterHint : 0
; COMPUTE_PGM_RSRC2:SCRATCH_EN: 0
; COMPUTE_PGM_RSRC2:USER_SGPR: 6
; COMPUTE_PGM_RSRC2:TRAP_HANDLER: 0
; COMPUTE_PGM_RSRC2:TGID_X_EN: 1
; COMPUTE_PGM_RSRC2:TGID_Y_EN: 0
; COMPUTE_PGM_RSRC2:TGID_Z_EN: 0
; COMPUTE_PGM_RSRC2:TIDIG_COMP_CNT: 0
	.section	.text._ZN7rocprim17ROCPRIM_400000_NS6detail17trampoline_kernelINS0_14default_configENS1_35radix_sort_onesweep_config_selectorIiNS0_10empty_typeEEEZZNS1_29radix_sort_onesweep_iterationIS3_Lb1EN6thrust23THRUST_200600_302600_NS6detail15normal_iteratorINS9_10device_ptrIiEEEESE_PS5_SF_jNS0_19identity_decomposerENS1_16block_id_wrapperIjLb0EEEEE10hipError_tT1_PNSt15iterator_traitsISK_E10value_typeET2_T3_PNSL_ISQ_E10value_typeET4_T5_PSV_SW_PNS1_23onesweep_lookback_stateEbbT6_jjT7_P12ihipStream_tbENKUlT_T0_SK_SP_E_clISE_SE_SF_SF_EEDaS13_S14_SK_SP_EUlS13_E_NS1_11comp_targetILNS1_3genE2ELNS1_11target_archE906ELNS1_3gpuE6ELNS1_3repE0EEENS1_47radix_sort_onesweep_sort_config_static_selectorELNS0_4arch9wavefront6targetE0EEEvSK_,"axG",@progbits,_ZN7rocprim17ROCPRIM_400000_NS6detail17trampoline_kernelINS0_14default_configENS1_35radix_sort_onesweep_config_selectorIiNS0_10empty_typeEEEZZNS1_29radix_sort_onesweep_iterationIS3_Lb1EN6thrust23THRUST_200600_302600_NS6detail15normal_iteratorINS9_10device_ptrIiEEEESE_PS5_SF_jNS0_19identity_decomposerENS1_16block_id_wrapperIjLb0EEEEE10hipError_tT1_PNSt15iterator_traitsISK_E10value_typeET2_T3_PNSL_ISQ_E10value_typeET4_T5_PSV_SW_PNS1_23onesweep_lookback_stateEbbT6_jjT7_P12ihipStream_tbENKUlT_T0_SK_SP_E_clISE_SE_SF_SF_EEDaS13_S14_SK_SP_EUlS13_E_NS1_11comp_targetILNS1_3genE2ELNS1_11target_archE906ELNS1_3gpuE6ELNS1_3repE0EEENS1_47radix_sort_onesweep_sort_config_static_selectorELNS0_4arch9wavefront6targetE0EEEvSK_,comdat
	.protected	_ZN7rocprim17ROCPRIM_400000_NS6detail17trampoline_kernelINS0_14default_configENS1_35radix_sort_onesweep_config_selectorIiNS0_10empty_typeEEEZZNS1_29radix_sort_onesweep_iterationIS3_Lb1EN6thrust23THRUST_200600_302600_NS6detail15normal_iteratorINS9_10device_ptrIiEEEESE_PS5_SF_jNS0_19identity_decomposerENS1_16block_id_wrapperIjLb0EEEEE10hipError_tT1_PNSt15iterator_traitsISK_E10value_typeET2_T3_PNSL_ISQ_E10value_typeET4_T5_PSV_SW_PNS1_23onesweep_lookback_stateEbbT6_jjT7_P12ihipStream_tbENKUlT_T0_SK_SP_E_clISE_SE_SF_SF_EEDaS13_S14_SK_SP_EUlS13_E_NS1_11comp_targetILNS1_3genE2ELNS1_11target_archE906ELNS1_3gpuE6ELNS1_3repE0EEENS1_47radix_sort_onesweep_sort_config_static_selectorELNS0_4arch9wavefront6targetE0EEEvSK_ ; -- Begin function _ZN7rocprim17ROCPRIM_400000_NS6detail17trampoline_kernelINS0_14default_configENS1_35radix_sort_onesweep_config_selectorIiNS0_10empty_typeEEEZZNS1_29radix_sort_onesweep_iterationIS3_Lb1EN6thrust23THRUST_200600_302600_NS6detail15normal_iteratorINS9_10device_ptrIiEEEESE_PS5_SF_jNS0_19identity_decomposerENS1_16block_id_wrapperIjLb0EEEEE10hipError_tT1_PNSt15iterator_traitsISK_E10value_typeET2_T3_PNSL_ISQ_E10value_typeET4_T5_PSV_SW_PNS1_23onesweep_lookback_stateEbbT6_jjT7_P12ihipStream_tbENKUlT_T0_SK_SP_E_clISE_SE_SF_SF_EEDaS13_S14_SK_SP_EUlS13_E_NS1_11comp_targetILNS1_3genE2ELNS1_11target_archE906ELNS1_3gpuE6ELNS1_3repE0EEENS1_47radix_sort_onesweep_sort_config_static_selectorELNS0_4arch9wavefront6targetE0EEEvSK_
	.globl	_ZN7rocprim17ROCPRIM_400000_NS6detail17trampoline_kernelINS0_14default_configENS1_35radix_sort_onesweep_config_selectorIiNS0_10empty_typeEEEZZNS1_29radix_sort_onesweep_iterationIS3_Lb1EN6thrust23THRUST_200600_302600_NS6detail15normal_iteratorINS9_10device_ptrIiEEEESE_PS5_SF_jNS0_19identity_decomposerENS1_16block_id_wrapperIjLb0EEEEE10hipError_tT1_PNSt15iterator_traitsISK_E10value_typeET2_T3_PNSL_ISQ_E10value_typeET4_T5_PSV_SW_PNS1_23onesweep_lookback_stateEbbT6_jjT7_P12ihipStream_tbENKUlT_T0_SK_SP_E_clISE_SE_SF_SF_EEDaS13_S14_SK_SP_EUlS13_E_NS1_11comp_targetILNS1_3genE2ELNS1_11target_archE906ELNS1_3gpuE6ELNS1_3repE0EEENS1_47radix_sort_onesweep_sort_config_static_selectorELNS0_4arch9wavefront6targetE0EEEvSK_
	.p2align	8
	.type	_ZN7rocprim17ROCPRIM_400000_NS6detail17trampoline_kernelINS0_14default_configENS1_35radix_sort_onesweep_config_selectorIiNS0_10empty_typeEEEZZNS1_29radix_sort_onesweep_iterationIS3_Lb1EN6thrust23THRUST_200600_302600_NS6detail15normal_iteratorINS9_10device_ptrIiEEEESE_PS5_SF_jNS0_19identity_decomposerENS1_16block_id_wrapperIjLb0EEEEE10hipError_tT1_PNSt15iterator_traitsISK_E10value_typeET2_T3_PNSL_ISQ_E10value_typeET4_T5_PSV_SW_PNS1_23onesweep_lookback_stateEbbT6_jjT7_P12ihipStream_tbENKUlT_T0_SK_SP_E_clISE_SE_SF_SF_EEDaS13_S14_SK_SP_EUlS13_E_NS1_11comp_targetILNS1_3genE2ELNS1_11target_archE906ELNS1_3gpuE6ELNS1_3repE0EEENS1_47radix_sort_onesweep_sort_config_static_selectorELNS0_4arch9wavefront6targetE0EEEvSK_,@function
_ZN7rocprim17ROCPRIM_400000_NS6detail17trampoline_kernelINS0_14default_configENS1_35radix_sort_onesweep_config_selectorIiNS0_10empty_typeEEEZZNS1_29radix_sort_onesweep_iterationIS3_Lb1EN6thrust23THRUST_200600_302600_NS6detail15normal_iteratorINS9_10device_ptrIiEEEESE_PS5_SF_jNS0_19identity_decomposerENS1_16block_id_wrapperIjLb0EEEEE10hipError_tT1_PNSt15iterator_traitsISK_E10value_typeET2_T3_PNSL_ISQ_E10value_typeET4_T5_PSV_SW_PNS1_23onesweep_lookback_stateEbbT6_jjT7_P12ihipStream_tbENKUlT_T0_SK_SP_E_clISE_SE_SF_SF_EEDaS13_S14_SK_SP_EUlS13_E_NS1_11comp_targetILNS1_3genE2ELNS1_11target_archE906ELNS1_3gpuE6ELNS1_3repE0EEENS1_47radix_sort_onesweep_sort_config_static_selectorELNS0_4arch9wavefront6targetE0EEEvSK_: ; @_ZN7rocprim17ROCPRIM_400000_NS6detail17trampoline_kernelINS0_14default_configENS1_35radix_sort_onesweep_config_selectorIiNS0_10empty_typeEEEZZNS1_29radix_sort_onesweep_iterationIS3_Lb1EN6thrust23THRUST_200600_302600_NS6detail15normal_iteratorINS9_10device_ptrIiEEEESE_PS5_SF_jNS0_19identity_decomposerENS1_16block_id_wrapperIjLb0EEEEE10hipError_tT1_PNSt15iterator_traitsISK_E10value_typeET2_T3_PNSL_ISQ_E10value_typeET4_T5_PSV_SW_PNS1_23onesweep_lookback_stateEbbT6_jjT7_P12ihipStream_tbENKUlT_T0_SK_SP_E_clISE_SE_SF_SF_EEDaS13_S14_SK_SP_EUlS13_E_NS1_11comp_targetILNS1_3genE2ELNS1_11target_archE906ELNS1_3gpuE6ELNS1_3repE0EEENS1_47radix_sort_onesweep_sort_config_static_selectorELNS0_4arch9wavefront6targetE0EEEvSK_
; %bb.0:
	.section	.rodata,"a",@progbits
	.p2align	6, 0x0
	.amdhsa_kernel _ZN7rocprim17ROCPRIM_400000_NS6detail17trampoline_kernelINS0_14default_configENS1_35radix_sort_onesweep_config_selectorIiNS0_10empty_typeEEEZZNS1_29radix_sort_onesweep_iterationIS3_Lb1EN6thrust23THRUST_200600_302600_NS6detail15normal_iteratorINS9_10device_ptrIiEEEESE_PS5_SF_jNS0_19identity_decomposerENS1_16block_id_wrapperIjLb0EEEEE10hipError_tT1_PNSt15iterator_traitsISK_E10value_typeET2_T3_PNSL_ISQ_E10value_typeET4_T5_PSV_SW_PNS1_23onesweep_lookback_stateEbbT6_jjT7_P12ihipStream_tbENKUlT_T0_SK_SP_E_clISE_SE_SF_SF_EEDaS13_S14_SK_SP_EUlS13_E_NS1_11comp_targetILNS1_3genE2ELNS1_11target_archE906ELNS1_3gpuE6ELNS1_3repE0EEENS1_47radix_sort_onesweep_sort_config_static_selectorELNS0_4arch9wavefront6targetE0EEEvSK_
		.amdhsa_group_segment_fixed_size 0
		.amdhsa_private_segment_fixed_size 0
		.amdhsa_kernarg_size 88
		.amdhsa_user_sgpr_count 6
		.amdhsa_user_sgpr_private_segment_buffer 1
		.amdhsa_user_sgpr_dispatch_ptr 0
		.amdhsa_user_sgpr_queue_ptr 0
		.amdhsa_user_sgpr_kernarg_segment_ptr 1
		.amdhsa_user_sgpr_dispatch_id 0
		.amdhsa_user_sgpr_flat_scratch_init 0
		.amdhsa_user_sgpr_private_segment_size 0
		.amdhsa_wavefront_size32 1
		.amdhsa_uses_dynamic_stack 0
		.amdhsa_system_sgpr_private_segment_wavefront_offset 0
		.amdhsa_system_sgpr_workgroup_id_x 1
		.amdhsa_system_sgpr_workgroup_id_y 0
		.amdhsa_system_sgpr_workgroup_id_z 0
		.amdhsa_system_sgpr_workgroup_info 0
		.amdhsa_system_vgpr_workitem_id 0
		.amdhsa_next_free_vgpr 1
		.amdhsa_next_free_sgpr 1
		.amdhsa_reserve_vcc 0
		.amdhsa_reserve_flat_scratch 0
		.amdhsa_float_round_mode_32 0
		.amdhsa_float_round_mode_16_64 0
		.amdhsa_float_denorm_mode_32 3
		.amdhsa_float_denorm_mode_16_64 3
		.amdhsa_dx10_clamp 1
		.amdhsa_ieee_mode 1
		.amdhsa_fp16_overflow 0
		.amdhsa_workgroup_processor_mode 1
		.amdhsa_memory_ordered 1
		.amdhsa_forward_progress 1
		.amdhsa_shared_vgpr_count 0
		.amdhsa_exception_fp_ieee_invalid_op 0
		.amdhsa_exception_fp_denorm_src 0
		.amdhsa_exception_fp_ieee_div_zero 0
		.amdhsa_exception_fp_ieee_overflow 0
		.amdhsa_exception_fp_ieee_underflow 0
		.amdhsa_exception_fp_ieee_inexact 0
		.amdhsa_exception_int_div_zero 0
	.end_amdhsa_kernel
	.section	.text._ZN7rocprim17ROCPRIM_400000_NS6detail17trampoline_kernelINS0_14default_configENS1_35radix_sort_onesweep_config_selectorIiNS0_10empty_typeEEEZZNS1_29radix_sort_onesweep_iterationIS3_Lb1EN6thrust23THRUST_200600_302600_NS6detail15normal_iteratorINS9_10device_ptrIiEEEESE_PS5_SF_jNS0_19identity_decomposerENS1_16block_id_wrapperIjLb0EEEEE10hipError_tT1_PNSt15iterator_traitsISK_E10value_typeET2_T3_PNSL_ISQ_E10value_typeET4_T5_PSV_SW_PNS1_23onesweep_lookback_stateEbbT6_jjT7_P12ihipStream_tbENKUlT_T0_SK_SP_E_clISE_SE_SF_SF_EEDaS13_S14_SK_SP_EUlS13_E_NS1_11comp_targetILNS1_3genE2ELNS1_11target_archE906ELNS1_3gpuE6ELNS1_3repE0EEENS1_47radix_sort_onesweep_sort_config_static_selectorELNS0_4arch9wavefront6targetE0EEEvSK_,"axG",@progbits,_ZN7rocprim17ROCPRIM_400000_NS6detail17trampoline_kernelINS0_14default_configENS1_35radix_sort_onesweep_config_selectorIiNS0_10empty_typeEEEZZNS1_29radix_sort_onesweep_iterationIS3_Lb1EN6thrust23THRUST_200600_302600_NS6detail15normal_iteratorINS9_10device_ptrIiEEEESE_PS5_SF_jNS0_19identity_decomposerENS1_16block_id_wrapperIjLb0EEEEE10hipError_tT1_PNSt15iterator_traitsISK_E10value_typeET2_T3_PNSL_ISQ_E10value_typeET4_T5_PSV_SW_PNS1_23onesweep_lookback_stateEbbT6_jjT7_P12ihipStream_tbENKUlT_T0_SK_SP_E_clISE_SE_SF_SF_EEDaS13_S14_SK_SP_EUlS13_E_NS1_11comp_targetILNS1_3genE2ELNS1_11target_archE906ELNS1_3gpuE6ELNS1_3repE0EEENS1_47radix_sort_onesweep_sort_config_static_selectorELNS0_4arch9wavefront6targetE0EEEvSK_,comdat
.Lfunc_end366:
	.size	_ZN7rocprim17ROCPRIM_400000_NS6detail17trampoline_kernelINS0_14default_configENS1_35radix_sort_onesweep_config_selectorIiNS0_10empty_typeEEEZZNS1_29radix_sort_onesweep_iterationIS3_Lb1EN6thrust23THRUST_200600_302600_NS6detail15normal_iteratorINS9_10device_ptrIiEEEESE_PS5_SF_jNS0_19identity_decomposerENS1_16block_id_wrapperIjLb0EEEEE10hipError_tT1_PNSt15iterator_traitsISK_E10value_typeET2_T3_PNSL_ISQ_E10value_typeET4_T5_PSV_SW_PNS1_23onesweep_lookback_stateEbbT6_jjT7_P12ihipStream_tbENKUlT_T0_SK_SP_E_clISE_SE_SF_SF_EEDaS13_S14_SK_SP_EUlS13_E_NS1_11comp_targetILNS1_3genE2ELNS1_11target_archE906ELNS1_3gpuE6ELNS1_3repE0EEENS1_47radix_sort_onesweep_sort_config_static_selectorELNS0_4arch9wavefront6targetE0EEEvSK_, .Lfunc_end366-_ZN7rocprim17ROCPRIM_400000_NS6detail17trampoline_kernelINS0_14default_configENS1_35radix_sort_onesweep_config_selectorIiNS0_10empty_typeEEEZZNS1_29radix_sort_onesweep_iterationIS3_Lb1EN6thrust23THRUST_200600_302600_NS6detail15normal_iteratorINS9_10device_ptrIiEEEESE_PS5_SF_jNS0_19identity_decomposerENS1_16block_id_wrapperIjLb0EEEEE10hipError_tT1_PNSt15iterator_traitsISK_E10value_typeET2_T3_PNSL_ISQ_E10value_typeET4_T5_PSV_SW_PNS1_23onesweep_lookback_stateEbbT6_jjT7_P12ihipStream_tbENKUlT_T0_SK_SP_E_clISE_SE_SF_SF_EEDaS13_S14_SK_SP_EUlS13_E_NS1_11comp_targetILNS1_3genE2ELNS1_11target_archE906ELNS1_3gpuE6ELNS1_3repE0EEENS1_47radix_sort_onesweep_sort_config_static_selectorELNS0_4arch9wavefront6targetE0EEEvSK_
                                        ; -- End function
	.set _ZN7rocprim17ROCPRIM_400000_NS6detail17trampoline_kernelINS0_14default_configENS1_35radix_sort_onesweep_config_selectorIiNS0_10empty_typeEEEZZNS1_29radix_sort_onesweep_iterationIS3_Lb1EN6thrust23THRUST_200600_302600_NS6detail15normal_iteratorINS9_10device_ptrIiEEEESE_PS5_SF_jNS0_19identity_decomposerENS1_16block_id_wrapperIjLb0EEEEE10hipError_tT1_PNSt15iterator_traitsISK_E10value_typeET2_T3_PNSL_ISQ_E10value_typeET4_T5_PSV_SW_PNS1_23onesweep_lookback_stateEbbT6_jjT7_P12ihipStream_tbENKUlT_T0_SK_SP_E_clISE_SE_SF_SF_EEDaS13_S14_SK_SP_EUlS13_E_NS1_11comp_targetILNS1_3genE2ELNS1_11target_archE906ELNS1_3gpuE6ELNS1_3repE0EEENS1_47radix_sort_onesweep_sort_config_static_selectorELNS0_4arch9wavefront6targetE0EEEvSK_.num_vgpr, 0
	.set _ZN7rocprim17ROCPRIM_400000_NS6detail17trampoline_kernelINS0_14default_configENS1_35radix_sort_onesweep_config_selectorIiNS0_10empty_typeEEEZZNS1_29radix_sort_onesweep_iterationIS3_Lb1EN6thrust23THRUST_200600_302600_NS6detail15normal_iteratorINS9_10device_ptrIiEEEESE_PS5_SF_jNS0_19identity_decomposerENS1_16block_id_wrapperIjLb0EEEEE10hipError_tT1_PNSt15iterator_traitsISK_E10value_typeET2_T3_PNSL_ISQ_E10value_typeET4_T5_PSV_SW_PNS1_23onesweep_lookback_stateEbbT6_jjT7_P12ihipStream_tbENKUlT_T0_SK_SP_E_clISE_SE_SF_SF_EEDaS13_S14_SK_SP_EUlS13_E_NS1_11comp_targetILNS1_3genE2ELNS1_11target_archE906ELNS1_3gpuE6ELNS1_3repE0EEENS1_47radix_sort_onesweep_sort_config_static_selectorELNS0_4arch9wavefront6targetE0EEEvSK_.num_agpr, 0
	.set _ZN7rocprim17ROCPRIM_400000_NS6detail17trampoline_kernelINS0_14default_configENS1_35radix_sort_onesweep_config_selectorIiNS0_10empty_typeEEEZZNS1_29radix_sort_onesweep_iterationIS3_Lb1EN6thrust23THRUST_200600_302600_NS6detail15normal_iteratorINS9_10device_ptrIiEEEESE_PS5_SF_jNS0_19identity_decomposerENS1_16block_id_wrapperIjLb0EEEEE10hipError_tT1_PNSt15iterator_traitsISK_E10value_typeET2_T3_PNSL_ISQ_E10value_typeET4_T5_PSV_SW_PNS1_23onesweep_lookback_stateEbbT6_jjT7_P12ihipStream_tbENKUlT_T0_SK_SP_E_clISE_SE_SF_SF_EEDaS13_S14_SK_SP_EUlS13_E_NS1_11comp_targetILNS1_3genE2ELNS1_11target_archE906ELNS1_3gpuE6ELNS1_3repE0EEENS1_47radix_sort_onesweep_sort_config_static_selectorELNS0_4arch9wavefront6targetE0EEEvSK_.numbered_sgpr, 0
	.set _ZN7rocprim17ROCPRIM_400000_NS6detail17trampoline_kernelINS0_14default_configENS1_35radix_sort_onesweep_config_selectorIiNS0_10empty_typeEEEZZNS1_29radix_sort_onesweep_iterationIS3_Lb1EN6thrust23THRUST_200600_302600_NS6detail15normal_iteratorINS9_10device_ptrIiEEEESE_PS5_SF_jNS0_19identity_decomposerENS1_16block_id_wrapperIjLb0EEEEE10hipError_tT1_PNSt15iterator_traitsISK_E10value_typeET2_T3_PNSL_ISQ_E10value_typeET4_T5_PSV_SW_PNS1_23onesweep_lookback_stateEbbT6_jjT7_P12ihipStream_tbENKUlT_T0_SK_SP_E_clISE_SE_SF_SF_EEDaS13_S14_SK_SP_EUlS13_E_NS1_11comp_targetILNS1_3genE2ELNS1_11target_archE906ELNS1_3gpuE6ELNS1_3repE0EEENS1_47radix_sort_onesweep_sort_config_static_selectorELNS0_4arch9wavefront6targetE0EEEvSK_.num_named_barrier, 0
	.set _ZN7rocprim17ROCPRIM_400000_NS6detail17trampoline_kernelINS0_14default_configENS1_35radix_sort_onesweep_config_selectorIiNS0_10empty_typeEEEZZNS1_29radix_sort_onesweep_iterationIS3_Lb1EN6thrust23THRUST_200600_302600_NS6detail15normal_iteratorINS9_10device_ptrIiEEEESE_PS5_SF_jNS0_19identity_decomposerENS1_16block_id_wrapperIjLb0EEEEE10hipError_tT1_PNSt15iterator_traitsISK_E10value_typeET2_T3_PNSL_ISQ_E10value_typeET4_T5_PSV_SW_PNS1_23onesweep_lookback_stateEbbT6_jjT7_P12ihipStream_tbENKUlT_T0_SK_SP_E_clISE_SE_SF_SF_EEDaS13_S14_SK_SP_EUlS13_E_NS1_11comp_targetILNS1_3genE2ELNS1_11target_archE906ELNS1_3gpuE6ELNS1_3repE0EEENS1_47radix_sort_onesweep_sort_config_static_selectorELNS0_4arch9wavefront6targetE0EEEvSK_.private_seg_size, 0
	.set _ZN7rocprim17ROCPRIM_400000_NS6detail17trampoline_kernelINS0_14default_configENS1_35radix_sort_onesweep_config_selectorIiNS0_10empty_typeEEEZZNS1_29radix_sort_onesweep_iterationIS3_Lb1EN6thrust23THRUST_200600_302600_NS6detail15normal_iteratorINS9_10device_ptrIiEEEESE_PS5_SF_jNS0_19identity_decomposerENS1_16block_id_wrapperIjLb0EEEEE10hipError_tT1_PNSt15iterator_traitsISK_E10value_typeET2_T3_PNSL_ISQ_E10value_typeET4_T5_PSV_SW_PNS1_23onesweep_lookback_stateEbbT6_jjT7_P12ihipStream_tbENKUlT_T0_SK_SP_E_clISE_SE_SF_SF_EEDaS13_S14_SK_SP_EUlS13_E_NS1_11comp_targetILNS1_3genE2ELNS1_11target_archE906ELNS1_3gpuE6ELNS1_3repE0EEENS1_47radix_sort_onesweep_sort_config_static_selectorELNS0_4arch9wavefront6targetE0EEEvSK_.uses_vcc, 0
	.set _ZN7rocprim17ROCPRIM_400000_NS6detail17trampoline_kernelINS0_14default_configENS1_35radix_sort_onesweep_config_selectorIiNS0_10empty_typeEEEZZNS1_29radix_sort_onesweep_iterationIS3_Lb1EN6thrust23THRUST_200600_302600_NS6detail15normal_iteratorINS9_10device_ptrIiEEEESE_PS5_SF_jNS0_19identity_decomposerENS1_16block_id_wrapperIjLb0EEEEE10hipError_tT1_PNSt15iterator_traitsISK_E10value_typeET2_T3_PNSL_ISQ_E10value_typeET4_T5_PSV_SW_PNS1_23onesweep_lookback_stateEbbT6_jjT7_P12ihipStream_tbENKUlT_T0_SK_SP_E_clISE_SE_SF_SF_EEDaS13_S14_SK_SP_EUlS13_E_NS1_11comp_targetILNS1_3genE2ELNS1_11target_archE906ELNS1_3gpuE6ELNS1_3repE0EEENS1_47radix_sort_onesweep_sort_config_static_selectorELNS0_4arch9wavefront6targetE0EEEvSK_.uses_flat_scratch, 0
	.set _ZN7rocprim17ROCPRIM_400000_NS6detail17trampoline_kernelINS0_14default_configENS1_35radix_sort_onesweep_config_selectorIiNS0_10empty_typeEEEZZNS1_29radix_sort_onesweep_iterationIS3_Lb1EN6thrust23THRUST_200600_302600_NS6detail15normal_iteratorINS9_10device_ptrIiEEEESE_PS5_SF_jNS0_19identity_decomposerENS1_16block_id_wrapperIjLb0EEEEE10hipError_tT1_PNSt15iterator_traitsISK_E10value_typeET2_T3_PNSL_ISQ_E10value_typeET4_T5_PSV_SW_PNS1_23onesweep_lookback_stateEbbT6_jjT7_P12ihipStream_tbENKUlT_T0_SK_SP_E_clISE_SE_SF_SF_EEDaS13_S14_SK_SP_EUlS13_E_NS1_11comp_targetILNS1_3genE2ELNS1_11target_archE906ELNS1_3gpuE6ELNS1_3repE0EEENS1_47radix_sort_onesweep_sort_config_static_selectorELNS0_4arch9wavefront6targetE0EEEvSK_.has_dyn_sized_stack, 0
	.set _ZN7rocprim17ROCPRIM_400000_NS6detail17trampoline_kernelINS0_14default_configENS1_35radix_sort_onesweep_config_selectorIiNS0_10empty_typeEEEZZNS1_29radix_sort_onesweep_iterationIS3_Lb1EN6thrust23THRUST_200600_302600_NS6detail15normal_iteratorINS9_10device_ptrIiEEEESE_PS5_SF_jNS0_19identity_decomposerENS1_16block_id_wrapperIjLb0EEEEE10hipError_tT1_PNSt15iterator_traitsISK_E10value_typeET2_T3_PNSL_ISQ_E10value_typeET4_T5_PSV_SW_PNS1_23onesweep_lookback_stateEbbT6_jjT7_P12ihipStream_tbENKUlT_T0_SK_SP_E_clISE_SE_SF_SF_EEDaS13_S14_SK_SP_EUlS13_E_NS1_11comp_targetILNS1_3genE2ELNS1_11target_archE906ELNS1_3gpuE6ELNS1_3repE0EEENS1_47radix_sort_onesweep_sort_config_static_selectorELNS0_4arch9wavefront6targetE0EEEvSK_.has_recursion, 0
	.set _ZN7rocprim17ROCPRIM_400000_NS6detail17trampoline_kernelINS0_14default_configENS1_35radix_sort_onesweep_config_selectorIiNS0_10empty_typeEEEZZNS1_29radix_sort_onesweep_iterationIS3_Lb1EN6thrust23THRUST_200600_302600_NS6detail15normal_iteratorINS9_10device_ptrIiEEEESE_PS5_SF_jNS0_19identity_decomposerENS1_16block_id_wrapperIjLb0EEEEE10hipError_tT1_PNSt15iterator_traitsISK_E10value_typeET2_T3_PNSL_ISQ_E10value_typeET4_T5_PSV_SW_PNS1_23onesweep_lookback_stateEbbT6_jjT7_P12ihipStream_tbENKUlT_T0_SK_SP_E_clISE_SE_SF_SF_EEDaS13_S14_SK_SP_EUlS13_E_NS1_11comp_targetILNS1_3genE2ELNS1_11target_archE906ELNS1_3gpuE6ELNS1_3repE0EEENS1_47radix_sort_onesweep_sort_config_static_selectorELNS0_4arch9wavefront6targetE0EEEvSK_.has_indirect_call, 0
	.section	.AMDGPU.csdata,"",@progbits
; Kernel info:
; codeLenInByte = 0
; TotalNumSgprs: 0
; NumVgprs: 0
; ScratchSize: 0
; MemoryBound: 0
; FloatMode: 240
; IeeeMode: 1
; LDSByteSize: 0 bytes/workgroup (compile time only)
; SGPRBlocks: 0
; VGPRBlocks: 0
; NumSGPRsForWavesPerEU: 1
; NumVGPRsForWavesPerEU: 1
; Occupancy: 16
; WaveLimiterHint : 0
; COMPUTE_PGM_RSRC2:SCRATCH_EN: 0
; COMPUTE_PGM_RSRC2:USER_SGPR: 6
; COMPUTE_PGM_RSRC2:TRAP_HANDLER: 0
; COMPUTE_PGM_RSRC2:TGID_X_EN: 1
; COMPUTE_PGM_RSRC2:TGID_Y_EN: 0
; COMPUTE_PGM_RSRC2:TGID_Z_EN: 0
; COMPUTE_PGM_RSRC2:TIDIG_COMP_CNT: 0
	.section	.text._ZN7rocprim17ROCPRIM_400000_NS6detail17trampoline_kernelINS0_14default_configENS1_35radix_sort_onesweep_config_selectorIiNS0_10empty_typeEEEZZNS1_29radix_sort_onesweep_iterationIS3_Lb1EN6thrust23THRUST_200600_302600_NS6detail15normal_iteratorINS9_10device_ptrIiEEEESE_PS5_SF_jNS0_19identity_decomposerENS1_16block_id_wrapperIjLb0EEEEE10hipError_tT1_PNSt15iterator_traitsISK_E10value_typeET2_T3_PNSL_ISQ_E10value_typeET4_T5_PSV_SW_PNS1_23onesweep_lookback_stateEbbT6_jjT7_P12ihipStream_tbENKUlT_T0_SK_SP_E_clISE_SE_SF_SF_EEDaS13_S14_SK_SP_EUlS13_E_NS1_11comp_targetILNS1_3genE4ELNS1_11target_archE910ELNS1_3gpuE8ELNS1_3repE0EEENS1_47radix_sort_onesweep_sort_config_static_selectorELNS0_4arch9wavefront6targetE0EEEvSK_,"axG",@progbits,_ZN7rocprim17ROCPRIM_400000_NS6detail17trampoline_kernelINS0_14default_configENS1_35radix_sort_onesweep_config_selectorIiNS0_10empty_typeEEEZZNS1_29radix_sort_onesweep_iterationIS3_Lb1EN6thrust23THRUST_200600_302600_NS6detail15normal_iteratorINS9_10device_ptrIiEEEESE_PS5_SF_jNS0_19identity_decomposerENS1_16block_id_wrapperIjLb0EEEEE10hipError_tT1_PNSt15iterator_traitsISK_E10value_typeET2_T3_PNSL_ISQ_E10value_typeET4_T5_PSV_SW_PNS1_23onesweep_lookback_stateEbbT6_jjT7_P12ihipStream_tbENKUlT_T0_SK_SP_E_clISE_SE_SF_SF_EEDaS13_S14_SK_SP_EUlS13_E_NS1_11comp_targetILNS1_3genE4ELNS1_11target_archE910ELNS1_3gpuE8ELNS1_3repE0EEENS1_47radix_sort_onesweep_sort_config_static_selectorELNS0_4arch9wavefront6targetE0EEEvSK_,comdat
	.protected	_ZN7rocprim17ROCPRIM_400000_NS6detail17trampoline_kernelINS0_14default_configENS1_35radix_sort_onesweep_config_selectorIiNS0_10empty_typeEEEZZNS1_29radix_sort_onesweep_iterationIS3_Lb1EN6thrust23THRUST_200600_302600_NS6detail15normal_iteratorINS9_10device_ptrIiEEEESE_PS5_SF_jNS0_19identity_decomposerENS1_16block_id_wrapperIjLb0EEEEE10hipError_tT1_PNSt15iterator_traitsISK_E10value_typeET2_T3_PNSL_ISQ_E10value_typeET4_T5_PSV_SW_PNS1_23onesweep_lookback_stateEbbT6_jjT7_P12ihipStream_tbENKUlT_T0_SK_SP_E_clISE_SE_SF_SF_EEDaS13_S14_SK_SP_EUlS13_E_NS1_11comp_targetILNS1_3genE4ELNS1_11target_archE910ELNS1_3gpuE8ELNS1_3repE0EEENS1_47radix_sort_onesweep_sort_config_static_selectorELNS0_4arch9wavefront6targetE0EEEvSK_ ; -- Begin function _ZN7rocprim17ROCPRIM_400000_NS6detail17trampoline_kernelINS0_14default_configENS1_35radix_sort_onesweep_config_selectorIiNS0_10empty_typeEEEZZNS1_29radix_sort_onesweep_iterationIS3_Lb1EN6thrust23THRUST_200600_302600_NS6detail15normal_iteratorINS9_10device_ptrIiEEEESE_PS5_SF_jNS0_19identity_decomposerENS1_16block_id_wrapperIjLb0EEEEE10hipError_tT1_PNSt15iterator_traitsISK_E10value_typeET2_T3_PNSL_ISQ_E10value_typeET4_T5_PSV_SW_PNS1_23onesweep_lookback_stateEbbT6_jjT7_P12ihipStream_tbENKUlT_T0_SK_SP_E_clISE_SE_SF_SF_EEDaS13_S14_SK_SP_EUlS13_E_NS1_11comp_targetILNS1_3genE4ELNS1_11target_archE910ELNS1_3gpuE8ELNS1_3repE0EEENS1_47radix_sort_onesweep_sort_config_static_selectorELNS0_4arch9wavefront6targetE0EEEvSK_
	.globl	_ZN7rocprim17ROCPRIM_400000_NS6detail17trampoline_kernelINS0_14default_configENS1_35radix_sort_onesweep_config_selectorIiNS0_10empty_typeEEEZZNS1_29radix_sort_onesweep_iterationIS3_Lb1EN6thrust23THRUST_200600_302600_NS6detail15normal_iteratorINS9_10device_ptrIiEEEESE_PS5_SF_jNS0_19identity_decomposerENS1_16block_id_wrapperIjLb0EEEEE10hipError_tT1_PNSt15iterator_traitsISK_E10value_typeET2_T3_PNSL_ISQ_E10value_typeET4_T5_PSV_SW_PNS1_23onesweep_lookback_stateEbbT6_jjT7_P12ihipStream_tbENKUlT_T0_SK_SP_E_clISE_SE_SF_SF_EEDaS13_S14_SK_SP_EUlS13_E_NS1_11comp_targetILNS1_3genE4ELNS1_11target_archE910ELNS1_3gpuE8ELNS1_3repE0EEENS1_47radix_sort_onesweep_sort_config_static_selectorELNS0_4arch9wavefront6targetE0EEEvSK_
	.p2align	8
	.type	_ZN7rocprim17ROCPRIM_400000_NS6detail17trampoline_kernelINS0_14default_configENS1_35radix_sort_onesweep_config_selectorIiNS0_10empty_typeEEEZZNS1_29radix_sort_onesweep_iterationIS3_Lb1EN6thrust23THRUST_200600_302600_NS6detail15normal_iteratorINS9_10device_ptrIiEEEESE_PS5_SF_jNS0_19identity_decomposerENS1_16block_id_wrapperIjLb0EEEEE10hipError_tT1_PNSt15iterator_traitsISK_E10value_typeET2_T3_PNSL_ISQ_E10value_typeET4_T5_PSV_SW_PNS1_23onesweep_lookback_stateEbbT6_jjT7_P12ihipStream_tbENKUlT_T0_SK_SP_E_clISE_SE_SF_SF_EEDaS13_S14_SK_SP_EUlS13_E_NS1_11comp_targetILNS1_3genE4ELNS1_11target_archE910ELNS1_3gpuE8ELNS1_3repE0EEENS1_47radix_sort_onesweep_sort_config_static_selectorELNS0_4arch9wavefront6targetE0EEEvSK_,@function
_ZN7rocprim17ROCPRIM_400000_NS6detail17trampoline_kernelINS0_14default_configENS1_35radix_sort_onesweep_config_selectorIiNS0_10empty_typeEEEZZNS1_29radix_sort_onesweep_iterationIS3_Lb1EN6thrust23THRUST_200600_302600_NS6detail15normal_iteratorINS9_10device_ptrIiEEEESE_PS5_SF_jNS0_19identity_decomposerENS1_16block_id_wrapperIjLb0EEEEE10hipError_tT1_PNSt15iterator_traitsISK_E10value_typeET2_T3_PNSL_ISQ_E10value_typeET4_T5_PSV_SW_PNS1_23onesweep_lookback_stateEbbT6_jjT7_P12ihipStream_tbENKUlT_T0_SK_SP_E_clISE_SE_SF_SF_EEDaS13_S14_SK_SP_EUlS13_E_NS1_11comp_targetILNS1_3genE4ELNS1_11target_archE910ELNS1_3gpuE8ELNS1_3repE0EEENS1_47radix_sort_onesweep_sort_config_static_selectorELNS0_4arch9wavefront6targetE0EEEvSK_: ; @_ZN7rocprim17ROCPRIM_400000_NS6detail17trampoline_kernelINS0_14default_configENS1_35radix_sort_onesweep_config_selectorIiNS0_10empty_typeEEEZZNS1_29radix_sort_onesweep_iterationIS3_Lb1EN6thrust23THRUST_200600_302600_NS6detail15normal_iteratorINS9_10device_ptrIiEEEESE_PS5_SF_jNS0_19identity_decomposerENS1_16block_id_wrapperIjLb0EEEEE10hipError_tT1_PNSt15iterator_traitsISK_E10value_typeET2_T3_PNSL_ISQ_E10value_typeET4_T5_PSV_SW_PNS1_23onesweep_lookback_stateEbbT6_jjT7_P12ihipStream_tbENKUlT_T0_SK_SP_E_clISE_SE_SF_SF_EEDaS13_S14_SK_SP_EUlS13_E_NS1_11comp_targetILNS1_3genE4ELNS1_11target_archE910ELNS1_3gpuE8ELNS1_3repE0EEENS1_47radix_sort_onesweep_sort_config_static_selectorELNS0_4arch9wavefront6targetE0EEEvSK_
; %bb.0:
	.section	.rodata,"a",@progbits
	.p2align	6, 0x0
	.amdhsa_kernel _ZN7rocprim17ROCPRIM_400000_NS6detail17trampoline_kernelINS0_14default_configENS1_35radix_sort_onesweep_config_selectorIiNS0_10empty_typeEEEZZNS1_29radix_sort_onesweep_iterationIS3_Lb1EN6thrust23THRUST_200600_302600_NS6detail15normal_iteratorINS9_10device_ptrIiEEEESE_PS5_SF_jNS0_19identity_decomposerENS1_16block_id_wrapperIjLb0EEEEE10hipError_tT1_PNSt15iterator_traitsISK_E10value_typeET2_T3_PNSL_ISQ_E10value_typeET4_T5_PSV_SW_PNS1_23onesweep_lookback_stateEbbT6_jjT7_P12ihipStream_tbENKUlT_T0_SK_SP_E_clISE_SE_SF_SF_EEDaS13_S14_SK_SP_EUlS13_E_NS1_11comp_targetILNS1_3genE4ELNS1_11target_archE910ELNS1_3gpuE8ELNS1_3repE0EEENS1_47radix_sort_onesweep_sort_config_static_selectorELNS0_4arch9wavefront6targetE0EEEvSK_
		.amdhsa_group_segment_fixed_size 0
		.amdhsa_private_segment_fixed_size 0
		.amdhsa_kernarg_size 88
		.amdhsa_user_sgpr_count 6
		.amdhsa_user_sgpr_private_segment_buffer 1
		.amdhsa_user_sgpr_dispatch_ptr 0
		.amdhsa_user_sgpr_queue_ptr 0
		.amdhsa_user_sgpr_kernarg_segment_ptr 1
		.amdhsa_user_sgpr_dispatch_id 0
		.amdhsa_user_sgpr_flat_scratch_init 0
		.amdhsa_user_sgpr_private_segment_size 0
		.amdhsa_wavefront_size32 1
		.amdhsa_uses_dynamic_stack 0
		.amdhsa_system_sgpr_private_segment_wavefront_offset 0
		.amdhsa_system_sgpr_workgroup_id_x 1
		.amdhsa_system_sgpr_workgroup_id_y 0
		.amdhsa_system_sgpr_workgroup_id_z 0
		.amdhsa_system_sgpr_workgroup_info 0
		.amdhsa_system_vgpr_workitem_id 0
		.amdhsa_next_free_vgpr 1
		.amdhsa_next_free_sgpr 1
		.amdhsa_reserve_vcc 0
		.amdhsa_reserve_flat_scratch 0
		.amdhsa_float_round_mode_32 0
		.amdhsa_float_round_mode_16_64 0
		.amdhsa_float_denorm_mode_32 3
		.amdhsa_float_denorm_mode_16_64 3
		.amdhsa_dx10_clamp 1
		.amdhsa_ieee_mode 1
		.amdhsa_fp16_overflow 0
		.amdhsa_workgroup_processor_mode 1
		.amdhsa_memory_ordered 1
		.amdhsa_forward_progress 1
		.amdhsa_shared_vgpr_count 0
		.amdhsa_exception_fp_ieee_invalid_op 0
		.amdhsa_exception_fp_denorm_src 0
		.amdhsa_exception_fp_ieee_div_zero 0
		.amdhsa_exception_fp_ieee_overflow 0
		.amdhsa_exception_fp_ieee_underflow 0
		.amdhsa_exception_fp_ieee_inexact 0
		.amdhsa_exception_int_div_zero 0
	.end_amdhsa_kernel
	.section	.text._ZN7rocprim17ROCPRIM_400000_NS6detail17trampoline_kernelINS0_14default_configENS1_35radix_sort_onesweep_config_selectorIiNS0_10empty_typeEEEZZNS1_29radix_sort_onesweep_iterationIS3_Lb1EN6thrust23THRUST_200600_302600_NS6detail15normal_iteratorINS9_10device_ptrIiEEEESE_PS5_SF_jNS0_19identity_decomposerENS1_16block_id_wrapperIjLb0EEEEE10hipError_tT1_PNSt15iterator_traitsISK_E10value_typeET2_T3_PNSL_ISQ_E10value_typeET4_T5_PSV_SW_PNS1_23onesweep_lookback_stateEbbT6_jjT7_P12ihipStream_tbENKUlT_T0_SK_SP_E_clISE_SE_SF_SF_EEDaS13_S14_SK_SP_EUlS13_E_NS1_11comp_targetILNS1_3genE4ELNS1_11target_archE910ELNS1_3gpuE8ELNS1_3repE0EEENS1_47radix_sort_onesweep_sort_config_static_selectorELNS0_4arch9wavefront6targetE0EEEvSK_,"axG",@progbits,_ZN7rocprim17ROCPRIM_400000_NS6detail17trampoline_kernelINS0_14default_configENS1_35radix_sort_onesweep_config_selectorIiNS0_10empty_typeEEEZZNS1_29radix_sort_onesweep_iterationIS3_Lb1EN6thrust23THRUST_200600_302600_NS6detail15normal_iteratorINS9_10device_ptrIiEEEESE_PS5_SF_jNS0_19identity_decomposerENS1_16block_id_wrapperIjLb0EEEEE10hipError_tT1_PNSt15iterator_traitsISK_E10value_typeET2_T3_PNSL_ISQ_E10value_typeET4_T5_PSV_SW_PNS1_23onesweep_lookback_stateEbbT6_jjT7_P12ihipStream_tbENKUlT_T0_SK_SP_E_clISE_SE_SF_SF_EEDaS13_S14_SK_SP_EUlS13_E_NS1_11comp_targetILNS1_3genE4ELNS1_11target_archE910ELNS1_3gpuE8ELNS1_3repE0EEENS1_47radix_sort_onesweep_sort_config_static_selectorELNS0_4arch9wavefront6targetE0EEEvSK_,comdat
.Lfunc_end367:
	.size	_ZN7rocprim17ROCPRIM_400000_NS6detail17trampoline_kernelINS0_14default_configENS1_35radix_sort_onesweep_config_selectorIiNS0_10empty_typeEEEZZNS1_29radix_sort_onesweep_iterationIS3_Lb1EN6thrust23THRUST_200600_302600_NS6detail15normal_iteratorINS9_10device_ptrIiEEEESE_PS5_SF_jNS0_19identity_decomposerENS1_16block_id_wrapperIjLb0EEEEE10hipError_tT1_PNSt15iterator_traitsISK_E10value_typeET2_T3_PNSL_ISQ_E10value_typeET4_T5_PSV_SW_PNS1_23onesweep_lookback_stateEbbT6_jjT7_P12ihipStream_tbENKUlT_T0_SK_SP_E_clISE_SE_SF_SF_EEDaS13_S14_SK_SP_EUlS13_E_NS1_11comp_targetILNS1_3genE4ELNS1_11target_archE910ELNS1_3gpuE8ELNS1_3repE0EEENS1_47radix_sort_onesweep_sort_config_static_selectorELNS0_4arch9wavefront6targetE0EEEvSK_, .Lfunc_end367-_ZN7rocprim17ROCPRIM_400000_NS6detail17trampoline_kernelINS0_14default_configENS1_35radix_sort_onesweep_config_selectorIiNS0_10empty_typeEEEZZNS1_29radix_sort_onesweep_iterationIS3_Lb1EN6thrust23THRUST_200600_302600_NS6detail15normal_iteratorINS9_10device_ptrIiEEEESE_PS5_SF_jNS0_19identity_decomposerENS1_16block_id_wrapperIjLb0EEEEE10hipError_tT1_PNSt15iterator_traitsISK_E10value_typeET2_T3_PNSL_ISQ_E10value_typeET4_T5_PSV_SW_PNS1_23onesweep_lookback_stateEbbT6_jjT7_P12ihipStream_tbENKUlT_T0_SK_SP_E_clISE_SE_SF_SF_EEDaS13_S14_SK_SP_EUlS13_E_NS1_11comp_targetILNS1_3genE4ELNS1_11target_archE910ELNS1_3gpuE8ELNS1_3repE0EEENS1_47radix_sort_onesweep_sort_config_static_selectorELNS0_4arch9wavefront6targetE0EEEvSK_
                                        ; -- End function
	.set _ZN7rocprim17ROCPRIM_400000_NS6detail17trampoline_kernelINS0_14default_configENS1_35radix_sort_onesweep_config_selectorIiNS0_10empty_typeEEEZZNS1_29radix_sort_onesweep_iterationIS3_Lb1EN6thrust23THRUST_200600_302600_NS6detail15normal_iteratorINS9_10device_ptrIiEEEESE_PS5_SF_jNS0_19identity_decomposerENS1_16block_id_wrapperIjLb0EEEEE10hipError_tT1_PNSt15iterator_traitsISK_E10value_typeET2_T3_PNSL_ISQ_E10value_typeET4_T5_PSV_SW_PNS1_23onesweep_lookback_stateEbbT6_jjT7_P12ihipStream_tbENKUlT_T0_SK_SP_E_clISE_SE_SF_SF_EEDaS13_S14_SK_SP_EUlS13_E_NS1_11comp_targetILNS1_3genE4ELNS1_11target_archE910ELNS1_3gpuE8ELNS1_3repE0EEENS1_47radix_sort_onesweep_sort_config_static_selectorELNS0_4arch9wavefront6targetE0EEEvSK_.num_vgpr, 0
	.set _ZN7rocprim17ROCPRIM_400000_NS6detail17trampoline_kernelINS0_14default_configENS1_35radix_sort_onesweep_config_selectorIiNS0_10empty_typeEEEZZNS1_29radix_sort_onesweep_iterationIS3_Lb1EN6thrust23THRUST_200600_302600_NS6detail15normal_iteratorINS9_10device_ptrIiEEEESE_PS5_SF_jNS0_19identity_decomposerENS1_16block_id_wrapperIjLb0EEEEE10hipError_tT1_PNSt15iterator_traitsISK_E10value_typeET2_T3_PNSL_ISQ_E10value_typeET4_T5_PSV_SW_PNS1_23onesweep_lookback_stateEbbT6_jjT7_P12ihipStream_tbENKUlT_T0_SK_SP_E_clISE_SE_SF_SF_EEDaS13_S14_SK_SP_EUlS13_E_NS1_11comp_targetILNS1_3genE4ELNS1_11target_archE910ELNS1_3gpuE8ELNS1_3repE0EEENS1_47radix_sort_onesweep_sort_config_static_selectorELNS0_4arch9wavefront6targetE0EEEvSK_.num_agpr, 0
	.set _ZN7rocprim17ROCPRIM_400000_NS6detail17trampoline_kernelINS0_14default_configENS1_35radix_sort_onesweep_config_selectorIiNS0_10empty_typeEEEZZNS1_29radix_sort_onesweep_iterationIS3_Lb1EN6thrust23THRUST_200600_302600_NS6detail15normal_iteratorINS9_10device_ptrIiEEEESE_PS5_SF_jNS0_19identity_decomposerENS1_16block_id_wrapperIjLb0EEEEE10hipError_tT1_PNSt15iterator_traitsISK_E10value_typeET2_T3_PNSL_ISQ_E10value_typeET4_T5_PSV_SW_PNS1_23onesweep_lookback_stateEbbT6_jjT7_P12ihipStream_tbENKUlT_T0_SK_SP_E_clISE_SE_SF_SF_EEDaS13_S14_SK_SP_EUlS13_E_NS1_11comp_targetILNS1_3genE4ELNS1_11target_archE910ELNS1_3gpuE8ELNS1_3repE0EEENS1_47radix_sort_onesweep_sort_config_static_selectorELNS0_4arch9wavefront6targetE0EEEvSK_.numbered_sgpr, 0
	.set _ZN7rocprim17ROCPRIM_400000_NS6detail17trampoline_kernelINS0_14default_configENS1_35radix_sort_onesweep_config_selectorIiNS0_10empty_typeEEEZZNS1_29radix_sort_onesweep_iterationIS3_Lb1EN6thrust23THRUST_200600_302600_NS6detail15normal_iteratorINS9_10device_ptrIiEEEESE_PS5_SF_jNS0_19identity_decomposerENS1_16block_id_wrapperIjLb0EEEEE10hipError_tT1_PNSt15iterator_traitsISK_E10value_typeET2_T3_PNSL_ISQ_E10value_typeET4_T5_PSV_SW_PNS1_23onesweep_lookback_stateEbbT6_jjT7_P12ihipStream_tbENKUlT_T0_SK_SP_E_clISE_SE_SF_SF_EEDaS13_S14_SK_SP_EUlS13_E_NS1_11comp_targetILNS1_3genE4ELNS1_11target_archE910ELNS1_3gpuE8ELNS1_3repE0EEENS1_47radix_sort_onesweep_sort_config_static_selectorELNS0_4arch9wavefront6targetE0EEEvSK_.num_named_barrier, 0
	.set _ZN7rocprim17ROCPRIM_400000_NS6detail17trampoline_kernelINS0_14default_configENS1_35radix_sort_onesweep_config_selectorIiNS0_10empty_typeEEEZZNS1_29radix_sort_onesweep_iterationIS3_Lb1EN6thrust23THRUST_200600_302600_NS6detail15normal_iteratorINS9_10device_ptrIiEEEESE_PS5_SF_jNS0_19identity_decomposerENS1_16block_id_wrapperIjLb0EEEEE10hipError_tT1_PNSt15iterator_traitsISK_E10value_typeET2_T3_PNSL_ISQ_E10value_typeET4_T5_PSV_SW_PNS1_23onesweep_lookback_stateEbbT6_jjT7_P12ihipStream_tbENKUlT_T0_SK_SP_E_clISE_SE_SF_SF_EEDaS13_S14_SK_SP_EUlS13_E_NS1_11comp_targetILNS1_3genE4ELNS1_11target_archE910ELNS1_3gpuE8ELNS1_3repE0EEENS1_47radix_sort_onesweep_sort_config_static_selectorELNS0_4arch9wavefront6targetE0EEEvSK_.private_seg_size, 0
	.set _ZN7rocprim17ROCPRIM_400000_NS6detail17trampoline_kernelINS0_14default_configENS1_35radix_sort_onesweep_config_selectorIiNS0_10empty_typeEEEZZNS1_29radix_sort_onesweep_iterationIS3_Lb1EN6thrust23THRUST_200600_302600_NS6detail15normal_iteratorINS9_10device_ptrIiEEEESE_PS5_SF_jNS0_19identity_decomposerENS1_16block_id_wrapperIjLb0EEEEE10hipError_tT1_PNSt15iterator_traitsISK_E10value_typeET2_T3_PNSL_ISQ_E10value_typeET4_T5_PSV_SW_PNS1_23onesweep_lookback_stateEbbT6_jjT7_P12ihipStream_tbENKUlT_T0_SK_SP_E_clISE_SE_SF_SF_EEDaS13_S14_SK_SP_EUlS13_E_NS1_11comp_targetILNS1_3genE4ELNS1_11target_archE910ELNS1_3gpuE8ELNS1_3repE0EEENS1_47radix_sort_onesweep_sort_config_static_selectorELNS0_4arch9wavefront6targetE0EEEvSK_.uses_vcc, 0
	.set _ZN7rocprim17ROCPRIM_400000_NS6detail17trampoline_kernelINS0_14default_configENS1_35radix_sort_onesweep_config_selectorIiNS0_10empty_typeEEEZZNS1_29radix_sort_onesweep_iterationIS3_Lb1EN6thrust23THRUST_200600_302600_NS6detail15normal_iteratorINS9_10device_ptrIiEEEESE_PS5_SF_jNS0_19identity_decomposerENS1_16block_id_wrapperIjLb0EEEEE10hipError_tT1_PNSt15iterator_traitsISK_E10value_typeET2_T3_PNSL_ISQ_E10value_typeET4_T5_PSV_SW_PNS1_23onesweep_lookback_stateEbbT6_jjT7_P12ihipStream_tbENKUlT_T0_SK_SP_E_clISE_SE_SF_SF_EEDaS13_S14_SK_SP_EUlS13_E_NS1_11comp_targetILNS1_3genE4ELNS1_11target_archE910ELNS1_3gpuE8ELNS1_3repE0EEENS1_47radix_sort_onesweep_sort_config_static_selectorELNS0_4arch9wavefront6targetE0EEEvSK_.uses_flat_scratch, 0
	.set _ZN7rocprim17ROCPRIM_400000_NS6detail17trampoline_kernelINS0_14default_configENS1_35radix_sort_onesweep_config_selectorIiNS0_10empty_typeEEEZZNS1_29radix_sort_onesweep_iterationIS3_Lb1EN6thrust23THRUST_200600_302600_NS6detail15normal_iteratorINS9_10device_ptrIiEEEESE_PS5_SF_jNS0_19identity_decomposerENS1_16block_id_wrapperIjLb0EEEEE10hipError_tT1_PNSt15iterator_traitsISK_E10value_typeET2_T3_PNSL_ISQ_E10value_typeET4_T5_PSV_SW_PNS1_23onesweep_lookback_stateEbbT6_jjT7_P12ihipStream_tbENKUlT_T0_SK_SP_E_clISE_SE_SF_SF_EEDaS13_S14_SK_SP_EUlS13_E_NS1_11comp_targetILNS1_3genE4ELNS1_11target_archE910ELNS1_3gpuE8ELNS1_3repE0EEENS1_47radix_sort_onesweep_sort_config_static_selectorELNS0_4arch9wavefront6targetE0EEEvSK_.has_dyn_sized_stack, 0
	.set _ZN7rocprim17ROCPRIM_400000_NS6detail17trampoline_kernelINS0_14default_configENS1_35radix_sort_onesweep_config_selectorIiNS0_10empty_typeEEEZZNS1_29radix_sort_onesweep_iterationIS3_Lb1EN6thrust23THRUST_200600_302600_NS6detail15normal_iteratorINS9_10device_ptrIiEEEESE_PS5_SF_jNS0_19identity_decomposerENS1_16block_id_wrapperIjLb0EEEEE10hipError_tT1_PNSt15iterator_traitsISK_E10value_typeET2_T3_PNSL_ISQ_E10value_typeET4_T5_PSV_SW_PNS1_23onesweep_lookback_stateEbbT6_jjT7_P12ihipStream_tbENKUlT_T0_SK_SP_E_clISE_SE_SF_SF_EEDaS13_S14_SK_SP_EUlS13_E_NS1_11comp_targetILNS1_3genE4ELNS1_11target_archE910ELNS1_3gpuE8ELNS1_3repE0EEENS1_47radix_sort_onesweep_sort_config_static_selectorELNS0_4arch9wavefront6targetE0EEEvSK_.has_recursion, 0
	.set _ZN7rocprim17ROCPRIM_400000_NS6detail17trampoline_kernelINS0_14default_configENS1_35radix_sort_onesweep_config_selectorIiNS0_10empty_typeEEEZZNS1_29radix_sort_onesweep_iterationIS3_Lb1EN6thrust23THRUST_200600_302600_NS6detail15normal_iteratorINS9_10device_ptrIiEEEESE_PS5_SF_jNS0_19identity_decomposerENS1_16block_id_wrapperIjLb0EEEEE10hipError_tT1_PNSt15iterator_traitsISK_E10value_typeET2_T3_PNSL_ISQ_E10value_typeET4_T5_PSV_SW_PNS1_23onesweep_lookback_stateEbbT6_jjT7_P12ihipStream_tbENKUlT_T0_SK_SP_E_clISE_SE_SF_SF_EEDaS13_S14_SK_SP_EUlS13_E_NS1_11comp_targetILNS1_3genE4ELNS1_11target_archE910ELNS1_3gpuE8ELNS1_3repE0EEENS1_47radix_sort_onesweep_sort_config_static_selectorELNS0_4arch9wavefront6targetE0EEEvSK_.has_indirect_call, 0
	.section	.AMDGPU.csdata,"",@progbits
; Kernel info:
; codeLenInByte = 0
; TotalNumSgprs: 0
; NumVgprs: 0
; ScratchSize: 0
; MemoryBound: 0
; FloatMode: 240
; IeeeMode: 1
; LDSByteSize: 0 bytes/workgroup (compile time only)
; SGPRBlocks: 0
; VGPRBlocks: 0
; NumSGPRsForWavesPerEU: 1
; NumVGPRsForWavesPerEU: 1
; Occupancy: 16
; WaveLimiterHint : 0
; COMPUTE_PGM_RSRC2:SCRATCH_EN: 0
; COMPUTE_PGM_RSRC2:USER_SGPR: 6
; COMPUTE_PGM_RSRC2:TRAP_HANDLER: 0
; COMPUTE_PGM_RSRC2:TGID_X_EN: 1
; COMPUTE_PGM_RSRC2:TGID_Y_EN: 0
; COMPUTE_PGM_RSRC2:TGID_Z_EN: 0
; COMPUTE_PGM_RSRC2:TIDIG_COMP_CNT: 0
	.section	.text._ZN7rocprim17ROCPRIM_400000_NS6detail17trampoline_kernelINS0_14default_configENS1_35radix_sort_onesweep_config_selectorIiNS0_10empty_typeEEEZZNS1_29radix_sort_onesweep_iterationIS3_Lb1EN6thrust23THRUST_200600_302600_NS6detail15normal_iteratorINS9_10device_ptrIiEEEESE_PS5_SF_jNS0_19identity_decomposerENS1_16block_id_wrapperIjLb0EEEEE10hipError_tT1_PNSt15iterator_traitsISK_E10value_typeET2_T3_PNSL_ISQ_E10value_typeET4_T5_PSV_SW_PNS1_23onesweep_lookback_stateEbbT6_jjT7_P12ihipStream_tbENKUlT_T0_SK_SP_E_clISE_SE_SF_SF_EEDaS13_S14_SK_SP_EUlS13_E_NS1_11comp_targetILNS1_3genE3ELNS1_11target_archE908ELNS1_3gpuE7ELNS1_3repE0EEENS1_47radix_sort_onesweep_sort_config_static_selectorELNS0_4arch9wavefront6targetE0EEEvSK_,"axG",@progbits,_ZN7rocprim17ROCPRIM_400000_NS6detail17trampoline_kernelINS0_14default_configENS1_35radix_sort_onesweep_config_selectorIiNS0_10empty_typeEEEZZNS1_29radix_sort_onesweep_iterationIS3_Lb1EN6thrust23THRUST_200600_302600_NS6detail15normal_iteratorINS9_10device_ptrIiEEEESE_PS5_SF_jNS0_19identity_decomposerENS1_16block_id_wrapperIjLb0EEEEE10hipError_tT1_PNSt15iterator_traitsISK_E10value_typeET2_T3_PNSL_ISQ_E10value_typeET4_T5_PSV_SW_PNS1_23onesweep_lookback_stateEbbT6_jjT7_P12ihipStream_tbENKUlT_T0_SK_SP_E_clISE_SE_SF_SF_EEDaS13_S14_SK_SP_EUlS13_E_NS1_11comp_targetILNS1_3genE3ELNS1_11target_archE908ELNS1_3gpuE7ELNS1_3repE0EEENS1_47radix_sort_onesweep_sort_config_static_selectorELNS0_4arch9wavefront6targetE0EEEvSK_,comdat
	.protected	_ZN7rocprim17ROCPRIM_400000_NS6detail17trampoline_kernelINS0_14default_configENS1_35radix_sort_onesweep_config_selectorIiNS0_10empty_typeEEEZZNS1_29radix_sort_onesweep_iterationIS3_Lb1EN6thrust23THRUST_200600_302600_NS6detail15normal_iteratorINS9_10device_ptrIiEEEESE_PS5_SF_jNS0_19identity_decomposerENS1_16block_id_wrapperIjLb0EEEEE10hipError_tT1_PNSt15iterator_traitsISK_E10value_typeET2_T3_PNSL_ISQ_E10value_typeET4_T5_PSV_SW_PNS1_23onesweep_lookback_stateEbbT6_jjT7_P12ihipStream_tbENKUlT_T0_SK_SP_E_clISE_SE_SF_SF_EEDaS13_S14_SK_SP_EUlS13_E_NS1_11comp_targetILNS1_3genE3ELNS1_11target_archE908ELNS1_3gpuE7ELNS1_3repE0EEENS1_47radix_sort_onesweep_sort_config_static_selectorELNS0_4arch9wavefront6targetE0EEEvSK_ ; -- Begin function _ZN7rocprim17ROCPRIM_400000_NS6detail17trampoline_kernelINS0_14default_configENS1_35radix_sort_onesweep_config_selectorIiNS0_10empty_typeEEEZZNS1_29radix_sort_onesweep_iterationIS3_Lb1EN6thrust23THRUST_200600_302600_NS6detail15normal_iteratorINS9_10device_ptrIiEEEESE_PS5_SF_jNS0_19identity_decomposerENS1_16block_id_wrapperIjLb0EEEEE10hipError_tT1_PNSt15iterator_traitsISK_E10value_typeET2_T3_PNSL_ISQ_E10value_typeET4_T5_PSV_SW_PNS1_23onesweep_lookback_stateEbbT6_jjT7_P12ihipStream_tbENKUlT_T0_SK_SP_E_clISE_SE_SF_SF_EEDaS13_S14_SK_SP_EUlS13_E_NS1_11comp_targetILNS1_3genE3ELNS1_11target_archE908ELNS1_3gpuE7ELNS1_3repE0EEENS1_47radix_sort_onesweep_sort_config_static_selectorELNS0_4arch9wavefront6targetE0EEEvSK_
	.globl	_ZN7rocprim17ROCPRIM_400000_NS6detail17trampoline_kernelINS0_14default_configENS1_35radix_sort_onesweep_config_selectorIiNS0_10empty_typeEEEZZNS1_29radix_sort_onesweep_iterationIS3_Lb1EN6thrust23THRUST_200600_302600_NS6detail15normal_iteratorINS9_10device_ptrIiEEEESE_PS5_SF_jNS0_19identity_decomposerENS1_16block_id_wrapperIjLb0EEEEE10hipError_tT1_PNSt15iterator_traitsISK_E10value_typeET2_T3_PNSL_ISQ_E10value_typeET4_T5_PSV_SW_PNS1_23onesweep_lookback_stateEbbT6_jjT7_P12ihipStream_tbENKUlT_T0_SK_SP_E_clISE_SE_SF_SF_EEDaS13_S14_SK_SP_EUlS13_E_NS1_11comp_targetILNS1_3genE3ELNS1_11target_archE908ELNS1_3gpuE7ELNS1_3repE0EEENS1_47radix_sort_onesweep_sort_config_static_selectorELNS0_4arch9wavefront6targetE0EEEvSK_
	.p2align	8
	.type	_ZN7rocprim17ROCPRIM_400000_NS6detail17trampoline_kernelINS0_14default_configENS1_35radix_sort_onesweep_config_selectorIiNS0_10empty_typeEEEZZNS1_29radix_sort_onesweep_iterationIS3_Lb1EN6thrust23THRUST_200600_302600_NS6detail15normal_iteratorINS9_10device_ptrIiEEEESE_PS5_SF_jNS0_19identity_decomposerENS1_16block_id_wrapperIjLb0EEEEE10hipError_tT1_PNSt15iterator_traitsISK_E10value_typeET2_T3_PNSL_ISQ_E10value_typeET4_T5_PSV_SW_PNS1_23onesweep_lookback_stateEbbT6_jjT7_P12ihipStream_tbENKUlT_T0_SK_SP_E_clISE_SE_SF_SF_EEDaS13_S14_SK_SP_EUlS13_E_NS1_11comp_targetILNS1_3genE3ELNS1_11target_archE908ELNS1_3gpuE7ELNS1_3repE0EEENS1_47radix_sort_onesweep_sort_config_static_selectorELNS0_4arch9wavefront6targetE0EEEvSK_,@function
_ZN7rocprim17ROCPRIM_400000_NS6detail17trampoline_kernelINS0_14default_configENS1_35radix_sort_onesweep_config_selectorIiNS0_10empty_typeEEEZZNS1_29radix_sort_onesweep_iterationIS3_Lb1EN6thrust23THRUST_200600_302600_NS6detail15normal_iteratorINS9_10device_ptrIiEEEESE_PS5_SF_jNS0_19identity_decomposerENS1_16block_id_wrapperIjLb0EEEEE10hipError_tT1_PNSt15iterator_traitsISK_E10value_typeET2_T3_PNSL_ISQ_E10value_typeET4_T5_PSV_SW_PNS1_23onesweep_lookback_stateEbbT6_jjT7_P12ihipStream_tbENKUlT_T0_SK_SP_E_clISE_SE_SF_SF_EEDaS13_S14_SK_SP_EUlS13_E_NS1_11comp_targetILNS1_3genE3ELNS1_11target_archE908ELNS1_3gpuE7ELNS1_3repE0EEENS1_47radix_sort_onesweep_sort_config_static_selectorELNS0_4arch9wavefront6targetE0EEEvSK_: ; @_ZN7rocprim17ROCPRIM_400000_NS6detail17trampoline_kernelINS0_14default_configENS1_35radix_sort_onesweep_config_selectorIiNS0_10empty_typeEEEZZNS1_29radix_sort_onesweep_iterationIS3_Lb1EN6thrust23THRUST_200600_302600_NS6detail15normal_iteratorINS9_10device_ptrIiEEEESE_PS5_SF_jNS0_19identity_decomposerENS1_16block_id_wrapperIjLb0EEEEE10hipError_tT1_PNSt15iterator_traitsISK_E10value_typeET2_T3_PNSL_ISQ_E10value_typeET4_T5_PSV_SW_PNS1_23onesweep_lookback_stateEbbT6_jjT7_P12ihipStream_tbENKUlT_T0_SK_SP_E_clISE_SE_SF_SF_EEDaS13_S14_SK_SP_EUlS13_E_NS1_11comp_targetILNS1_3genE3ELNS1_11target_archE908ELNS1_3gpuE7ELNS1_3repE0EEENS1_47radix_sort_onesweep_sort_config_static_selectorELNS0_4arch9wavefront6targetE0EEEvSK_
; %bb.0:
	.section	.rodata,"a",@progbits
	.p2align	6, 0x0
	.amdhsa_kernel _ZN7rocprim17ROCPRIM_400000_NS6detail17trampoline_kernelINS0_14default_configENS1_35radix_sort_onesweep_config_selectorIiNS0_10empty_typeEEEZZNS1_29radix_sort_onesweep_iterationIS3_Lb1EN6thrust23THRUST_200600_302600_NS6detail15normal_iteratorINS9_10device_ptrIiEEEESE_PS5_SF_jNS0_19identity_decomposerENS1_16block_id_wrapperIjLb0EEEEE10hipError_tT1_PNSt15iterator_traitsISK_E10value_typeET2_T3_PNSL_ISQ_E10value_typeET4_T5_PSV_SW_PNS1_23onesweep_lookback_stateEbbT6_jjT7_P12ihipStream_tbENKUlT_T0_SK_SP_E_clISE_SE_SF_SF_EEDaS13_S14_SK_SP_EUlS13_E_NS1_11comp_targetILNS1_3genE3ELNS1_11target_archE908ELNS1_3gpuE7ELNS1_3repE0EEENS1_47radix_sort_onesweep_sort_config_static_selectorELNS0_4arch9wavefront6targetE0EEEvSK_
		.amdhsa_group_segment_fixed_size 0
		.amdhsa_private_segment_fixed_size 0
		.amdhsa_kernarg_size 88
		.amdhsa_user_sgpr_count 6
		.amdhsa_user_sgpr_private_segment_buffer 1
		.amdhsa_user_sgpr_dispatch_ptr 0
		.amdhsa_user_sgpr_queue_ptr 0
		.amdhsa_user_sgpr_kernarg_segment_ptr 1
		.amdhsa_user_sgpr_dispatch_id 0
		.amdhsa_user_sgpr_flat_scratch_init 0
		.amdhsa_user_sgpr_private_segment_size 0
		.amdhsa_wavefront_size32 1
		.amdhsa_uses_dynamic_stack 0
		.amdhsa_system_sgpr_private_segment_wavefront_offset 0
		.amdhsa_system_sgpr_workgroup_id_x 1
		.amdhsa_system_sgpr_workgroup_id_y 0
		.amdhsa_system_sgpr_workgroup_id_z 0
		.amdhsa_system_sgpr_workgroup_info 0
		.amdhsa_system_vgpr_workitem_id 0
		.amdhsa_next_free_vgpr 1
		.amdhsa_next_free_sgpr 1
		.amdhsa_reserve_vcc 0
		.amdhsa_reserve_flat_scratch 0
		.amdhsa_float_round_mode_32 0
		.amdhsa_float_round_mode_16_64 0
		.amdhsa_float_denorm_mode_32 3
		.amdhsa_float_denorm_mode_16_64 3
		.amdhsa_dx10_clamp 1
		.amdhsa_ieee_mode 1
		.amdhsa_fp16_overflow 0
		.amdhsa_workgroup_processor_mode 1
		.amdhsa_memory_ordered 1
		.amdhsa_forward_progress 1
		.amdhsa_shared_vgpr_count 0
		.amdhsa_exception_fp_ieee_invalid_op 0
		.amdhsa_exception_fp_denorm_src 0
		.amdhsa_exception_fp_ieee_div_zero 0
		.amdhsa_exception_fp_ieee_overflow 0
		.amdhsa_exception_fp_ieee_underflow 0
		.amdhsa_exception_fp_ieee_inexact 0
		.amdhsa_exception_int_div_zero 0
	.end_amdhsa_kernel
	.section	.text._ZN7rocprim17ROCPRIM_400000_NS6detail17trampoline_kernelINS0_14default_configENS1_35radix_sort_onesweep_config_selectorIiNS0_10empty_typeEEEZZNS1_29radix_sort_onesweep_iterationIS3_Lb1EN6thrust23THRUST_200600_302600_NS6detail15normal_iteratorINS9_10device_ptrIiEEEESE_PS5_SF_jNS0_19identity_decomposerENS1_16block_id_wrapperIjLb0EEEEE10hipError_tT1_PNSt15iterator_traitsISK_E10value_typeET2_T3_PNSL_ISQ_E10value_typeET4_T5_PSV_SW_PNS1_23onesweep_lookback_stateEbbT6_jjT7_P12ihipStream_tbENKUlT_T0_SK_SP_E_clISE_SE_SF_SF_EEDaS13_S14_SK_SP_EUlS13_E_NS1_11comp_targetILNS1_3genE3ELNS1_11target_archE908ELNS1_3gpuE7ELNS1_3repE0EEENS1_47radix_sort_onesweep_sort_config_static_selectorELNS0_4arch9wavefront6targetE0EEEvSK_,"axG",@progbits,_ZN7rocprim17ROCPRIM_400000_NS6detail17trampoline_kernelINS0_14default_configENS1_35radix_sort_onesweep_config_selectorIiNS0_10empty_typeEEEZZNS1_29radix_sort_onesweep_iterationIS3_Lb1EN6thrust23THRUST_200600_302600_NS6detail15normal_iteratorINS9_10device_ptrIiEEEESE_PS5_SF_jNS0_19identity_decomposerENS1_16block_id_wrapperIjLb0EEEEE10hipError_tT1_PNSt15iterator_traitsISK_E10value_typeET2_T3_PNSL_ISQ_E10value_typeET4_T5_PSV_SW_PNS1_23onesweep_lookback_stateEbbT6_jjT7_P12ihipStream_tbENKUlT_T0_SK_SP_E_clISE_SE_SF_SF_EEDaS13_S14_SK_SP_EUlS13_E_NS1_11comp_targetILNS1_3genE3ELNS1_11target_archE908ELNS1_3gpuE7ELNS1_3repE0EEENS1_47radix_sort_onesweep_sort_config_static_selectorELNS0_4arch9wavefront6targetE0EEEvSK_,comdat
.Lfunc_end368:
	.size	_ZN7rocprim17ROCPRIM_400000_NS6detail17trampoline_kernelINS0_14default_configENS1_35radix_sort_onesweep_config_selectorIiNS0_10empty_typeEEEZZNS1_29radix_sort_onesweep_iterationIS3_Lb1EN6thrust23THRUST_200600_302600_NS6detail15normal_iteratorINS9_10device_ptrIiEEEESE_PS5_SF_jNS0_19identity_decomposerENS1_16block_id_wrapperIjLb0EEEEE10hipError_tT1_PNSt15iterator_traitsISK_E10value_typeET2_T3_PNSL_ISQ_E10value_typeET4_T5_PSV_SW_PNS1_23onesweep_lookback_stateEbbT6_jjT7_P12ihipStream_tbENKUlT_T0_SK_SP_E_clISE_SE_SF_SF_EEDaS13_S14_SK_SP_EUlS13_E_NS1_11comp_targetILNS1_3genE3ELNS1_11target_archE908ELNS1_3gpuE7ELNS1_3repE0EEENS1_47radix_sort_onesweep_sort_config_static_selectorELNS0_4arch9wavefront6targetE0EEEvSK_, .Lfunc_end368-_ZN7rocprim17ROCPRIM_400000_NS6detail17trampoline_kernelINS0_14default_configENS1_35radix_sort_onesweep_config_selectorIiNS0_10empty_typeEEEZZNS1_29radix_sort_onesweep_iterationIS3_Lb1EN6thrust23THRUST_200600_302600_NS6detail15normal_iteratorINS9_10device_ptrIiEEEESE_PS5_SF_jNS0_19identity_decomposerENS1_16block_id_wrapperIjLb0EEEEE10hipError_tT1_PNSt15iterator_traitsISK_E10value_typeET2_T3_PNSL_ISQ_E10value_typeET4_T5_PSV_SW_PNS1_23onesweep_lookback_stateEbbT6_jjT7_P12ihipStream_tbENKUlT_T0_SK_SP_E_clISE_SE_SF_SF_EEDaS13_S14_SK_SP_EUlS13_E_NS1_11comp_targetILNS1_3genE3ELNS1_11target_archE908ELNS1_3gpuE7ELNS1_3repE0EEENS1_47radix_sort_onesweep_sort_config_static_selectorELNS0_4arch9wavefront6targetE0EEEvSK_
                                        ; -- End function
	.set _ZN7rocprim17ROCPRIM_400000_NS6detail17trampoline_kernelINS0_14default_configENS1_35radix_sort_onesweep_config_selectorIiNS0_10empty_typeEEEZZNS1_29radix_sort_onesweep_iterationIS3_Lb1EN6thrust23THRUST_200600_302600_NS6detail15normal_iteratorINS9_10device_ptrIiEEEESE_PS5_SF_jNS0_19identity_decomposerENS1_16block_id_wrapperIjLb0EEEEE10hipError_tT1_PNSt15iterator_traitsISK_E10value_typeET2_T3_PNSL_ISQ_E10value_typeET4_T5_PSV_SW_PNS1_23onesweep_lookback_stateEbbT6_jjT7_P12ihipStream_tbENKUlT_T0_SK_SP_E_clISE_SE_SF_SF_EEDaS13_S14_SK_SP_EUlS13_E_NS1_11comp_targetILNS1_3genE3ELNS1_11target_archE908ELNS1_3gpuE7ELNS1_3repE0EEENS1_47radix_sort_onesweep_sort_config_static_selectorELNS0_4arch9wavefront6targetE0EEEvSK_.num_vgpr, 0
	.set _ZN7rocprim17ROCPRIM_400000_NS6detail17trampoline_kernelINS0_14default_configENS1_35radix_sort_onesweep_config_selectorIiNS0_10empty_typeEEEZZNS1_29radix_sort_onesweep_iterationIS3_Lb1EN6thrust23THRUST_200600_302600_NS6detail15normal_iteratorINS9_10device_ptrIiEEEESE_PS5_SF_jNS0_19identity_decomposerENS1_16block_id_wrapperIjLb0EEEEE10hipError_tT1_PNSt15iterator_traitsISK_E10value_typeET2_T3_PNSL_ISQ_E10value_typeET4_T5_PSV_SW_PNS1_23onesweep_lookback_stateEbbT6_jjT7_P12ihipStream_tbENKUlT_T0_SK_SP_E_clISE_SE_SF_SF_EEDaS13_S14_SK_SP_EUlS13_E_NS1_11comp_targetILNS1_3genE3ELNS1_11target_archE908ELNS1_3gpuE7ELNS1_3repE0EEENS1_47radix_sort_onesweep_sort_config_static_selectorELNS0_4arch9wavefront6targetE0EEEvSK_.num_agpr, 0
	.set _ZN7rocprim17ROCPRIM_400000_NS6detail17trampoline_kernelINS0_14default_configENS1_35radix_sort_onesweep_config_selectorIiNS0_10empty_typeEEEZZNS1_29radix_sort_onesweep_iterationIS3_Lb1EN6thrust23THRUST_200600_302600_NS6detail15normal_iteratorINS9_10device_ptrIiEEEESE_PS5_SF_jNS0_19identity_decomposerENS1_16block_id_wrapperIjLb0EEEEE10hipError_tT1_PNSt15iterator_traitsISK_E10value_typeET2_T3_PNSL_ISQ_E10value_typeET4_T5_PSV_SW_PNS1_23onesweep_lookback_stateEbbT6_jjT7_P12ihipStream_tbENKUlT_T0_SK_SP_E_clISE_SE_SF_SF_EEDaS13_S14_SK_SP_EUlS13_E_NS1_11comp_targetILNS1_3genE3ELNS1_11target_archE908ELNS1_3gpuE7ELNS1_3repE0EEENS1_47radix_sort_onesweep_sort_config_static_selectorELNS0_4arch9wavefront6targetE0EEEvSK_.numbered_sgpr, 0
	.set _ZN7rocprim17ROCPRIM_400000_NS6detail17trampoline_kernelINS0_14default_configENS1_35radix_sort_onesweep_config_selectorIiNS0_10empty_typeEEEZZNS1_29radix_sort_onesweep_iterationIS3_Lb1EN6thrust23THRUST_200600_302600_NS6detail15normal_iteratorINS9_10device_ptrIiEEEESE_PS5_SF_jNS0_19identity_decomposerENS1_16block_id_wrapperIjLb0EEEEE10hipError_tT1_PNSt15iterator_traitsISK_E10value_typeET2_T3_PNSL_ISQ_E10value_typeET4_T5_PSV_SW_PNS1_23onesweep_lookback_stateEbbT6_jjT7_P12ihipStream_tbENKUlT_T0_SK_SP_E_clISE_SE_SF_SF_EEDaS13_S14_SK_SP_EUlS13_E_NS1_11comp_targetILNS1_3genE3ELNS1_11target_archE908ELNS1_3gpuE7ELNS1_3repE0EEENS1_47radix_sort_onesweep_sort_config_static_selectorELNS0_4arch9wavefront6targetE0EEEvSK_.num_named_barrier, 0
	.set _ZN7rocprim17ROCPRIM_400000_NS6detail17trampoline_kernelINS0_14default_configENS1_35radix_sort_onesweep_config_selectorIiNS0_10empty_typeEEEZZNS1_29radix_sort_onesweep_iterationIS3_Lb1EN6thrust23THRUST_200600_302600_NS6detail15normal_iteratorINS9_10device_ptrIiEEEESE_PS5_SF_jNS0_19identity_decomposerENS1_16block_id_wrapperIjLb0EEEEE10hipError_tT1_PNSt15iterator_traitsISK_E10value_typeET2_T3_PNSL_ISQ_E10value_typeET4_T5_PSV_SW_PNS1_23onesweep_lookback_stateEbbT6_jjT7_P12ihipStream_tbENKUlT_T0_SK_SP_E_clISE_SE_SF_SF_EEDaS13_S14_SK_SP_EUlS13_E_NS1_11comp_targetILNS1_3genE3ELNS1_11target_archE908ELNS1_3gpuE7ELNS1_3repE0EEENS1_47radix_sort_onesweep_sort_config_static_selectorELNS0_4arch9wavefront6targetE0EEEvSK_.private_seg_size, 0
	.set _ZN7rocprim17ROCPRIM_400000_NS6detail17trampoline_kernelINS0_14default_configENS1_35radix_sort_onesweep_config_selectorIiNS0_10empty_typeEEEZZNS1_29radix_sort_onesweep_iterationIS3_Lb1EN6thrust23THRUST_200600_302600_NS6detail15normal_iteratorINS9_10device_ptrIiEEEESE_PS5_SF_jNS0_19identity_decomposerENS1_16block_id_wrapperIjLb0EEEEE10hipError_tT1_PNSt15iterator_traitsISK_E10value_typeET2_T3_PNSL_ISQ_E10value_typeET4_T5_PSV_SW_PNS1_23onesweep_lookback_stateEbbT6_jjT7_P12ihipStream_tbENKUlT_T0_SK_SP_E_clISE_SE_SF_SF_EEDaS13_S14_SK_SP_EUlS13_E_NS1_11comp_targetILNS1_3genE3ELNS1_11target_archE908ELNS1_3gpuE7ELNS1_3repE0EEENS1_47radix_sort_onesweep_sort_config_static_selectorELNS0_4arch9wavefront6targetE0EEEvSK_.uses_vcc, 0
	.set _ZN7rocprim17ROCPRIM_400000_NS6detail17trampoline_kernelINS0_14default_configENS1_35radix_sort_onesweep_config_selectorIiNS0_10empty_typeEEEZZNS1_29radix_sort_onesweep_iterationIS3_Lb1EN6thrust23THRUST_200600_302600_NS6detail15normal_iteratorINS9_10device_ptrIiEEEESE_PS5_SF_jNS0_19identity_decomposerENS1_16block_id_wrapperIjLb0EEEEE10hipError_tT1_PNSt15iterator_traitsISK_E10value_typeET2_T3_PNSL_ISQ_E10value_typeET4_T5_PSV_SW_PNS1_23onesweep_lookback_stateEbbT6_jjT7_P12ihipStream_tbENKUlT_T0_SK_SP_E_clISE_SE_SF_SF_EEDaS13_S14_SK_SP_EUlS13_E_NS1_11comp_targetILNS1_3genE3ELNS1_11target_archE908ELNS1_3gpuE7ELNS1_3repE0EEENS1_47radix_sort_onesweep_sort_config_static_selectorELNS0_4arch9wavefront6targetE0EEEvSK_.uses_flat_scratch, 0
	.set _ZN7rocprim17ROCPRIM_400000_NS6detail17trampoline_kernelINS0_14default_configENS1_35radix_sort_onesweep_config_selectorIiNS0_10empty_typeEEEZZNS1_29radix_sort_onesweep_iterationIS3_Lb1EN6thrust23THRUST_200600_302600_NS6detail15normal_iteratorINS9_10device_ptrIiEEEESE_PS5_SF_jNS0_19identity_decomposerENS1_16block_id_wrapperIjLb0EEEEE10hipError_tT1_PNSt15iterator_traitsISK_E10value_typeET2_T3_PNSL_ISQ_E10value_typeET4_T5_PSV_SW_PNS1_23onesweep_lookback_stateEbbT6_jjT7_P12ihipStream_tbENKUlT_T0_SK_SP_E_clISE_SE_SF_SF_EEDaS13_S14_SK_SP_EUlS13_E_NS1_11comp_targetILNS1_3genE3ELNS1_11target_archE908ELNS1_3gpuE7ELNS1_3repE0EEENS1_47radix_sort_onesweep_sort_config_static_selectorELNS0_4arch9wavefront6targetE0EEEvSK_.has_dyn_sized_stack, 0
	.set _ZN7rocprim17ROCPRIM_400000_NS6detail17trampoline_kernelINS0_14default_configENS1_35radix_sort_onesweep_config_selectorIiNS0_10empty_typeEEEZZNS1_29radix_sort_onesweep_iterationIS3_Lb1EN6thrust23THRUST_200600_302600_NS6detail15normal_iteratorINS9_10device_ptrIiEEEESE_PS5_SF_jNS0_19identity_decomposerENS1_16block_id_wrapperIjLb0EEEEE10hipError_tT1_PNSt15iterator_traitsISK_E10value_typeET2_T3_PNSL_ISQ_E10value_typeET4_T5_PSV_SW_PNS1_23onesweep_lookback_stateEbbT6_jjT7_P12ihipStream_tbENKUlT_T0_SK_SP_E_clISE_SE_SF_SF_EEDaS13_S14_SK_SP_EUlS13_E_NS1_11comp_targetILNS1_3genE3ELNS1_11target_archE908ELNS1_3gpuE7ELNS1_3repE0EEENS1_47radix_sort_onesweep_sort_config_static_selectorELNS0_4arch9wavefront6targetE0EEEvSK_.has_recursion, 0
	.set _ZN7rocprim17ROCPRIM_400000_NS6detail17trampoline_kernelINS0_14default_configENS1_35radix_sort_onesweep_config_selectorIiNS0_10empty_typeEEEZZNS1_29radix_sort_onesweep_iterationIS3_Lb1EN6thrust23THRUST_200600_302600_NS6detail15normal_iteratorINS9_10device_ptrIiEEEESE_PS5_SF_jNS0_19identity_decomposerENS1_16block_id_wrapperIjLb0EEEEE10hipError_tT1_PNSt15iterator_traitsISK_E10value_typeET2_T3_PNSL_ISQ_E10value_typeET4_T5_PSV_SW_PNS1_23onesweep_lookback_stateEbbT6_jjT7_P12ihipStream_tbENKUlT_T0_SK_SP_E_clISE_SE_SF_SF_EEDaS13_S14_SK_SP_EUlS13_E_NS1_11comp_targetILNS1_3genE3ELNS1_11target_archE908ELNS1_3gpuE7ELNS1_3repE0EEENS1_47radix_sort_onesweep_sort_config_static_selectorELNS0_4arch9wavefront6targetE0EEEvSK_.has_indirect_call, 0
	.section	.AMDGPU.csdata,"",@progbits
; Kernel info:
; codeLenInByte = 0
; TotalNumSgprs: 0
; NumVgprs: 0
; ScratchSize: 0
; MemoryBound: 0
; FloatMode: 240
; IeeeMode: 1
; LDSByteSize: 0 bytes/workgroup (compile time only)
; SGPRBlocks: 0
; VGPRBlocks: 0
; NumSGPRsForWavesPerEU: 1
; NumVGPRsForWavesPerEU: 1
; Occupancy: 16
; WaveLimiterHint : 0
; COMPUTE_PGM_RSRC2:SCRATCH_EN: 0
; COMPUTE_PGM_RSRC2:USER_SGPR: 6
; COMPUTE_PGM_RSRC2:TRAP_HANDLER: 0
; COMPUTE_PGM_RSRC2:TGID_X_EN: 1
; COMPUTE_PGM_RSRC2:TGID_Y_EN: 0
; COMPUTE_PGM_RSRC2:TGID_Z_EN: 0
; COMPUTE_PGM_RSRC2:TIDIG_COMP_CNT: 0
	.section	.text._ZN7rocprim17ROCPRIM_400000_NS6detail17trampoline_kernelINS0_14default_configENS1_35radix_sort_onesweep_config_selectorIiNS0_10empty_typeEEEZZNS1_29radix_sort_onesweep_iterationIS3_Lb1EN6thrust23THRUST_200600_302600_NS6detail15normal_iteratorINS9_10device_ptrIiEEEESE_PS5_SF_jNS0_19identity_decomposerENS1_16block_id_wrapperIjLb0EEEEE10hipError_tT1_PNSt15iterator_traitsISK_E10value_typeET2_T3_PNSL_ISQ_E10value_typeET4_T5_PSV_SW_PNS1_23onesweep_lookback_stateEbbT6_jjT7_P12ihipStream_tbENKUlT_T0_SK_SP_E_clISE_SE_SF_SF_EEDaS13_S14_SK_SP_EUlS13_E_NS1_11comp_targetILNS1_3genE10ELNS1_11target_archE1201ELNS1_3gpuE5ELNS1_3repE0EEENS1_47radix_sort_onesweep_sort_config_static_selectorELNS0_4arch9wavefront6targetE0EEEvSK_,"axG",@progbits,_ZN7rocprim17ROCPRIM_400000_NS6detail17trampoline_kernelINS0_14default_configENS1_35radix_sort_onesweep_config_selectorIiNS0_10empty_typeEEEZZNS1_29radix_sort_onesweep_iterationIS3_Lb1EN6thrust23THRUST_200600_302600_NS6detail15normal_iteratorINS9_10device_ptrIiEEEESE_PS5_SF_jNS0_19identity_decomposerENS1_16block_id_wrapperIjLb0EEEEE10hipError_tT1_PNSt15iterator_traitsISK_E10value_typeET2_T3_PNSL_ISQ_E10value_typeET4_T5_PSV_SW_PNS1_23onesweep_lookback_stateEbbT6_jjT7_P12ihipStream_tbENKUlT_T0_SK_SP_E_clISE_SE_SF_SF_EEDaS13_S14_SK_SP_EUlS13_E_NS1_11comp_targetILNS1_3genE10ELNS1_11target_archE1201ELNS1_3gpuE5ELNS1_3repE0EEENS1_47radix_sort_onesweep_sort_config_static_selectorELNS0_4arch9wavefront6targetE0EEEvSK_,comdat
	.protected	_ZN7rocprim17ROCPRIM_400000_NS6detail17trampoline_kernelINS0_14default_configENS1_35radix_sort_onesweep_config_selectorIiNS0_10empty_typeEEEZZNS1_29radix_sort_onesweep_iterationIS3_Lb1EN6thrust23THRUST_200600_302600_NS6detail15normal_iteratorINS9_10device_ptrIiEEEESE_PS5_SF_jNS0_19identity_decomposerENS1_16block_id_wrapperIjLb0EEEEE10hipError_tT1_PNSt15iterator_traitsISK_E10value_typeET2_T3_PNSL_ISQ_E10value_typeET4_T5_PSV_SW_PNS1_23onesweep_lookback_stateEbbT6_jjT7_P12ihipStream_tbENKUlT_T0_SK_SP_E_clISE_SE_SF_SF_EEDaS13_S14_SK_SP_EUlS13_E_NS1_11comp_targetILNS1_3genE10ELNS1_11target_archE1201ELNS1_3gpuE5ELNS1_3repE0EEENS1_47radix_sort_onesweep_sort_config_static_selectorELNS0_4arch9wavefront6targetE0EEEvSK_ ; -- Begin function _ZN7rocprim17ROCPRIM_400000_NS6detail17trampoline_kernelINS0_14default_configENS1_35radix_sort_onesweep_config_selectorIiNS0_10empty_typeEEEZZNS1_29radix_sort_onesweep_iterationIS3_Lb1EN6thrust23THRUST_200600_302600_NS6detail15normal_iteratorINS9_10device_ptrIiEEEESE_PS5_SF_jNS0_19identity_decomposerENS1_16block_id_wrapperIjLb0EEEEE10hipError_tT1_PNSt15iterator_traitsISK_E10value_typeET2_T3_PNSL_ISQ_E10value_typeET4_T5_PSV_SW_PNS1_23onesweep_lookback_stateEbbT6_jjT7_P12ihipStream_tbENKUlT_T0_SK_SP_E_clISE_SE_SF_SF_EEDaS13_S14_SK_SP_EUlS13_E_NS1_11comp_targetILNS1_3genE10ELNS1_11target_archE1201ELNS1_3gpuE5ELNS1_3repE0EEENS1_47radix_sort_onesweep_sort_config_static_selectorELNS0_4arch9wavefront6targetE0EEEvSK_
	.globl	_ZN7rocprim17ROCPRIM_400000_NS6detail17trampoline_kernelINS0_14default_configENS1_35radix_sort_onesweep_config_selectorIiNS0_10empty_typeEEEZZNS1_29radix_sort_onesweep_iterationIS3_Lb1EN6thrust23THRUST_200600_302600_NS6detail15normal_iteratorINS9_10device_ptrIiEEEESE_PS5_SF_jNS0_19identity_decomposerENS1_16block_id_wrapperIjLb0EEEEE10hipError_tT1_PNSt15iterator_traitsISK_E10value_typeET2_T3_PNSL_ISQ_E10value_typeET4_T5_PSV_SW_PNS1_23onesweep_lookback_stateEbbT6_jjT7_P12ihipStream_tbENKUlT_T0_SK_SP_E_clISE_SE_SF_SF_EEDaS13_S14_SK_SP_EUlS13_E_NS1_11comp_targetILNS1_3genE10ELNS1_11target_archE1201ELNS1_3gpuE5ELNS1_3repE0EEENS1_47radix_sort_onesweep_sort_config_static_selectorELNS0_4arch9wavefront6targetE0EEEvSK_
	.p2align	8
	.type	_ZN7rocprim17ROCPRIM_400000_NS6detail17trampoline_kernelINS0_14default_configENS1_35radix_sort_onesweep_config_selectorIiNS0_10empty_typeEEEZZNS1_29radix_sort_onesweep_iterationIS3_Lb1EN6thrust23THRUST_200600_302600_NS6detail15normal_iteratorINS9_10device_ptrIiEEEESE_PS5_SF_jNS0_19identity_decomposerENS1_16block_id_wrapperIjLb0EEEEE10hipError_tT1_PNSt15iterator_traitsISK_E10value_typeET2_T3_PNSL_ISQ_E10value_typeET4_T5_PSV_SW_PNS1_23onesweep_lookback_stateEbbT6_jjT7_P12ihipStream_tbENKUlT_T0_SK_SP_E_clISE_SE_SF_SF_EEDaS13_S14_SK_SP_EUlS13_E_NS1_11comp_targetILNS1_3genE10ELNS1_11target_archE1201ELNS1_3gpuE5ELNS1_3repE0EEENS1_47radix_sort_onesweep_sort_config_static_selectorELNS0_4arch9wavefront6targetE0EEEvSK_,@function
_ZN7rocprim17ROCPRIM_400000_NS6detail17trampoline_kernelINS0_14default_configENS1_35radix_sort_onesweep_config_selectorIiNS0_10empty_typeEEEZZNS1_29radix_sort_onesweep_iterationIS3_Lb1EN6thrust23THRUST_200600_302600_NS6detail15normal_iteratorINS9_10device_ptrIiEEEESE_PS5_SF_jNS0_19identity_decomposerENS1_16block_id_wrapperIjLb0EEEEE10hipError_tT1_PNSt15iterator_traitsISK_E10value_typeET2_T3_PNSL_ISQ_E10value_typeET4_T5_PSV_SW_PNS1_23onesweep_lookback_stateEbbT6_jjT7_P12ihipStream_tbENKUlT_T0_SK_SP_E_clISE_SE_SF_SF_EEDaS13_S14_SK_SP_EUlS13_E_NS1_11comp_targetILNS1_3genE10ELNS1_11target_archE1201ELNS1_3gpuE5ELNS1_3repE0EEENS1_47radix_sort_onesweep_sort_config_static_selectorELNS0_4arch9wavefront6targetE0EEEvSK_: ; @_ZN7rocprim17ROCPRIM_400000_NS6detail17trampoline_kernelINS0_14default_configENS1_35radix_sort_onesweep_config_selectorIiNS0_10empty_typeEEEZZNS1_29radix_sort_onesweep_iterationIS3_Lb1EN6thrust23THRUST_200600_302600_NS6detail15normal_iteratorINS9_10device_ptrIiEEEESE_PS5_SF_jNS0_19identity_decomposerENS1_16block_id_wrapperIjLb0EEEEE10hipError_tT1_PNSt15iterator_traitsISK_E10value_typeET2_T3_PNSL_ISQ_E10value_typeET4_T5_PSV_SW_PNS1_23onesweep_lookback_stateEbbT6_jjT7_P12ihipStream_tbENKUlT_T0_SK_SP_E_clISE_SE_SF_SF_EEDaS13_S14_SK_SP_EUlS13_E_NS1_11comp_targetILNS1_3genE10ELNS1_11target_archE1201ELNS1_3gpuE5ELNS1_3repE0EEENS1_47radix_sort_onesweep_sort_config_static_selectorELNS0_4arch9wavefront6targetE0EEEvSK_
; %bb.0:
	.section	.rodata,"a",@progbits
	.p2align	6, 0x0
	.amdhsa_kernel _ZN7rocprim17ROCPRIM_400000_NS6detail17trampoline_kernelINS0_14default_configENS1_35radix_sort_onesweep_config_selectorIiNS0_10empty_typeEEEZZNS1_29radix_sort_onesweep_iterationIS3_Lb1EN6thrust23THRUST_200600_302600_NS6detail15normal_iteratorINS9_10device_ptrIiEEEESE_PS5_SF_jNS0_19identity_decomposerENS1_16block_id_wrapperIjLb0EEEEE10hipError_tT1_PNSt15iterator_traitsISK_E10value_typeET2_T3_PNSL_ISQ_E10value_typeET4_T5_PSV_SW_PNS1_23onesweep_lookback_stateEbbT6_jjT7_P12ihipStream_tbENKUlT_T0_SK_SP_E_clISE_SE_SF_SF_EEDaS13_S14_SK_SP_EUlS13_E_NS1_11comp_targetILNS1_3genE10ELNS1_11target_archE1201ELNS1_3gpuE5ELNS1_3repE0EEENS1_47radix_sort_onesweep_sort_config_static_selectorELNS0_4arch9wavefront6targetE0EEEvSK_
		.amdhsa_group_segment_fixed_size 0
		.amdhsa_private_segment_fixed_size 0
		.amdhsa_kernarg_size 88
		.amdhsa_user_sgpr_count 6
		.amdhsa_user_sgpr_private_segment_buffer 1
		.amdhsa_user_sgpr_dispatch_ptr 0
		.amdhsa_user_sgpr_queue_ptr 0
		.amdhsa_user_sgpr_kernarg_segment_ptr 1
		.amdhsa_user_sgpr_dispatch_id 0
		.amdhsa_user_sgpr_flat_scratch_init 0
		.amdhsa_user_sgpr_private_segment_size 0
		.amdhsa_wavefront_size32 1
		.amdhsa_uses_dynamic_stack 0
		.amdhsa_system_sgpr_private_segment_wavefront_offset 0
		.amdhsa_system_sgpr_workgroup_id_x 1
		.amdhsa_system_sgpr_workgroup_id_y 0
		.amdhsa_system_sgpr_workgroup_id_z 0
		.amdhsa_system_sgpr_workgroup_info 0
		.amdhsa_system_vgpr_workitem_id 0
		.amdhsa_next_free_vgpr 1
		.amdhsa_next_free_sgpr 1
		.amdhsa_reserve_vcc 0
		.amdhsa_reserve_flat_scratch 0
		.amdhsa_float_round_mode_32 0
		.amdhsa_float_round_mode_16_64 0
		.amdhsa_float_denorm_mode_32 3
		.amdhsa_float_denorm_mode_16_64 3
		.amdhsa_dx10_clamp 1
		.amdhsa_ieee_mode 1
		.amdhsa_fp16_overflow 0
		.amdhsa_workgroup_processor_mode 1
		.amdhsa_memory_ordered 1
		.amdhsa_forward_progress 1
		.amdhsa_shared_vgpr_count 0
		.amdhsa_exception_fp_ieee_invalid_op 0
		.amdhsa_exception_fp_denorm_src 0
		.amdhsa_exception_fp_ieee_div_zero 0
		.amdhsa_exception_fp_ieee_overflow 0
		.amdhsa_exception_fp_ieee_underflow 0
		.amdhsa_exception_fp_ieee_inexact 0
		.amdhsa_exception_int_div_zero 0
	.end_amdhsa_kernel
	.section	.text._ZN7rocprim17ROCPRIM_400000_NS6detail17trampoline_kernelINS0_14default_configENS1_35radix_sort_onesweep_config_selectorIiNS0_10empty_typeEEEZZNS1_29radix_sort_onesweep_iterationIS3_Lb1EN6thrust23THRUST_200600_302600_NS6detail15normal_iteratorINS9_10device_ptrIiEEEESE_PS5_SF_jNS0_19identity_decomposerENS1_16block_id_wrapperIjLb0EEEEE10hipError_tT1_PNSt15iterator_traitsISK_E10value_typeET2_T3_PNSL_ISQ_E10value_typeET4_T5_PSV_SW_PNS1_23onesweep_lookback_stateEbbT6_jjT7_P12ihipStream_tbENKUlT_T0_SK_SP_E_clISE_SE_SF_SF_EEDaS13_S14_SK_SP_EUlS13_E_NS1_11comp_targetILNS1_3genE10ELNS1_11target_archE1201ELNS1_3gpuE5ELNS1_3repE0EEENS1_47radix_sort_onesweep_sort_config_static_selectorELNS0_4arch9wavefront6targetE0EEEvSK_,"axG",@progbits,_ZN7rocprim17ROCPRIM_400000_NS6detail17trampoline_kernelINS0_14default_configENS1_35radix_sort_onesweep_config_selectorIiNS0_10empty_typeEEEZZNS1_29radix_sort_onesweep_iterationIS3_Lb1EN6thrust23THRUST_200600_302600_NS6detail15normal_iteratorINS9_10device_ptrIiEEEESE_PS5_SF_jNS0_19identity_decomposerENS1_16block_id_wrapperIjLb0EEEEE10hipError_tT1_PNSt15iterator_traitsISK_E10value_typeET2_T3_PNSL_ISQ_E10value_typeET4_T5_PSV_SW_PNS1_23onesweep_lookback_stateEbbT6_jjT7_P12ihipStream_tbENKUlT_T0_SK_SP_E_clISE_SE_SF_SF_EEDaS13_S14_SK_SP_EUlS13_E_NS1_11comp_targetILNS1_3genE10ELNS1_11target_archE1201ELNS1_3gpuE5ELNS1_3repE0EEENS1_47radix_sort_onesweep_sort_config_static_selectorELNS0_4arch9wavefront6targetE0EEEvSK_,comdat
.Lfunc_end369:
	.size	_ZN7rocprim17ROCPRIM_400000_NS6detail17trampoline_kernelINS0_14default_configENS1_35radix_sort_onesweep_config_selectorIiNS0_10empty_typeEEEZZNS1_29radix_sort_onesweep_iterationIS3_Lb1EN6thrust23THRUST_200600_302600_NS6detail15normal_iteratorINS9_10device_ptrIiEEEESE_PS5_SF_jNS0_19identity_decomposerENS1_16block_id_wrapperIjLb0EEEEE10hipError_tT1_PNSt15iterator_traitsISK_E10value_typeET2_T3_PNSL_ISQ_E10value_typeET4_T5_PSV_SW_PNS1_23onesweep_lookback_stateEbbT6_jjT7_P12ihipStream_tbENKUlT_T0_SK_SP_E_clISE_SE_SF_SF_EEDaS13_S14_SK_SP_EUlS13_E_NS1_11comp_targetILNS1_3genE10ELNS1_11target_archE1201ELNS1_3gpuE5ELNS1_3repE0EEENS1_47radix_sort_onesweep_sort_config_static_selectorELNS0_4arch9wavefront6targetE0EEEvSK_, .Lfunc_end369-_ZN7rocprim17ROCPRIM_400000_NS6detail17trampoline_kernelINS0_14default_configENS1_35radix_sort_onesweep_config_selectorIiNS0_10empty_typeEEEZZNS1_29radix_sort_onesweep_iterationIS3_Lb1EN6thrust23THRUST_200600_302600_NS6detail15normal_iteratorINS9_10device_ptrIiEEEESE_PS5_SF_jNS0_19identity_decomposerENS1_16block_id_wrapperIjLb0EEEEE10hipError_tT1_PNSt15iterator_traitsISK_E10value_typeET2_T3_PNSL_ISQ_E10value_typeET4_T5_PSV_SW_PNS1_23onesweep_lookback_stateEbbT6_jjT7_P12ihipStream_tbENKUlT_T0_SK_SP_E_clISE_SE_SF_SF_EEDaS13_S14_SK_SP_EUlS13_E_NS1_11comp_targetILNS1_3genE10ELNS1_11target_archE1201ELNS1_3gpuE5ELNS1_3repE0EEENS1_47radix_sort_onesweep_sort_config_static_selectorELNS0_4arch9wavefront6targetE0EEEvSK_
                                        ; -- End function
	.set _ZN7rocprim17ROCPRIM_400000_NS6detail17trampoline_kernelINS0_14default_configENS1_35radix_sort_onesweep_config_selectorIiNS0_10empty_typeEEEZZNS1_29radix_sort_onesweep_iterationIS3_Lb1EN6thrust23THRUST_200600_302600_NS6detail15normal_iteratorINS9_10device_ptrIiEEEESE_PS5_SF_jNS0_19identity_decomposerENS1_16block_id_wrapperIjLb0EEEEE10hipError_tT1_PNSt15iterator_traitsISK_E10value_typeET2_T3_PNSL_ISQ_E10value_typeET4_T5_PSV_SW_PNS1_23onesweep_lookback_stateEbbT6_jjT7_P12ihipStream_tbENKUlT_T0_SK_SP_E_clISE_SE_SF_SF_EEDaS13_S14_SK_SP_EUlS13_E_NS1_11comp_targetILNS1_3genE10ELNS1_11target_archE1201ELNS1_3gpuE5ELNS1_3repE0EEENS1_47radix_sort_onesweep_sort_config_static_selectorELNS0_4arch9wavefront6targetE0EEEvSK_.num_vgpr, 0
	.set _ZN7rocprim17ROCPRIM_400000_NS6detail17trampoline_kernelINS0_14default_configENS1_35radix_sort_onesweep_config_selectorIiNS0_10empty_typeEEEZZNS1_29radix_sort_onesweep_iterationIS3_Lb1EN6thrust23THRUST_200600_302600_NS6detail15normal_iteratorINS9_10device_ptrIiEEEESE_PS5_SF_jNS0_19identity_decomposerENS1_16block_id_wrapperIjLb0EEEEE10hipError_tT1_PNSt15iterator_traitsISK_E10value_typeET2_T3_PNSL_ISQ_E10value_typeET4_T5_PSV_SW_PNS1_23onesweep_lookback_stateEbbT6_jjT7_P12ihipStream_tbENKUlT_T0_SK_SP_E_clISE_SE_SF_SF_EEDaS13_S14_SK_SP_EUlS13_E_NS1_11comp_targetILNS1_3genE10ELNS1_11target_archE1201ELNS1_3gpuE5ELNS1_3repE0EEENS1_47radix_sort_onesweep_sort_config_static_selectorELNS0_4arch9wavefront6targetE0EEEvSK_.num_agpr, 0
	.set _ZN7rocprim17ROCPRIM_400000_NS6detail17trampoline_kernelINS0_14default_configENS1_35radix_sort_onesweep_config_selectorIiNS0_10empty_typeEEEZZNS1_29radix_sort_onesweep_iterationIS3_Lb1EN6thrust23THRUST_200600_302600_NS6detail15normal_iteratorINS9_10device_ptrIiEEEESE_PS5_SF_jNS0_19identity_decomposerENS1_16block_id_wrapperIjLb0EEEEE10hipError_tT1_PNSt15iterator_traitsISK_E10value_typeET2_T3_PNSL_ISQ_E10value_typeET4_T5_PSV_SW_PNS1_23onesweep_lookback_stateEbbT6_jjT7_P12ihipStream_tbENKUlT_T0_SK_SP_E_clISE_SE_SF_SF_EEDaS13_S14_SK_SP_EUlS13_E_NS1_11comp_targetILNS1_3genE10ELNS1_11target_archE1201ELNS1_3gpuE5ELNS1_3repE0EEENS1_47radix_sort_onesweep_sort_config_static_selectorELNS0_4arch9wavefront6targetE0EEEvSK_.numbered_sgpr, 0
	.set _ZN7rocprim17ROCPRIM_400000_NS6detail17trampoline_kernelINS0_14default_configENS1_35radix_sort_onesweep_config_selectorIiNS0_10empty_typeEEEZZNS1_29radix_sort_onesweep_iterationIS3_Lb1EN6thrust23THRUST_200600_302600_NS6detail15normal_iteratorINS9_10device_ptrIiEEEESE_PS5_SF_jNS0_19identity_decomposerENS1_16block_id_wrapperIjLb0EEEEE10hipError_tT1_PNSt15iterator_traitsISK_E10value_typeET2_T3_PNSL_ISQ_E10value_typeET4_T5_PSV_SW_PNS1_23onesweep_lookback_stateEbbT6_jjT7_P12ihipStream_tbENKUlT_T0_SK_SP_E_clISE_SE_SF_SF_EEDaS13_S14_SK_SP_EUlS13_E_NS1_11comp_targetILNS1_3genE10ELNS1_11target_archE1201ELNS1_3gpuE5ELNS1_3repE0EEENS1_47radix_sort_onesweep_sort_config_static_selectorELNS0_4arch9wavefront6targetE0EEEvSK_.num_named_barrier, 0
	.set _ZN7rocprim17ROCPRIM_400000_NS6detail17trampoline_kernelINS0_14default_configENS1_35radix_sort_onesweep_config_selectorIiNS0_10empty_typeEEEZZNS1_29radix_sort_onesweep_iterationIS3_Lb1EN6thrust23THRUST_200600_302600_NS6detail15normal_iteratorINS9_10device_ptrIiEEEESE_PS5_SF_jNS0_19identity_decomposerENS1_16block_id_wrapperIjLb0EEEEE10hipError_tT1_PNSt15iterator_traitsISK_E10value_typeET2_T3_PNSL_ISQ_E10value_typeET4_T5_PSV_SW_PNS1_23onesweep_lookback_stateEbbT6_jjT7_P12ihipStream_tbENKUlT_T0_SK_SP_E_clISE_SE_SF_SF_EEDaS13_S14_SK_SP_EUlS13_E_NS1_11comp_targetILNS1_3genE10ELNS1_11target_archE1201ELNS1_3gpuE5ELNS1_3repE0EEENS1_47radix_sort_onesweep_sort_config_static_selectorELNS0_4arch9wavefront6targetE0EEEvSK_.private_seg_size, 0
	.set _ZN7rocprim17ROCPRIM_400000_NS6detail17trampoline_kernelINS0_14default_configENS1_35radix_sort_onesweep_config_selectorIiNS0_10empty_typeEEEZZNS1_29radix_sort_onesweep_iterationIS3_Lb1EN6thrust23THRUST_200600_302600_NS6detail15normal_iteratorINS9_10device_ptrIiEEEESE_PS5_SF_jNS0_19identity_decomposerENS1_16block_id_wrapperIjLb0EEEEE10hipError_tT1_PNSt15iterator_traitsISK_E10value_typeET2_T3_PNSL_ISQ_E10value_typeET4_T5_PSV_SW_PNS1_23onesweep_lookback_stateEbbT6_jjT7_P12ihipStream_tbENKUlT_T0_SK_SP_E_clISE_SE_SF_SF_EEDaS13_S14_SK_SP_EUlS13_E_NS1_11comp_targetILNS1_3genE10ELNS1_11target_archE1201ELNS1_3gpuE5ELNS1_3repE0EEENS1_47radix_sort_onesweep_sort_config_static_selectorELNS0_4arch9wavefront6targetE0EEEvSK_.uses_vcc, 0
	.set _ZN7rocprim17ROCPRIM_400000_NS6detail17trampoline_kernelINS0_14default_configENS1_35radix_sort_onesweep_config_selectorIiNS0_10empty_typeEEEZZNS1_29radix_sort_onesweep_iterationIS3_Lb1EN6thrust23THRUST_200600_302600_NS6detail15normal_iteratorINS9_10device_ptrIiEEEESE_PS5_SF_jNS0_19identity_decomposerENS1_16block_id_wrapperIjLb0EEEEE10hipError_tT1_PNSt15iterator_traitsISK_E10value_typeET2_T3_PNSL_ISQ_E10value_typeET4_T5_PSV_SW_PNS1_23onesweep_lookback_stateEbbT6_jjT7_P12ihipStream_tbENKUlT_T0_SK_SP_E_clISE_SE_SF_SF_EEDaS13_S14_SK_SP_EUlS13_E_NS1_11comp_targetILNS1_3genE10ELNS1_11target_archE1201ELNS1_3gpuE5ELNS1_3repE0EEENS1_47radix_sort_onesweep_sort_config_static_selectorELNS0_4arch9wavefront6targetE0EEEvSK_.uses_flat_scratch, 0
	.set _ZN7rocprim17ROCPRIM_400000_NS6detail17trampoline_kernelINS0_14default_configENS1_35radix_sort_onesweep_config_selectorIiNS0_10empty_typeEEEZZNS1_29radix_sort_onesweep_iterationIS3_Lb1EN6thrust23THRUST_200600_302600_NS6detail15normal_iteratorINS9_10device_ptrIiEEEESE_PS5_SF_jNS0_19identity_decomposerENS1_16block_id_wrapperIjLb0EEEEE10hipError_tT1_PNSt15iterator_traitsISK_E10value_typeET2_T3_PNSL_ISQ_E10value_typeET4_T5_PSV_SW_PNS1_23onesweep_lookback_stateEbbT6_jjT7_P12ihipStream_tbENKUlT_T0_SK_SP_E_clISE_SE_SF_SF_EEDaS13_S14_SK_SP_EUlS13_E_NS1_11comp_targetILNS1_3genE10ELNS1_11target_archE1201ELNS1_3gpuE5ELNS1_3repE0EEENS1_47radix_sort_onesweep_sort_config_static_selectorELNS0_4arch9wavefront6targetE0EEEvSK_.has_dyn_sized_stack, 0
	.set _ZN7rocprim17ROCPRIM_400000_NS6detail17trampoline_kernelINS0_14default_configENS1_35radix_sort_onesweep_config_selectorIiNS0_10empty_typeEEEZZNS1_29radix_sort_onesweep_iterationIS3_Lb1EN6thrust23THRUST_200600_302600_NS6detail15normal_iteratorINS9_10device_ptrIiEEEESE_PS5_SF_jNS0_19identity_decomposerENS1_16block_id_wrapperIjLb0EEEEE10hipError_tT1_PNSt15iterator_traitsISK_E10value_typeET2_T3_PNSL_ISQ_E10value_typeET4_T5_PSV_SW_PNS1_23onesweep_lookback_stateEbbT6_jjT7_P12ihipStream_tbENKUlT_T0_SK_SP_E_clISE_SE_SF_SF_EEDaS13_S14_SK_SP_EUlS13_E_NS1_11comp_targetILNS1_3genE10ELNS1_11target_archE1201ELNS1_3gpuE5ELNS1_3repE0EEENS1_47radix_sort_onesweep_sort_config_static_selectorELNS0_4arch9wavefront6targetE0EEEvSK_.has_recursion, 0
	.set _ZN7rocprim17ROCPRIM_400000_NS6detail17trampoline_kernelINS0_14default_configENS1_35radix_sort_onesweep_config_selectorIiNS0_10empty_typeEEEZZNS1_29radix_sort_onesweep_iterationIS3_Lb1EN6thrust23THRUST_200600_302600_NS6detail15normal_iteratorINS9_10device_ptrIiEEEESE_PS5_SF_jNS0_19identity_decomposerENS1_16block_id_wrapperIjLb0EEEEE10hipError_tT1_PNSt15iterator_traitsISK_E10value_typeET2_T3_PNSL_ISQ_E10value_typeET4_T5_PSV_SW_PNS1_23onesweep_lookback_stateEbbT6_jjT7_P12ihipStream_tbENKUlT_T0_SK_SP_E_clISE_SE_SF_SF_EEDaS13_S14_SK_SP_EUlS13_E_NS1_11comp_targetILNS1_3genE10ELNS1_11target_archE1201ELNS1_3gpuE5ELNS1_3repE0EEENS1_47radix_sort_onesweep_sort_config_static_selectorELNS0_4arch9wavefront6targetE0EEEvSK_.has_indirect_call, 0
	.section	.AMDGPU.csdata,"",@progbits
; Kernel info:
; codeLenInByte = 0
; TotalNumSgprs: 0
; NumVgprs: 0
; ScratchSize: 0
; MemoryBound: 0
; FloatMode: 240
; IeeeMode: 1
; LDSByteSize: 0 bytes/workgroup (compile time only)
; SGPRBlocks: 0
; VGPRBlocks: 0
; NumSGPRsForWavesPerEU: 1
; NumVGPRsForWavesPerEU: 1
; Occupancy: 16
; WaveLimiterHint : 0
; COMPUTE_PGM_RSRC2:SCRATCH_EN: 0
; COMPUTE_PGM_RSRC2:USER_SGPR: 6
; COMPUTE_PGM_RSRC2:TRAP_HANDLER: 0
; COMPUTE_PGM_RSRC2:TGID_X_EN: 1
; COMPUTE_PGM_RSRC2:TGID_Y_EN: 0
; COMPUTE_PGM_RSRC2:TGID_Z_EN: 0
; COMPUTE_PGM_RSRC2:TIDIG_COMP_CNT: 0
	.section	.text._ZN7rocprim17ROCPRIM_400000_NS6detail17trampoline_kernelINS0_14default_configENS1_35radix_sort_onesweep_config_selectorIiNS0_10empty_typeEEEZZNS1_29radix_sort_onesweep_iterationIS3_Lb1EN6thrust23THRUST_200600_302600_NS6detail15normal_iteratorINS9_10device_ptrIiEEEESE_PS5_SF_jNS0_19identity_decomposerENS1_16block_id_wrapperIjLb0EEEEE10hipError_tT1_PNSt15iterator_traitsISK_E10value_typeET2_T3_PNSL_ISQ_E10value_typeET4_T5_PSV_SW_PNS1_23onesweep_lookback_stateEbbT6_jjT7_P12ihipStream_tbENKUlT_T0_SK_SP_E_clISE_SE_SF_SF_EEDaS13_S14_SK_SP_EUlS13_E_NS1_11comp_targetILNS1_3genE9ELNS1_11target_archE1100ELNS1_3gpuE3ELNS1_3repE0EEENS1_47radix_sort_onesweep_sort_config_static_selectorELNS0_4arch9wavefront6targetE0EEEvSK_,"axG",@progbits,_ZN7rocprim17ROCPRIM_400000_NS6detail17trampoline_kernelINS0_14default_configENS1_35radix_sort_onesweep_config_selectorIiNS0_10empty_typeEEEZZNS1_29radix_sort_onesweep_iterationIS3_Lb1EN6thrust23THRUST_200600_302600_NS6detail15normal_iteratorINS9_10device_ptrIiEEEESE_PS5_SF_jNS0_19identity_decomposerENS1_16block_id_wrapperIjLb0EEEEE10hipError_tT1_PNSt15iterator_traitsISK_E10value_typeET2_T3_PNSL_ISQ_E10value_typeET4_T5_PSV_SW_PNS1_23onesweep_lookback_stateEbbT6_jjT7_P12ihipStream_tbENKUlT_T0_SK_SP_E_clISE_SE_SF_SF_EEDaS13_S14_SK_SP_EUlS13_E_NS1_11comp_targetILNS1_3genE9ELNS1_11target_archE1100ELNS1_3gpuE3ELNS1_3repE0EEENS1_47radix_sort_onesweep_sort_config_static_selectorELNS0_4arch9wavefront6targetE0EEEvSK_,comdat
	.protected	_ZN7rocprim17ROCPRIM_400000_NS6detail17trampoline_kernelINS0_14default_configENS1_35radix_sort_onesweep_config_selectorIiNS0_10empty_typeEEEZZNS1_29radix_sort_onesweep_iterationIS3_Lb1EN6thrust23THRUST_200600_302600_NS6detail15normal_iteratorINS9_10device_ptrIiEEEESE_PS5_SF_jNS0_19identity_decomposerENS1_16block_id_wrapperIjLb0EEEEE10hipError_tT1_PNSt15iterator_traitsISK_E10value_typeET2_T3_PNSL_ISQ_E10value_typeET4_T5_PSV_SW_PNS1_23onesweep_lookback_stateEbbT6_jjT7_P12ihipStream_tbENKUlT_T0_SK_SP_E_clISE_SE_SF_SF_EEDaS13_S14_SK_SP_EUlS13_E_NS1_11comp_targetILNS1_3genE9ELNS1_11target_archE1100ELNS1_3gpuE3ELNS1_3repE0EEENS1_47radix_sort_onesweep_sort_config_static_selectorELNS0_4arch9wavefront6targetE0EEEvSK_ ; -- Begin function _ZN7rocprim17ROCPRIM_400000_NS6detail17trampoline_kernelINS0_14default_configENS1_35radix_sort_onesweep_config_selectorIiNS0_10empty_typeEEEZZNS1_29radix_sort_onesweep_iterationIS3_Lb1EN6thrust23THRUST_200600_302600_NS6detail15normal_iteratorINS9_10device_ptrIiEEEESE_PS5_SF_jNS0_19identity_decomposerENS1_16block_id_wrapperIjLb0EEEEE10hipError_tT1_PNSt15iterator_traitsISK_E10value_typeET2_T3_PNSL_ISQ_E10value_typeET4_T5_PSV_SW_PNS1_23onesweep_lookback_stateEbbT6_jjT7_P12ihipStream_tbENKUlT_T0_SK_SP_E_clISE_SE_SF_SF_EEDaS13_S14_SK_SP_EUlS13_E_NS1_11comp_targetILNS1_3genE9ELNS1_11target_archE1100ELNS1_3gpuE3ELNS1_3repE0EEENS1_47radix_sort_onesweep_sort_config_static_selectorELNS0_4arch9wavefront6targetE0EEEvSK_
	.globl	_ZN7rocprim17ROCPRIM_400000_NS6detail17trampoline_kernelINS0_14default_configENS1_35radix_sort_onesweep_config_selectorIiNS0_10empty_typeEEEZZNS1_29radix_sort_onesweep_iterationIS3_Lb1EN6thrust23THRUST_200600_302600_NS6detail15normal_iteratorINS9_10device_ptrIiEEEESE_PS5_SF_jNS0_19identity_decomposerENS1_16block_id_wrapperIjLb0EEEEE10hipError_tT1_PNSt15iterator_traitsISK_E10value_typeET2_T3_PNSL_ISQ_E10value_typeET4_T5_PSV_SW_PNS1_23onesweep_lookback_stateEbbT6_jjT7_P12ihipStream_tbENKUlT_T0_SK_SP_E_clISE_SE_SF_SF_EEDaS13_S14_SK_SP_EUlS13_E_NS1_11comp_targetILNS1_3genE9ELNS1_11target_archE1100ELNS1_3gpuE3ELNS1_3repE0EEENS1_47radix_sort_onesweep_sort_config_static_selectorELNS0_4arch9wavefront6targetE0EEEvSK_
	.p2align	8
	.type	_ZN7rocprim17ROCPRIM_400000_NS6detail17trampoline_kernelINS0_14default_configENS1_35radix_sort_onesweep_config_selectorIiNS0_10empty_typeEEEZZNS1_29radix_sort_onesweep_iterationIS3_Lb1EN6thrust23THRUST_200600_302600_NS6detail15normal_iteratorINS9_10device_ptrIiEEEESE_PS5_SF_jNS0_19identity_decomposerENS1_16block_id_wrapperIjLb0EEEEE10hipError_tT1_PNSt15iterator_traitsISK_E10value_typeET2_T3_PNSL_ISQ_E10value_typeET4_T5_PSV_SW_PNS1_23onesweep_lookback_stateEbbT6_jjT7_P12ihipStream_tbENKUlT_T0_SK_SP_E_clISE_SE_SF_SF_EEDaS13_S14_SK_SP_EUlS13_E_NS1_11comp_targetILNS1_3genE9ELNS1_11target_archE1100ELNS1_3gpuE3ELNS1_3repE0EEENS1_47radix_sort_onesweep_sort_config_static_selectorELNS0_4arch9wavefront6targetE0EEEvSK_,@function
_ZN7rocprim17ROCPRIM_400000_NS6detail17trampoline_kernelINS0_14default_configENS1_35radix_sort_onesweep_config_selectorIiNS0_10empty_typeEEEZZNS1_29radix_sort_onesweep_iterationIS3_Lb1EN6thrust23THRUST_200600_302600_NS6detail15normal_iteratorINS9_10device_ptrIiEEEESE_PS5_SF_jNS0_19identity_decomposerENS1_16block_id_wrapperIjLb0EEEEE10hipError_tT1_PNSt15iterator_traitsISK_E10value_typeET2_T3_PNSL_ISQ_E10value_typeET4_T5_PSV_SW_PNS1_23onesweep_lookback_stateEbbT6_jjT7_P12ihipStream_tbENKUlT_T0_SK_SP_E_clISE_SE_SF_SF_EEDaS13_S14_SK_SP_EUlS13_E_NS1_11comp_targetILNS1_3genE9ELNS1_11target_archE1100ELNS1_3gpuE3ELNS1_3repE0EEENS1_47radix_sort_onesweep_sort_config_static_selectorELNS0_4arch9wavefront6targetE0EEEvSK_: ; @_ZN7rocprim17ROCPRIM_400000_NS6detail17trampoline_kernelINS0_14default_configENS1_35radix_sort_onesweep_config_selectorIiNS0_10empty_typeEEEZZNS1_29radix_sort_onesweep_iterationIS3_Lb1EN6thrust23THRUST_200600_302600_NS6detail15normal_iteratorINS9_10device_ptrIiEEEESE_PS5_SF_jNS0_19identity_decomposerENS1_16block_id_wrapperIjLb0EEEEE10hipError_tT1_PNSt15iterator_traitsISK_E10value_typeET2_T3_PNSL_ISQ_E10value_typeET4_T5_PSV_SW_PNS1_23onesweep_lookback_stateEbbT6_jjT7_P12ihipStream_tbENKUlT_T0_SK_SP_E_clISE_SE_SF_SF_EEDaS13_S14_SK_SP_EUlS13_E_NS1_11comp_targetILNS1_3genE9ELNS1_11target_archE1100ELNS1_3gpuE3ELNS1_3repE0EEENS1_47radix_sort_onesweep_sort_config_static_selectorELNS0_4arch9wavefront6targetE0EEEvSK_
; %bb.0:
	.section	.rodata,"a",@progbits
	.p2align	6, 0x0
	.amdhsa_kernel _ZN7rocprim17ROCPRIM_400000_NS6detail17trampoline_kernelINS0_14default_configENS1_35radix_sort_onesweep_config_selectorIiNS0_10empty_typeEEEZZNS1_29radix_sort_onesweep_iterationIS3_Lb1EN6thrust23THRUST_200600_302600_NS6detail15normal_iteratorINS9_10device_ptrIiEEEESE_PS5_SF_jNS0_19identity_decomposerENS1_16block_id_wrapperIjLb0EEEEE10hipError_tT1_PNSt15iterator_traitsISK_E10value_typeET2_T3_PNSL_ISQ_E10value_typeET4_T5_PSV_SW_PNS1_23onesweep_lookback_stateEbbT6_jjT7_P12ihipStream_tbENKUlT_T0_SK_SP_E_clISE_SE_SF_SF_EEDaS13_S14_SK_SP_EUlS13_E_NS1_11comp_targetILNS1_3genE9ELNS1_11target_archE1100ELNS1_3gpuE3ELNS1_3repE0EEENS1_47radix_sort_onesweep_sort_config_static_selectorELNS0_4arch9wavefront6targetE0EEEvSK_
		.amdhsa_group_segment_fixed_size 0
		.amdhsa_private_segment_fixed_size 0
		.amdhsa_kernarg_size 88
		.amdhsa_user_sgpr_count 6
		.amdhsa_user_sgpr_private_segment_buffer 1
		.amdhsa_user_sgpr_dispatch_ptr 0
		.amdhsa_user_sgpr_queue_ptr 0
		.amdhsa_user_sgpr_kernarg_segment_ptr 1
		.amdhsa_user_sgpr_dispatch_id 0
		.amdhsa_user_sgpr_flat_scratch_init 0
		.amdhsa_user_sgpr_private_segment_size 0
		.amdhsa_wavefront_size32 1
		.amdhsa_uses_dynamic_stack 0
		.amdhsa_system_sgpr_private_segment_wavefront_offset 0
		.amdhsa_system_sgpr_workgroup_id_x 1
		.amdhsa_system_sgpr_workgroup_id_y 0
		.amdhsa_system_sgpr_workgroup_id_z 0
		.amdhsa_system_sgpr_workgroup_info 0
		.amdhsa_system_vgpr_workitem_id 0
		.amdhsa_next_free_vgpr 1
		.amdhsa_next_free_sgpr 1
		.amdhsa_reserve_vcc 0
		.amdhsa_reserve_flat_scratch 0
		.amdhsa_float_round_mode_32 0
		.amdhsa_float_round_mode_16_64 0
		.amdhsa_float_denorm_mode_32 3
		.amdhsa_float_denorm_mode_16_64 3
		.amdhsa_dx10_clamp 1
		.amdhsa_ieee_mode 1
		.amdhsa_fp16_overflow 0
		.amdhsa_workgroup_processor_mode 1
		.amdhsa_memory_ordered 1
		.amdhsa_forward_progress 1
		.amdhsa_shared_vgpr_count 0
		.amdhsa_exception_fp_ieee_invalid_op 0
		.amdhsa_exception_fp_denorm_src 0
		.amdhsa_exception_fp_ieee_div_zero 0
		.amdhsa_exception_fp_ieee_overflow 0
		.amdhsa_exception_fp_ieee_underflow 0
		.amdhsa_exception_fp_ieee_inexact 0
		.amdhsa_exception_int_div_zero 0
	.end_amdhsa_kernel
	.section	.text._ZN7rocprim17ROCPRIM_400000_NS6detail17trampoline_kernelINS0_14default_configENS1_35radix_sort_onesweep_config_selectorIiNS0_10empty_typeEEEZZNS1_29radix_sort_onesweep_iterationIS3_Lb1EN6thrust23THRUST_200600_302600_NS6detail15normal_iteratorINS9_10device_ptrIiEEEESE_PS5_SF_jNS0_19identity_decomposerENS1_16block_id_wrapperIjLb0EEEEE10hipError_tT1_PNSt15iterator_traitsISK_E10value_typeET2_T3_PNSL_ISQ_E10value_typeET4_T5_PSV_SW_PNS1_23onesweep_lookback_stateEbbT6_jjT7_P12ihipStream_tbENKUlT_T0_SK_SP_E_clISE_SE_SF_SF_EEDaS13_S14_SK_SP_EUlS13_E_NS1_11comp_targetILNS1_3genE9ELNS1_11target_archE1100ELNS1_3gpuE3ELNS1_3repE0EEENS1_47radix_sort_onesweep_sort_config_static_selectorELNS0_4arch9wavefront6targetE0EEEvSK_,"axG",@progbits,_ZN7rocprim17ROCPRIM_400000_NS6detail17trampoline_kernelINS0_14default_configENS1_35radix_sort_onesweep_config_selectorIiNS0_10empty_typeEEEZZNS1_29radix_sort_onesweep_iterationIS3_Lb1EN6thrust23THRUST_200600_302600_NS6detail15normal_iteratorINS9_10device_ptrIiEEEESE_PS5_SF_jNS0_19identity_decomposerENS1_16block_id_wrapperIjLb0EEEEE10hipError_tT1_PNSt15iterator_traitsISK_E10value_typeET2_T3_PNSL_ISQ_E10value_typeET4_T5_PSV_SW_PNS1_23onesweep_lookback_stateEbbT6_jjT7_P12ihipStream_tbENKUlT_T0_SK_SP_E_clISE_SE_SF_SF_EEDaS13_S14_SK_SP_EUlS13_E_NS1_11comp_targetILNS1_3genE9ELNS1_11target_archE1100ELNS1_3gpuE3ELNS1_3repE0EEENS1_47radix_sort_onesweep_sort_config_static_selectorELNS0_4arch9wavefront6targetE0EEEvSK_,comdat
.Lfunc_end370:
	.size	_ZN7rocprim17ROCPRIM_400000_NS6detail17trampoline_kernelINS0_14default_configENS1_35radix_sort_onesweep_config_selectorIiNS0_10empty_typeEEEZZNS1_29radix_sort_onesweep_iterationIS3_Lb1EN6thrust23THRUST_200600_302600_NS6detail15normal_iteratorINS9_10device_ptrIiEEEESE_PS5_SF_jNS0_19identity_decomposerENS1_16block_id_wrapperIjLb0EEEEE10hipError_tT1_PNSt15iterator_traitsISK_E10value_typeET2_T3_PNSL_ISQ_E10value_typeET4_T5_PSV_SW_PNS1_23onesweep_lookback_stateEbbT6_jjT7_P12ihipStream_tbENKUlT_T0_SK_SP_E_clISE_SE_SF_SF_EEDaS13_S14_SK_SP_EUlS13_E_NS1_11comp_targetILNS1_3genE9ELNS1_11target_archE1100ELNS1_3gpuE3ELNS1_3repE0EEENS1_47radix_sort_onesweep_sort_config_static_selectorELNS0_4arch9wavefront6targetE0EEEvSK_, .Lfunc_end370-_ZN7rocprim17ROCPRIM_400000_NS6detail17trampoline_kernelINS0_14default_configENS1_35radix_sort_onesweep_config_selectorIiNS0_10empty_typeEEEZZNS1_29radix_sort_onesweep_iterationIS3_Lb1EN6thrust23THRUST_200600_302600_NS6detail15normal_iteratorINS9_10device_ptrIiEEEESE_PS5_SF_jNS0_19identity_decomposerENS1_16block_id_wrapperIjLb0EEEEE10hipError_tT1_PNSt15iterator_traitsISK_E10value_typeET2_T3_PNSL_ISQ_E10value_typeET4_T5_PSV_SW_PNS1_23onesweep_lookback_stateEbbT6_jjT7_P12ihipStream_tbENKUlT_T0_SK_SP_E_clISE_SE_SF_SF_EEDaS13_S14_SK_SP_EUlS13_E_NS1_11comp_targetILNS1_3genE9ELNS1_11target_archE1100ELNS1_3gpuE3ELNS1_3repE0EEENS1_47radix_sort_onesweep_sort_config_static_selectorELNS0_4arch9wavefront6targetE0EEEvSK_
                                        ; -- End function
	.set _ZN7rocprim17ROCPRIM_400000_NS6detail17trampoline_kernelINS0_14default_configENS1_35radix_sort_onesweep_config_selectorIiNS0_10empty_typeEEEZZNS1_29radix_sort_onesweep_iterationIS3_Lb1EN6thrust23THRUST_200600_302600_NS6detail15normal_iteratorINS9_10device_ptrIiEEEESE_PS5_SF_jNS0_19identity_decomposerENS1_16block_id_wrapperIjLb0EEEEE10hipError_tT1_PNSt15iterator_traitsISK_E10value_typeET2_T3_PNSL_ISQ_E10value_typeET4_T5_PSV_SW_PNS1_23onesweep_lookback_stateEbbT6_jjT7_P12ihipStream_tbENKUlT_T0_SK_SP_E_clISE_SE_SF_SF_EEDaS13_S14_SK_SP_EUlS13_E_NS1_11comp_targetILNS1_3genE9ELNS1_11target_archE1100ELNS1_3gpuE3ELNS1_3repE0EEENS1_47radix_sort_onesweep_sort_config_static_selectorELNS0_4arch9wavefront6targetE0EEEvSK_.num_vgpr, 0
	.set _ZN7rocprim17ROCPRIM_400000_NS6detail17trampoline_kernelINS0_14default_configENS1_35radix_sort_onesweep_config_selectorIiNS0_10empty_typeEEEZZNS1_29radix_sort_onesweep_iterationIS3_Lb1EN6thrust23THRUST_200600_302600_NS6detail15normal_iteratorINS9_10device_ptrIiEEEESE_PS5_SF_jNS0_19identity_decomposerENS1_16block_id_wrapperIjLb0EEEEE10hipError_tT1_PNSt15iterator_traitsISK_E10value_typeET2_T3_PNSL_ISQ_E10value_typeET4_T5_PSV_SW_PNS1_23onesweep_lookback_stateEbbT6_jjT7_P12ihipStream_tbENKUlT_T0_SK_SP_E_clISE_SE_SF_SF_EEDaS13_S14_SK_SP_EUlS13_E_NS1_11comp_targetILNS1_3genE9ELNS1_11target_archE1100ELNS1_3gpuE3ELNS1_3repE0EEENS1_47radix_sort_onesweep_sort_config_static_selectorELNS0_4arch9wavefront6targetE0EEEvSK_.num_agpr, 0
	.set _ZN7rocprim17ROCPRIM_400000_NS6detail17trampoline_kernelINS0_14default_configENS1_35radix_sort_onesweep_config_selectorIiNS0_10empty_typeEEEZZNS1_29radix_sort_onesweep_iterationIS3_Lb1EN6thrust23THRUST_200600_302600_NS6detail15normal_iteratorINS9_10device_ptrIiEEEESE_PS5_SF_jNS0_19identity_decomposerENS1_16block_id_wrapperIjLb0EEEEE10hipError_tT1_PNSt15iterator_traitsISK_E10value_typeET2_T3_PNSL_ISQ_E10value_typeET4_T5_PSV_SW_PNS1_23onesweep_lookback_stateEbbT6_jjT7_P12ihipStream_tbENKUlT_T0_SK_SP_E_clISE_SE_SF_SF_EEDaS13_S14_SK_SP_EUlS13_E_NS1_11comp_targetILNS1_3genE9ELNS1_11target_archE1100ELNS1_3gpuE3ELNS1_3repE0EEENS1_47radix_sort_onesweep_sort_config_static_selectorELNS0_4arch9wavefront6targetE0EEEvSK_.numbered_sgpr, 0
	.set _ZN7rocprim17ROCPRIM_400000_NS6detail17trampoline_kernelINS0_14default_configENS1_35radix_sort_onesweep_config_selectorIiNS0_10empty_typeEEEZZNS1_29radix_sort_onesweep_iterationIS3_Lb1EN6thrust23THRUST_200600_302600_NS6detail15normal_iteratorINS9_10device_ptrIiEEEESE_PS5_SF_jNS0_19identity_decomposerENS1_16block_id_wrapperIjLb0EEEEE10hipError_tT1_PNSt15iterator_traitsISK_E10value_typeET2_T3_PNSL_ISQ_E10value_typeET4_T5_PSV_SW_PNS1_23onesweep_lookback_stateEbbT6_jjT7_P12ihipStream_tbENKUlT_T0_SK_SP_E_clISE_SE_SF_SF_EEDaS13_S14_SK_SP_EUlS13_E_NS1_11comp_targetILNS1_3genE9ELNS1_11target_archE1100ELNS1_3gpuE3ELNS1_3repE0EEENS1_47radix_sort_onesweep_sort_config_static_selectorELNS0_4arch9wavefront6targetE0EEEvSK_.num_named_barrier, 0
	.set _ZN7rocprim17ROCPRIM_400000_NS6detail17trampoline_kernelINS0_14default_configENS1_35radix_sort_onesweep_config_selectorIiNS0_10empty_typeEEEZZNS1_29radix_sort_onesweep_iterationIS3_Lb1EN6thrust23THRUST_200600_302600_NS6detail15normal_iteratorINS9_10device_ptrIiEEEESE_PS5_SF_jNS0_19identity_decomposerENS1_16block_id_wrapperIjLb0EEEEE10hipError_tT1_PNSt15iterator_traitsISK_E10value_typeET2_T3_PNSL_ISQ_E10value_typeET4_T5_PSV_SW_PNS1_23onesweep_lookback_stateEbbT6_jjT7_P12ihipStream_tbENKUlT_T0_SK_SP_E_clISE_SE_SF_SF_EEDaS13_S14_SK_SP_EUlS13_E_NS1_11comp_targetILNS1_3genE9ELNS1_11target_archE1100ELNS1_3gpuE3ELNS1_3repE0EEENS1_47radix_sort_onesweep_sort_config_static_selectorELNS0_4arch9wavefront6targetE0EEEvSK_.private_seg_size, 0
	.set _ZN7rocprim17ROCPRIM_400000_NS6detail17trampoline_kernelINS0_14default_configENS1_35radix_sort_onesweep_config_selectorIiNS0_10empty_typeEEEZZNS1_29radix_sort_onesweep_iterationIS3_Lb1EN6thrust23THRUST_200600_302600_NS6detail15normal_iteratorINS9_10device_ptrIiEEEESE_PS5_SF_jNS0_19identity_decomposerENS1_16block_id_wrapperIjLb0EEEEE10hipError_tT1_PNSt15iterator_traitsISK_E10value_typeET2_T3_PNSL_ISQ_E10value_typeET4_T5_PSV_SW_PNS1_23onesweep_lookback_stateEbbT6_jjT7_P12ihipStream_tbENKUlT_T0_SK_SP_E_clISE_SE_SF_SF_EEDaS13_S14_SK_SP_EUlS13_E_NS1_11comp_targetILNS1_3genE9ELNS1_11target_archE1100ELNS1_3gpuE3ELNS1_3repE0EEENS1_47radix_sort_onesweep_sort_config_static_selectorELNS0_4arch9wavefront6targetE0EEEvSK_.uses_vcc, 0
	.set _ZN7rocprim17ROCPRIM_400000_NS6detail17trampoline_kernelINS0_14default_configENS1_35radix_sort_onesweep_config_selectorIiNS0_10empty_typeEEEZZNS1_29radix_sort_onesweep_iterationIS3_Lb1EN6thrust23THRUST_200600_302600_NS6detail15normal_iteratorINS9_10device_ptrIiEEEESE_PS5_SF_jNS0_19identity_decomposerENS1_16block_id_wrapperIjLb0EEEEE10hipError_tT1_PNSt15iterator_traitsISK_E10value_typeET2_T3_PNSL_ISQ_E10value_typeET4_T5_PSV_SW_PNS1_23onesweep_lookback_stateEbbT6_jjT7_P12ihipStream_tbENKUlT_T0_SK_SP_E_clISE_SE_SF_SF_EEDaS13_S14_SK_SP_EUlS13_E_NS1_11comp_targetILNS1_3genE9ELNS1_11target_archE1100ELNS1_3gpuE3ELNS1_3repE0EEENS1_47radix_sort_onesweep_sort_config_static_selectorELNS0_4arch9wavefront6targetE0EEEvSK_.uses_flat_scratch, 0
	.set _ZN7rocprim17ROCPRIM_400000_NS6detail17trampoline_kernelINS0_14default_configENS1_35radix_sort_onesweep_config_selectorIiNS0_10empty_typeEEEZZNS1_29radix_sort_onesweep_iterationIS3_Lb1EN6thrust23THRUST_200600_302600_NS6detail15normal_iteratorINS9_10device_ptrIiEEEESE_PS5_SF_jNS0_19identity_decomposerENS1_16block_id_wrapperIjLb0EEEEE10hipError_tT1_PNSt15iterator_traitsISK_E10value_typeET2_T3_PNSL_ISQ_E10value_typeET4_T5_PSV_SW_PNS1_23onesweep_lookback_stateEbbT6_jjT7_P12ihipStream_tbENKUlT_T0_SK_SP_E_clISE_SE_SF_SF_EEDaS13_S14_SK_SP_EUlS13_E_NS1_11comp_targetILNS1_3genE9ELNS1_11target_archE1100ELNS1_3gpuE3ELNS1_3repE0EEENS1_47radix_sort_onesweep_sort_config_static_selectorELNS0_4arch9wavefront6targetE0EEEvSK_.has_dyn_sized_stack, 0
	.set _ZN7rocprim17ROCPRIM_400000_NS6detail17trampoline_kernelINS0_14default_configENS1_35radix_sort_onesweep_config_selectorIiNS0_10empty_typeEEEZZNS1_29radix_sort_onesweep_iterationIS3_Lb1EN6thrust23THRUST_200600_302600_NS6detail15normal_iteratorINS9_10device_ptrIiEEEESE_PS5_SF_jNS0_19identity_decomposerENS1_16block_id_wrapperIjLb0EEEEE10hipError_tT1_PNSt15iterator_traitsISK_E10value_typeET2_T3_PNSL_ISQ_E10value_typeET4_T5_PSV_SW_PNS1_23onesweep_lookback_stateEbbT6_jjT7_P12ihipStream_tbENKUlT_T0_SK_SP_E_clISE_SE_SF_SF_EEDaS13_S14_SK_SP_EUlS13_E_NS1_11comp_targetILNS1_3genE9ELNS1_11target_archE1100ELNS1_3gpuE3ELNS1_3repE0EEENS1_47radix_sort_onesweep_sort_config_static_selectorELNS0_4arch9wavefront6targetE0EEEvSK_.has_recursion, 0
	.set _ZN7rocprim17ROCPRIM_400000_NS6detail17trampoline_kernelINS0_14default_configENS1_35radix_sort_onesweep_config_selectorIiNS0_10empty_typeEEEZZNS1_29radix_sort_onesweep_iterationIS3_Lb1EN6thrust23THRUST_200600_302600_NS6detail15normal_iteratorINS9_10device_ptrIiEEEESE_PS5_SF_jNS0_19identity_decomposerENS1_16block_id_wrapperIjLb0EEEEE10hipError_tT1_PNSt15iterator_traitsISK_E10value_typeET2_T3_PNSL_ISQ_E10value_typeET4_T5_PSV_SW_PNS1_23onesweep_lookback_stateEbbT6_jjT7_P12ihipStream_tbENKUlT_T0_SK_SP_E_clISE_SE_SF_SF_EEDaS13_S14_SK_SP_EUlS13_E_NS1_11comp_targetILNS1_3genE9ELNS1_11target_archE1100ELNS1_3gpuE3ELNS1_3repE0EEENS1_47radix_sort_onesweep_sort_config_static_selectorELNS0_4arch9wavefront6targetE0EEEvSK_.has_indirect_call, 0
	.section	.AMDGPU.csdata,"",@progbits
; Kernel info:
; codeLenInByte = 0
; TotalNumSgprs: 0
; NumVgprs: 0
; ScratchSize: 0
; MemoryBound: 0
; FloatMode: 240
; IeeeMode: 1
; LDSByteSize: 0 bytes/workgroup (compile time only)
; SGPRBlocks: 0
; VGPRBlocks: 0
; NumSGPRsForWavesPerEU: 1
; NumVGPRsForWavesPerEU: 1
; Occupancy: 16
; WaveLimiterHint : 0
; COMPUTE_PGM_RSRC2:SCRATCH_EN: 0
; COMPUTE_PGM_RSRC2:USER_SGPR: 6
; COMPUTE_PGM_RSRC2:TRAP_HANDLER: 0
; COMPUTE_PGM_RSRC2:TGID_X_EN: 1
; COMPUTE_PGM_RSRC2:TGID_Y_EN: 0
; COMPUTE_PGM_RSRC2:TGID_Z_EN: 0
; COMPUTE_PGM_RSRC2:TIDIG_COMP_CNT: 0
	.section	.text._ZN7rocprim17ROCPRIM_400000_NS6detail17trampoline_kernelINS0_14default_configENS1_35radix_sort_onesweep_config_selectorIiNS0_10empty_typeEEEZZNS1_29radix_sort_onesweep_iterationIS3_Lb1EN6thrust23THRUST_200600_302600_NS6detail15normal_iteratorINS9_10device_ptrIiEEEESE_PS5_SF_jNS0_19identity_decomposerENS1_16block_id_wrapperIjLb0EEEEE10hipError_tT1_PNSt15iterator_traitsISK_E10value_typeET2_T3_PNSL_ISQ_E10value_typeET4_T5_PSV_SW_PNS1_23onesweep_lookback_stateEbbT6_jjT7_P12ihipStream_tbENKUlT_T0_SK_SP_E_clISE_SE_SF_SF_EEDaS13_S14_SK_SP_EUlS13_E_NS1_11comp_targetILNS1_3genE8ELNS1_11target_archE1030ELNS1_3gpuE2ELNS1_3repE0EEENS1_47radix_sort_onesweep_sort_config_static_selectorELNS0_4arch9wavefront6targetE0EEEvSK_,"axG",@progbits,_ZN7rocprim17ROCPRIM_400000_NS6detail17trampoline_kernelINS0_14default_configENS1_35radix_sort_onesweep_config_selectorIiNS0_10empty_typeEEEZZNS1_29radix_sort_onesweep_iterationIS3_Lb1EN6thrust23THRUST_200600_302600_NS6detail15normal_iteratorINS9_10device_ptrIiEEEESE_PS5_SF_jNS0_19identity_decomposerENS1_16block_id_wrapperIjLb0EEEEE10hipError_tT1_PNSt15iterator_traitsISK_E10value_typeET2_T3_PNSL_ISQ_E10value_typeET4_T5_PSV_SW_PNS1_23onesweep_lookback_stateEbbT6_jjT7_P12ihipStream_tbENKUlT_T0_SK_SP_E_clISE_SE_SF_SF_EEDaS13_S14_SK_SP_EUlS13_E_NS1_11comp_targetILNS1_3genE8ELNS1_11target_archE1030ELNS1_3gpuE2ELNS1_3repE0EEENS1_47radix_sort_onesweep_sort_config_static_selectorELNS0_4arch9wavefront6targetE0EEEvSK_,comdat
	.protected	_ZN7rocprim17ROCPRIM_400000_NS6detail17trampoline_kernelINS0_14default_configENS1_35radix_sort_onesweep_config_selectorIiNS0_10empty_typeEEEZZNS1_29radix_sort_onesweep_iterationIS3_Lb1EN6thrust23THRUST_200600_302600_NS6detail15normal_iteratorINS9_10device_ptrIiEEEESE_PS5_SF_jNS0_19identity_decomposerENS1_16block_id_wrapperIjLb0EEEEE10hipError_tT1_PNSt15iterator_traitsISK_E10value_typeET2_T3_PNSL_ISQ_E10value_typeET4_T5_PSV_SW_PNS1_23onesweep_lookback_stateEbbT6_jjT7_P12ihipStream_tbENKUlT_T0_SK_SP_E_clISE_SE_SF_SF_EEDaS13_S14_SK_SP_EUlS13_E_NS1_11comp_targetILNS1_3genE8ELNS1_11target_archE1030ELNS1_3gpuE2ELNS1_3repE0EEENS1_47radix_sort_onesweep_sort_config_static_selectorELNS0_4arch9wavefront6targetE0EEEvSK_ ; -- Begin function _ZN7rocprim17ROCPRIM_400000_NS6detail17trampoline_kernelINS0_14default_configENS1_35radix_sort_onesweep_config_selectorIiNS0_10empty_typeEEEZZNS1_29radix_sort_onesweep_iterationIS3_Lb1EN6thrust23THRUST_200600_302600_NS6detail15normal_iteratorINS9_10device_ptrIiEEEESE_PS5_SF_jNS0_19identity_decomposerENS1_16block_id_wrapperIjLb0EEEEE10hipError_tT1_PNSt15iterator_traitsISK_E10value_typeET2_T3_PNSL_ISQ_E10value_typeET4_T5_PSV_SW_PNS1_23onesweep_lookback_stateEbbT6_jjT7_P12ihipStream_tbENKUlT_T0_SK_SP_E_clISE_SE_SF_SF_EEDaS13_S14_SK_SP_EUlS13_E_NS1_11comp_targetILNS1_3genE8ELNS1_11target_archE1030ELNS1_3gpuE2ELNS1_3repE0EEENS1_47radix_sort_onesweep_sort_config_static_selectorELNS0_4arch9wavefront6targetE0EEEvSK_
	.globl	_ZN7rocprim17ROCPRIM_400000_NS6detail17trampoline_kernelINS0_14default_configENS1_35radix_sort_onesweep_config_selectorIiNS0_10empty_typeEEEZZNS1_29radix_sort_onesweep_iterationIS3_Lb1EN6thrust23THRUST_200600_302600_NS6detail15normal_iteratorINS9_10device_ptrIiEEEESE_PS5_SF_jNS0_19identity_decomposerENS1_16block_id_wrapperIjLb0EEEEE10hipError_tT1_PNSt15iterator_traitsISK_E10value_typeET2_T3_PNSL_ISQ_E10value_typeET4_T5_PSV_SW_PNS1_23onesweep_lookback_stateEbbT6_jjT7_P12ihipStream_tbENKUlT_T0_SK_SP_E_clISE_SE_SF_SF_EEDaS13_S14_SK_SP_EUlS13_E_NS1_11comp_targetILNS1_3genE8ELNS1_11target_archE1030ELNS1_3gpuE2ELNS1_3repE0EEENS1_47radix_sort_onesweep_sort_config_static_selectorELNS0_4arch9wavefront6targetE0EEEvSK_
	.p2align	8
	.type	_ZN7rocprim17ROCPRIM_400000_NS6detail17trampoline_kernelINS0_14default_configENS1_35radix_sort_onesweep_config_selectorIiNS0_10empty_typeEEEZZNS1_29radix_sort_onesweep_iterationIS3_Lb1EN6thrust23THRUST_200600_302600_NS6detail15normal_iteratorINS9_10device_ptrIiEEEESE_PS5_SF_jNS0_19identity_decomposerENS1_16block_id_wrapperIjLb0EEEEE10hipError_tT1_PNSt15iterator_traitsISK_E10value_typeET2_T3_PNSL_ISQ_E10value_typeET4_T5_PSV_SW_PNS1_23onesweep_lookback_stateEbbT6_jjT7_P12ihipStream_tbENKUlT_T0_SK_SP_E_clISE_SE_SF_SF_EEDaS13_S14_SK_SP_EUlS13_E_NS1_11comp_targetILNS1_3genE8ELNS1_11target_archE1030ELNS1_3gpuE2ELNS1_3repE0EEENS1_47radix_sort_onesweep_sort_config_static_selectorELNS0_4arch9wavefront6targetE0EEEvSK_,@function
_ZN7rocprim17ROCPRIM_400000_NS6detail17trampoline_kernelINS0_14default_configENS1_35radix_sort_onesweep_config_selectorIiNS0_10empty_typeEEEZZNS1_29radix_sort_onesweep_iterationIS3_Lb1EN6thrust23THRUST_200600_302600_NS6detail15normal_iteratorINS9_10device_ptrIiEEEESE_PS5_SF_jNS0_19identity_decomposerENS1_16block_id_wrapperIjLb0EEEEE10hipError_tT1_PNSt15iterator_traitsISK_E10value_typeET2_T3_PNSL_ISQ_E10value_typeET4_T5_PSV_SW_PNS1_23onesweep_lookback_stateEbbT6_jjT7_P12ihipStream_tbENKUlT_T0_SK_SP_E_clISE_SE_SF_SF_EEDaS13_S14_SK_SP_EUlS13_E_NS1_11comp_targetILNS1_3genE8ELNS1_11target_archE1030ELNS1_3gpuE2ELNS1_3repE0EEENS1_47radix_sort_onesweep_sort_config_static_selectorELNS0_4arch9wavefront6targetE0EEEvSK_: ; @_ZN7rocprim17ROCPRIM_400000_NS6detail17trampoline_kernelINS0_14default_configENS1_35radix_sort_onesweep_config_selectorIiNS0_10empty_typeEEEZZNS1_29radix_sort_onesweep_iterationIS3_Lb1EN6thrust23THRUST_200600_302600_NS6detail15normal_iteratorINS9_10device_ptrIiEEEESE_PS5_SF_jNS0_19identity_decomposerENS1_16block_id_wrapperIjLb0EEEEE10hipError_tT1_PNSt15iterator_traitsISK_E10value_typeET2_T3_PNSL_ISQ_E10value_typeET4_T5_PSV_SW_PNS1_23onesweep_lookback_stateEbbT6_jjT7_P12ihipStream_tbENKUlT_T0_SK_SP_E_clISE_SE_SF_SF_EEDaS13_S14_SK_SP_EUlS13_E_NS1_11comp_targetILNS1_3genE8ELNS1_11target_archE1030ELNS1_3gpuE2ELNS1_3repE0EEENS1_47radix_sort_onesweep_sort_config_static_selectorELNS0_4arch9wavefront6targetE0EEEvSK_
; %bb.0:
	s_clause 0x3
	s_load_dwordx4 s[20:23], s[4:5], 0x44
	s_load_dwordx2 s[10:11], s[4:5], 0x38
	s_load_dwordx4 s[16:19], s[4:5], 0x0
	s_load_dwordx4 s[12:15], s[4:5], 0x28
	v_mbcnt_lo_u32_b32 v12, -1, 0
	v_lshlrev_b32_e32 v11, 2, v0
	s_mov_b32 s0, -1
	s_waitcnt lgkmcnt(0)
	s_cmp_ge_u32 s6, s22
	s_cbranch_scc0 .LBB371_48
; %bb.1:
	s_load_dword s2, s[4:5], 0x20
	s_lshl_b32 s0, s6, 12
	s_mov_b32 s1, 0
	s_lshl_b32 s3, s22, 12
	v_and_b32_e32 v4, 0xf80, v11
	v_lshlrev_b32_e32 v6, 2, v12
	s_lshl_b64 s[0:1], s[0:1], 2
	v_bfrev_b32_e32 v3, 1
	v_lshlrev_b32_e32 v7, 2, v4
	v_or_b32_e32 v9, v12, v4
	v_mov_b32_e32 v4, v3
	v_mov_b32_e32 v5, v3
	s_waitcnt lgkmcnt(0)
	s_sub_i32 s9, s2, s3
	s_add_u32 s0, s16, s0
	s_addc_u32 s1, s17, s1
	v_add_co_u32 v6, s0, s0, v6
	v_add_co_ci_u32_e64 v8, null, s1, 0, s0
	v_add_co_u32 v7, s0, v6, v7
	v_add_co_ci_u32_e64 v8, null, 0, v8, s0
	v_mov_b32_e32 v6, v3
	s_mov_b32 s0, exec_lo
	v_cmpx_gt_u32_e64 s9, v9
	s_cbranch_execz .LBB371_3
; %bb.2:
	global_load_dword v13, v[7:8], off
	v_mov_b32_e32 v14, v3
	v_mov_b32_e32 v15, v3
	;; [unrolled: 1-line block ×3, first 2 shown]
	s_waitcnt vmcnt(0)
	v_mov_b32_e32 v3, v13
	v_mov_b32_e32 v4, v14
	;; [unrolled: 1-line block ×4, first 2 shown]
.LBB371_3:
	s_or_b32 exec_lo, exec_lo, s0
	v_or_b32_e32 v10, 32, v9
	s_mov_b32 s0, exec_lo
	v_cmpx_gt_u32_e64 s9, v10
	s_cbranch_execz .LBB371_5
; %bb.4:
	global_load_dword v4, v[7:8], off offset:128
.LBB371_5:
	s_or_b32 exec_lo, exec_lo, s0
	v_or_b32_e32 v10, 64, v9
	s_mov_b32 s0, exec_lo
	v_cmpx_gt_u32_e64 s9, v10
	s_cbranch_execz .LBB371_7
; %bb.6:
	global_load_dword v5, v[7:8], off offset:256
.LBB371_7:
	;; [unrolled: 8-line block ×3, first 2 shown]
	s_or_b32 exec_lo, exec_lo, s0
	s_clause 0x1
	s_load_dword s0, s[4:5], 0x64
	s_load_dword s22, s[4:5], 0x58
	s_add_u32 s1, s4, 0x58
	s_addc_u32 s2, s5, 0
	v_mov_b32_e32 v10, 0
	v_xor_b32_e32 v13, 0x7fffffff, v3
	v_lshrrev_b32_e32 v3, s20, v13
	s_waitcnt lgkmcnt(0)
	s_lshr_b32 s3, s0, 16
	s_cmp_lt_u32 s6, s22
	s_cselect_b32 s0, 12, 18
	s_add_u32 s0, s1, s0
	s_addc_u32 s1, s2, 0
	global_load_ushort v7, v10, s[0:1]
	s_lshl_b32 s0, -1, s21
	s_not_b32 s23, s0
	v_and_b32_e32 v3, s23, v3
	v_and_b32_e32 v8, 1, v3
	v_lshlrev_b32_e32 v9, 30, v3
	v_lshlrev_b32_e32 v14, 29, v3
	;; [unrolled: 1-line block ×4, first 2 shown]
	v_add_co_u32 v8, s0, v8, -1
	v_cndmask_b32_e64 v15, 0, 1, s0
	v_not_b32_e32 v19, v9
	v_cmp_gt_i32_e64 s0, 0, v9
	v_not_b32_e32 v9, v14
	v_lshlrev_b32_e32 v18, 26, v3
	v_cmp_ne_u32_e32 vcc_lo, 0, v15
	v_ashrrev_i32_e32 v19, 31, v19
	v_lshlrev_b32_e32 v15, 25, v3
	v_ashrrev_i32_e32 v9, 31, v9
	v_xor_b32_e32 v8, vcc_lo, v8
	v_cmp_gt_i32_e32 vcc_lo, 0, v14
	v_not_b32_e32 v14, v16
	v_xor_b32_e32 v19, s0, v19
	v_cmp_gt_i32_e64 s0, 0, v16
	v_and_b32_e32 v8, exec_lo, v8
	v_not_b32_e32 v16, v17
	v_ashrrev_i32_e32 v14, 31, v14
	v_xor_b32_e32 v9, vcc_lo, v9
	v_cmp_gt_i32_e32 vcc_lo, 0, v17
	v_and_b32_e32 v8, v8, v19
	v_not_b32_e32 v17, v18
	v_ashrrev_i32_e32 v16, 31, v16
	v_xor_b32_e32 v14, s0, v14
	v_cmp_gt_i32_e64 s0, 0, v18
	v_and_b32_e32 v8, v8, v9
	v_not_b32_e32 v9, v15
	v_ashrrev_i32_e32 v17, 31, v17
	v_xor_b32_e32 v16, vcc_lo, v16
	v_cmp_gt_i32_e32 vcc_lo, 0, v15
	v_and_b32_e32 v8, v8, v14
	v_lshlrev_b32_e32 v14, 24, v3
	v_ashrrev_i32_e32 v9, 31, v9
	v_xor_b32_e32 v15, s0, v17
	v_and_b32_e32 v8, v8, v16
	v_not_b32_e32 v16, v14
	v_xor_b32_e32 v9, vcc_lo, v9
	v_cmp_gt_i32_e32 vcc_lo, 0, v14
	v_and_b32_e32 v8, v8, v15
	v_mad_u32_u24 v15, v2, s3, v1
	v_ashrrev_i32_e32 v14, 31, v16
	v_mul_u32_u24_e32 v16, 36, v0
	v_and_b32_e32 v17, v8, v9
	ds_write2_b32 v16, v10, v10 offset0:32 offset1:33
	ds_write2_b32 v16, v10, v10 offset0:34 offset1:35
	;; [unrolled: 1-line block ×4, first 2 shown]
	ds_write_b32 v16, v10 offset:160
	s_waitcnt vmcnt(0) lgkmcnt(0)
	s_barrier
	buffer_gl0_inv
	; wave barrier
	v_mad_u64_u32 v[8:9], null, v15, v7, v[0:1]
	v_xor_b32_e32 v7, vcc_lo, v14
	v_mul_lo_u32 v9, 0x84, v3
	v_and_b32_e32 v7, v17, v7
	v_lshrrev_b32_e32 v8, 3, v8
	v_mbcnt_lo_u32_b32 v14, v7, 0
	v_and_b32_e32 v3, 0x1ffffffc, v8
	v_cmp_ne_u32_e64 s0, 0, v7
	v_cmp_eq_u32_e32 vcc_lo, 0, v14
	v_add_nc_u32_e32 v17, v3, v9
	s_and_b32 s1, s0, vcc_lo
	s_and_saveexec_b32 s0, s1
; %bb.10:
	v_bcnt_u32_b32 v7, v7, 0
	ds_write_b32 v17, v7 offset:128
; %bb.11:
	s_or_b32 exec_lo, exec_lo, s0
	v_xor_b32_e32 v15, 0x7fffffff, v4
	; wave barrier
	v_lshrrev_b32_e32 v4, s20, v15
	v_and_b32_e32 v4, s23, v4
	v_and_b32_e32 v8, 1, v4
	v_lshlrev_b32_e32 v9, 30, v4
	v_lshlrev_b32_e32 v10, 29, v4
	;; [unrolled: 1-line block ×4, first 2 shown]
	v_add_co_u32 v8, s0, v8, -1
	v_cndmask_b32_e64 v19, 0, 1, s0
	v_not_b32_e32 v23, v9
	v_cmp_gt_i32_e64 s0, 0, v9
	v_not_b32_e32 v9, v10
	v_lshlrev_b32_e32 v21, 26, v4
	v_cmp_ne_u32_e32 vcc_lo, 0, v19
	v_ashrrev_i32_e32 v19, 31, v23
	v_lshlrev_b32_e32 v22, 25, v4
	v_ashrrev_i32_e32 v9, 31, v9
	v_mul_lo_u32 v7, 0x84, v4
	v_xor_b32_e32 v8, vcc_lo, v8
	v_cmp_gt_i32_e32 vcc_lo, 0, v10
	v_not_b32_e32 v10, v18
	v_xor_b32_e32 v19, s0, v19
	v_cmp_gt_i32_e64 s0, 0, v18
	v_and_b32_e32 v8, exec_lo, v8
	v_not_b32_e32 v18, v20
	v_ashrrev_i32_e32 v10, 31, v10
	v_xor_b32_e32 v9, vcc_lo, v9
	v_cmp_gt_i32_e32 vcc_lo, 0, v20
	v_and_b32_e32 v8, v8, v19
	v_not_b32_e32 v19, v21
	v_ashrrev_i32_e32 v18, 31, v18
	v_xor_b32_e32 v10, s0, v10
	v_lshlrev_b32_e32 v4, 24, v4
	v_and_b32_e32 v8, v8, v9
	v_cmp_gt_i32_e64 s0, 0, v21
	v_not_b32_e32 v9, v22
	v_ashrrev_i32_e32 v19, 31, v19
	v_xor_b32_e32 v18, vcc_lo, v18
	v_and_b32_e32 v8, v8, v10
	v_cmp_gt_i32_e32 vcc_lo, 0, v22
	v_not_b32_e32 v10, v4
	v_ashrrev_i32_e32 v9, 31, v9
	v_xor_b32_e32 v19, s0, v19
	v_and_b32_e32 v8, v8, v18
	v_cmp_gt_i32_e64 s0, 0, v4
	v_ashrrev_i32_e32 v4, 31, v10
	v_xor_b32_e32 v9, vcc_lo, v9
	v_add_nc_u32_e32 v21, v3, v7
	v_and_b32_e32 v8, v8, v19
	v_xor_b32_e32 v4, s0, v4
	ds_read_b32 v18, v21 offset:128
	v_and_b32_e32 v7, v8, v9
	; wave barrier
	v_and_b32_e32 v4, v7, v4
	v_mbcnt_lo_u32_b32 v20, v4, 0
	v_cmp_ne_u32_e64 s0, 0, v4
	v_cmp_eq_u32_e32 vcc_lo, 0, v20
	s_and_b32 s1, s0, vcc_lo
	s_and_saveexec_b32 s0, s1
	s_cbranch_execz .LBB371_13
; %bb.12:
	s_waitcnt lgkmcnt(0)
	v_bcnt_u32_b32 v4, v4, v18
	ds_write_b32 v21, v4 offset:128
.LBB371_13:
	s_or_b32 exec_lo, exec_lo, s0
	v_xor_b32_e32 v19, 0x7fffffff, v5
	; wave barrier
	v_lshrrev_b32_e32 v4, s20, v19
	v_and_b32_e32 v4, s23, v4
	v_and_b32_e32 v7, 1, v4
	v_lshlrev_b32_e32 v8, 30, v4
	v_lshlrev_b32_e32 v9, 29, v4
	;; [unrolled: 1-line block ×4, first 2 shown]
	v_add_co_u32 v7, s0, v7, -1
	v_cndmask_b32_e64 v22, 0, 1, s0
	v_not_b32_e32 v26, v8
	v_cmp_gt_i32_e64 s0, 0, v8
	v_not_b32_e32 v8, v9
	v_lshlrev_b32_e32 v24, 26, v4
	v_cmp_ne_u32_e32 vcc_lo, 0, v22
	v_ashrrev_i32_e32 v22, 31, v26
	v_lshlrev_b32_e32 v25, 25, v4
	v_ashrrev_i32_e32 v8, 31, v8
	v_mul_lo_u32 v5, 0x84, v4
	v_xor_b32_e32 v7, vcc_lo, v7
	v_cmp_gt_i32_e32 vcc_lo, 0, v9
	v_not_b32_e32 v9, v10
	v_xor_b32_e32 v22, s0, v22
	v_cmp_gt_i32_e64 s0, 0, v10
	v_and_b32_e32 v7, exec_lo, v7
	v_not_b32_e32 v10, v23
	v_ashrrev_i32_e32 v9, 31, v9
	v_xor_b32_e32 v8, vcc_lo, v8
	v_cmp_gt_i32_e32 vcc_lo, 0, v23
	v_and_b32_e32 v7, v7, v22
	v_not_b32_e32 v22, v24
	v_ashrrev_i32_e32 v10, 31, v10
	v_xor_b32_e32 v9, s0, v9
	v_lshlrev_b32_e32 v4, 24, v4
	v_and_b32_e32 v7, v7, v8
	v_cmp_gt_i32_e64 s0, 0, v24
	v_not_b32_e32 v8, v25
	v_ashrrev_i32_e32 v22, 31, v22
	v_xor_b32_e32 v10, vcc_lo, v10
	v_and_b32_e32 v7, v7, v9
	v_cmp_gt_i32_e32 vcc_lo, 0, v25
	v_not_b32_e32 v9, v4
	v_ashrrev_i32_e32 v8, 31, v8
	v_xor_b32_e32 v22, s0, v22
	v_and_b32_e32 v7, v7, v10
	v_cmp_gt_i32_e64 s0, 0, v4
	v_ashrrev_i32_e32 v4, 31, v9
	v_xor_b32_e32 v8, vcc_lo, v8
	v_add_nc_u32_e32 v25, v3, v5
	v_and_b32_e32 v7, v7, v22
	v_xor_b32_e32 v4, s0, v4
	ds_read_b32 v22, v25 offset:128
	v_and_b32_e32 v5, v7, v8
	; wave barrier
	v_and_b32_e32 v4, v5, v4
	v_mbcnt_lo_u32_b32 v24, v4, 0
	v_cmp_ne_u32_e64 s0, 0, v4
	v_cmp_eq_u32_e32 vcc_lo, 0, v24
	s_and_b32 s1, s0, vcc_lo
	s_and_saveexec_b32 s0, s1
	s_cbranch_execz .LBB371_15
; %bb.14:
	s_waitcnt lgkmcnt(0)
	v_bcnt_u32_b32 v4, v4, v22
	ds_write_b32 v25, v4 offset:128
.LBB371_15:
	s_or_b32 exec_lo, exec_lo, s0
	v_xor_b32_e32 v23, 0x7fffffff, v6
	; wave barrier
	v_lshrrev_b32_e32 v4, s20, v23
	v_and_b32_e32 v4, s23, v4
	v_and_b32_e32 v6, 1, v4
	v_lshlrev_b32_e32 v7, 30, v4
	v_lshlrev_b32_e32 v8, 29, v4
	;; [unrolled: 1-line block ×4, first 2 shown]
	v_add_co_u32 v6, s0, v6, -1
	v_cndmask_b32_e64 v10, 0, 1, s0
	v_not_b32_e32 v29, v7
	v_cmp_gt_i32_e64 s0, 0, v7
	v_not_b32_e32 v7, v8
	v_lshlrev_b32_e32 v27, 26, v4
	v_cmp_ne_u32_e32 vcc_lo, 0, v10
	v_ashrrev_i32_e32 v10, 31, v29
	v_lshlrev_b32_e32 v28, 25, v4
	v_ashrrev_i32_e32 v7, 31, v7
	v_mul_lo_u32 v5, 0x84, v4
	v_xor_b32_e32 v6, vcc_lo, v6
	v_cmp_gt_i32_e32 vcc_lo, 0, v8
	v_not_b32_e32 v8, v9
	v_xor_b32_e32 v10, s0, v10
	v_cmp_gt_i32_e64 s0, 0, v9
	v_and_b32_e32 v6, exec_lo, v6
	v_not_b32_e32 v9, v26
	v_ashrrev_i32_e32 v8, 31, v8
	v_xor_b32_e32 v7, vcc_lo, v7
	v_cmp_gt_i32_e32 vcc_lo, 0, v26
	v_and_b32_e32 v6, v6, v10
	v_not_b32_e32 v10, v27
	v_ashrrev_i32_e32 v9, 31, v9
	v_xor_b32_e32 v8, s0, v8
	v_lshlrev_b32_e32 v4, 24, v4
	v_and_b32_e32 v6, v6, v7
	v_cmp_gt_i32_e64 s0, 0, v27
	v_not_b32_e32 v7, v28
	v_ashrrev_i32_e32 v10, 31, v10
	v_xor_b32_e32 v9, vcc_lo, v9
	v_and_b32_e32 v6, v6, v8
	v_cmp_gt_i32_e32 vcc_lo, 0, v28
	v_not_b32_e32 v8, v4
	v_ashrrev_i32_e32 v7, 31, v7
	v_xor_b32_e32 v10, s0, v10
	v_and_b32_e32 v6, v6, v9
	v_cmp_gt_i32_e64 s0, 0, v4
	v_ashrrev_i32_e32 v4, 31, v8
	v_xor_b32_e32 v7, vcc_lo, v7
	v_add_nc_u32_e32 v28, v3, v5
	v_and_b32_e32 v6, v6, v10
	v_xor_b32_e32 v3, s0, v4
	ds_read_b32 v26, v28 offset:128
	v_and_b32_e32 v4, v6, v7
	; wave barrier
	v_and_b32_e32 v3, v4, v3
	v_mbcnt_lo_u32_b32 v27, v3, 0
	v_cmp_ne_u32_e64 s0, 0, v3
	v_cmp_eq_u32_e32 vcc_lo, 0, v27
	s_and_b32 s1, s0, vcc_lo
	s_and_saveexec_b32 s0, s1
	s_cbranch_execz .LBB371_17
; %bb.16:
	s_waitcnt lgkmcnt(0)
	v_bcnt_u32_b32 v3, v3, v26
	ds_write_b32 v28, v3 offset:128
.LBB371_17:
	s_or_b32 exec_lo, exec_lo, s0
	; wave barrier
	s_waitcnt lgkmcnt(0)
	s_barrier
	buffer_gl0_inv
	ds_read2_b32 v[9:10], v16 offset0:32 offset1:33
	ds_read2_b32 v[7:8], v16 offset0:34 offset1:35
	;; [unrolled: 1-line block ×4, first 2 shown]
	ds_read_b32 v29, v16 offset:160
	v_and_b32_e32 v32, 16, v12
	v_and_b32_e32 v33, 31, v0
	s_mov_b32 s8, exec_lo
	v_cmp_eq_u32_e64 s3, 0, v32
	s_waitcnt lgkmcnt(3)
	v_add3_u32 v30, v10, v9, v7
	s_waitcnt lgkmcnt(2)
	v_add3_u32 v30, v30, v8, v5
	;; [unrolled: 2-line block ×4, first 2 shown]
	v_and_b32_e32 v30, 15, v12
	v_mov_b32_dpp v31, v29 row_shr:1 row_mask:0xf bank_mask:0xf
	v_cmp_eq_u32_e32 vcc_lo, 0, v30
	v_cmp_lt_u32_e64 s0, 1, v30
	v_cmp_lt_u32_e64 s1, 3, v30
	;; [unrolled: 1-line block ×3, first 2 shown]
	v_cndmask_b32_e64 v31, v31, 0, vcc_lo
	v_add_nc_u32_e32 v29, v31, v29
	v_mov_b32_dpp v31, v29 row_shr:2 row_mask:0xf bank_mask:0xf
	v_cndmask_b32_e64 v31, 0, v31, s0
	v_add_nc_u32_e32 v29, v29, v31
	v_mov_b32_dpp v31, v29 row_shr:4 row_mask:0xf bank_mask:0xf
	v_cndmask_b32_e64 v31, 0, v31, s1
	v_add_nc_u32_e32 v29, v29, v31
	v_mov_b32_dpp v31, v29 row_shr:8 row_mask:0xf bank_mask:0xf
	v_cndmask_b32_e64 v30, 0, v31, s2
	v_bfe_i32 v31, v12, 4, 1
	v_add_nc_u32_e32 v29, v29, v30
	ds_swizzle_b32 v30, v29 offset:swizzle(BROADCAST,32,15)
	s_waitcnt lgkmcnt(0)
	v_and_b32_e32 v31, v31, v30
	v_lshrrev_b32_e32 v30, 5, v0
	v_add_nc_u32_e32 v29, v29, v31
	v_cmpx_eq_u32_e32 31, v33
; %bb.18:
	v_lshlrev_b32_e32 v31, 2, v30
	ds_write_b32 v31, v29
; %bb.19:
	s_or_b32 exec_lo, exec_lo, s8
	v_cmp_lt_u32_e64 s7, 31, v0
	s_mov_b32 s24, exec_lo
	s_waitcnt lgkmcnt(0)
	s_barrier
	buffer_gl0_inv
	v_cmpx_gt_u32_e32 32, v0
	s_cbranch_execz .LBB371_21
; %bb.20:
	ds_read_b32 v31, v11
	s_waitcnt lgkmcnt(0)
	v_mov_b32_dpp v32, v31 row_shr:1 row_mask:0xf bank_mask:0xf
	v_cndmask_b32_e64 v32, v32, 0, vcc_lo
	v_add_nc_u32_e32 v31, v32, v31
	v_mov_b32_dpp v32, v31 row_shr:2 row_mask:0xf bank_mask:0xf
	v_cndmask_b32_e64 v32, 0, v32, s0
	v_add_nc_u32_e32 v31, v31, v32
	v_mov_b32_dpp v32, v31 row_shr:4 row_mask:0xf bank_mask:0xf
	v_cndmask_b32_e64 v32, 0, v32, s1
	;; [unrolled: 3-line block ×3, first 2 shown]
	v_add_nc_u32_e32 v31, v31, v32
	ds_swizzle_b32 v32, v31 offset:swizzle(BROADCAST,32,15)
	s_waitcnt lgkmcnt(0)
	v_cndmask_b32_e64 v32, v32, 0, s3
	v_add_nc_u32_e32 v31, v31, v32
	ds_write_b32 v11, v31
.LBB371_21:
	s_or_b32 exec_lo, exec_lo, s24
	v_mov_b32_e32 v31, 0
	s_waitcnt lgkmcnt(0)
	s_barrier
	buffer_gl0_inv
	s_and_saveexec_b32 s0, s7
; %bb.22:
	v_lshl_add_u32 v30, v30, 2, -4
	ds_read_b32 v31, v30
; %bb.23:
	s_or_b32 exec_lo, exec_lo, s0
	v_sub_co_u32 v30, vcc_lo, v12, 1
	s_waitcnt lgkmcnt(0)
	v_add_nc_u32_e32 v29, v31, v29
	v_cmp_gt_i32_e64 s0, 0, v30
	v_cndmask_b32_e64 v30, v30, v12, s0
	v_cmp_gt_u32_e64 s0, 0x100, v0
	v_lshlrev_b32_e32 v30, 2, v30
	ds_bpermute_b32 v29, v30, v29
	s_waitcnt lgkmcnt(0)
	v_cndmask_b32_e32 v29, v29, v31, vcc_lo
	v_cmp_ne_u32_e32 vcc_lo, 0, v0
	v_cndmask_b32_e32 v29, 0, v29, vcc_lo
	v_cmp_lt_u32_e32 vcc_lo, 0xff, v0
	v_add_nc_u32_e32 v9, v29, v9
	v_add_nc_u32_e32 v10, v9, v10
	;; [unrolled: 1-line block ×8, first 2 shown]
	ds_write2_b32 v16, v29, v9 offset0:32 offset1:33
	ds_write2_b32 v16, v10, v7 offset0:34 offset1:35
	;; [unrolled: 1-line block ×4, first 2 shown]
	ds_write_b32 v16, v4 offset:160
	s_waitcnt lgkmcnt(0)
	s_barrier
	buffer_gl0_inv
	ds_read_b32 v3, v17 offset:128
	ds_read_b32 v6, v21 offset:128
	;; [unrolled: 1-line block ×4, first 2 shown]
                                        ; implicit-def: $vgpr9
                                        ; implicit-def: $vgpr10
	s_and_saveexec_b32 s2, s0
	s_cbranch_execz .LBB371_27
; %bb.24:
	v_mul_u32_u24_e32 v7, 0x84, v0
	v_add_nc_u32_e32 v8, 1, v0
	s_mov_b32 s3, exec_lo
	ds_read_b32 v9, v7 offset:128
	v_mov_b32_e32 v7, 0x1000
	v_cmpx_ne_u32_e32 0x100, v8
; %bb.25:
	v_mul_u32_u24_e32 v7, 0x84, v8
	ds_read_b32 v7, v7 offset:128
; %bb.26:
	s_or_b32 exec_lo, exec_lo, s3
	s_waitcnt lgkmcnt(0)
	v_sub_nc_u32_e32 v10, v7, v9
.LBB371_27:
	s_or_b32 exec_lo, exec_lo, s2
	v_lshlrev_b32_e32 v7, 2, v14
	v_lshlrev_b32_e32 v8, 2, v20
	;; [unrolled: 1-line block ×5, first 2 shown]
	s_waitcnt lgkmcnt(0)
	v_lshlrev_b32_e32 v4, 2, v4
	v_lshlrev_b32_e32 v6, 2, v6
	;; [unrolled: 1-line block ×5, first 2 shown]
	v_lshl_add_u32 v3, v3, 2, v7
	v_add3_u32 v7, v18, v20, v4
	v_mov_b32_e32 v4, 0
	v_add3_u32 v6, v8, v14, v6
	v_add3_u32 v5, v16, v17, v5
	s_barrier
	buffer_gl0_inv
	ds_write_b32 v3, v13 offset:1024
	ds_write_b32 v6, v15 offset:1024
	;; [unrolled: 1-line block ×4, first 2 shown]
	s_and_saveexec_b32 s1, s0
	s_cbranch_execz .LBB371_37
; %bb.28:
	v_lshl_add_u32 v3, s6, 8, v0
	v_mov_b32_e32 v13, 0
	s_mov_b32 s2, 0
	s_mov_b32 s3, s6
	v_lshlrev_b64 v[5:6], 2, v[3:4]
	v_or_b32_e32 v3, 2.0, v10
	v_add_co_u32 v5, s0, s10, v5
	v_add_co_ci_u32_e64 v6, null, s11, v6, s0
                                        ; implicit-def: $sgpr0
	global_store_dword v[5:6], v3, off
	s_branch .LBB371_31
	.p2align	6
.LBB371_29:                             ;   in Loop: Header=BB371_31 Depth=1
	s_or_b32 exec_lo, exec_lo, s8
.LBB371_30:                             ;   in Loop: Header=BB371_31 Depth=1
	s_or_b32 exec_lo, exec_lo, s7
	v_and_b32_e32 v7, 0x3fffffff, v3
	v_cmp_gt_i32_e64 s0, -2.0, v3
	v_add_nc_u32_e32 v13, v7, v13
	s_and_b32 s7, exec_lo, s0
	s_or_b32 s2, s7, s2
	s_andn2_b32 exec_lo, exec_lo, s2
	s_cbranch_execz .LBB371_36
.LBB371_31:                             ; =>This Loop Header: Depth=1
                                        ;     Child Loop BB371_34 Depth 2
	s_or_b32 s0, s0, exec_lo
	s_cmp_eq_u32 s3, 0
	s_cbranch_scc1 .LBB371_35
; %bb.32:                               ;   in Loop: Header=BB371_31 Depth=1
	s_add_i32 s3, s3, -1
	s_mov_b32 s7, exec_lo
	v_lshl_or_b32 v3, s3, 8, v0
	v_lshlrev_b64 v[7:8], 2, v[3:4]
	v_add_co_u32 v7, s0, s10, v7
	v_add_co_ci_u32_e64 v8, null, s11, v8, s0
	global_load_dword v3, v[7:8], off glc dlc
	s_waitcnt vmcnt(0)
	v_cmpx_gt_u32_e32 2.0, v3
	s_cbranch_execz .LBB371_30
; %bb.33:                               ;   in Loop: Header=BB371_31 Depth=1
	s_mov_b32 s8, 0
.LBB371_34:                             ;   Parent Loop BB371_31 Depth=1
                                        ; =>  This Inner Loop Header: Depth=2
	global_load_dword v3, v[7:8], off glc dlc
	s_waitcnt vmcnt(0)
	v_cmp_lt_u32_e64 s0, 0x3fffffff, v3
	s_or_b32 s8, s0, s8
	s_andn2_b32 exec_lo, exec_lo, s8
	s_cbranch_execnz .LBB371_34
	s_branch .LBB371_29
.LBB371_35:                             ;   in Loop: Header=BB371_31 Depth=1
                                        ; implicit-def: $sgpr3
	s_and_b32 s7, exec_lo, s0
	s_or_b32 s2, s7, s2
	s_andn2_b32 exec_lo, exec_lo, s2
	s_cbranch_execnz .LBB371_31
.LBB371_36:
	s_or_b32 exec_lo, exec_lo, s2
	v_add_nc_u32_e32 v3, v13, v10
	v_sub_nc_u32_e32 v4, v13, v9
	v_or_b32_e32 v3, 0x80000000, v3
	global_store_dword v[5:6], v3, off
	global_load_dword v3, v11, s[12:13]
	s_waitcnt vmcnt(0)
	v_add_nc_u32_e32 v3, v4, v3
	ds_write_b32 v11, v3
.LBB371_37:
	s_or_b32 exec_lo, exec_lo, s1
	s_mov_b32 s1, exec_lo
	s_waitcnt lgkmcnt(0)
	s_waitcnt_vscnt null, 0x0
	s_barrier
	buffer_gl0_inv
	v_cmpx_gt_u32_e64 s9, v0
	s_cbranch_execz .LBB371_39
; %bb.38:
	ds_read_b32 v5, v11 offset:1024
	v_mov_b32_e32 v4, 0
	s_waitcnt lgkmcnt(0)
	v_lshrrev_b32_e32 v3, s20, v5
	v_xor_b32_e32 v5, 0x7fffffff, v5
	v_and_b32_e32 v3, s23, v3
	v_lshlrev_b32_e32 v3, 2, v3
	ds_read_b32 v3, v3
	s_waitcnt lgkmcnt(0)
	v_add_nc_u32_e32 v3, v3, v0
	v_lshlrev_b64 v[3:4], 2, v[3:4]
	v_add_co_u32 v3, s0, s18, v3
	v_add_co_ci_u32_e64 v4, null, s19, v4, s0
	global_store_dword v[3:4], v5, off
.LBB371_39:
	s_or_b32 exec_lo, exec_lo, s1
	v_or_b32_e32 v3, 0x400, v0
	s_mov_b32 s1, exec_lo
	v_cmpx_gt_u32_e64 s9, v3
	s_cbranch_execz .LBB371_41
; %bb.40:
	ds_read_b32 v5, v11 offset:5120
	s_waitcnt lgkmcnt(0)
	v_lshrrev_b32_e32 v4, s20, v5
	v_xor_b32_e32 v5, 0x7fffffff, v5
	v_and_b32_e32 v4, s23, v4
	v_lshlrev_b32_e32 v4, 2, v4
	ds_read_b32 v6, v4
	v_mov_b32_e32 v4, 0
	s_waitcnt lgkmcnt(0)
	v_add_nc_u32_e32 v3, v6, v3
	v_lshlrev_b64 v[3:4], 2, v[3:4]
	v_add_co_u32 v3, s0, s18, v3
	v_add_co_ci_u32_e64 v4, null, s19, v4, s0
	global_store_dword v[3:4], v5, off
.LBB371_41:
	s_or_b32 exec_lo, exec_lo, s1
	v_or_b32_e32 v3, 0x800, v0
	s_mov_b32 s1, exec_lo
	v_cmpx_gt_u32_e64 s9, v3
	s_cbranch_execz .LBB371_43
; %bb.42:
	ds_read_b32 v5, v11 offset:9216
	s_waitcnt lgkmcnt(0)
	v_lshrrev_b32_e32 v4, s20, v5
	v_xor_b32_e32 v5, 0x7fffffff, v5
	v_and_b32_e32 v4, s23, v4
	v_lshlrev_b32_e32 v4, 2, v4
	ds_read_b32 v6, v4
	v_mov_b32_e32 v4, 0
	s_waitcnt lgkmcnt(0)
	v_add_nc_u32_e32 v3, v6, v3
	v_lshlrev_b64 v[3:4], 2, v[3:4]
	v_add_co_u32 v3, s0, s18, v3
	v_add_co_ci_u32_e64 v4, null, s19, v4, s0
	global_store_dword v[3:4], v5, off
.LBB371_43:
	;; [unrolled: 21-line block ×3, first 2 shown]
	s_or_b32 exec_lo, exec_lo, s1
	s_add_i32 s22, s22, -1
	s_cmp_eq_u32 s6, s22
	s_cselect_b32 s0, -1, 0
	s_xor_b32 s1, vcc_lo, -1
	s_and_b32 s1, s1, s0
	s_and_saveexec_b32 s0, s1
	s_cbranch_execz .LBB371_47
; %bb.46:
	ds_read_b32 v3, v11
	s_waitcnt lgkmcnt(0)
	v_add3_u32 v3, v9, v10, v3
	global_store_dword v11, v3, s[14:15]
.LBB371_47:
	s_or_b32 exec_lo, exec_lo, s0
	s_mov_b32 s0, 0
.LBB371_48:
	s_and_b32 vcc_lo, exec_lo, s0
	s_cbranch_vccz .LBB371_79
; %bb.49:
	s_lshl_b32 s0, s6, 12
	s_mov_b32 s1, 0
	v_lshlrev_b32_e32 v3, 4, v0
	v_lshlrev_b32_e32 v4, 2, v12
	s_lshl_b64 s[0:1], s[0:1], 2
	v_mov_b32_e32 v13, 0
	s_add_u32 s0, s16, s0
	s_addc_u32 s1, s17, s1
	v_and_b32_e32 v3, 0x3e00, v3
	v_add_co_u32 v4, s0, s0, v4
	v_add_co_ci_u32_e64 v5, null, s1, 0, s0
	s_add_u32 s1, s4, 0x58
	v_add_co_u32 v6, vcc_lo, v4, v3
	v_add_co_ci_u32_e64 v7, null, 0, v5, vcc_lo
	s_addc_u32 s2, s5, 0
	global_load_dword v8, v[6:7], off
	s_clause 0x1
	s_load_dword s0, s[4:5], 0x64
	s_load_dword s7, s[4:5], 0x58
	s_waitcnt lgkmcnt(0)
	s_lshr_b32 s3, s0, 16
	s_cmp_lt_u32 s6, s7
	v_mad_u32_u24 v1, v2, s3, v1
	s_cselect_b32 s0, 12, 18
	s_add_u32 s0, s1, s0
	s_addc_u32 s1, s2, 0
	global_load_ushort v10, v13, s[0:1]
	s_clause 0x2
	global_load_dword v5, v[6:7], off offset:128
	global_load_dword v4, v[6:7], off offset:256
	;; [unrolled: 1-line block ×3, first 2 shown]
	s_lshl_b32 s0, -1, s21
	s_not_b32 s8, s0
	s_waitcnt vmcnt(4)
	v_xor_b32_e32 v9, 0x7fffffff, v8
	v_lshrrev_b32_e32 v6, s20, v9
	v_and_b32_e32 v6, s8, v6
	v_and_b32_e32 v7, 1, v6
	v_lshlrev_b32_e32 v8, 30, v6
	v_lshlrev_b32_e32 v14, 29, v6
	;; [unrolled: 1-line block ×4, first 2 shown]
	v_add_co_u32 v7, s0, v7, -1
	v_cndmask_b32_e64 v16, 0, 1, s0
	v_not_b32_e32 v20, v8
	v_cmp_gt_i32_e64 s0, 0, v8
	v_not_b32_e32 v8, v14
	v_lshlrev_b32_e32 v18, 26, v6
	v_cmp_ne_u32_e32 vcc_lo, 0, v16
	v_ashrrev_i32_e32 v20, 31, v20
	v_lshlrev_b32_e32 v19, 25, v6
	v_ashrrev_i32_e32 v8, 31, v8
	v_lshlrev_b32_e32 v16, 24, v6
	v_xor_b32_e32 v7, vcc_lo, v7
	v_cmp_gt_i32_e32 vcc_lo, 0, v14
	v_not_b32_e32 v14, v15
	v_xor_b32_e32 v20, s0, v20
	v_cmp_gt_i32_e64 s0, 0, v15
	v_and_b32_e32 v7, exec_lo, v7
	v_not_b32_e32 v15, v17
	v_ashrrev_i32_e32 v14, 31, v14
	v_xor_b32_e32 v8, vcc_lo, v8
	v_cmp_gt_i32_e32 vcc_lo, 0, v17
	v_and_b32_e32 v7, v7, v20
	v_not_b32_e32 v17, v18
	v_ashrrev_i32_e32 v15, 31, v15
	v_xor_b32_e32 v14, s0, v14
	v_cmp_gt_i32_e64 s0, 0, v18
	v_and_b32_e32 v7, v7, v8
	v_not_b32_e32 v8, v19
	v_ashrrev_i32_e32 v17, 31, v17
	v_xor_b32_e32 v15, vcc_lo, v15
	v_cmp_gt_i32_e32 vcc_lo, 0, v19
	v_and_b32_e32 v7, v7, v14
	v_not_b32_e32 v14, v16
	v_ashrrev_i32_e32 v8, 31, v8
	v_xor_b32_e32 v17, s0, v17
	v_cmp_gt_i32_e64 s0, 0, v16
	v_and_b32_e32 v7, v7, v15
	v_ashrrev_i32_e32 v15, 31, v14
	v_xor_b32_e32 v8, vcc_lo, v8
	s_waitcnt vmcnt(3)
	v_mad_u64_u32 v[1:2], null, v1, v10, v[0:1]
	v_and_b32_e32 v7, v7, v17
	v_xor_b32_e32 v2, s0, v15
	v_mul_lo_u32 v6, 0x84, v6
	v_mul_u32_u24_e32 v14, 36, v0
	v_and_b32_e32 v7, v7, v8
	v_lshrrev_b32_e32 v1, 3, v1
	ds_write2_b32 v14, v13, v13 offset0:32 offset1:33
	ds_write2_b32 v14, v13, v13 offset0:34 offset1:35
	;; [unrolled: 1-line block ×3, first 2 shown]
	v_and_b32_e32 v2, v7, v2
	v_and_b32_e32 v1, 0x1ffffffc, v1
	ds_write2_b32 v14, v13, v13 offset0:38 offset1:39
	ds_write_b32 v14, v13 offset:160
	s_waitcnt vmcnt(0) lgkmcnt(0)
	s_waitcnt_vscnt null, 0x0
	s_barrier
	v_mbcnt_lo_u32_b32 v10, v2, 0
	v_cmp_ne_u32_e64 s0, 0, v2
	v_add_nc_u32_e32 v15, v1, v6
	buffer_gl0_inv
	v_cmp_eq_u32_e32 vcc_lo, 0, v10
	; wave barrier
	s_and_b32 s1, s0, vcc_lo
	s_and_saveexec_b32 s0, s1
; %bb.50:
	v_bcnt_u32_b32 v2, v2, 0
	ds_write_b32 v15, v2 offset:128
; %bb.51:
	s_or_b32 exec_lo, exec_lo, s0
	v_xor_b32_e32 v13, 0x7fffffff, v5
	; wave barrier
	v_lshrrev_b32_e32 v2, s20, v13
	v_and_b32_e32 v2, s8, v2
	v_and_b32_e32 v6, 1, v2
	v_lshlrev_b32_e32 v7, 30, v2
	v_lshlrev_b32_e32 v8, 29, v2
	;; [unrolled: 1-line block ×4, first 2 shown]
	v_add_co_u32 v6, s0, v6, -1
	v_cndmask_b32_e64 v17, 0, 1, s0
	v_not_b32_e32 v21, v7
	v_cmp_gt_i32_e64 s0, 0, v7
	v_not_b32_e32 v7, v8
	v_lshlrev_b32_e32 v19, 26, v2
	v_cmp_ne_u32_e32 vcc_lo, 0, v17
	v_ashrrev_i32_e32 v17, 31, v21
	v_lshlrev_b32_e32 v20, 25, v2
	v_ashrrev_i32_e32 v7, 31, v7
	v_mul_lo_u32 v5, 0x84, v2
	v_xor_b32_e32 v6, vcc_lo, v6
	v_cmp_gt_i32_e32 vcc_lo, 0, v8
	v_not_b32_e32 v8, v16
	v_xor_b32_e32 v17, s0, v17
	v_cmp_gt_i32_e64 s0, 0, v16
	v_and_b32_e32 v6, exec_lo, v6
	v_not_b32_e32 v16, v18
	v_ashrrev_i32_e32 v8, 31, v8
	v_xor_b32_e32 v7, vcc_lo, v7
	v_cmp_gt_i32_e32 vcc_lo, 0, v18
	v_and_b32_e32 v6, v6, v17
	v_not_b32_e32 v17, v19
	v_ashrrev_i32_e32 v16, 31, v16
	v_xor_b32_e32 v8, s0, v8
	v_lshlrev_b32_e32 v2, 24, v2
	v_and_b32_e32 v6, v6, v7
	v_cmp_gt_i32_e64 s0, 0, v19
	v_not_b32_e32 v7, v20
	v_ashrrev_i32_e32 v17, 31, v17
	v_xor_b32_e32 v16, vcc_lo, v16
	v_and_b32_e32 v6, v6, v8
	v_cmp_gt_i32_e32 vcc_lo, 0, v20
	v_not_b32_e32 v8, v2
	v_ashrrev_i32_e32 v7, 31, v7
	v_xor_b32_e32 v17, s0, v17
	v_and_b32_e32 v6, v6, v16
	v_cmp_gt_i32_e64 s0, 0, v2
	v_ashrrev_i32_e32 v2, 31, v8
	v_xor_b32_e32 v7, vcc_lo, v7
	v_add_nc_u32_e32 v19, v1, v5
	v_and_b32_e32 v6, v6, v17
	v_xor_b32_e32 v2, s0, v2
	ds_read_b32 v16, v19 offset:128
	v_and_b32_e32 v5, v6, v7
	; wave barrier
	v_and_b32_e32 v2, v5, v2
	v_mbcnt_lo_u32_b32 v18, v2, 0
	v_cmp_ne_u32_e64 s0, 0, v2
	v_cmp_eq_u32_e32 vcc_lo, 0, v18
	s_and_b32 s1, s0, vcc_lo
	s_and_saveexec_b32 s0, s1
	s_cbranch_execz .LBB371_53
; %bb.52:
	s_waitcnt lgkmcnt(0)
	v_bcnt_u32_b32 v2, v2, v16
	ds_write_b32 v19, v2 offset:128
.LBB371_53:
	s_or_b32 exec_lo, exec_lo, s0
	v_xor_b32_e32 v17, 0x7fffffff, v4
	; wave barrier
	v_lshrrev_b32_e32 v2, s20, v17
	v_and_b32_e32 v2, s8, v2
	v_and_b32_e32 v5, 1, v2
	v_lshlrev_b32_e32 v6, 30, v2
	v_lshlrev_b32_e32 v7, 29, v2
	;; [unrolled: 1-line block ×4, first 2 shown]
	v_add_co_u32 v5, s0, v5, -1
	v_cndmask_b32_e64 v20, 0, 1, s0
	v_not_b32_e32 v24, v6
	v_cmp_gt_i32_e64 s0, 0, v6
	v_not_b32_e32 v6, v7
	v_lshlrev_b32_e32 v22, 26, v2
	v_cmp_ne_u32_e32 vcc_lo, 0, v20
	v_ashrrev_i32_e32 v20, 31, v24
	v_lshlrev_b32_e32 v23, 25, v2
	v_ashrrev_i32_e32 v6, 31, v6
	v_mul_lo_u32 v4, 0x84, v2
	v_xor_b32_e32 v5, vcc_lo, v5
	v_cmp_gt_i32_e32 vcc_lo, 0, v7
	v_not_b32_e32 v7, v8
	v_xor_b32_e32 v20, s0, v20
	v_cmp_gt_i32_e64 s0, 0, v8
	v_and_b32_e32 v5, exec_lo, v5
	v_not_b32_e32 v8, v21
	v_ashrrev_i32_e32 v7, 31, v7
	v_xor_b32_e32 v6, vcc_lo, v6
	v_cmp_gt_i32_e32 vcc_lo, 0, v21
	v_and_b32_e32 v5, v5, v20
	v_not_b32_e32 v20, v22
	v_ashrrev_i32_e32 v8, 31, v8
	v_xor_b32_e32 v7, s0, v7
	v_lshlrev_b32_e32 v2, 24, v2
	v_and_b32_e32 v5, v5, v6
	v_cmp_gt_i32_e64 s0, 0, v22
	v_not_b32_e32 v6, v23
	v_ashrrev_i32_e32 v20, 31, v20
	v_xor_b32_e32 v8, vcc_lo, v8
	v_and_b32_e32 v5, v5, v7
	v_cmp_gt_i32_e32 vcc_lo, 0, v23
	v_not_b32_e32 v7, v2
	v_ashrrev_i32_e32 v6, 31, v6
	v_xor_b32_e32 v20, s0, v20
	v_and_b32_e32 v5, v5, v8
	v_cmp_gt_i32_e64 s0, 0, v2
	v_ashrrev_i32_e32 v2, 31, v7
	v_xor_b32_e32 v6, vcc_lo, v6
	v_add_nc_u32_e32 v23, v1, v4
	v_and_b32_e32 v5, v5, v20
	v_xor_b32_e32 v2, s0, v2
	ds_read_b32 v20, v23 offset:128
	v_and_b32_e32 v4, v5, v6
	; wave barrier
	v_and_b32_e32 v2, v4, v2
	v_mbcnt_lo_u32_b32 v22, v2, 0
	v_cmp_ne_u32_e64 s0, 0, v2
	v_cmp_eq_u32_e32 vcc_lo, 0, v22
	s_and_b32 s1, s0, vcc_lo
	s_and_saveexec_b32 s0, s1
	s_cbranch_execz .LBB371_55
; %bb.54:
	s_waitcnt lgkmcnt(0)
	v_bcnt_u32_b32 v2, v2, v20
	ds_write_b32 v23, v2 offset:128
.LBB371_55:
	s_or_b32 exec_lo, exec_lo, s0
	v_xor_b32_e32 v21, 0x7fffffff, v3
	; wave barrier
	v_lshrrev_b32_e32 v2, s20, v21
	v_and_b32_e32 v2, s8, v2
	v_and_b32_e32 v4, 1, v2
	v_lshlrev_b32_e32 v5, 30, v2
	v_lshlrev_b32_e32 v6, 29, v2
	;; [unrolled: 1-line block ×4, first 2 shown]
	v_add_co_u32 v4, s0, v4, -1
	v_cndmask_b32_e64 v8, 0, 1, s0
	v_not_b32_e32 v27, v5
	v_cmp_gt_i32_e64 s0, 0, v5
	v_not_b32_e32 v5, v6
	v_lshlrev_b32_e32 v25, 26, v2
	v_cmp_ne_u32_e32 vcc_lo, 0, v8
	v_ashrrev_i32_e32 v8, 31, v27
	v_lshlrev_b32_e32 v26, 25, v2
	v_ashrrev_i32_e32 v5, 31, v5
	v_mul_lo_u32 v3, 0x84, v2
	v_xor_b32_e32 v4, vcc_lo, v4
	v_cmp_gt_i32_e32 vcc_lo, 0, v6
	v_not_b32_e32 v6, v7
	v_xor_b32_e32 v8, s0, v8
	v_cmp_gt_i32_e64 s0, 0, v7
	v_and_b32_e32 v4, exec_lo, v4
	v_not_b32_e32 v7, v24
	v_ashrrev_i32_e32 v6, 31, v6
	v_xor_b32_e32 v5, vcc_lo, v5
	v_cmp_gt_i32_e32 vcc_lo, 0, v24
	v_and_b32_e32 v4, v4, v8
	v_not_b32_e32 v8, v25
	v_ashrrev_i32_e32 v7, 31, v7
	v_xor_b32_e32 v6, s0, v6
	v_lshlrev_b32_e32 v2, 24, v2
	v_and_b32_e32 v4, v4, v5
	v_cmp_gt_i32_e64 s0, 0, v25
	v_not_b32_e32 v5, v26
	v_ashrrev_i32_e32 v8, 31, v8
	v_xor_b32_e32 v7, vcc_lo, v7
	v_and_b32_e32 v4, v4, v6
	v_cmp_gt_i32_e32 vcc_lo, 0, v26
	v_not_b32_e32 v6, v2
	v_ashrrev_i32_e32 v5, 31, v5
	v_xor_b32_e32 v8, s0, v8
	v_and_b32_e32 v4, v4, v7
	v_cmp_gt_i32_e64 s0, 0, v2
	v_ashrrev_i32_e32 v2, 31, v6
	v_xor_b32_e32 v5, vcc_lo, v5
	v_add_nc_u32_e32 v26, v1, v3
	v_and_b32_e32 v4, v4, v8
	v_xor_b32_e32 v1, s0, v2
	ds_read_b32 v24, v26 offset:128
	v_and_b32_e32 v2, v4, v5
	; wave barrier
	v_and_b32_e32 v1, v2, v1
	v_mbcnt_lo_u32_b32 v25, v1, 0
	v_cmp_ne_u32_e64 s0, 0, v1
	v_cmp_eq_u32_e32 vcc_lo, 0, v25
	s_and_b32 s1, s0, vcc_lo
	s_and_saveexec_b32 s0, s1
	s_cbranch_execz .LBB371_57
; %bb.56:
	s_waitcnt lgkmcnt(0)
	v_bcnt_u32_b32 v1, v1, v24
	ds_write_b32 v26, v1 offset:128
.LBB371_57:
	s_or_b32 exec_lo, exec_lo, s0
	; wave barrier
	s_waitcnt lgkmcnt(0)
	s_barrier
	buffer_gl0_inv
	ds_read2_b32 v[7:8], v14 offset0:32 offset1:33
	ds_read2_b32 v[5:6], v14 offset0:34 offset1:35
	ds_read2_b32 v[3:4], v14 offset0:36 offset1:37
	ds_read2_b32 v[1:2], v14 offset0:38 offset1:39
	ds_read_b32 v27, v14 offset:160
	v_and_b32_e32 v30, 16, v12
	v_and_b32_e32 v31, 31, v0
	s_mov_b32 s5, exec_lo
	v_cmp_eq_u32_e64 s3, 0, v30
	s_waitcnt lgkmcnt(3)
	v_add3_u32 v28, v8, v7, v5
	s_waitcnt lgkmcnt(2)
	v_add3_u32 v28, v28, v6, v3
	;; [unrolled: 2-line block ×4, first 2 shown]
	v_and_b32_e32 v28, 15, v12
	v_mov_b32_dpp v29, v27 row_shr:1 row_mask:0xf bank_mask:0xf
	v_cmp_eq_u32_e32 vcc_lo, 0, v28
	v_cmp_lt_u32_e64 s0, 1, v28
	v_cmp_lt_u32_e64 s1, 3, v28
	v_cmp_lt_u32_e64 s2, 7, v28
	v_cndmask_b32_e64 v29, v29, 0, vcc_lo
	v_add_nc_u32_e32 v27, v29, v27
	v_mov_b32_dpp v29, v27 row_shr:2 row_mask:0xf bank_mask:0xf
	v_cndmask_b32_e64 v29, 0, v29, s0
	v_add_nc_u32_e32 v27, v27, v29
	v_mov_b32_dpp v29, v27 row_shr:4 row_mask:0xf bank_mask:0xf
	v_cndmask_b32_e64 v29, 0, v29, s1
	;; [unrolled: 3-line block ×3, first 2 shown]
	v_bfe_i32 v29, v12, 4, 1
	v_add_nc_u32_e32 v27, v27, v28
	ds_swizzle_b32 v28, v27 offset:swizzle(BROADCAST,32,15)
	s_waitcnt lgkmcnt(0)
	v_and_b32_e32 v29, v29, v28
	v_lshrrev_b32_e32 v28, 5, v0
	v_add_nc_u32_e32 v27, v27, v29
	v_cmpx_eq_u32_e32 31, v31
; %bb.58:
	v_lshlrev_b32_e32 v29, 2, v28
	ds_write_b32 v29, v27
; %bb.59:
	s_or_b32 exec_lo, exec_lo, s5
	v_cmp_lt_u32_e64 s4, 31, v0
	s_mov_b32 s9, exec_lo
	s_waitcnt lgkmcnt(0)
	s_barrier
	buffer_gl0_inv
	v_cmpx_gt_u32_e32 32, v0
	s_cbranch_execz .LBB371_61
; %bb.60:
	ds_read_b32 v29, v11
	s_waitcnt lgkmcnt(0)
	v_mov_b32_dpp v30, v29 row_shr:1 row_mask:0xf bank_mask:0xf
	v_cndmask_b32_e64 v30, v30, 0, vcc_lo
	v_add_nc_u32_e32 v29, v30, v29
	v_mov_b32_dpp v30, v29 row_shr:2 row_mask:0xf bank_mask:0xf
	v_cndmask_b32_e64 v30, 0, v30, s0
	v_add_nc_u32_e32 v29, v29, v30
	v_mov_b32_dpp v30, v29 row_shr:4 row_mask:0xf bank_mask:0xf
	v_cndmask_b32_e64 v30, 0, v30, s1
	;; [unrolled: 3-line block ×3, first 2 shown]
	v_add_nc_u32_e32 v29, v29, v30
	ds_swizzle_b32 v30, v29 offset:swizzle(BROADCAST,32,15)
	s_waitcnt lgkmcnt(0)
	v_cndmask_b32_e64 v30, v30, 0, s3
	v_add_nc_u32_e32 v29, v29, v30
	ds_write_b32 v11, v29
.LBB371_61:
	s_or_b32 exec_lo, exec_lo, s9
	v_mov_b32_e32 v29, 0
	s_waitcnt lgkmcnt(0)
	s_barrier
	buffer_gl0_inv
	s_and_saveexec_b32 s0, s4
; %bb.62:
	v_lshl_add_u32 v28, v28, 2, -4
	ds_read_b32 v29, v28
; %bb.63:
	s_or_b32 exec_lo, exec_lo, s0
	v_sub_co_u32 v28, vcc_lo, v12, 1
	s_waitcnt lgkmcnt(0)
	v_add_nc_u32_e32 v27, v29, v27
	v_cmp_gt_i32_e64 s0, 0, v28
	v_cndmask_b32_e64 v12, v28, v12, s0
	v_cmp_gt_u32_e64 s0, 0x100, v0
	v_lshlrev_b32_e32 v12, 2, v12
	ds_bpermute_b32 v12, v12, v27
	s_waitcnt lgkmcnt(0)
	v_cndmask_b32_e32 v12, v12, v29, vcc_lo
	v_cmp_ne_u32_e32 vcc_lo, 0, v0
	v_cndmask_b32_e32 v12, 0, v12, vcc_lo
	v_cmp_lt_u32_e32 vcc_lo, 0xff, v0
	v_add_nc_u32_e32 v7, v12, v7
	v_add_nc_u32_e32 v8, v7, v8
	;; [unrolled: 1-line block ×8, first 2 shown]
	ds_write2_b32 v14, v12, v7 offset0:32 offset1:33
	ds_write2_b32 v14, v8, v5 offset0:34 offset1:35
	;; [unrolled: 1-line block ×4, first 2 shown]
	ds_write_b32 v14, v2 offset:160
	s_waitcnt lgkmcnt(0)
	s_barrier
	buffer_gl0_inv
	ds_read_b32 v1, v15 offset:128
	ds_read_b32 v4, v19 offset:128
	;; [unrolled: 1-line block ×4, first 2 shown]
                                        ; implicit-def: $vgpr7
                                        ; implicit-def: $vgpr8
	s_and_saveexec_b32 s2, s0
	s_cbranch_execz .LBB371_67
; %bb.64:
	v_mul_u32_u24_e32 v5, 0x84, v0
	v_add_nc_u32_e32 v6, 1, v0
	s_mov_b32 s3, exec_lo
	ds_read_b32 v7, v5 offset:128
	v_mov_b32_e32 v5, 0x1000
	v_cmpx_ne_u32_e32 0x100, v6
; %bb.65:
	v_mul_u32_u24_e32 v5, 0x84, v6
	ds_read_b32 v5, v5 offset:128
; %bb.66:
	s_or_b32 exec_lo, exec_lo, s3
	s_waitcnt lgkmcnt(0)
	v_sub_nc_u32_e32 v8, v5, v7
.LBB371_67:
	s_or_b32 exec_lo, exec_lo, s2
	v_lshlrev_b32_e32 v5, 2, v10
	v_lshlrev_b32_e32 v10, 2, v16
	;; [unrolled: 1-line block ×4, first 2 shown]
	s_waitcnt lgkmcnt(0)
	v_lshlrev_b32_e32 v2, 2, v2
	v_lshlrev_b32_e32 v6, 2, v18
	;; [unrolled: 1-line block ×6, first 2 shown]
	v_lshl_add_u32 v1, v1, 2, v5
	v_add3_u32 v5, v15, v16, v2
	v_mov_b32_e32 v2, 0
	v_add3_u32 v4, v6, v10, v4
	v_add3_u32 v3, v12, v14, v3
	s_barrier
	buffer_gl0_inv
	ds_write_b32 v1, v9 offset:1024
	ds_write_b32 v4, v13 offset:1024
	;; [unrolled: 1-line block ×4, first 2 shown]
	s_and_saveexec_b32 s1, s0
	s_cbranch_execz .LBB371_77
; %bb.68:
	v_lshl_add_u32 v1, s6, 8, v0
	v_mov_b32_e32 v9, 0
	s_mov_b32 s2, 0
	s_mov_b32 s3, s6
	v_lshlrev_b64 v[3:4], 2, v[1:2]
	v_or_b32_e32 v1, 2.0, v8
	v_add_co_u32 v3, s0, s10, v3
	v_add_co_ci_u32_e64 v4, null, s11, v4, s0
                                        ; implicit-def: $sgpr0
	global_store_dword v[3:4], v1, off
	s_branch .LBB371_71
	.p2align	6
.LBB371_69:                             ;   in Loop: Header=BB371_71 Depth=1
	s_or_b32 exec_lo, exec_lo, s5
.LBB371_70:                             ;   in Loop: Header=BB371_71 Depth=1
	s_or_b32 exec_lo, exec_lo, s4
	v_and_b32_e32 v5, 0x3fffffff, v1
	v_cmp_gt_i32_e64 s0, -2.0, v1
	v_add_nc_u32_e32 v9, v5, v9
	s_and_b32 s4, exec_lo, s0
	s_or_b32 s2, s4, s2
	s_andn2_b32 exec_lo, exec_lo, s2
	s_cbranch_execz .LBB371_76
.LBB371_71:                             ; =>This Loop Header: Depth=1
                                        ;     Child Loop BB371_74 Depth 2
	s_or_b32 s0, s0, exec_lo
	s_cmp_eq_u32 s3, 0
	s_cbranch_scc1 .LBB371_75
; %bb.72:                               ;   in Loop: Header=BB371_71 Depth=1
	s_add_i32 s3, s3, -1
	s_mov_b32 s4, exec_lo
	v_lshl_or_b32 v1, s3, 8, v0
	v_lshlrev_b64 v[5:6], 2, v[1:2]
	v_add_co_u32 v5, s0, s10, v5
	v_add_co_ci_u32_e64 v6, null, s11, v6, s0
	global_load_dword v1, v[5:6], off glc dlc
	s_waitcnt vmcnt(0)
	v_cmpx_gt_u32_e32 2.0, v1
	s_cbranch_execz .LBB371_70
; %bb.73:                               ;   in Loop: Header=BB371_71 Depth=1
	s_mov_b32 s5, 0
.LBB371_74:                             ;   Parent Loop BB371_71 Depth=1
                                        ; =>  This Inner Loop Header: Depth=2
	global_load_dword v1, v[5:6], off glc dlc
	s_waitcnt vmcnt(0)
	v_cmp_lt_u32_e64 s0, 0x3fffffff, v1
	s_or_b32 s5, s0, s5
	s_andn2_b32 exec_lo, exec_lo, s5
	s_cbranch_execnz .LBB371_74
	s_branch .LBB371_69
.LBB371_75:                             ;   in Loop: Header=BB371_71 Depth=1
                                        ; implicit-def: $sgpr3
	s_and_b32 s4, exec_lo, s0
	s_or_b32 s2, s4, s2
	s_andn2_b32 exec_lo, exec_lo, s2
	s_cbranch_execnz .LBB371_71
.LBB371_76:
	s_or_b32 exec_lo, exec_lo, s2
	v_add_nc_u32_e32 v1, v9, v8
	v_sub_nc_u32_e32 v2, v9, v7
	v_or_b32_e32 v1, 0x80000000, v1
	global_store_dword v[3:4], v1, off
	global_load_dword v1, v11, s[12:13]
	s_waitcnt vmcnt(0)
	v_add_nc_u32_e32 v1, v2, v1
	ds_write_b32 v11, v1
.LBB371_77:
	s_or_b32 exec_lo, exec_lo, s1
	s_waitcnt lgkmcnt(0)
	s_waitcnt_vscnt null, 0x0
	s_barrier
	buffer_gl0_inv
	ds_read2st64_b32 v[1:2], v11 offset0:4 offset1:20
	ds_read2st64_b32 v[3:4], v11 offset0:36 offset1:52
	s_add_i32 s7, s7, -1
	s_cmp_eq_u32 s6, s7
	s_waitcnt lgkmcnt(1)
	v_lshrrev_b32_e32 v5, s20, v1
	v_lshrrev_b32_e32 v6, s20, v2
	s_waitcnt lgkmcnt(0)
	v_lshrrev_b32_e32 v9, s20, v3
	v_lshrrev_b32_e32 v10, s20, v4
	v_xor_b32_e32 v15, 0x7fffffff, v1
	v_and_b32_e32 v5, s8, v5
	v_and_b32_e32 v6, s8, v6
	;; [unrolled: 1-line block ×3, first 2 shown]
	v_xor_b32_e32 v16, 0x7fffffff, v2
	v_xor_b32_e32 v4, 0x7fffffff, v4
	v_lshlrev_b32_e32 v5, 2, v5
	v_lshlrev_b32_e32 v6, 2, v6
	ds_read_b32 v5, v5
	ds_read_b32 v12, v6
	v_lshlrev_b32_e32 v6, 2, v9
	v_and_b32_e32 v9, s8, v10
	ds_read_b32 v13, v6
	v_lshlrev_b32_e32 v6, 2, v9
	ds_read_b32 v14, v6
	v_mov_b32_e32 v6, 0
	s_waitcnt lgkmcnt(3)
	v_add_nc_u32_e32 v5, v5, v0
	v_lshlrev_b64 v[9:10], 2, v[5:6]
	s_waitcnt lgkmcnt(2)
	v_add3_u32 v5, v12, v0, 0x400
	v_lshlrev_b64 v[1:2], 2, v[5:6]
	s_waitcnt lgkmcnt(1)
	v_add3_u32 v5, v13, v0, 0x800
	v_add_co_u32 v9, s0, s18, v9
	v_add_co_ci_u32_e64 v10, null, s19, v10, s0
	v_lshlrev_b64 v[12:13], 2, v[5:6]
	s_waitcnt lgkmcnt(0)
	v_add3_u32 v5, v14, v0, 0xc00
	v_add_co_u32 v0, s0, s18, v1
	v_add_co_ci_u32_e64 v1, null, s19, v2, s0
	v_xor_b32_e32 v14, 0x7fffffff, v3
	v_lshlrev_b64 v[2:3], 2, v[5:6]
	global_store_dword v[9:10], v15, off
	global_store_dword v[0:1], v16, off
	v_add_co_u32 v0, s0, s18, v12
	v_add_co_ci_u32_e64 v1, null, s19, v13, s0
	v_add_co_u32 v2, s0, s18, v2
	v_add_co_ci_u32_e64 v3, null, s19, v3, s0
	s_cselect_b32 s0, -1, 0
	s_xor_b32 s1, vcc_lo, -1
	global_store_dword v[0:1], v14, off
	s_and_b32 s0, s1, s0
	global_store_dword v[2:3], v4, off
	s_and_saveexec_b32 s1, s0
	s_cbranch_execz .LBB371_79
; %bb.78:
	ds_read_b32 v0, v11
	s_waitcnt lgkmcnt(0)
	v_add3_u32 v0, v7, v8, v0
	global_store_dword v11, v0, s[14:15]
.LBB371_79:
	s_endpgm
	.section	.rodata,"a",@progbits
	.p2align	6, 0x0
	.amdhsa_kernel _ZN7rocprim17ROCPRIM_400000_NS6detail17trampoline_kernelINS0_14default_configENS1_35radix_sort_onesweep_config_selectorIiNS0_10empty_typeEEEZZNS1_29radix_sort_onesweep_iterationIS3_Lb1EN6thrust23THRUST_200600_302600_NS6detail15normal_iteratorINS9_10device_ptrIiEEEESE_PS5_SF_jNS0_19identity_decomposerENS1_16block_id_wrapperIjLb0EEEEE10hipError_tT1_PNSt15iterator_traitsISK_E10value_typeET2_T3_PNSL_ISQ_E10value_typeET4_T5_PSV_SW_PNS1_23onesweep_lookback_stateEbbT6_jjT7_P12ihipStream_tbENKUlT_T0_SK_SP_E_clISE_SE_SF_SF_EEDaS13_S14_SK_SP_EUlS13_E_NS1_11comp_targetILNS1_3genE8ELNS1_11target_archE1030ELNS1_3gpuE2ELNS1_3repE0EEENS1_47radix_sort_onesweep_sort_config_static_selectorELNS0_4arch9wavefront6targetE0EEEvSK_
		.amdhsa_group_segment_fixed_size 37000
		.amdhsa_private_segment_fixed_size 0
		.amdhsa_kernarg_size 344
		.amdhsa_user_sgpr_count 6
		.amdhsa_user_sgpr_private_segment_buffer 1
		.amdhsa_user_sgpr_dispatch_ptr 0
		.amdhsa_user_sgpr_queue_ptr 0
		.amdhsa_user_sgpr_kernarg_segment_ptr 1
		.amdhsa_user_sgpr_dispatch_id 0
		.amdhsa_user_sgpr_flat_scratch_init 0
		.amdhsa_user_sgpr_private_segment_size 0
		.amdhsa_wavefront_size32 1
		.amdhsa_uses_dynamic_stack 0
		.amdhsa_system_sgpr_private_segment_wavefront_offset 0
		.amdhsa_system_sgpr_workgroup_id_x 1
		.amdhsa_system_sgpr_workgroup_id_y 0
		.amdhsa_system_sgpr_workgroup_id_z 0
		.amdhsa_system_sgpr_workgroup_info 0
		.amdhsa_system_vgpr_workitem_id 2
		.amdhsa_next_free_vgpr 34
		.amdhsa_next_free_sgpr 25
		.amdhsa_reserve_vcc 1
		.amdhsa_reserve_flat_scratch 0
		.amdhsa_float_round_mode_32 0
		.amdhsa_float_round_mode_16_64 0
		.amdhsa_float_denorm_mode_32 3
		.amdhsa_float_denorm_mode_16_64 3
		.amdhsa_dx10_clamp 1
		.amdhsa_ieee_mode 1
		.amdhsa_fp16_overflow 0
		.amdhsa_workgroup_processor_mode 1
		.amdhsa_memory_ordered 1
		.amdhsa_forward_progress 1
		.amdhsa_shared_vgpr_count 0
		.amdhsa_exception_fp_ieee_invalid_op 0
		.amdhsa_exception_fp_denorm_src 0
		.amdhsa_exception_fp_ieee_div_zero 0
		.amdhsa_exception_fp_ieee_overflow 0
		.amdhsa_exception_fp_ieee_underflow 0
		.amdhsa_exception_fp_ieee_inexact 0
		.amdhsa_exception_int_div_zero 0
	.end_amdhsa_kernel
	.section	.text._ZN7rocprim17ROCPRIM_400000_NS6detail17trampoline_kernelINS0_14default_configENS1_35radix_sort_onesweep_config_selectorIiNS0_10empty_typeEEEZZNS1_29radix_sort_onesweep_iterationIS3_Lb1EN6thrust23THRUST_200600_302600_NS6detail15normal_iteratorINS9_10device_ptrIiEEEESE_PS5_SF_jNS0_19identity_decomposerENS1_16block_id_wrapperIjLb0EEEEE10hipError_tT1_PNSt15iterator_traitsISK_E10value_typeET2_T3_PNSL_ISQ_E10value_typeET4_T5_PSV_SW_PNS1_23onesweep_lookback_stateEbbT6_jjT7_P12ihipStream_tbENKUlT_T0_SK_SP_E_clISE_SE_SF_SF_EEDaS13_S14_SK_SP_EUlS13_E_NS1_11comp_targetILNS1_3genE8ELNS1_11target_archE1030ELNS1_3gpuE2ELNS1_3repE0EEENS1_47radix_sort_onesweep_sort_config_static_selectorELNS0_4arch9wavefront6targetE0EEEvSK_,"axG",@progbits,_ZN7rocprim17ROCPRIM_400000_NS6detail17trampoline_kernelINS0_14default_configENS1_35radix_sort_onesweep_config_selectorIiNS0_10empty_typeEEEZZNS1_29radix_sort_onesweep_iterationIS3_Lb1EN6thrust23THRUST_200600_302600_NS6detail15normal_iteratorINS9_10device_ptrIiEEEESE_PS5_SF_jNS0_19identity_decomposerENS1_16block_id_wrapperIjLb0EEEEE10hipError_tT1_PNSt15iterator_traitsISK_E10value_typeET2_T3_PNSL_ISQ_E10value_typeET4_T5_PSV_SW_PNS1_23onesweep_lookback_stateEbbT6_jjT7_P12ihipStream_tbENKUlT_T0_SK_SP_E_clISE_SE_SF_SF_EEDaS13_S14_SK_SP_EUlS13_E_NS1_11comp_targetILNS1_3genE8ELNS1_11target_archE1030ELNS1_3gpuE2ELNS1_3repE0EEENS1_47radix_sort_onesweep_sort_config_static_selectorELNS0_4arch9wavefront6targetE0EEEvSK_,comdat
.Lfunc_end371:
	.size	_ZN7rocprim17ROCPRIM_400000_NS6detail17trampoline_kernelINS0_14default_configENS1_35radix_sort_onesweep_config_selectorIiNS0_10empty_typeEEEZZNS1_29radix_sort_onesweep_iterationIS3_Lb1EN6thrust23THRUST_200600_302600_NS6detail15normal_iteratorINS9_10device_ptrIiEEEESE_PS5_SF_jNS0_19identity_decomposerENS1_16block_id_wrapperIjLb0EEEEE10hipError_tT1_PNSt15iterator_traitsISK_E10value_typeET2_T3_PNSL_ISQ_E10value_typeET4_T5_PSV_SW_PNS1_23onesweep_lookback_stateEbbT6_jjT7_P12ihipStream_tbENKUlT_T0_SK_SP_E_clISE_SE_SF_SF_EEDaS13_S14_SK_SP_EUlS13_E_NS1_11comp_targetILNS1_3genE8ELNS1_11target_archE1030ELNS1_3gpuE2ELNS1_3repE0EEENS1_47radix_sort_onesweep_sort_config_static_selectorELNS0_4arch9wavefront6targetE0EEEvSK_, .Lfunc_end371-_ZN7rocprim17ROCPRIM_400000_NS6detail17trampoline_kernelINS0_14default_configENS1_35radix_sort_onesweep_config_selectorIiNS0_10empty_typeEEEZZNS1_29radix_sort_onesweep_iterationIS3_Lb1EN6thrust23THRUST_200600_302600_NS6detail15normal_iteratorINS9_10device_ptrIiEEEESE_PS5_SF_jNS0_19identity_decomposerENS1_16block_id_wrapperIjLb0EEEEE10hipError_tT1_PNSt15iterator_traitsISK_E10value_typeET2_T3_PNSL_ISQ_E10value_typeET4_T5_PSV_SW_PNS1_23onesweep_lookback_stateEbbT6_jjT7_P12ihipStream_tbENKUlT_T0_SK_SP_E_clISE_SE_SF_SF_EEDaS13_S14_SK_SP_EUlS13_E_NS1_11comp_targetILNS1_3genE8ELNS1_11target_archE1030ELNS1_3gpuE2ELNS1_3repE0EEENS1_47radix_sort_onesweep_sort_config_static_selectorELNS0_4arch9wavefront6targetE0EEEvSK_
                                        ; -- End function
	.set _ZN7rocprim17ROCPRIM_400000_NS6detail17trampoline_kernelINS0_14default_configENS1_35radix_sort_onesweep_config_selectorIiNS0_10empty_typeEEEZZNS1_29radix_sort_onesweep_iterationIS3_Lb1EN6thrust23THRUST_200600_302600_NS6detail15normal_iteratorINS9_10device_ptrIiEEEESE_PS5_SF_jNS0_19identity_decomposerENS1_16block_id_wrapperIjLb0EEEEE10hipError_tT1_PNSt15iterator_traitsISK_E10value_typeET2_T3_PNSL_ISQ_E10value_typeET4_T5_PSV_SW_PNS1_23onesweep_lookback_stateEbbT6_jjT7_P12ihipStream_tbENKUlT_T0_SK_SP_E_clISE_SE_SF_SF_EEDaS13_S14_SK_SP_EUlS13_E_NS1_11comp_targetILNS1_3genE8ELNS1_11target_archE1030ELNS1_3gpuE2ELNS1_3repE0EEENS1_47radix_sort_onesweep_sort_config_static_selectorELNS0_4arch9wavefront6targetE0EEEvSK_.num_vgpr, 34
	.set _ZN7rocprim17ROCPRIM_400000_NS6detail17trampoline_kernelINS0_14default_configENS1_35radix_sort_onesweep_config_selectorIiNS0_10empty_typeEEEZZNS1_29radix_sort_onesweep_iterationIS3_Lb1EN6thrust23THRUST_200600_302600_NS6detail15normal_iteratorINS9_10device_ptrIiEEEESE_PS5_SF_jNS0_19identity_decomposerENS1_16block_id_wrapperIjLb0EEEEE10hipError_tT1_PNSt15iterator_traitsISK_E10value_typeET2_T3_PNSL_ISQ_E10value_typeET4_T5_PSV_SW_PNS1_23onesweep_lookback_stateEbbT6_jjT7_P12ihipStream_tbENKUlT_T0_SK_SP_E_clISE_SE_SF_SF_EEDaS13_S14_SK_SP_EUlS13_E_NS1_11comp_targetILNS1_3genE8ELNS1_11target_archE1030ELNS1_3gpuE2ELNS1_3repE0EEENS1_47radix_sort_onesweep_sort_config_static_selectorELNS0_4arch9wavefront6targetE0EEEvSK_.num_agpr, 0
	.set _ZN7rocprim17ROCPRIM_400000_NS6detail17trampoline_kernelINS0_14default_configENS1_35radix_sort_onesweep_config_selectorIiNS0_10empty_typeEEEZZNS1_29radix_sort_onesweep_iterationIS3_Lb1EN6thrust23THRUST_200600_302600_NS6detail15normal_iteratorINS9_10device_ptrIiEEEESE_PS5_SF_jNS0_19identity_decomposerENS1_16block_id_wrapperIjLb0EEEEE10hipError_tT1_PNSt15iterator_traitsISK_E10value_typeET2_T3_PNSL_ISQ_E10value_typeET4_T5_PSV_SW_PNS1_23onesweep_lookback_stateEbbT6_jjT7_P12ihipStream_tbENKUlT_T0_SK_SP_E_clISE_SE_SF_SF_EEDaS13_S14_SK_SP_EUlS13_E_NS1_11comp_targetILNS1_3genE8ELNS1_11target_archE1030ELNS1_3gpuE2ELNS1_3repE0EEENS1_47radix_sort_onesweep_sort_config_static_selectorELNS0_4arch9wavefront6targetE0EEEvSK_.numbered_sgpr, 25
	.set _ZN7rocprim17ROCPRIM_400000_NS6detail17trampoline_kernelINS0_14default_configENS1_35radix_sort_onesweep_config_selectorIiNS0_10empty_typeEEEZZNS1_29radix_sort_onesweep_iterationIS3_Lb1EN6thrust23THRUST_200600_302600_NS6detail15normal_iteratorINS9_10device_ptrIiEEEESE_PS5_SF_jNS0_19identity_decomposerENS1_16block_id_wrapperIjLb0EEEEE10hipError_tT1_PNSt15iterator_traitsISK_E10value_typeET2_T3_PNSL_ISQ_E10value_typeET4_T5_PSV_SW_PNS1_23onesweep_lookback_stateEbbT6_jjT7_P12ihipStream_tbENKUlT_T0_SK_SP_E_clISE_SE_SF_SF_EEDaS13_S14_SK_SP_EUlS13_E_NS1_11comp_targetILNS1_3genE8ELNS1_11target_archE1030ELNS1_3gpuE2ELNS1_3repE0EEENS1_47radix_sort_onesweep_sort_config_static_selectorELNS0_4arch9wavefront6targetE0EEEvSK_.num_named_barrier, 0
	.set _ZN7rocprim17ROCPRIM_400000_NS6detail17trampoline_kernelINS0_14default_configENS1_35radix_sort_onesweep_config_selectorIiNS0_10empty_typeEEEZZNS1_29radix_sort_onesweep_iterationIS3_Lb1EN6thrust23THRUST_200600_302600_NS6detail15normal_iteratorINS9_10device_ptrIiEEEESE_PS5_SF_jNS0_19identity_decomposerENS1_16block_id_wrapperIjLb0EEEEE10hipError_tT1_PNSt15iterator_traitsISK_E10value_typeET2_T3_PNSL_ISQ_E10value_typeET4_T5_PSV_SW_PNS1_23onesweep_lookback_stateEbbT6_jjT7_P12ihipStream_tbENKUlT_T0_SK_SP_E_clISE_SE_SF_SF_EEDaS13_S14_SK_SP_EUlS13_E_NS1_11comp_targetILNS1_3genE8ELNS1_11target_archE1030ELNS1_3gpuE2ELNS1_3repE0EEENS1_47radix_sort_onesweep_sort_config_static_selectorELNS0_4arch9wavefront6targetE0EEEvSK_.private_seg_size, 0
	.set _ZN7rocprim17ROCPRIM_400000_NS6detail17trampoline_kernelINS0_14default_configENS1_35radix_sort_onesweep_config_selectorIiNS0_10empty_typeEEEZZNS1_29radix_sort_onesweep_iterationIS3_Lb1EN6thrust23THRUST_200600_302600_NS6detail15normal_iteratorINS9_10device_ptrIiEEEESE_PS5_SF_jNS0_19identity_decomposerENS1_16block_id_wrapperIjLb0EEEEE10hipError_tT1_PNSt15iterator_traitsISK_E10value_typeET2_T3_PNSL_ISQ_E10value_typeET4_T5_PSV_SW_PNS1_23onesweep_lookback_stateEbbT6_jjT7_P12ihipStream_tbENKUlT_T0_SK_SP_E_clISE_SE_SF_SF_EEDaS13_S14_SK_SP_EUlS13_E_NS1_11comp_targetILNS1_3genE8ELNS1_11target_archE1030ELNS1_3gpuE2ELNS1_3repE0EEENS1_47radix_sort_onesweep_sort_config_static_selectorELNS0_4arch9wavefront6targetE0EEEvSK_.uses_vcc, 1
	.set _ZN7rocprim17ROCPRIM_400000_NS6detail17trampoline_kernelINS0_14default_configENS1_35radix_sort_onesweep_config_selectorIiNS0_10empty_typeEEEZZNS1_29radix_sort_onesweep_iterationIS3_Lb1EN6thrust23THRUST_200600_302600_NS6detail15normal_iteratorINS9_10device_ptrIiEEEESE_PS5_SF_jNS0_19identity_decomposerENS1_16block_id_wrapperIjLb0EEEEE10hipError_tT1_PNSt15iterator_traitsISK_E10value_typeET2_T3_PNSL_ISQ_E10value_typeET4_T5_PSV_SW_PNS1_23onesweep_lookback_stateEbbT6_jjT7_P12ihipStream_tbENKUlT_T0_SK_SP_E_clISE_SE_SF_SF_EEDaS13_S14_SK_SP_EUlS13_E_NS1_11comp_targetILNS1_3genE8ELNS1_11target_archE1030ELNS1_3gpuE2ELNS1_3repE0EEENS1_47radix_sort_onesweep_sort_config_static_selectorELNS0_4arch9wavefront6targetE0EEEvSK_.uses_flat_scratch, 0
	.set _ZN7rocprim17ROCPRIM_400000_NS6detail17trampoline_kernelINS0_14default_configENS1_35radix_sort_onesweep_config_selectorIiNS0_10empty_typeEEEZZNS1_29radix_sort_onesweep_iterationIS3_Lb1EN6thrust23THRUST_200600_302600_NS6detail15normal_iteratorINS9_10device_ptrIiEEEESE_PS5_SF_jNS0_19identity_decomposerENS1_16block_id_wrapperIjLb0EEEEE10hipError_tT1_PNSt15iterator_traitsISK_E10value_typeET2_T3_PNSL_ISQ_E10value_typeET4_T5_PSV_SW_PNS1_23onesweep_lookback_stateEbbT6_jjT7_P12ihipStream_tbENKUlT_T0_SK_SP_E_clISE_SE_SF_SF_EEDaS13_S14_SK_SP_EUlS13_E_NS1_11comp_targetILNS1_3genE8ELNS1_11target_archE1030ELNS1_3gpuE2ELNS1_3repE0EEENS1_47radix_sort_onesweep_sort_config_static_selectorELNS0_4arch9wavefront6targetE0EEEvSK_.has_dyn_sized_stack, 0
	.set _ZN7rocprim17ROCPRIM_400000_NS6detail17trampoline_kernelINS0_14default_configENS1_35radix_sort_onesweep_config_selectorIiNS0_10empty_typeEEEZZNS1_29radix_sort_onesweep_iterationIS3_Lb1EN6thrust23THRUST_200600_302600_NS6detail15normal_iteratorINS9_10device_ptrIiEEEESE_PS5_SF_jNS0_19identity_decomposerENS1_16block_id_wrapperIjLb0EEEEE10hipError_tT1_PNSt15iterator_traitsISK_E10value_typeET2_T3_PNSL_ISQ_E10value_typeET4_T5_PSV_SW_PNS1_23onesweep_lookback_stateEbbT6_jjT7_P12ihipStream_tbENKUlT_T0_SK_SP_E_clISE_SE_SF_SF_EEDaS13_S14_SK_SP_EUlS13_E_NS1_11comp_targetILNS1_3genE8ELNS1_11target_archE1030ELNS1_3gpuE2ELNS1_3repE0EEENS1_47radix_sort_onesweep_sort_config_static_selectorELNS0_4arch9wavefront6targetE0EEEvSK_.has_recursion, 0
	.set _ZN7rocprim17ROCPRIM_400000_NS6detail17trampoline_kernelINS0_14default_configENS1_35radix_sort_onesweep_config_selectorIiNS0_10empty_typeEEEZZNS1_29radix_sort_onesweep_iterationIS3_Lb1EN6thrust23THRUST_200600_302600_NS6detail15normal_iteratorINS9_10device_ptrIiEEEESE_PS5_SF_jNS0_19identity_decomposerENS1_16block_id_wrapperIjLb0EEEEE10hipError_tT1_PNSt15iterator_traitsISK_E10value_typeET2_T3_PNSL_ISQ_E10value_typeET4_T5_PSV_SW_PNS1_23onesweep_lookback_stateEbbT6_jjT7_P12ihipStream_tbENKUlT_T0_SK_SP_E_clISE_SE_SF_SF_EEDaS13_S14_SK_SP_EUlS13_E_NS1_11comp_targetILNS1_3genE8ELNS1_11target_archE1030ELNS1_3gpuE2ELNS1_3repE0EEENS1_47radix_sort_onesweep_sort_config_static_selectorELNS0_4arch9wavefront6targetE0EEEvSK_.has_indirect_call, 0
	.section	.AMDGPU.csdata,"",@progbits
; Kernel info:
; codeLenInByte = 6652
; TotalNumSgprs: 27
; NumVgprs: 34
; ScratchSize: 0
; MemoryBound: 0
; FloatMode: 240
; IeeeMode: 1
; LDSByteSize: 37000 bytes/workgroup (compile time only)
; SGPRBlocks: 0
; VGPRBlocks: 4
; NumSGPRsForWavesPerEU: 27
; NumVGPRsForWavesPerEU: 34
; Occupancy: 16
; WaveLimiterHint : 1
; COMPUTE_PGM_RSRC2:SCRATCH_EN: 0
; COMPUTE_PGM_RSRC2:USER_SGPR: 6
; COMPUTE_PGM_RSRC2:TRAP_HANDLER: 0
; COMPUTE_PGM_RSRC2:TGID_X_EN: 1
; COMPUTE_PGM_RSRC2:TGID_Y_EN: 0
; COMPUTE_PGM_RSRC2:TGID_Z_EN: 0
; COMPUTE_PGM_RSRC2:TIDIG_COMP_CNT: 2
	.section	.text._ZN7rocprim17ROCPRIM_400000_NS6detail17trampoline_kernelINS0_14default_configENS1_35radix_sort_onesweep_config_selectorIiNS0_10empty_typeEEEZZNS1_29radix_sort_onesweep_iterationIS3_Lb1EN6thrust23THRUST_200600_302600_NS6detail15normal_iteratorINS9_10device_ptrIiEEEESE_PS5_SF_jNS0_19identity_decomposerENS1_16block_id_wrapperIjLb0EEEEE10hipError_tT1_PNSt15iterator_traitsISK_E10value_typeET2_T3_PNSL_ISQ_E10value_typeET4_T5_PSV_SW_PNS1_23onesweep_lookback_stateEbbT6_jjT7_P12ihipStream_tbENKUlT_T0_SK_SP_E_clISE_PiSF_SF_EEDaS13_S14_SK_SP_EUlS13_E_NS1_11comp_targetILNS1_3genE0ELNS1_11target_archE4294967295ELNS1_3gpuE0ELNS1_3repE0EEENS1_47radix_sort_onesweep_sort_config_static_selectorELNS0_4arch9wavefront6targetE0EEEvSK_,"axG",@progbits,_ZN7rocprim17ROCPRIM_400000_NS6detail17trampoline_kernelINS0_14default_configENS1_35radix_sort_onesweep_config_selectorIiNS0_10empty_typeEEEZZNS1_29radix_sort_onesweep_iterationIS3_Lb1EN6thrust23THRUST_200600_302600_NS6detail15normal_iteratorINS9_10device_ptrIiEEEESE_PS5_SF_jNS0_19identity_decomposerENS1_16block_id_wrapperIjLb0EEEEE10hipError_tT1_PNSt15iterator_traitsISK_E10value_typeET2_T3_PNSL_ISQ_E10value_typeET4_T5_PSV_SW_PNS1_23onesweep_lookback_stateEbbT6_jjT7_P12ihipStream_tbENKUlT_T0_SK_SP_E_clISE_PiSF_SF_EEDaS13_S14_SK_SP_EUlS13_E_NS1_11comp_targetILNS1_3genE0ELNS1_11target_archE4294967295ELNS1_3gpuE0ELNS1_3repE0EEENS1_47radix_sort_onesweep_sort_config_static_selectorELNS0_4arch9wavefront6targetE0EEEvSK_,comdat
	.protected	_ZN7rocprim17ROCPRIM_400000_NS6detail17trampoline_kernelINS0_14default_configENS1_35radix_sort_onesweep_config_selectorIiNS0_10empty_typeEEEZZNS1_29radix_sort_onesweep_iterationIS3_Lb1EN6thrust23THRUST_200600_302600_NS6detail15normal_iteratorINS9_10device_ptrIiEEEESE_PS5_SF_jNS0_19identity_decomposerENS1_16block_id_wrapperIjLb0EEEEE10hipError_tT1_PNSt15iterator_traitsISK_E10value_typeET2_T3_PNSL_ISQ_E10value_typeET4_T5_PSV_SW_PNS1_23onesweep_lookback_stateEbbT6_jjT7_P12ihipStream_tbENKUlT_T0_SK_SP_E_clISE_PiSF_SF_EEDaS13_S14_SK_SP_EUlS13_E_NS1_11comp_targetILNS1_3genE0ELNS1_11target_archE4294967295ELNS1_3gpuE0ELNS1_3repE0EEENS1_47radix_sort_onesweep_sort_config_static_selectorELNS0_4arch9wavefront6targetE0EEEvSK_ ; -- Begin function _ZN7rocprim17ROCPRIM_400000_NS6detail17trampoline_kernelINS0_14default_configENS1_35radix_sort_onesweep_config_selectorIiNS0_10empty_typeEEEZZNS1_29radix_sort_onesweep_iterationIS3_Lb1EN6thrust23THRUST_200600_302600_NS6detail15normal_iteratorINS9_10device_ptrIiEEEESE_PS5_SF_jNS0_19identity_decomposerENS1_16block_id_wrapperIjLb0EEEEE10hipError_tT1_PNSt15iterator_traitsISK_E10value_typeET2_T3_PNSL_ISQ_E10value_typeET4_T5_PSV_SW_PNS1_23onesweep_lookback_stateEbbT6_jjT7_P12ihipStream_tbENKUlT_T0_SK_SP_E_clISE_PiSF_SF_EEDaS13_S14_SK_SP_EUlS13_E_NS1_11comp_targetILNS1_3genE0ELNS1_11target_archE4294967295ELNS1_3gpuE0ELNS1_3repE0EEENS1_47radix_sort_onesweep_sort_config_static_selectorELNS0_4arch9wavefront6targetE0EEEvSK_
	.globl	_ZN7rocprim17ROCPRIM_400000_NS6detail17trampoline_kernelINS0_14default_configENS1_35radix_sort_onesweep_config_selectorIiNS0_10empty_typeEEEZZNS1_29radix_sort_onesweep_iterationIS3_Lb1EN6thrust23THRUST_200600_302600_NS6detail15normal_iteratorINS9_10device_ptrIiEEEESE_PS5_SF_jNS0_19identity_decomposerENS1_16block_id_wrapperIjLb0EEEEE10hipError_tT1_PNSt15iterator_traitsISK_E10value_typeET2_T3_PNSL_ISQ_E10value_typeET4_T5_PSV_SW_PNS1_23onesweep_lookback_stateEbbT6_jjT7_P12ihipStream_tbENKUlT_T0_SK_SP_E_clISE_PiSF_SF_EEDaS13_S14_SK_SP_EUlS13_E_NS1_11comp_targetILNS1_3genE0ELNS1_11target_archE4294967295ELNS1_3gpuE0ELNS1_3repE0EEENS1_47radix_sort_onesweep_sort_config_static_selectorELNS0_4arch9wavefront6targetE0EEEvSK_
	.p2align	8
	.type	_ZN7rocprim17ROCPRIM_400000_NS6detail17trampoline_kernelINS0_14default_configENS1_35radix_sort_onesweep_config_selectorIiNS0_10empty_typeEEEZZNS1_29radix_sort_onesweep_iterationIS3_Lb1EN6thrust23THRUST_200600_302600_NS6detail15normal_iteratorINS9_10device_ptrIiEEEESE_PS5_SF_jNS0_19identity_decomposerENS1_16block_id_wrapperIjLb0EEEEE10hipError_tT1_PNSt15iterator_traitsISK_E10value_typeET2_T3_PNSL_ISQ_E10value_typeET4_T5_PSV_SW_PNS1_23onesweep_lookback_stateEbbT6_jjT7_P12ihipStream_tbENKUlT_T0_SK_SP_E_clISE_PiSF_SF_EEDaS13_S14_SK_SP_EUlS13_E_NS1_11comp_targetILNS1_3genE0ELNS1_11target_archE4294967295ELNS1_3gpuE0ELNS1_3repE0EEENS1_47radix_sort_onesweep_sort_config_static_selectorELNS0_4arch9wavefront6targetE0EEEvSK_,@function
_ZN7rocprim17ROCPRIM_400000_NS6detail17trampoline_kernelINS0_14default_configENS1_35radix_sort_onesweep_config_selectorIiNS0_10empty_typeEEEZZNS1_29radix_sort_onesweep_iterationIS3_Lb1EN6thrust23THRUST_200600_302600_NS6detail15normal_iteratorINS9_10device_ptrIiEEEESE_PS5_SF_jNS0_19identity_decomposerENS1_16block_id_wrapperIjLb0EEEEE10hipError_tT1_PNSt15iterator_traitsISK_E10value_typeET2_T3_PNSL_ISQ_E10value_typeET4_T5_PSV_SW_PNS1_23onesweep_lookback_stateEbbT6_jjT7_P12ihipStream_tbENKUlT_T0_SK_SP_E_clISE_PiSF_SF_EEDaS13_S14_SK_SP_EUlS13_E_NS1_11comp_targetILNS1_3genE0ELNS1_11target_archE4294967295ELNS1_3gpuE0ELNS1_3repE0EEENS1_47radix_sort_onesweep_sort_config_static_selectorELNS0_4arch9wavefront6targetE0EEEvSK_: ; @_ZN7rocprim17ROCPRIM_400000_NS6detail17trampoline_kernelINS0_14default_configENS1_35radix_sort_onesweep_config_selectorIiNS0_10empty_typeEEEZZNS1_29radix_sort_onesweep_iterationIS3_Lb1EN6thrust23THRUST_200600_302600_NS6detail15normal_iteratorINS9_10device_ptrIiEEEESE_PS5_SF_jNS0_19identity_decomposerENS1_16block_id_wrapperIjLb0EEEEE10hipError_tT1_PNSt15iterator_traitsISK_E10value_typeET2_T3_PNSL_ISQ_E10value_typeET4_T5_PSV_SW_PNS1_23onesweep_lookback_stateEbbT6_jjT7_P12ihipStream_tbENKUlT_T0_SK_SP_E_clISE_PiSF_SF_EEDaS13_S14_SK_SP_EUlS13_E_NS1_11comp_targetILNS1_3genE0ELNS1_11target_archE4294967295ELNS1_3gpuE0ELNS1_3repE0EEENS1_47radix_sort_onesweep_sort_config_static_selectorELNS0_4arch9wavefront6targetE0EEEvSK_
; %bb.0:
	.section	.rodata,"a",@progbits
	.p2align	6, 0x0
	.amdhsa_kernel _ZN7rocprim17ROCPRIM_400000_NS6detail17trampoline_kernelINS0_14default_configENS1_35radix_sort_onesweep_config_selectorIiNS0_10empty_typeEEEZZNS1_29radix_sort_onesweep_iterationIS3_Lb1EN6thrust23THRUST_200600_302600_NS6detail15normal_iteratorINS9_10device_ptrIiEEEESE_PS5_SF_jNS0_19identity_decomposerENS1_16block_id_wrapperIjLb0EEEEE10hipError_tT1_PNSt15iterator_traitsISK_E10value_typeET2_T3_PNSL_ISQ_E10value_typeET4_T5_PSV_SW_PNS1_23onesweep_lookback_stateEbbT6_jjT7_P12ihipStream_tbENKUlT_T0_SK_SP_E_clISE_PiSF_SF_EEDaS13_S14_SK_SP_EUlS13_E_NS1_11comp_targetILNS1_3genE0ELNS1_11target_archE4294967295ELNS1_3gpuE0ELNS1_3repE0EEENS1_47radix_sort_onesweep_sort_config_static_selectorELNS0_4arch9wavefront6targetE0EEEvSK_
		.amdhsa_group_segment_fixed_size 0
		.amdhsa_private_segment_fixed_size 0
		.amdhsa_kernarg_size 88
		.amdhsa_user_sgpr_count 6
		.amdhsa_user_sgpr_private_segment_buffer 1
		.amdhsa_user_sgpr_dispatch_ptr 0
		.amdhsa_user_sgpr_queue_ptr 0
		.amdhsa_user_sgpr_kernarg_segment_ptr 1
		.amdhsa_user_sgpr_dispatch_id 0
		.amdhsa_user_sgpr_flat_scratch_init 0
		.amdhsa_user_sgpr_private_segment_size 0
		.amdhsa_wavefront_size32 1
		.amdhsa_uses_dynamic_stack 0
		.amdhsa_system_sgpr_private_segment_wavefront_offset 0
		.amdhsa_system_sgpr_workgroup_id_x 1
		.amdhsa_system_sgpr_workgroup_id_y 0
		.amdhsa_system_sgpr_workgroup_id_z 0
		.amdhsa_system_sgpr_workgroup_info 0
		.amdhsa_system_vgpr_workitem_id 0
		.amdhsa_next_free_vgpr 1
		.amdhsa_next_free_sgpr 1
		.amdhsa_reserve_vcc 0
		.amdhsa_reserve_flat_scratch 0
		.amdhsa_float_round_mode_32 0
		.amdhsa_float_round_mode_16_64 0
		.amdhsa_float_denorm_mode_32 3
		.amdhsa_float_denorm_mode_16_64 3
		.amdhsa_dx10_clamp 1
		.amdhsa_ieee_mode 1
		.amdhsa_fp16_overflow 0
		.amdhsa_workgroup_processor_mode 1
		.amdhsa_memory_ordered 1
		.amdhsa_forward_progress 1
		.amdhsa_shared_vgpr_count 0
		.amdhsa_exception_fp_ieee_invalid_op 0
		.amdhsa_exception_fp_denorm_src 0
		.amdhsa_exception_fp_ieee_div_zero 0
		.amdhsa_exception_fp_ieee_overflow 0
		.amdhsa_exception_fp_ieee_underflow 0
		.amdhsa_exception_fp_ieee_inexact 0
		.amdhsa_exception_int_div_zero 0
	.end_amdhsa_kernel
	.section	.text._ZN7rocprim17ROCPRIM_400000_NS6detail17trampoline_kernelINS0_14default_configENS1_35radix_sort_onesweep_config_selectorIiNS0_10empty_typeEEEZZNS1_29radix_sort_onesweep_iterationIS3_Lb1EN6thrust23THRUST_200600_302600_NS6detail15normal_iteratorINS9_10device_ptrIiEEEESE_PS5_SF_jNS0_19identity_decomposerENS1_16block_id_wrapperIjLb0EEEEE10hipError_tT1_PNSt15iterator_traitsISK_E10value_typeET2_T3_PNSL_ISQ_E10value_typeET4_T5_PSV_SW_PNS1_23onesweep_lookback_stateEbbT6_jjT7_P12ihipStream_tbENKUlT_T0_SK_SP_E_clISE_PiSF_SF_EEDaS13_S14_SK_SP_EUlS13_E_NS1_11comp_targetILNS1_3genE0ELNS1_11target_archE4294967295ELNS1_3gpuE0ELNS1_3repE0EEENS1_47radix_sort_onesweep_sort_config_static_selectorELNS0_4arch9wavefront6targetE0EEEvSK_,"axG",@progbits,_ZN7rocprim17ROCPRIM_400000_NS6detail17trampoline_kernelINS0_14default_configENS1_35radix_sort_onesweep_config_selectorIiNS0_10empty_typeEEEZZNS1_29radix_sort_onesweep_iterationIS3_Lb1EN6thrust23THRUST_200600_302600_NS6detail15normal_iteratorINS9_10device_ptrIiEEEESE_PS5_SF_jNS0_19identity_decomposerENS1_16block_id_wrapperIjLb0EEEEE10hipError_tT1_PNSt15iterator_traitsISK_E10value_typeET2_T3_PNSL_ISQ_E10value_typeET4_T5_PSV_SW_PNS1_23onesweep_lookback_stateEbbT6_jjT7_P12ihipStream_tbENKUlT_T0_SK_SP_E_clISE_PiSF_SF_EEDaS13_S14_SK_SP_EUlS13_E_NS1_11comp_targetILNS1_3genE0ELNS1_11target_archE4294967295ELNS1_3gpuE0ELNS1_3repE0EEENS1_47radix_sort_onesweep_sort_config_static_selectorELNS0_4arch9wavefront6targetE0EEEvSK_,comdat
.Lfunc_end372:
	.size	_ZN7rocprim17ROCPRIM_400000_NS6detail17trampoline_kernelINS0_14default_configENS1_35radix_sort_onesweep_config_selectorIiNS0_10empty_typeEEEZZNS1_29radix_sort_onesweep_iterationIS3_Lb1EN6thrust23THRUST_200600_302600_NS6detail15normal_iteratorINS9_10device_ptrIiEEEESE_PS5_SF_jNS0_19identity_decomposerENS1_16block_id_wrapperIjLb0EEEEE10hipError_tT1_PNSt15iterator_traitsISK_E10value_typeET2_T3_PNSL_ISQ_E10value_typeET4_T5_PSV_SW_PNS1_23onesweep_lookback_stateEbbT6_jjT7_P12ihipStream_tbENKUlT_T0_SK_SP_E_clISE_PiSF_SF_EEDaS13_S14_SK_SP_EUlS13_E_NS1_11comp_targetILNS1_3genE0ELNS1_11target_archE4294967295ELNS1_3gpuE0ELNS1_3repE0EEENS1_47radix_sort_onesweep_sort_config_static_selectorELNS0_4arch9wavefront6targetE0EEEvSK_, .Lfunc_end372-_ZN7rocprim17ROCPRIM_400000_NS6detail17trampoline_kernelINS0_14default_configENS1_35radix_sort_onesweep_config_selectorIiNS0_10empty_typeEEEZZNS1_29radix_sort_onesweep_iterationIS3_Lb1EN6thrust23THRUST_200600_302600_NS6detail15normal_iteratorINS9_10device_ptrIiEEEESE_PS5_SF_jNS0_19identity_decomposerENS1_16block_id_wrapperIjLb0EEEEE10hipError_tT1_PNSt15iterator_traitsISK_E10value_typeET2_T3_PNSL_ISQ_E10value_typeET4_T5_PSV_SW_PNS1_23onesweep_lookback_stateEbbT6_jjT7_P12ihipStream_tbENKUlT_T0_SK_SP_E_clISE_PiSF_SF_EEDaS13_S14_SK_SP_EUlS13_E_NS1_11comp_targetILNS1_3genE0ELNS1_11target_archE4294967295ELNS1_3gpuE0ELNS1_3repE0EEENS1_47radix_sort_onesweep_sort_config_static_selectorELNS0_4arch9wavefront6targetE0EEEvSK_
                                        ; -- End function
	.set _ZN7rocprim17ROCPRIM_400000_NS6detail17trampoline_kernelINS0_14default_configENS1_35radix_sort_onesweep_config_selectorIiNS0_10empty_typeEEEZZNS1_29radix_sort_onesweep_iterationIS3_Lb1EN6thrust23THRUST_200600_302600_NS6detail15normal_iteratorINS9_10device_ptrIiEEEESE_PS5_SF_jNS0_19identity_decomposerENS1_16block_id_wrapperIjLb0EEEEE10hipError_tT1_PNSt15iterator_traitsISK_E10value_typeET2_T3_PNSL_ISQ_E10value_typeET4_T5_PSV_SW_PNS1_23onesweep_lookback_stateEbbT6_jjT7_P12ihipStream_tbENKUlT_T0_SK_SP_E_clISE_PiSF_SF_EEDaS13_S14_SK_SP_EUlS13_E_NS1_11comp_targetILNS1_3genE0ELNS1_11target_archE4294967295ELNS1_3gpuE0ELNS1_3repE0EEENS1_47radix_sort_onesweep_sort_config_static_selectorELNS0_4arch9wavefront6targetE0EEEvSK_.num_vgpr, 0
	.set _ZN7rocprim17ROCPRIM_400000_NS6detail17trampoline_kernelINS0_14default_configENS1_35radix_sort_onesweep_config_selectorIiNS0_10empty_typeEEEZZNS1_29radix_sort_onesweep_iterationIS3_Lb1EN6thrust23THRUST_200600_302600_NS6detail15normal_iteratorINS9_10device_ptrIiEEEESE_PS5_SF_jNS0_19identity_decomposerENS1_16block_id_wrapperIjLb0EEEEE10hipError_tT1_PNSt15iterator_traitsISK_E10value_typeET2_T3_PNSL_ISQ_E10value_typeET4_T5_PSV_SW_PNS1_23onesweep_lookback_stateEbbT6_jjT7_P12ihipStream_tbENKUlT_T0_SK_SP_E_clISE_PiSF_SF_EEDaS13_S14_SK_SP_EUlS13_E_NS1_11comp_targetILNS1_3genE0ELNS1_11target_archE4294967295ELNS1_3gpuE0ELNS1_3repE0EEENS1_47radix_sort_onesweep_sort_config_static_selectorELNS0_4arch9wavefront6targetE0EEEvSK_.num_agpr, 0
	.set _ZN7rocprim17ROCPRIM_400000_NS6detail17trampoline_kernelINS0_14default_configENS1_35radix_sort_onesweep_config_selectorIiNS0_10empty_typeEEEZZNS1_29radix_sort_onesweep_iterationIS3_Lb1EN6thrust23THRUST_200600_302600_NS6detail15normal_iteratorINS9_10device_ptrIiEEEESE_PS5_SF_jNS0_19identity_decomposerENS1_16block_id_wrapperIjLb0EEEEE10hipError_tT1_PNSt15iterator_traitsISK_E10value_typeET2_T3_PNSL_ISQ_E10value_typeET4_T5_PSV_SW_PNS1_23onesweep_lookback_stateEbbT6_jjT7_P12ihipStream_tbENKUlT_T0_SK_SP_E_clISE_PiSF_SF_EEDaS13_S14_SK_SP_EUlS13_E_NS1_11comp_targetILNS1_3genE0ELNS1_11target_archE4294967295ELNS1_3gpuE0ELNS1_3repE0EEENS1_47radix_sort_onesweep_sort_config_static_selectorELNS0_4arch9wavefront6targetE0EEEvSK_.numbered_sgpr, 0
	.set _ZN7rocprim17ROCPRIM_400000_NS6detail17trampoline_kernelINS0_14default_configENS1_35radix_sort_onesweep_config_selectorIiNS0_10empty_typeEEEZZNS1_29radix_sort_onesweep_iterationIS3_Lb1EN6thrust23THRUST_200600_302600_NS6detail15normal_iteratorINS9_10device_ptrIiEEEESE_PS5_SF_jNS0_19identity_decomposerENS1_16block_id_wrapperIjLb0EEEEE10hipError_tT1_PNSt15iterator_traitsISK_E10value_typeET2_T3_PNSL_ISQ_E10value_typeET4_T5_PSV_SW_PNS1_23onesweep_lookback_stateEbbT6_jjT7_P12ihipStream_tbENKUlT_T0_SK_SP_E_clISE_PiSF_SF_EEDaS13_S14_SK_SP_EUlS13_E_NS1_11comp_targetILNS1_3genE0ELNS1_11target_archE4294967295ELNS1_3gpuE0ELNS1_3repE0EEENS1_47radix_sort_onesweep_sort_config_static_selectorELNS0_4arch9wavefront6targetE0EEEvSK_.num_named_barrier, 0
	.set _ZN7rocprim17ROCPRIM_400000_NS6detail17trampoline_kernelINS0_14default_configENS1_35radix_sort_onesweep_config_selectorIiNS0_10empty_typeEEEZZNS1_29radix_sort_onesweep_iterationIS3_Lb1EN6thrust23THRUST_200600_302600_NS6detail15normal_iteratorINS9_10device_ptrIiEEEESE_PS5_SF_jNS0_19identity_decomposerENS1_16block_id_wrapperIjLb0EEEEE10hipError_tT1_PNSt15iterator_traitsISK_E10value_typeET2_T3_PNSL_ISQ_E10value_typeET4_T5_PSV_SW_PNS1_23onesweep_lookback_stateEbbT6_jjT7_P12ihipStream_tbENKUlT_T0_SK_SP_E_clISE_PiSF_SF_EEDaS13_S14_SK_SP_EUlS13_E_NS1_11comp_targetILNS1_3genE0ELNS1_11target_archE4294967295ELNS1_3gpuE0ELNS1_3repE0EEENS1_47radix_sort_onesweep_sort_config_static_selectorELNS0_4arch9wavefront6targetE0EEEvSK_.private_seg_size, 0
	.set _ZN7rocprim17ROCPRIM_400000_NS6detail17trampoline_kernelINS0_14default_configENS1_35radix_sort_onesweep_config_selectorIiNS0_10empty_typeEEEZZNS1_29radix_sort_onesweep_iterationIS3_Lb1EN6thrust23THRUST_200600_302600_NS6detail15normal_iteratorINS9_10device_ptrIiEEEESE_PS5_SF_jNS0_19identity_decomposerENS1_16block_id_wrapperIjLb0EEEEE10hipError_tT1_PNSt15iterator_traitsISK_E10value_typeET2_T3_PNSL_ISQ_E10value_typeET4_T5_PSV_SW_PNS1_23onesweep_lookback_stateEbbT6_jjT7_P12ihipStream_tbENKUlT_T0_SK_SP_E_clISE_PiSF_SF_EEDaS13_S14_SK_SP_EUlS13_E_NS1_11comp_targetILNS1_3genE0ELNS1_11target_archE4294967295ELNS1_3gpuE0ELNS1_3repE0EEENS1_47radix_sort_onesweep_sort_config_static_selectorELNS0_4arch9wavefront6targetE0EEEvSK_.uses_vcc, 0
	.set _ZN7rocprim17ROCPRIM_400000_NS6detail17trampoline_kernelINS0_14default_configENS1_35radix_sort_onesweep_config_selectorIiNS0_10empty_typeEEEZZNS1_29radix_sort_onesweep_iterationIS3_Lb1EN6thrust23THRUST_200600_302600_NS6detail15normal_iteratorINS9_10device_ptrIiEEEESE_PS5_SF_jNS0_19identity_decomposerENS1_16block_id_wrapperIjLb0EEEEE10hipError_tT1_PNSt15iterator_traitsISK_E10value_typeET2_T3_PNSL_ISQ_E10value_typeET4_T5_PSV_SW_PNS1_23onesweep_lookback_stateEbbT6_jjT7_P12ihipStream_tbENKUlT_T0_SK_SP_E_clISE_PiSF_SF_EEDaS13_S14_SK_SP_EUlS13_E_NS1_11comp_targetILNS1_3genE0ELNS1_11target_archE4294967295ELNS1_3gpuE0ELNS1_3repE0EEENS1_47radix_sort_onesweep_sort_config_static_selectorELNS0_4arch9wavefront6targetE0EEEvSK_.uses_flat_scratch, 0
	.set _ZN7rocprim17ROCPRIM_400000_NS6detail17trampoline_kernelINS0_14default_configENS1_35radix_sort_onesweep_config_selectorIiNS0_10empty_typeEEEZZNS1_29radix_sort_onesweep_iterationIS3_Lb1EN6thrust23THRUST_200600_302600_NS6detail15normal_iteratorINS9_10device_ptrIiEEEESE_PS5_SF_jNS0_19identity_decomposerENS1_16block_id_wrapperIjLb0EEEEE10hipError_tT1_PNSt15iterator_traitsISK_E10value_typeET2_T3_PNSL_ISQ_E10value_typeET4_T5_PSV_SW_PNS1_23onesweep_lookback_stateEbbT6_jjT7_P12ihipStream_tbENKUlT_T0_SK_SP_E_clISE_PiSF_SF_EEDaS13_S14_SK_SP_EUlS13_E_NS1_11comp_targetILNS1_3genE0ELNS1_11target_archE4294967295ELNS1_3gpuE0ELNS1_3repE0EEENS1_47radix_sort_onesweep_sort_config_static_selectorELNS0_4arch9wavefront6targetE0EEEvSK_.has_dyn_sized_stack, 0
	.set _ZN7rocprim17ROCPRIM_400000_NS6detail17trampoline_kernelINS0_14default_configENS1_35radix_sort_onesweep_config_selectorIiNS0_10empty_typeEEEZZNS1_29radix_sort_onesweep_iterationIS3_Lb1EN6thrust23THRUST_200600_302600_NS6detail15normal_iteratorINS9_10device_ptrIiEEEESE_PS5_SF_jNS0_19identity_decomposerENS1_16block_id_wrapperIjLb0EEEEE10hipError_tT1_PNSt15iterator_traitsISK_E10value_typeET2_T3_PNSL_ISQ_E10value_typeET4_T5_PSV_SW_PNS1_23onesweep_lookback_stateEbbT6_jjT7_P12ihipStream_tbENKUlT_T0_SK_SP_E_clISE_PiSF_SF_EEDaS13_S14_SK_SP_EUlS13_E_NS1_11comp_targetILNS1_3genE0ELNS1_11target_archE4294967295ELNS1_3gpuE0ELNS1_3repE0EEENS1_47radix_sort_onesweep_sort_config_static_selectorELNS0_4arch9wavefront6targetE0EEEvSK_.has_recursion, 0
	.set _ZN7rocprim17ROCPRIM_400000_NS6detail17trampoline_kernelINS0_14default_configENS1_35radix_sort_onesweep_config_selectorIiNS0_10empty_typeEEEZZNS1_29radix_sort_onesweep_iterationIS3_Lb1EN6thrust23THRUST_200600_302600_NS6detail15normal_iteratorINS9_10device_ptrIiEEEESE_PS5_SF_jNS0_19identity_decomposerENS1_16block_id_wrapperIjLb0EEEEE10hipError_tT1_PNSt15iterator_traitsISK_E10value_typeET2_T3_PNSL_ISQ_E10value_typeET4_T5_PSV_SW_PNS1_23onesweep_lookback_stateEbbT6_jjT7_P12ihipStream_tbENKUlT_T0_SK_SP_E_clISE_PiSF_SF_EEDaS13_S14_SK_SP_EUlS13_E_NS1_11comp_targetILNS1_3genE0ELNS1_11target_archE4294967295ELNS1_3gpuE0ELNS1_3repE0EEENS1_47radix_sort_onesweep_sort_config_static_selectorELNS0_4arch9wavefront6targetE0EEEvSK_.has_indirect_call, 0
	.section	.AMDGPU.csdata,"",@progbits
; Kernel info:
; codeLenInByte = 0
; TotalNumSgprs: 0
; NumVgprs: 0
; ScratchSize: 0
; MemoryBound: 0
; FloatMode: 240
; IeeeMode: 1
; LDSByteSize: 0 bytes/workgroup (compile time only)
; SGPRBlocks: 0
; VGPRBlocks: 0
; NumSGPRsForWavesPerEU: 1
; NumVGPRsForWavesPerEU: 1
; Occupancy: 16
; WaveLimiterHint : 0
; COMPUTE_PGM_RSRC2:SCRATCH_EN: 0
; COMPUTE_PGM_RSRC2:USER_SGPR: 6
; COMPUTE_PGM_RSRC2:TRAP_HANDLER: 0
; COMPUTE_PGM_RSRC2:TGID_X_EN: 1
; COMPUTE_PGM_RSRC2:TGID_Y_EN: 0
; COMPUTE_PGM_RSRC2:TGID_Z_EN: 0
; COMPUTE_PGM_RSRC2:TIDIG_COMP_CNT: 0
	.section	.text._ZN7rocprim17ROCPRIM_400000_NS6detail17trampoline_kernelINS0_14default_configENS1_35radix_sort_onesweep_config_selectorIiNS0_10empty_typeEEEZZNS1_29radix_sort_onesweep_iterationIS3_Lb1EN6thrust23THRUST_200600_302600_NS6detail15normal_iteratorINS9_10device_ptrIiEEEESE_PS5_SF_jNS0_19identity_decomposerENS1_16block_id_wrapperIjLb0EEEEE10hipError_tT1_PNSt15iterator_traitsISK_E10value_typeET2_T3_PNSL_ISQ_E10value_typeET4_T5_PSV_SW_PNS1_23onesweep_lookback_stateEbbT6_jjT7_P12ihipStream_tbENKUlT_T0_SK_SP_E_clISE_PiSF_SF_EEDaS13_S14_SK_SP_EUlS13_E_NS1_11comp_targetILNS1_3genE6ELNS1_11target_archE950ELNS1_3gpuE13ELNS1_3repE0EEENS1_47radix_sort_onesweep_sort_config_static_selectorELNS0_4arch9wavefront6targetE0EEEvSK_,"axG",@progbits,_ZN7rocprim17ROCPRIM_400000_NS6detail17trampoline_kernelINS0_14default_configENS1_35radix_sort_onesweep_config_selectorIiNS0_10empty_typeEEEZZNS1_29radix_sort_onesweep_iterationIS3_Lb1EN6thrust23THRUST_200600_302600_NS6detail15normal_iteratorINS9_10device_ptrIiEEEESE_PS5_SF_jNS0_19identity_decomposerENS1_16block_id_wrapperIjLb0EEEEE10hipError_tT1_PNSt15iterator_traitsISK_E10value_typeET2_T3_PNSL_ISQ_E10value_typeET4_T5_PSV_SW_PNS1_23onesweep_lookback_stateEbbT6_jjT7_P12ihipStream_tbENKUlT_T0_SK_SP_E_clISE_PiSF_SF_EEDaS13_S14_SK_SP_EUlS13_E_NS1_11comp_targetILNS1_3genE6ELNS1_11target_archE950ELNS1_3gpuE13ELNS1_3repE0EEENS1_47radix_sort_onesweep_sort_config_static_selectorELNS0_4arch9wavefront6targetE0EEEvSK_,comdat
	.protected	_ZN7rocprim17ROCPRIM_400000_NS6detail17trampoline_kernelINS0_14default_configENS1_35radix_sort_onesweep_config_selectorIiNS0_10empty_typeEEEZZNS1_29radix_sort_onesweep_iterationIS3_Lb1EN6thrust23THRUST_200600_302600_NS6detail15normal_iteratorINS9_10device_ptrIiEEEESE_PS5_SF_jNS0_19identity_decomposerENS1_16block_id_wrapperIjLb0EEEEE10hipError_tT1_PNSt15iterator_traitsISK_E10value_typeET2_T3_PNSL_ISQ_E10value_typeET4_T5_PSV_SW_PNS1_23onesweep_lookback_stateEbbT6_jjT7_P12ihipStream_tbENKUlT_T0_SK_SP_E_clISE_PiSF_SF_EEDaS13_S14_SK_SP_EUlS13_E_NS1_11comp_targetILNS1_3genE6ELNS1_11target_archE950ELNS1_3gpuE13ELNS1_3repE0EEENS1_47radix_sort_onesweep_sort_config_static_selectorELNS0_4arch9wavefront6targetE0EEEvSK_ ; -- Begin function _ZN7rocprim17ROCPRIM_400000_NS6detail17trampoline_kernelINS0_14default_configENS1_35radix_sort_onesweep_config_selectorIiNS0_10empty_typeEEEZZNS1_29radix_sort_onesweep_iterationIS3_Lb1EN6thrust23THRUST_200600_302600_NS6detail15normal_iteratorINS9_10device_ptrIiEEEESE_PS5_SF_jNS0_19identity_decomposerENS1_16block_id_wrapperIjLb0EEEEE10hipError_tT1_PNSt15iterator_traitsISK_E10value_typeET2_T3_PNSL_ISQ_E10value_typeET4_T5_PSV_SW_PNS1_23onesweep_lookback_stateEbbT6_jjT7_P12ihipStream_tbENKUlT_T0_SK_SP_E_clISE_PiSF_SF_EEDaS13_S14_SK_SP_EUlS13_E_NS1_11comp_targetILNS1_3genE6ELNS1_11target_archE950ELNS1_3gpuE13ELNS1_3repE0EEENS1_47radix_sort_onesweep_sort_config_static_selectorELNS0_4arch9wavefront6targetE0EEEvSK_
	.globl	_ZN7rocprim17ROCPRIM_400000_NS6detail17trampoline_kernelINS0_14default_configENS1_35radix_sort_onesweep_config_selectorIiNS0_10empty_typeEEEZZNS1_29radix_sort_onesweep_iterationIS3_Lb1EN6thrust23THRUST_200600_302600_NS6detail15normal_iteratorINS9_10device_ptrIiEEEESE_PS5_SF_jNS0_19identity_decomposerENS1_16block_id_wrapperIjLb0EEEEE10hipError_tT1_PNSt15iterator_traitsISK_E10value_typeET2_T3_PNSL_ISQ_E10value_typeET4_T5_PSV_SW_PNS1_23onesweep_lookback_stateEbbT6_jjT7_P12ihipStream_tbENKUlT_T0_SK_SP_E_clISE_PiSF_SF_EEDaS13_S14_SK_SP_EUlS13_E_NS1_11comp_targetILNS1_3genE6ELNS1_11target_archE950ELNS1_3gpuE13ELNS1_3repE0EEENS1_47radix_sort_onesweep_sort_config_static_selectorELNS0_4arch9wavefront6targetE0EEEvSK_
	.p2align	8
	.type	_ZN7rocprim17ROCPRIM_400000_NS6detail17trampoline_kernelINS0_14default_configENS1_35radix_sort_onesweep_config_selectorIiNS0_10empty_typeEEEZZNS1_29radix_sort_onesweep_iterationIS3_Lb1EN6thrust23THRUST_200600_302600_NS6detail15normal_iteratorINS9_10device_ptrIiEEEESE_PS5_SF_jNS0_19identity_decomposerENS1_16block_id_wrapperIjLb0EEEEE10hipError_tT1_PNSt15iterator_traitsISK_E10value_typeET2_T3_PNSL_ISQ_E10value_typeET4_T5_PSV_SW_PNS1_23onesweep_lookback_stateEbbT6_jjT7_P12ihipStream_tbENKUlT_T0_SK_SP_E_clISE_PiSF_SF_EEDaS13_S14_SK_SP_EUlS13_E_NS1_11comp_targetILNS1_3genE6ELNS1_11target_archE950ELNS1_3gpuE13ELNS1_3repE0EEENS1_47radix_sort_onesweep_sort_config_static_selectorELNS0_4arch9wavefront6targetE0EEEvSK_,@function
_ZN7rocprim17ROCPRIM_400000_NS6detail17trampoline_kernelINS0_14default_configENS1_35radix_sort_onesweep_config_selectorIiNS0_10empty_typeEEEZZNS1_29radix_sort_onesweep_iterationIS3_Lb1EN6thrust23THRUST_200600_302600_NS6detail15normal_iteratorINS9_10device_ptrIiEEEESE_PS5_SF_jNS0_19identity_decomposerENS1_16block_id_wrapperIjLb0EEEEE10hipError_tT1_PNSt15iterator_traitsISK_E10value_typeET2_T3_PNSL_ISQ_E10value_typeET4_T5_PSV_SW_PNS1_23onesweep_lookback_stateEbbT6_jjT7_P12ihipStream_tbENKUlT_T0_SK_SP_E_clISE_PiSF_SF_EEDaS13_S14_SK_SP_EUlS13_E_NS1_11comp_targetILNS1_3genE6ELNS1_11target_archE950ELNS1_3gpuE13ELNS1_3repE0EEENS1_47radix_sort_onesweep_sort_config_static_selectorELNS0_4arch9wavefront6targetE0EEEvSK_: ; @_ZN7rocprim17ROCPRIM_400000_NS6detail17trampoline_kernelINS0_14default_configENS1_35radix_sort_onesweep_config_selectorIiNS0_10empty_typeEEEZZNS1_29radix_sort_onesweep_iterationIS3_Lb1EN6thrust23THRUST_200600_302600_NS6detail15normal_iteratorINS9_10device_ptrIiEEEESE_PS5_SF_jNS0_19identity_decomposerENS1_16block_id_wrapperIjLb0EEEEE10hipError_tT1_PNSt15iterator_traitsISK_E10value_typeET2_T3_PNSL_ISQ_E10value_typeET4_T5_PSV_SW_PNS1_23onesweep_lookback_stateEbbT6_jjT7_P12ihipStream_tbENKUlT_T0_SK_SP_E_clISE_PiSF_SF_EEDaS13_S14_SK_SP_EUlS13_E_NS1_11comp_targetILNS1_3genE6ELNS1_11target_archE950ELNS1_3gpuE13ELNS1_3repE0EEENS1_47radix_sort_onesweep_sort_config_static_selectorELNS0_4arch9wavefront6targetE0EEEvSK_
; %bb.0:
	.section	.rodata,"a",@progbits
	.p2align	6, 0x0
	.amdhsa_kernel _ZN7rocprim17ROCPRIM_400000_NS6detail17trampoline_kernelINS0_14default_configENS1_35radix_sort_onesweep_config_selectorIiNS0_10empty_typeEEEZZNS1_29radix_sort_onesweep_iterationIS3_Lb1EN6thrust23THRUST_200600_302600_NS6detail15normal_iteratorINS9_10device_ptrIiEEEESE_PS5_SF_jNS0_19identity_decomposerENS1_16block_id_wrapperIjLb0EEEEE10hipError_tT1_PNSt15iterator_traitsISK_E10value_typeET2_T3_PNSL_ISQ_E10value_typeET4_T5_PSV_SW_PNS1_23onesweep_lookback_stateEbbT6_jjT7_P12ihipStream_tbENKUlT_T0_SK_SP_E_clISE_PiSF_SF_EEDaS13_S14_SK_SP_EUlS13_E_NS1_11comp_targetILNS1_3genE6ELNS1_11target_archE950ELNS1_3gpuE13ELNS1_3repE0EEENS1_47radix_sort_onesweep_sort_config_static_selectorELNS0_4arch9wavefront6targetE0EEEvSK_
		.amdhsa_group_segment_fixed_size 0
		.amdhsa_private_segment_fixed_size 0
		.amdhsa_kernarg_size 88
		.amdhsa_user_sgpr_count 6
		.amdhsa_user_sgpr_private_segment_buffer 1
		.amdhsa_user_sgpr_dispatch_ptr 0
		.amdhsa_user_sgpr_queue_ptr 0
		.amdhsa_user_sgpr_kernarg_segment_ptr 1
		.amdhsa_user_sgpr_dispatch_id 0
		.amdhsa_user_sgpr_flat_scratch_init 0
		.amdhsa_user_sgpr_private_segment_size 0
		.amdhsa_wavefront_size32 1
		.amdhsa_uses_dynamic_stack 0
		.amdhsa_system_sgpr_private_segment_wavefront_offset 0
		.amdhsa_system_sgpr_workgroup_id_x 1
		.amdhsa_system_sgpr_workgroup_id_y 0
		.amdhsa_system_sgpr_workgroup_id_z 0
		.amdhsa_system_sgpr_workgroup_info 0
		.amdhsa_system_vgpr_workitem_id 0
		.amdhsa_next_free_vgpr 1
		.amdhsa_next_free_sgpr 1
		.amdhsa_reserve_vcc 0
		.amdhsa_reserve_flat_scratch 0
		.amdhsa_float_round_mode_32 0
		.amdhsa_float_round_mode_16_64 0
		.amdhsa_float_denorm_mode_32 3
		.amdhsa_float_denorm_mode_16_64 3
		.amdhsa_dx10_clamp 1
		.amdhsa_ieee_mode 1
		.amdhsa_fp16_overflow 0
		.amdhsa_workgroup_processor_mode 1
		.amdhsa_memory_ordered 1
		.amdhsa_forward_progress 1
		.amdhsa_shared_vgpr_count 0
		.amdhsa_exception_fp_ieee_invalid_op 0
		.amdhsa_exception_fp_denorm_src 0
		.amdhsa_exception_fp_ieee_div_zero 0
		.amdhsa_exception_fp_ieee_overflow 0
		.amdhsa_exception_fp_ieee_underflow 0
		.amdhsa_exception_fp_ieee_inexact 0
		.amdhsa_exception_int_div_zero 0
	.end_amdhsa_kernel
	.section	.text._ZN7rocprim17ROCPRIM_400000_NS6detail17trampoline_kernelINS0_14default_configENS1_35radix_sort_onesweep_config_selectorIiNS0_10empty_typeEEEZZNS1_29radix_sort_onesweep_iterationIS3_Lb1EN6thrust23THRUST_200600_302600_NS6detail15normal_iteratorINS9_10device_ptrIiEEEESE_PS5_SF_jNS0_19identity_decomposerENS1_16block_id_wrapperIjLb0EEEEE10hipError_tT1_PNSt15iterator_traitsISK_E10value_typeET2_T3_PNSL_ISQ_E10value_typeET4_T5_PSV_SW_PNS1_23onesweep_lookback_stateEbbT6_jjT7_P12ihipStream_tbENKUlT_T0_SK_SP_E_clISE_PiSF_SF_EEDaS13_S14_SK_SP_EUlS13_E_NS1_11comp_targetILNS1_3genE6ELNS1_11target_archE950ELNS1_3gpuE13ELNS1_3repE0EEENS1_47radix_sort_onesweep_sort_config_static_selectorELNS0_4arch9wavefront6targetE0EEEvSK_,"axG",@progbits,_ZN7rocprim17ROCPRIM_400000_NS6detail17trampoline_kernelINS0_14default_configENS1_35radix_sort_onesweep_config_selectorIiNS0_10empty_typeEEEZZNS1_29radix_sort_onesweep_iterationIS3_Lb1EN6thrust23THRUST_200600_302600_NS6detail15normal_iteratorINS9_10device_ptrIiEEEESE_PS5_SF_jNS0_19identity_decomposerENS1_16block_id_wrapperIjLb0EEEEE10hipError_tT1_PNSt15iterator_traitsISK_E10value_typeET2_T3_PNSL_ISQ_E10value_typeET4_T5_PSV_SW_PNS1_23onesweep_lookback_stateEbbT6_jjT7_P12ihipStream_tbENKUlT_T0_SK_SP_E_clISE_PiSF_SF_EEDaS13_S14_SK_SP_EUlS13_E_NS1_11comp_targetILNS1_3genE6ELNS1_11target_archE950ELNS1_3gpuE13ELNS1_3repE0EEENS1_47radix_sort_onesweep_sort_config_static_selectorELNS0_4arch9wavefront6targetE0EEEvSK_,comdat
.Lfunc_end373:
	.size	_ZN7rocprim17ROCPRIM_400000_NS6detail17trampoline_kernelINS0_14default_configENS1_35radix_sort_onesweep_config_selectorIiNS0_10empty_typeEEEZZNS1_29radix_sort_onesweep_iterationIS3_Lb1EN6thrust23THRUST_200600_302600_NS6detail15normal_iteratorINS9_10device_ptrIiEEEESE_PS5_SF_jNS0_19identity_decomposerENS1_16block_id_wrapperIjLb0EEEEE10hipError_tT1_PNSt15iterator_traitsISK_E10value_typeET2_T3_PNSL_ISQ_E10value_typeET4_T5_PSV_SW_PNS1_23onesweep_lookback_stateEbbT6_jjT7_P12ihipStream_tbENKUlT_T0_SK_SP_E_clISE_PiSF_SF_EEDaS13_S14_SK_SP_EUlS13_E_NS1_11comp_targetILNS1_3genE6ELNS1_11target_archE950ELNS1_3gpuE13ELNS1_3repE0EEENS1_47radix_sort_onesweep_sort_config_static_selectorELNS0_4arch9wavefront6targetE0EEEvSK_, .Lfunc_end373-_ZN7rocprim17ROCPRIM_400000_NS6detail17trampoline_kernelINS0_14default_configENS1_35radix_sort_onesweep_config_selectorIiNS0_10empty_typeEEEZZNS1_29radix_sort_onesweep_iterationIS3_Lb1EN6thrust23THRUST_200600_302600_NS6detail15normal_iteratorINS9_10device_ptrIiEEEESE_PS5_SF_jNS0_19identity_decomposerENS1_16block_id_wrapperIjLb0EEEEE10hipError_tT1_PNSt15iterator_traitsISK_E10value_typeET2_T3_PNSL_ISQ_E10value_typeET4_T5_PSV_SW_PNS1_23onesweep_lookback_stateEbbT6_jjT7_P12ihipStream_tbENKUlT_T0_SK_SP_E_clISE_PiSF_SF_EEDaS13_S14_SK_SP_EUlS13_E_NS1_11comp_targetILNS1_3genE6ELNS1_11target_archE950ELNS1_3gpuE13ELNS1_3repE0EEENS1_47radix_sort_onesweep_sort_config_static_selectorELNS0_4arch9wavefront6targetE0EEEvSK_
                                        ; -- End function
	.set _ZN7rocprim17ROCPRIM_400000_NS6detail17trampoline_kernelINS0_14default_configENS1_35radix_sort_onesweep_config_selectorIiNS0_10empty_typeEEEZZNS1_29radix_sort_onesweep_iterationIS3_Lb1EN6thrust23THRUST_200600_302600_NS6detail15normal_iteratorINS9_10device_ptrIiEEEESE_PS5_SF_jNS0_19identity_decomposerENS1_16block_id_wrapperIjLb0EEEEE10hipError_tT1_PNSt15iterator_traitsISK_E10value_typeET2_T3_PNSL_ISQ_E10value_typeET4_T5_PSV_SW_PNS1_23onesweep_lookback_stateEbbT6_jjT7_P12ihipStream_tbENKUlT_T0_SK_SP_E_clISE_PiSF_SF_EEDaS13_S14_SK_SP_EUlS13_E_NS1_11comp_targetILNS1_3genE6ELNS1_11target_archE950ELNS1_3gpuE13ELNS1_3repE0EEENS1_47radix_sort_onesweep_sort_config_static_selectorELNS0_4arch9wavefront6targetE0EEEvSK_.num_vgpr, 0
	.set _ZN7rocprim17ROCPRIM_400000_NS6detail17trampoline_kernelINS0_14default_configENS1_35radix_sort_onesweep_config_selectorIiNS0_10empty_typeEEEZZNS1_29radix_sort_onesweep_iterationIS3_Lb1EN6thrust23THRUST_200600_302600_NS6detail15normal_iteratorINS9_10device_ptrIiEEEESE_PS5_SF_jNS0_19identity_decomposerENS1_16block_id_wrapperIjLb0EEEEE10hipError_tT1_PNSt15iterator_traitsISK_E10value_typeET2_T3_PNSL_ISQ_E10value_typeET4_T5_PSV_SW_PNS1_23onesweep_lookback_stateEbbT6_jjT7_P12ihipStream_tbENKUlT_T0_SK_SP_E_clISE_PiSF_SF_EEDaS13_S14_SK_SP_EUlS13_E_NS1_11comp_targetILNS1_3genE6ELNS1_11target_archE950ELNS1_3gpuE13ELNS1_3repE0EEENS1_47radix_sort_onesweep_sort_config_static_selectorELNS0_4arch9wavefront6targetE0EEEvSK_.num_agpr, 0
	.set _ZN7rocprim17ROCPRIM_400000_NS6detail17trampoline_kernelINS0_14default_configENS1_35radix_sort_onesweep_config_selectorIiNS0_10empty_typeEEEZZNS1_29radix_sort_onesweep_iterationIS3_Lb1EN6thrust23THRUST_200600_302600_NS6detail15normal_iteratorINS9_10device_ptrIiEEEESE_PS5_SF_jNS0_19identity_decomposerENS1_16block_id_wrapperIjLb0EEEEE10hipError_tT1_PNSt15iterator_traitsISK_E10value_typeET2_T3_PNSL_ISQ_E10value_typeET4_T5_PSV_SW_PNS1_23onesweep_lookback_stateEbbT6_jjT7_P12ihipStream_tbENKUlT_T0_SK_SP_E_clISE_PiSF_SF_EEDaS13_S14_SK_SP_EUlS13_E_NS1_11comp_targetILNS1_3genE6ELNS1_11target_archE950ELNS1_3gpuE13ELNS1_3repE0EEENS1_47radix_sort_onesweep_sort_config_static_selectorELNS0_4arch9wavefront6targetE0EEEvSK_.numbered_sgpr, 0
	.set _ZN7rocprim17ROCPRIM_400000_NS6detail17trampoline_kernelINS0_14default_configENS1_35radix_sort_onesweep_config_selectorIiNS0_10empty_typeEEEZZNS1_29radix_sort_onesweep_iterationIS3_Lb1EN6thrust23THRUST_200600_302600_NS6detail15normal_iteratorINS9_10device_ptrIiEEEESE_PS5_SF_jNS0_19identity_decomposerENS1_16block_id_wrapperIjLb0EEEEE10hipError_tT1_PNSt15iterator_traitsISK_E10value_typeET2_T3_PNSL_ISQ_E10value_typeET4_T5_PSV_SW_PNS1_23onesweep_lookback_stateEbbT6_jjT7_P12ihipStream_tbENKUlT_T0_SK_SP_E_clISE_PiSF_SF_EEDaS13_S14_SK_SP_EUlS13_E_NS1_11comp_targetILNS1_3genE6ELNS1_11target_archE950ELNS1_3gpuE13ELNS1_3repE0EEENS1_47radix_sort_onesweep_sort_config_static_selectorELNS0_4arch9wavefront6targetE0EEEvSK_.num_named_barrier, 0
	.set _ZN7rocprim17ROCPRIM_400000_NS6detail17trampoline_kernelINS0_14default_configENS1_35radix_sort_onesweep_config_selectorIiNS0_10empty_typeEEEZZNS1_29radix_sort_onesweep_iterationIS3_Lb1EN6thrust23THRUST_200600_302600_NS6detail15normal_iteratorINS9_10device_ptrIiEEEESE_PS5_SF_jNS0_19identity_decomposerENS1_16block_id_wrapperIjLb0EEEEE10hipError_tT1_PNSt15iterator_traitsISK_E10value_typeET2_T3_PNSL_ISQ_E10value_typeET4_T5_PSV_SW_PNS1_23onesweep_lookback_stateEbbT6_jjT7_P12ihipStream_tbENKUlT_T0_SK_SP_E_clISE_PiSF_SF_EEDaS13_S14_SK_SP_EUlS13_E_NS1_11comp_targetILNS1_3genE6ELNS1_11target_archE950ELNS1_3gpuE13ELNS1_3repE0EEENS1_47radix_sort_onesweep_sort_config_static_selectorELNS0_4arch9wavefront6targetE0EEEvSK_.private_seg_size, 0
	.set _ZN7rocprim17ROCPRIM_400000_NS6detail17trampoline_kernelINS0_14default_configENS1_35radix_sort_onesweep_config_selectorIiNS0_10empty_typeEEEZZNS1_29radix_sort_onesweep_iterationIS3_Lb1EN6thrust23THRUST_200600_302600_NS6detail15normal_iteratorINS9_10device_ptrIiEEEESE_PS5_SF_jNS0_19identity_decomposerENS1_16block_id_wrapperIjLb0EEEEE10hipError_tT1_PNSt15iterator_traitsISK_E10value_typeET2_T3_PNSL_ISQ_E10value_typeET4_T5_PSV_SW_PNS1_23onesweep_lookback_stateEbbT6_jjT7_P12ihipStream_tbENKUlT_T0_SK_SP_E_clISE_PiSF_SF_EEDaS13_S14_SK_SP_EUlS13_E_NS1_11comp_targetILNS1_3genE6ELNS1_11target_archE950ELNS1_3gpuE13ELNS1_3repE0EEENS1_47radix_sort_onesweep_sort_config_static_selectorELNS0_4arch9wavefront6targetE0EEEvSK_.uses_vcc, 0
	.set _ZN7rocprim17ROCPRIM_400000_NS6detail17trampoline_kernelINS0_14default_configENS1_35radix_sort_onesweep_config_selectorIiNS0_10empty_typeEEEZZNS1_29radix_sort_onesweep_iterationIS3_Lb1EN6thrust23THRUST_200600_302600_NS6detail15normal_iteratorINS9_10device_ptrIiEEEESE_PS5_SF_jNS0_19identity_decomposerENS1_16block_id_wrapperIjLb0EEEEE10hipError_tT1_PNSt15iterator_traitsISK_E10value_typeET2_T3_PNSL_ISQ_E10value_typeET4_T5_PSV_SW_PNS1_23onesweep_lookback_stateEbbT6_jjT7_P12ihipStream_tbENKUlT_T0_SK_SP_E_clISE_PiSF_SF_EEDaS13_S14_SK_SP_EUlS13_E_NS1_11comp_targetILNS1_3genE6ELNS1_11target_archE950ELNS1_3gpuE13ELNS1_3repE0EEENS1_47radix_sort_onesweep_sort_config_static_selectorELNS0_4arch9wavefront6targetE0EEEvSK_.uses_flat_scratch, 0
	.set _ZN7rocprim17ROCPRIM_400000_NS6detail17trampoline_kernelINS0_14default_configENS1_35radix_sort_onesweep_config_selectorIiNS0_10empty_typeEEEZZNS1_29radix_sort_onesweep_iterationIS3_Lb1EN6thrust23THRUST_200600_302600_NS6detail15normal_iteratorINS9_10device_ptrIiEEEESE_PS5_SF_jNS0_19identity_decomposerENS1_16block_id_wrapperIjLb0EEEEE10hipError_tT1_PNSt15iterator_traitsISK_E10value_typeET2_T3_PNSL_ISQ_E10value_typeET4_T5_PSV_SW_PNS1_23onesweep_lookback_stateEbbT6_jjT7_P12ihipStream_tbENKUlT_T0_SK_SP_E_clISE_PiSF_SF_EEDaS13_S14_SK_SP_EUlS13_E_NS1_11comp_targetILNS1_3genE6ELNS1_11target_archE950ELNS1_3gpuE13ELNS1_3repE0EEENS1_47radix_sort_onesweep_sort_config_static_selectorELNS0_4arch9wavefront6targetE0EEEvSK_.has_dyn_sized_stack, 0
	.set _ZN7rocprim17ROCPRIM_400000_NS6detail17trampoline_kernelINS0_14default_configENS1_35radix_sort_onesweep_config_selectorIiNS0_10empty_typeEEEZZNS1_29radix_sort_onesweep_iterationIS3_Lb1EN6thrust23THRUST_200600_302600_NS6detail15normal_iteratorINS9_10device_ptrIiEEEESE_PS5_SF_jNS0_19identity_decomposerENS1_16block_id_wrapperIjLb0EEEEE10hipError_tT1_PNSt15iterator_traitsISK_E10value_typeET2_T3_PNSL_ISQ_E10value_typeET4_T5_PSV_SW_PNS1_23onesweep_lookback_stateEbbT6_jjT7_P12ihipStream_tbENKUlT_T0_SK_SP_E_clISE_PiSF_SF_EEDaS13_S14_SK_SP_EUlS13_E_NS1_11comp_targetILNS1_3genE6ELNS1_11target_archE950ELNS1_3gpuE13ELNS1_3repE0EEENS1_47radix_sort_onesweep_sort_config_static_selectorELNS0_4arch9wavefront6targetE0EEEvSK_.has_recursion, 0
	.set _ZN7rocprim17ROCPRIM_400000_NS6detail17trampoline_kernelINS0_14default_configENS1_35radix_sort_onesweep_config_selectorIiNS0_10empty_typeEEEZZNS1_29radix_sort_onesweep_iterationIS3_Lb1EN6thrust23THRUST_200600_302600_NS6detail15normal_iteratorINS9_10device_ptrIiEEEESE_PS5_SF_jNS0_19identity_decomposerENS1_16block_id_wrapperIjLb0EEEEE10hipError_tT1_PNSt15iterator_traitsISK_E10value_typeET2_T3_PNSL_ISQ_E10value_typeET4_T5_PSV_SW_PNS1_23onesweep_lookback_stateEbbT6_jjT7_P12ihipStream_tbENKUlT_T0_SK_SP_E_clISE_PiSF_SF_EEDaS13_S14_SK_SP_EUlS13_E_NS1_11comp_targetILNS1_3genE6ELNS1_11target_archE950ELNS1_3gpuE13ELNS1_3repE0EEENS1_47radix_sort_onesweep_sort_config_static_selectorELNS0_4arch9wavefront6targetE0EEEvSK_.has_indirect_call, 0
	.section	.AMDGPU.csdata,"",@progbits
; Kernel info:
; codeLenInByte = 0
; TotalNumSgprs: 0
; NumVgprs: 0
; ScratchSize: 0
; MemoryBound: 0
; FloatMode: 240
; IeeeMode: 1
; LDSByteSize: 0 bytes/workgroup (compile time only)
; SGPRBlocks: 0
; VGPRBlocks: 0
; NumSGPRsForWavesPerEU: 1
; NumVGPRsForWavesPerEU: 1
; Occupancy: 16
; WaveLimiterHint : 0
; COMPUTE_PGM_RSRC2:SCRATCH_EN: 0
; COMPUTE_PGM_RSRC2:USER_SGPR: 6
; COMPUTE_PGM_RSRC2:TRAP_HANDLER: 0
; COMPUTE_PGM_RSRC2:TGID_X_EN: 1
; COMPUTE_PGM_RSRC2:TGID_Y_EN: 0
; COMPUTE_PGM_RSRC2:TGID_Z_EN: 0
; COMPUTE_PGM_RSRC2:TIDIG_COMP_CNT: 0
	.section	.text._ZN7rocprim17ROCPRIM_400000_NS6detail17trampoline_kernelINS0_14default_configENS1_35radix_sort_onesweep_config_selectorIiNS0_10empty_typeEEEZZNS1_29radix_sort_onesweep_iterationIS3_Lb1EN6thrust23THRUST_200600_302600_NS6detail15normal_iteratorINS9_10device_ptrIiEEEESE_PS5_SF_jNS0_19identity_decomposerENS1_16block_id_wrapperIjLb0EEEEE10hipError_tT1_PNSt15iterator_traitsISK_E10value_typeET2_T3_PNSL_ISQ_E10value_typeET4_T5_PSV_SW_PNS1_23onesweep_lookback_stateEbbT6_jjT7_P12ihipStream_tbENKUlT_T0_SK_SP_E_clISE_PiSF_SF_EEDaS13_S14_SK_SP_EUlS13_E_NS1_11comp_targetILNS1_3genE5ELNS1_11target_archE942ELNS1_3gpuE9ELNS1_3repE0EEENS1_47radix_sort_onesweep_sort_config_static_selectorELNS0_4arch9wavefront6targetE0EEEvSK_,"axG",@progbits,_ZN7rocprim17ROCPRIM_400000_NS6detail17trampoline_kernelINS0_14default_configENS1_35radix_sort_onesweep_config_selectorIiNS0_10empty_typeEEEZZNS1_29radix_sort_onesweep_iterationIS3_Lb1EN6thrust23THRUST_200600_302600_NS6detail15normal_iteratorINS9_10device_ptrIiEEEESE_PS5_SF_jNS0_19identity_decomposerENS1_16block_id_wrapperIjLb0EEEEE10hipError_tT1_PNSt15iterator_traitsISK_E10value_typeET2_T3_PNSL_ISQ_E10value_typeET4_T5_PSV_SW_PNS1_23onesweep_lookback_stateEbbT6_jjT7_P12ihipStream_tbENKUlT_T0_SK_SP_E_clISE_PiSF_SF_EEDaS13_S14_SK_SP_EUlS13_E_NS1_11comp_targetILNS1_3genE5ELNS1_11target_archE942ELNS1_3gpuE9ELNS1_3repE0EEENS1_47radix_sort_onesweep_sort_config_static_selectorELNS0_4arch9wavefront6targetE0EEEvSK_,comdat
	.protected	_ZN7rocprim17ROCPRIM_400000_NS6detail17trampoline_kernelINS0_14default_configENS1_35radix_sort_onesweep_config_selectorIiNS0_10empty_typeEEEZZNS1_29radix_sort_onesweep_iterationIS3_Lb1EN6thrust23THRUST_200600_302600_NS6detail15normal_iteratorINS9_10device_ptrIiEEEESE_PS5_SF_jNS0_19identity_decomposerENS1_16block_id_wrapperIjLb0EEEEE10hipError_tT1_PNSt15iterator_traitsISK_E10value_typeET2_T3_PNSL_ISQ_E10value_typeET4_T5_PSV_SW_PNS1_23onesweep_lookback_stateEbbT6_jjT7_P12ihipStream_tbENKUlT_T0_SK_SP_E_clISE_PiSF_SF_EEDaS13_S14_SK_SP_EUlS13_E_NS1_11comp_targetILNS1_3genE5ELNS1_11target_archE942ELNS1_3gpuE9ELNS1_3repE0EEENS1_47radix_sort_onesweep_sort_config_static_selectorELNS0_4arch9wavefront6targetE0EEEvSK_ ; -- Begin function _ZN7rocprim17ROCPRIM_400000_NS6detail17trampoline_kernelINS0_14default_configENS1_35radix_sort_onesweep_config_selectorIiNS0_10empty_typeEEEZZNS1_29radix_sort_onesweep_iterationIS3_Lb1EN6thrust23THRUST_200600_302600_NS6detail15normal_iteratorINS9_10device_ptrIiEEEESE_PS5_SF_jNS0_19identity_decomposerENS1_16block_id_wrapperIjLb0EEEEE10hipError_tT1_PNSt15iterator_traitsISK_E10value_typeET2_T3_PNSL_ISQ_E10value_typeET4_T5_PSV_SW_PNS1_23onesweep_lookback_stateEbbT6_jjT7_P12ihipStream_tbENKUlT_T0_SK_SP_E_clISE_PiSF_SF_EEDaS13_S14_SK_SP_EUlS13_E_NS1_11comp_targetILNS1_3genE5ELNS1_11target_archE942ELNS1_3gpuE9ELNS1_3repE0EEENS1_47radix_sort_onesweep_sort_config_static_selectorELNS0_4arch9wavefront6targetE0EEEvSK_
	.globl	_ZN7rocprim17ROCPRIM_400000_NS6detail17trampoline_kernelINS0_14default_configENS1_35radix_sort_onesweep_config_selectorIiNS0_10empty_typeEEEZZNS1_29radix_sort_onesweep_iterationIS3_Lb1EN6thrust23THRUST_200600_302600_NS6detail15normal_iteratorINS9_10device_ptrIiEEEESE_PS5_SF_jNS0_19identity_decomposerENS1_16block_id_wrapperIjLb0EEEEE10hipError_tT1_PNSt15iterator_traitsISK_E10value_typeET2_T3_PNSL_ISQ_E10value_typeET4_T5_PSV_SW_PNS1_23onesweep_lookback_stateEbbT6_jjT7_P12ihipStream_tbENKUlT_T0_SK_SP_E_clISE_PiSF_SF_EEDaS13_S14_SK_SP_EUlS13_E_NS1_11comp_targetILNS1_3genE5ELNS1_11target_archE942ELNS1_3gpuE9ELNS1_3repE0EEENS1_47radix_sort_onesweep_sort_config_static_selectorELNS0_4arch9wavefront6targetE0EEEvSK_
	.p2align	8
	.type	_ZN7rocprim17ROCPRIM_400000_NS6detail17trampoline_kernelINS0_14default_configENS1_35radix_sort_onesweep_config_selectorIiNS0_10empty_typeEEEZZNS1_29radix_sort_onesweep_iterationIS3_Lb1EN6thrust23THRUST_200600_302600_NS6detail15normal_iteratorINS9_10device_ptrIiEEEESE_PS5_SF_jNS0_19identity_decomposerENS1_16block_id_wrapperIjLb0EEEEE10hipError_tT1_PNSt15iterator_traitsISK_E10value_typeET2_T3_PNSL_ISQ_E10value_typeET4_T5_PSV_SW_PNS1_23onesweep_lookback_stateEbbT6_jjT7_P12ihipStream_tbENKUlT_T0_SK_SP_E_clISE_PiSF_SF_EEDaS13_S14_SK_SP_EUlS13_E_NS1_11comp_targetILNS1_3genE5ELNS1_11target_archE942ELNS1_3gpuE9ELNS1_3repE0EEENS1_47radix_sort_onesweep_sort_config_static_selectorELNS0_4arch9wavefront6targetE0EEEvSK_,@function
_ZN7rocprim17ROCPRIM_400000_NS6detail17trampoline_kernelINS0_14default_configENS1_35radix_sort_onesweep_config_selectorIiNS0_10empty_typeEEEZZNS1_29radix_sort_onesweep_iterationIS3_Lb1EN6thrust23THRUST_200600_302600_NS6detail15normal_iteratorINS9_10device_ptrIiEEEESE_PS5_SF_jNS0_19identity_decomposerENS1_16block_id_wrapperIjLb0EEEEE10hipError_tT1_PNSt15iterator_traitsISK_E10value_typeET2_T3_PNSL_ISQ_E10value_typeET4_T5_PSV_SW_PNS1_23onesweep_lookback_stateEbbT6_jjT7_P12ihipStream_tbENKUlT_T0_SK_SP_E_clISE_PiSF_SF_EEDaS13_S14_SK_SP_EUlS13_E_NS1_11comp_targetILNS1_3genE5ELNS1_11target_archE942ELNS1_3gpuE9ELNS1_3repE0EEENS1_47radix_sort_onesweep_sort_config_static_selectorELNS0_4arch9wavefront6targetE0EEEvSK_: ; @_ZN7rocprim17ROCPRIM_400000_NS6detail17trampoline_kernelINS0_14default_configENS1_35radix_sort_onesweep_config_selectorIiNS0_10empty_typeEEEZZNS1_29radix_sort_onesweep_iterationIS3_Lb1EN6thrust23THRUST_200600_302600_NS6detail15normal_iteratorINS9_10device_ptrIiEEEESE_PS5_SF_jNS0_19identity_decomposerENS1_16block_id_wrapperIjLb0EEEEE10hipError_tT1_PNSt15iterator_traitsISK_E10value_typeET2_T3_PNSL_ISQ_E10value_typeET4_T5_PSV_SW_PNS1_23onesweep_lookback_stateEbbT6_jjT7_P12ihipStream_tbENKUlT_T0_SK_SP_E_clISE_PiSF_SF_EEDaS13_S14_SK_SP_EUlS13_E_NS1_11comp_targetILNS1_3genE5ELNS1_11target_archE942ELNS1_3gpuE9ELNS1_3repE0EEENS1_47radix_sort_onesweep_sort_config_static_selectorELNS0_4arch9wavefront6targetE0EEEvSK_
; %bb.0:
	.section	.rodata,"a",@progbits
	.p2align	6, 0x0
	.amdhsa_kernel _ZN7rocprim17ROCPRIM_400000_NS6detail17trampoline_kernelINS0_14default_configENS1_35radix_sort_onesweep_config_selectorIiNS0_10empty_typeEEEZZNS1_29radix_sort_onesweep_iterationIS3_Lb1EN6thrust23THRUST_200600_302600_NS6detail15normal_iteratorINS9_10device_ptrIiEEEESE_PS5_SF_jNS0_19identity_decomposerENS1_16block_id_wrapperIjLb0EEEEE10hipError_tT1_PNSt15iterator_traitsISK_E10value_typeET2_T3_PNSL_ISQ_E10value_typeET4_T5_PSV_SW_PNS1_23onesweep_lookback_stateEbbT6_jjT7_P12ihipStream_tbENKUlT_T0_SK_SP_E_clISE_PiSF_SF_EEDaS13_S14_SK_SP_EUlS13_E_NS1_11comp_targetILNS1_3genE5ELNS1_11target_archE942ELNS1_3gpuE9ELNS1_3repE0EEENS1_47radix_sort_onesweep_sort_config_static_selectorELNS0_4arch9wavefront6targetE0EEEvSK_
		.amdhsa_group_segment_fixed_size 0
		.amdhsa_private_segment_fixed_size 0
		.amdhsa_kernarg_size 88
		.amdhsa_user_sgpr_count 6
		.amdhsa_user_sgpr_private_segment_buffer 1
		.amdhsa_user_sgpr_dispatch_ptr 0
		.amdhsa_user_sgpr_queue_ptr 0
		.amdhsa_user_sgpr_kernarg_segment_ptr 1
		.amdhsa_user_sgpr_dispatch_id 0
		.amdhsa_user_sgpr_flat_scratch_init 0
		.amdhsa_user_sgpr_private_segment_size 0
		.amdhsa_wavefront_size32 1
		.amdhsa_uses_dynamic_stack 0
		.amdhsa_system_sgpr_private_segment_wavefront_offset 0
		.amdhsa_system_sgpr_workgroup_id_x 1
		.amdhsa_system_sgpr_workgroup_id_y 0
		.amdhsa_system_sgpr_workgroup_id_z 0
		.amdhsa_system_sgpr_workgroup_info 0
		.amdhsa_system_vgpr_workitem_id 0
		.amdhsa_next_free_vgpr 1
		.amdhsa_next_free_sgpr 1
		.amdhsa_reserve_vcc 0
		.amdhsa_reserve_flat_scratch 0
		.amdhsa_float_round_mode_32 0
		.amdhsa_float_round_mode_16_64 0
		.amdhsa_float_denorm_mode_32 3
		.amdhsa_float_denorm_mode_16_64 3
		.amdhsa_dx10_clamp 1
		.amdhsa_ieee_mode 1
		.amdhsa_fp16_overflow 0
		.amdhsa_workgroup_processor_mode 1
		.amdhsa_memory_ordered 1
		.amdhsa_forward_progress 1
		.amdhsa_shared_vgpr_count 0
		.amdhsa_exception_fp_ieee_invalid_op 0
		.amdhsa_exception_fp_denorm_src 0
		.amdhsa_exception_fp_ieee_div_zero 0
		.amdhsa_exception_fp_ieee_overflow 0
		.amdhsa_exception_fp_ieee_underflow 0
		.amdhsa_exception_fp_ieee_inexact 0
		.amdhsa_exception_int_div_zero 0
	.end_amdhsa_kernel
	.section	.text._ZN7rocprim17ROCPRIM_400000_NS6detail17trampoline_kernelINS0_14default_configENS1_35radix_sort_onesweep_config_selectorIiNS0_10empty_typeEEEZZNS1_29radix_sort_onesweep_iterationIS3_Lb1EN6thrust23THRUST_200600_302600_NS6detail15normal_iteratorINS9_10device_ptrIiEEEESE_PS5_SF_jNS0_19identity_decomposerENS1_16block_id_wrapperIjLb0EEEEE10hipError_tT1_PNSt15iterator_traitsISK_E10value_typeET2_T3_PNSL_ISQ_E10value_typeET4_T5_PSV_SW_PNS1_23onesweep_lookback_stateEbbT6_jjT7_P12ihipStream_tbENKUlT_T0_SK_SP_E_clISE_PiSF_SF_EEDaS13_S14_SK_SP_EUlS13_E_NS1_11comp_targetILNS1_3genE5ELNS1_11target_archE942ELNS1_3gpuE9ELNS1_3repE0EEENS1_47radix_sort_onesweep_sort_config_static_selectorELNS0_4arch9wavefront6targetE0EEEvSK_,"axG",@progbits,_ZN7rocprim17ROCPRIM_400000_NS6detail17trampoline_kernelINS0_14default_configENS1_35radix_sort_onesweep_config_selectorIiNS0_10empty_typeEEEZZNS1_29radix_sort_onesweep_iterationIS3_Lb1EN6thrust23THRUST_200600_302600_NS6detail15normal_iteratorINS9_10device_ptrIiEEEESE_PS5_SF_jNS0_19identity_decomposerENS1_16block_id_wrapperIjLb0EEEEE10hipError_tT1_PNSt15iterator_traitsISK_E10value_typeET2_T3_PNSL_ISQ_E10value_typeET4_T5_PSV_SW_PNS1_23onesweep_lookback_stateEbbT6_jjT7_P12ihipStream_tbENKUlT_T0_SK_SP_E_clISE_PiSF_SF_EEDaS13_S14_SK_SP_EUlS13_E_NS1_11comp_targetILNS1_3genE5ELNS1_11target_archE942ELNS1_3gpuE9ELNS1_3repE0EEENS1_47radix_sort_onesweep_sort_config_static_selectorELNS0_4arch9wavefront6targetE0EEEvSK_,comdat
.Lfunc_end374:
	.size	_ZN7rocprim17ROCPRIM_400000_NS6detail17trampoline_kernelINS0_14default_configENS1_35radix_sort_onesweep_config_selectorIiNS0_10empty_typeEEEZZNS1_29radix_sort_onesweep_iterationIS3_Lb1EN6thrust23THRUST_200600_302600_NS6detail15normal_iteratorINS9_10device_ptrIiEEEESE_PS5_SF_jNS0_19identity_decomposerENS1_16block_id_wrapperIjLb0EEEEE10hipError_tT1_PNSt15iterator_traitsISK_E10value_typeET2_T3_PNSL_ISQ_E10value_typeET4_T5_PSV_SW_PNS1_23onesweep_lookback_stateEbbT6_jjT7_P12ihipStream_tbENKUlT_T0_SK_SP_E_clISE_PiSF_SF_EEDaS13_S14_SK_SP_EUlS13_E_NS1_11comp_targetILNS1_3genE5ELNS1_11target_archE942ELNS1_3gpuE9ELNS1_3repE0EEENS1_47radix_sort_onesweep_sort_config_static_selectorELNS0_4arch9wavefront6targetE0EEEvSK_, .Lfunc_end374-_ZN7rocprim17ROCPRIM_400000_NS6detail17trampoline_kernelINS0_14default_configENS1_35radix_sort_onesweep_config_selectorIiNS0_10empty_typeEEEZZNS1_29radix_sort_onesweep_iterationIS3_Lb1EN6thrust23THRUST_200600_302600_NS6detail15normal_iteratorINS9_10device_ptrIiEEEESE_PS5_SF_jNS0_19identity_decomposerENS1_16block_id_wrapperIjLb0EEEEE10hipError_tT1_PNSt15iterator_traitsISK_E10value_typeET2_T3_PNSL_ISQ_E10value_typeET4_T5_PSV_SW_PNS1_23onesweep_lookback_stateEbbT6_jjT7_P12ihipStream_tbENKUlT_T0_SK_SP_E_clISE_PiSF_SF_EEDaS13_S14_SK_SP_EUlS13_E_NS1_11comp_targetILNS1_3genE5ELNS1_11target_archE942ELNS1_3gpuE9ELNS1_3repE0EEENS1_47radix_sort_onesweep_sort_config_static_selectorELNS0_4arch9wavefront6targetE0EEEvSK_
                                        ; -- End function
	.set _ZN7rocprim17ROCPRIM_400000_NS6detail17trampoline_kernelINS0_14default_configENS1_35radix_sort_onesweep_config_selectorIiNS0_10empty_typeEEEZZNS1_29radix_sort_onesweep_iterationIS3_Lb1EN6thrust23THRUST_200600_302600_NS6detail15normal_iteratorINS9_10device_ptrIiEEEESE_PS5_SF_jNS0_19identity_decomposerENS1_16block_id_wrapperIjLb0EEEEE10hipError_tT1_PNSt15iterator_traitsISK_E10value_typeET2_T3_PNSL_ISQ_E10value_typeET4_T5_PSV_SW_PNS1_23onesweep_lookback_stateEbbT6_jjT7_P12ihipStream_tbENKUlT_T0_SK_SP_E_clISE_PiSF_SF_EEDaS13_S14_SK_SP_EUlS13_E_NS1_11comp_targetILNS1_3genE5ELNS1_11target_archE942ELNS1_3gpuE9ELNS1_3repE0EEENS1_47radix_sort_onesweep_sort_config_static_selectorELNS0_4arch9wavefront6targetE0EEEvSK_.num_vgpr, 0
	.set _ZN7rocprim17ROCPRIM_400000_NS6detail17trampoline_kernelINS0_14default_configENS1_35radix_sort_onesweep_config_selectorIiNS0_10empty_typeEEEZZNS1_29radix_sort_onesweep_iterationIS3_Lb1EN6thrust23THRUST_200600_302600_NS6detail15normal_iteratorINS9_10device_ptrIiEEEESE_PS5_SF_jNS0_19identity_decomposerENS1_16block_id_wrapperIjLb0EEEEE10hipError_tT1_PNSt15iterator_traitsISK_E10value_typeET2_T3_PNSL_ISQ_E10value_typeET4_T5_PSV_SW_PNS1_23onesweep_lookback_stateEbbT6_jjT7_P12ihipStream_tbENKUlT_T0_SK_SP_E_clISE_PiSF_SF_EEDaS13_S14_SK_SP_EUlS13_E_NS1_11comp_targetILNS1_3genE5ELNS1_11target_archE942ELNS1_3gpuE9ELNS1_3repE0EEENS1_47radix_sort_onesweep_sort_config_static_selectorELNS0_4arch9wavefront6targetE0EEEvSK_.num_agpr, 0
	.set _ZN7rocprim17ROCPRIM_400000_NS6detail17trampoline_kernelINS0_14default_configENS1_35radix_sort_onesweep_config_selectorIiNS0_10empty_typeEEEZZNS1_29radix_sort_onesweep_iterationIS3_Lb1EN6thrust23THRUST_200600_302600_NS6detail15normal_iteratorINS9_10device_ptrIiEEEESE_PS5_SF_jNS0_19identity_decomposerENS1_16block_id_wrapperIjLb0EEEEE10hipError_tT1_PNSt15iterator_traitsISK_E10value_typeET2_T3_PNSL_ISQ_E10value_typeET4_T5_PSV_SW_PNS1_23onesweep_lookback_stateEbbT6_jjT7_P12ihipStream_tbENKUlT_T0_SK_SP_E_clISE_PiSF_SF_EEDaS13_S14_SK_SP_EUlS13_E_NS1_11comp_targetILNS1_3genE5ELNS1_11target_archE942ELNS1_3gpuE9ELNS1_3repE0EEENS1_47radix_sort_onesweep_sort_config_static_selectorELNS0_4arch9wavefront6targetE0EEEvSK_.numbered_sgpr, 0
	.set _ZN7rocprim17ROCPRIM_400000_NS6detail17trampoline_kernelINS0_14default_configENS1_35radix_sort_onesweep_config_selectorIiNS0_10empty_typeEEEZZNS1_29radix_sort_onesweep_iterationIS3_Lb1EN6thrust23THRUST_200600_302600_NS6detail15normal_iteratorINS9_10device_ptrIiEEEESE_PS5_SF_jNS0_19identity_decomposerENS1_16block_id_wrapperIjLb0EEEEE10hipError_tT1_PNSt15iterator_traitsISK_E10value_typeET2_T3_PNSL_ISQ_E10value_typeET4_T5_PSV_SW_PNS1_23onesweep_lookback_stateEbbT6_jjT7_P12ihipStream_tbENKUlT_T0_SK_SP_E_clISE_PiSF_SF_EEDaS13_S14_SK_SP_EUlS13_E_NS1_11comp_targetILNS1_3genE5ELNS1_11target_archE942ELNS1_3gpuE9ELNS1_3repE0EEENS1_47radix_sort_onesweep_sort_config_static_selectorELNS0_4arch9wavefront6targetE0EEEvSK_.num_named_barrier, 0
	.set _ZN7rocprim17ROCPRIM_400000_NS6detail17trampoline_kernelINS0_14default_configENS1_35radix_sort_onesweep_config_selectorIiNS0_10empty_typeEEEZZNS1_29radix_sort_onesweep_iterationIS3_Lb1EN6thrust23THRUST_200600_302600_NS6detail15normal_iteratorINS9_10device_ptrIiEEEESE_PS5_SF_jNS0_19identity_decomposerENS1_16block_id_wrapperIjLb0EEEEE10hipError_tT1_PNSt15iterator_traitsISK_E10value_typeET2_T3_PNSL_ISQ_E10value_typeET4_T5_PSV_SW_PNS1_23onesweep_lookback_stateEbbT6_jjT7_P12ihipStream_tbENKUlT_T0_SK_SP_E_clISE_PiSF_SF_EEDaS13_S14_SK_SP_EUlS13_E_NS1_11comp_targetILNS1_3genE5ELNS1_11target_archE942ELNS1_3gpuE9ELNS1_3repE0EEENS1_47radix_sort_onesweep_sort_config_static_selectorELNS0_4arch9wavefront6targetE0EEEvSK_.private_seg_size, 0
	.set _ZN7rocprim17ROCPRIM_400000_NS6detail17trampoline_kernelINS0_14default_configENS1_35radix_sort_onesweep_config_selectorIiNS0_10empty_typeEEEZZNS1_29radix_sort_onesweep_iterationIS3_Lb1EN6thrust23THRUST_200600_302600_NS6detail15normal_iteratorINS9_10device_ptrIiEEEESE_PS5_SF_jNS0_19identity_decomposerENS1_16block_id_wrapperIjLb0EEEEE10hipError_tT1_PNSt15iterator_traitsISK_E10value_typeET2_T3_PNSL_ISQ_E10value_typeET4_T5_PSV_SW_PNS1_23onesweep_lookback_stateEbbT6_jjT7_P12ihipStream_tbENKUlT_T0_SK_SP_E_clISE_PiSF_SF_EEDaS13_S14_SK_SP_EUlS13_E_NS1_11comp_targetILNS1_3genE5ELNS1_11target_archE942ELNS1_3gpuE9ELNS1_3repE0EEENS1_47radix_sort_onesweep_sort_config_static_selectorELNS0_4arch9wavefront6targetE0EEEvSK_.uses_vcc, 0
	.set _ZN7rocprim17ROCPRIM_400000_NS6detail17trampoline_kernelINS0_14default_configENS1_35radix_sort_onesweep_config_selectorIiNS0_10empty_typeEEEZZNS1_29radix_sort_onesweep_iterationIS3_Lb1EN6thrust23THRUST_200600_302600_NS6detail15normal_iteratorINS9_10device_ptrIiEEEESE_PS5_SF_jNS0_19identity_decomposerENS1_16block_id_wrapperIjLb0EEEEE10hipError_tT1_PNSt15iterator_traitsISK_E10value_typeET2_T3_PNSL_ISQ_E10value_typeET4_T5_PSV_SW_PNS1_23onesweep_lookback_stateEbbT6_jjT7_P12ihipStream_tbENKUlT_T0_SK_SP_E_clISE_PiSF_SF_EEDaS13_S14_SK_SP_EUlS13_E_NS1_11comp_targetILNS1_3genE5ELNS1_11target_archE942ELNS1_3gpuE9ELNS1_3repE0EEENS1_47radix_sort_onesweep_sort_config_static_selectorELNS0_4arch9wavefront6targetE0EEEvSK_.uses_flat_scratch, 0
	.set _ZN7rocprim17ROCPRIM_400000_NS6detail17trampoline_kernelINS0_14default_configENS1_35radix_sort_onesweep_config_selectorIiNS0_10empty_typeEEEZZNS1_29radix_sort_onesweep_iterationIS3_Lb1EN6thrust23THRUST_200600_302600_NS6detail15normal_iteratorINS9_10device_ptrIiEEEESE_PS5_SF_jNS0_19identity_decomposerENS1_16block_id_wrapperIjLb0EEEEE10hipError_tT1_PNSt15iterator_traitsISK_E10value_typeET2_T3_PNSL_ISQ_E10value_typeET4_T5_PSV_SW_PNS1_23onesweep_lookback_stateEbbT6_jjT7_P12ihipStream_tbENKUlT_T0_SK_SP_E_clISE_PiSF_SF_EEDaS13_S14_SK_SP_EUlS13_E_NS1_11comp_targetILNS1_3genE5ELNS1_11target_archE942ELNS1_3gpuE9ELNS1_3repE0EEENS1_47radix_sort_onesweep_sort_config_static_selectorELNS0_4arch9wavefront6targetE0EEEvSK_.has_dyn_sized_stack, 0
	.set _ZN7rocprim17ROCPRIM_400000_NS6detail17trampoline_kernelINS0_14default_configENS1_35radix_sort_onesweep_config_selectorIiNS0_10empty_typeEEEZZNS1_29radix_sort_onesweep_iterationIS3_Lb1EN6thrust23THRUST_200600_302600_NS6detail15normal_iteratorINS9_10device_ptrIiEEEESE_PS5_SF_jNS0_19identity_decomposerENS1_16block_id_wrapperIjLb0EEEEE10hipError_tT1_PNSt15iterator_traitsISK_E10value_typeET2_T3_PNSL_ISQ_E10value_typeET4_T5_PSV_SW_PNS1_23onesweep_lookback_stateEbbT6_jjT7_P12ihipStream_tbENKUlT_T0_SK_SP_E_clISE_PiSF_SF_EEDaS13_S14_SK_SP_EUlS13_E_NS1_11comp_targetILNS1_3genE5ELNS1_11target_archE942ELNS1_3gpuE9ELNS1_3repE0EEENS1_47radix_sort_onesweep_sort_config_static_selectorELNS0_4arch9wavefront6targetE0EEEvSK_.has_recursion, 0
	.set _ZN7rocprim17ROCPRIM_400000_NS6detail17trampoline_kernelINS0_14default_configENS1_35radix_sort_onesweep_config_selectorIiNS0_10empty_typeEEEZZNS1_29radix_sort_onesweep_iterationIS3_Lb1EN6thrust23THRUST_200600_302600_NS6detail15normal_iteratorINS9_10device_ptrIiEEEESE_PS5_SF_jNS0_19identity_decomposerENS1_16block_id_wrapperIjLb0EEEEE10hipError_tT1_PNSt15iterator_traitsISK_E10value_typeET2_T3_PNSL_ISQ_E10value_typeET4_T5_PSV_SW_PNS1_23onesweep_lookback_stateEbbT6_jjT7_P12ihipStream_tbENKUlT_T0_SK_SP_E_clISE_PiSF_SF_EEDaS13_S14_SK_SP_EUlS13_E_NS1_11comp_targetILNS1_3genE5ELNS1_11target_archE942ELNS1_3gpuE9ELNS1_3repE0EEENS1_47radix_sort_onesweep_sort_config_static_selectorELNS0_4arch9wavefront6targetE0EEEvSK_.has_indirect_call, 0
	.section	.AMDGPU.csdata,"",@progbits
; Kernel info:
; codeLenInByte = 0
; TotalNumSgprs: 0
; NumVgprs: 0
; ScratchSize: 0
; MemoryBound: 0
; FloatMode: 240
; IeeeMode: 1
; LDSByteSize: 0 bytes/workgroup (compile time only)
; SGPRBlocks: 0
; VGPRBlocks: 0
; NumSGPRsForWavesPerEU: 1
; NumVGPRsForWavesPerEU: 1
; Occupancy: 16
; WaveLimiterHint : 0
; COMPUTE_PGM_RSRC2:SCRATCH_EN: 0
; COMPUTE_PGM_RSRC2:USER_SGPR: 6
; COMPUTE_PGM_RSRC2:TRAP_HANDLER: 0
; COMPUTE_PGM_RSRC2:TGID_X_EN: 1
; COMPUTE_PGM_RSRC2:TGID_Y_EN: 0
; COMPUTE_PGM_RSRC2:TGID_Z_EN: 0
; COMPUTE_PGM_RSRC2:TIDIG_COMP_CNT: 0
	.section	.text._ZN7rocprim17ROCPRIM_400000_NS6detail17trampoline_kernelINS0_14default_configENS1_35radix_sort_onesweep_config_selectorIiNS0_10empty_typeEEEZZNS1_29radix_sort_onesweep_iterationIS3_Lb1EN6thrust23THRUST_200600_302600_NS6detail15normal_iteratorINS9_10device_ptrIiEEEESE_PS5_SF_jNS0_19identity_decomposerENS1_16block_id_wrapperIjLb0EEEEE10hipError_tT1_PNSt15iterator_traitsISK_E10value_typeET2_T3_PNSL_ISQ_E10value_typeET4_T5_PSV_SW_PNS1_23onesweep_lookback_stateEbbT6_jjT7_P12ihipStream_tbENKUlT_T0_SK_SP_E_clISE_PiSF_SF_EEDaS13_S14_SK_SP_EUlS13_E_NS1_11comp_targetILNS1_3genE2ELNS1_11target_archE906ELNS1_3gpuE6ELNS1_3repE0EEENS1_47radix_sort_onesweep_sort_config_static_selectorELNS0_4arch9wavefront6targetE0EEEvSK_,"axG",@progbits,_ZN7rocprim17ROCPRIM_400000_NS6detail17trampoline_kernelINS0_14default_configENS1_35radix_sort_onesweep_config_selectorIiNS0_10empty_typeEEEZZNS1_29radix_sort_onesweep_iterationIS3_Lb1EN6thrust23THRUST_200600_302600_NS6detail15normal_iteratorINS9_10device_ptrIiEEEESE_PS5_SF_jNS0_19identity_decomposerENS1_16block_id_wrapperIjLb0EEEEE10hipError_tT1_PNSt15iterator_traitsISK_E10value_typeET2_T3_PNSL_ISQ_E10value_typeET4_T5_PSV_SW_PNS1_23onesweep_lookback_stateEbbT6_jjT7_P12ihipStream_tbENKUlT_T0_SK_SP_E_clISE_PiSF_SF_EEDaS13_S14_SK_SP_EUlS13_E_NS1_11comp_targetILNS1_3genE2ELNS1_11target_archE906ELNS1_3gpuE6ELNS1_3repE0EEENS1_47radix_sort_onesweep_sort_config_static_selectorELNS0_4arch9wavefront6targetE0EEEvSK_,comdat
	.protected	_ZN7rocprim17ROCPRIM_400000_NS6detail17trampoline_kernelINS0_14default_configENS1_35radix_sort_onesweep_config_selectorIiNS0_10empty_typeEEEZZNS1_29radix_sort_onesweep_iterationIS3_Lb1EN6thrust23THRUST_200600_302600_NS6detail15normal_iteratorINS9_10device_ptrIiEEEESE_PS5_SF_jNS0_19identity_decomposerENS1_16block_id_wrapperIjLb0EEEEE10hipError_tT1_PNSt15iterator_traitsISK_E10value_typeET2_T3_PNSL_ISQ_E10value_typeET4_T5_PSV_SW_PNS1_23onesweep_lookback_stateEbbT6_jjT7_P12ihipStream_tbENKUlT_T0_SK_SP_E_clISE_PiSF_SF_EEDaS13_S14_SK_SP_EUlS13_E_NS1_11comp_targetILNS1_3genE2ELNS1_11target_archE906ELNS1_3gpuE6ELNS1_3repE0EEENS1_47radix_sort_onesweep_sort_config_static_selectorELNS0_4arch9wavefront6targetE0EEEvSK_ ; -- Begin function _ZN7rocprim17ROCPRIM_400000_NS6detail17trampoline_kernelINS0_14default_configENS1_35radix_sort_onesweep_config_selectorIiNS0_10empty_typeEEEZZNS1_29radix_sort_onesweep_iterationIS3_Lb1EN6thrust23THRUST_200600_302600_NS6detail15normal_iteratorINS9_10device_ptrIiEEEESE_PS5_SF_jNS0_19identity_decomposerENS1_16block_id_wrapperIjLb0EEEEE10hipError_tT1_PNSt15iterator_traitsISK_E10value_typeET2_T3_PNSL_ISQ_E10value_typeET4_T5_PSV_SW_PNS1_23onesweep_lookback_stateEbbT6_jjT7_P12ihipStream_tbENKUlT_T0_SK_SP_E_clISE_PiSF_SF_EEDaS13_S14_SK_SP_EUlS13_E_NS1_11comp_targetILNS1_3genE2ELNS1_11target_archE906ELNS1_3gpuE6ELNS1_3repE0EEENS1_47radix_sort_onesweep_sort_config_static_selectorELNS0_4arch9wavefront6targetE0EEEvSK_
	.globl	_ZN7rocprim17ROCPRIM_400000_NS6detail17trampoline_kernelINS0_14default_configENS1_35radix_sort_onesweep_config_selectorIiNS0_10empty_typeEEEZZNS1_29radix_sort_onesweep_iterationIS3_Lb1EN6thrust23THRUST_200600_302600_NS6detail15normal_iteratorINS9_10device_ptrIiEEEESE_PS5_SF_jNS0_19identity_decomposerENS1_16block_id_wrapperIjLb0EEEEE10hipError_tT1_PNSt15iterator_traitsISK_E10value_typeET2_T3_PNSL_ISQ_E10value_typeET4_T5_PSV_SW_PNS1_23onesweep_lookback_stateEbbT6_jjT7_P12ihipStream_tbENKUlT_T0_SK_SP_E_clISE_PiSF_SF_EEDaS13_S14_SK_SP_EUlS13_E_NS1_11comp_targetILNS1_3genE2ELNS1_11target_archE906ELNS1_3gpuE6ELNS1_3repE0EEENS1_47radix_sort_onesweep_sort_config_static_selectorELNS0_4arch9wavefront6targetE0EEEvSK_
	.p2align	8
	.type	_ZN7rocprim17ROCPRIM_400000_NS6detail17trampoline_kernelINS0_14default_configENS1_35radix_sort_onesweep_config_selectorIiNS0_10empty_typeEEEZZNS1_29radix_sort_onesweep_iterationIS3_Lb1EN6thrust23THRUST_200600_302600_NS6detail15normal_iteratorINS9_10device_ptrIiEEEESE_PS5_SF_jNS0_19identity_decomposerENS1_16block_id_wrapperIjLb0EEEEE10hipError_tT1_PNSt15iterator_traitsISK_E10value_typeET2_T3_PNSL_ISQ_E10value_typeET4_T5_PSV_SW_PNS1_23onesweep_lookback_stateEbbT6_jjT7_P12ihipStream_tbENKUlT_T0_SK_SP_E_clISE_PiSF_SF_EEDaS13_S14_SK_SP_EUlS13_E_NS1_11comp_targetILNS1_3genE2ELNS1_11target_archE906ELNS1_3gpuE6ELNS1_3repE0EEENS1_47radix_sort_onesweep_sort_config_static_selectorELNS0_4arch9wavefront6targetE0EEEvSK_,@function
_ZN7rocprim17ROCPRIM_400000_NS6detail17trampoline_kernelINS0_14default_configENS1_35radix_sort_onesweep_config_selectorIiNS0_10empty_typeEEEZZNS1_29radix_sort_onesweep_iterationIS3_Lb1EN6thrust23THRUST_200600_302600_NS6detail15normal_iteratorINS9_10device_ptrIiEEEESE_PS5_SF_jNS0_19identity_decomposerENS1_16block_id_wrapperIjLb0EEEEE10hipError_tT1_PNSt15iterator_traitsISK_E10value_typeET2_T3_PNSL_ISQ_E10value_typeET4_T5_PSV_SW_PNS1_23onesweep_lookback_stateEbbT6_jjT7_P12ihipStream_tbENKUlT_T0_SK_SP_E_clISE_PiSF_SF_EEDaS13_S14_SK_SP_EUlS13_E_NS1_11comp_targetILNS1_3genE2ELNS1_11target_archE906ELNS1_3gpuE6ELNS1_3repE0EEENS1_47radix_sort_onesweep_sort_config_static_selectorELNS0_4arch9wavefront6targetE0EEEvSK_: ; @_ZN7rocprim17ROCPRIM_400000_NS6detail17trampoline_kernelINS0_14default_configENS1_35radix_sort_onesweep_config_selectorIiNS0_10empty_typeEEEZZNS1_29radix_sort_onesweep_iterationIS3_Lb1EN6thrust23THRUST_200600_302600_NS6detail15normal_iteratorINS9_10device_ptrIiEEEESE_PS5_SF_jNS0_19identity_decomposerENS1_16block_id_wrapperIjLb0EEEEE10hipError_tT1_PNSt15iterator_traitsISK_E10value_typeET2_T3_PNSL_ISQ_E10value_typeET4_T5_PSV_SW_PNS1_23onesweep_lookback_stateEbbT6_jjT7_P12ihipStream_tbENKUlT_T0_SK_SP_E_clISE_PiSF_SF_EEDaS13_S14_SK_SP_EUlS13_E_NS1_11comp_targetILNS1_3genE2ELNS1_11target_archE906ELNS1_3gpuE6ELNS1_3repE0EEENS1_47radix_sort_onesweep_sort_config_static_selectorELNS0_4arch9wavefront6targetE0EEEvSK_
; %bb.0:
	.section	.rodata,"a",@progbits
	.p2align	6, 0x0
	.amdhsa_kernel _ZN7rocprim17ROCPRIM_400000_NS6detail17trampoline_kernelINS0_14default_configENS1_35radix_sort_onesweep_config_selectorIiNS0_10empty_typeEEEZZNS1_29radix_sort_onesweep_iterationIS3_Lb1EN6thrust23THRUST_200600_302600_NS6detail15normal_iteratorINS9_10device_ptrIiEEEESE_PS5_SF_jNS0_19identity_decomposerENS1_16block_id_wrapperIjLb0EEEEE10hipError_tT1_PNSt15iterator_traitsISK_E10value_typeET2_T3_PNSL_ISQ_E10value_typeET4_T5_PSV_SW_PNS1_23onesweep_lookback_stateEbbT6_jjT7_P12ihipStream_tbENKUlT_T0_SK_SP_E_clISE_PiSF_SF_EEDaS13_S14_SK_SP_EUlS13_E_NS1_11comp_targetILNS1_3genE2ELNS1_11target_archE906ELNS1_3gpuE6ELNS1_3repE0EEENS1_47radix_sort_onesweep_sort_config_static_selectorELNS0_4arch9wavefront6targetE0EEEvSK_
		.amdhsa_group_segment_fixed_size 0
		.amdhsa_private_segment_fixed_size 0
		.amdhsa_kernarg_size 88
		.amdhsa_user_sgpr_count 6
		.amdhsa_user_sgpr_private_segment_buffer 1
		.amdhsa_user_sgpr_dispatch_ptr 0
		.amdhsa_user_sgpr_queue_ptr 0
		.amdhsa_user_sgpr_kernarg_segment_ptr 1
		.amdhsa_user_sgpr_dispatch_id 0
		.amdhsa_user_sgpr_flat_scratch_init 0
		.amdhsa_user_sgpr_private_segment_size 0
		.amdhsa_wavefront_size32 1
		.amdhsa_uses_dynamic_stack 0
		.amdhsa_system_sgpr_private_segment_wavefront_offset 0
		.amdhsa_system_sgpr_workgroup_id_x 1
		.amdhsa_system_sgpr_workgroup_id_y 0
		.amdhsa_system_sgpr_workgroup_id_z 0
		.amdhsa_system_sgpr_workgroup_info 0
		.amdhsa_system_vgpr_workitem_id 0
		.amdhsa_next_free_vgpr 1
		.amdhsa_next_free_sgpr 1
		.amdhsa_reserve_vcc 0
		.amdhsa_reserve_flat_scratch 0
		.amdhsa_float_round_mode_32 0
		.amdhsa_float_round_mode_16_64 0
		.amdhsa_float_denorm_mode_32 3
		.amdhsa_float_denorm_mode_16_64 3
		.amdhsa_dx10_clamp 1
		.amdhsa_ieee_mode 1
		.amdhsa_fp16_overflow 0
		.amdhsa_workgroup_processor_mode 1
		.amdhsa_memory_ordered 1
		.amdhsa_forward_progress 1
		.amdhsa_shared_vgpr_count 0
		.amdhsa_exception_fp_ieee_invalid_op 0
		.amdhsa_exception_fp_denorm_src 0
		.amdhsa_exception_fp_ieee_div_zero 0
		.amdhsa_exception_fp_ieee_overflow 0
		.amdhsa_exception_fp_ieee_underflow 0
		.amdhsa_exception_fp_ieee_inexact 0
		.amdhsa_exception_int_div_zero 0
	.end_amdhsa_kernel
	.section	.text._ZN7rocprim17ROCPRIM_400000_NS6detail17trampoline_kernelINS0_14default_configENS1_35radix_sort_onesweep_config_selectorIiNS0_10empty_typeEEEZZNS1_29radix_sort_onesweep_iterationIS3_Lb1EN6thrust23THRUST_200600_302600_NS6detail15normal_iteratorINS9_10device_ptrIiEEEESE_PS5_SF_jNS0_19identity_decomposerENS1_16block_id_wrapperIjLb0EEEEE10hipError_tT1_PNSt15iterator_traitsISK_E10value_typeET2_T3_PNSL_ISQ_E10value_typeET4_T5_PSV_SW_PNS1_23onesweep_lookback_stateEbbT6_jjT7_P12ihipStream_tbENKUlT_T0_SK_SP_E_clISE_PiSF_SF_EEDaS13_S14_SK_SP_EUlS13_E_NS1_11comp_targetILNS1_3genE2ELNS1_11target_archE906ELNS1_3gpuE6ELNS1_3repE0EEENS1_47radix_sort_onesweep_sort_config_static_selectorELNS0_4arch9wavefront6targetE0EEEvSK_,"axG",@progbits,_ZN7rocprim17ROCPRIM_400000_NS6detail17trampoline_kernelINS0_14default_configENS1_35radix_sort_onesweep_config_selectorIiNS0_10empty_typeEEEZZNS1_29radix_sort_onesweep_iterationIS3_Lb1EN6thrust23THRUST_200600_302600_NS6detail15normal_iteratorINS9_10device_ptrIiEEEESE_PS5_SF_jNS0_19identity_decomposerENS1_16block_id_wrapperIjLb0EEEEE10hipError_tT1_PNSt15iterator_traitsISK_E10value_typeET2_T3_PNSL_ISQ_E10value_typeET4_T5_PSV_SW_PNS1_23onesweep_lookback_stateEbbT6_jjT7_P12ihipStream_tbENKUlT_T0_SK_SP_E_clISE_PiSF_SF_EEDaS13_S14_SK_SP_EUlS13_E_NS1_11comp_targetILNS1_3genE2ELNS1_11target_archE906ELNS1_3gpuE6ELNS1_3repE0EEENS1_47radix_sort_onesweep_sort_config_static_selectorELNS0_4arch9wavefront6targetE0EEEvSK_,comdat
.Lfunc_end375:
	.size	_ZN7rocprim17ROCPRIM_400000_NS6detail17trampoline_kernelINS0_14default_configENS1_35radix_sort_onesweep_config_selectorIiNS0_10empty_typeEEEZZNS1_29radix_sort_onesweep_iterationIS3_Lb1EN6thrust23THRUST_200600_302600_NS6detail15normal_iteratorINS9_10device_ptrIiEEEESE_PS5_SF_jNS0_19identity_decomposerENS1_16block_id_wrapperIjLb0EEEEE10hipError_tT1_PNSt15iterator_traitsISK_E10value_typeET2_T3_PNSL_ISQ_E10value_typeET4_T5_PSV_SW_PNS1_23onesweep_lookback_stateEbbT6_jjT7_P12ihipStream_tbENKUlT_T0_SK_SP_E_clISE_PiSF_SF_EEDaS13_S14_SK_SP_EUlS13_E_NS1_11comp_targetILNS1_3genE2ELNS1_11target_archE906ELNS1_3gpuE6ELNS1_3repE0EEENS1_47radix_sort_onesweep_sort_config_static_selectorELNS0_4arch9wavefront6targetE0EEEvSK_, .Lfunc_end375-_ZN7rocprim17ROCPRIM_400000_NS6detail17trampoline_kernelINS0_14default_configENS1_35radix_sort_onesweep_config_selectorIiNS0_10empty_typeEEEZZNS1_29radix_sort_onesweep_iterationIS3_Lb1EN6thrust23THRUST_200600_302600_NS6detail15normal_iteratorINS9_10device_ptrIiEEEESE_PS5_SF_jNS0_19identity_decomposerENS1_16block_id_wrapperIjLb0EEEEE10hipError_tT1_PNSt15iterator_traitsISK_E10value_typeET2_T3_PNSL_ISQ_E10value_typeET4_T5_PSV_SW_PNS1_23onesweep_lookback_stateEbbT6_jjT7_P12ihipStream_tbENKUlT_T0_SK_SP_E_clISE_PiSF_SF_EEDaS13_S14_SK_SP_EUlS13_E_NS1_11comp_targetILNS1_3genE2ELNS1_11target_archE906ELNS1_3gpuE6ELNS1_3repE0EEENS1_47radix_sort_onesweep_sort_config_static_selectorELNS0_4arch9wavefront6targetE0EEEvSK_
                                        ; -- End function
	.set _ZN7rocprim17ROCPRIM_400000_NS6detail17trampoline_kernelINS0_14default_configENS1_35radix_sort_onesweep_config_selectorIiNS0_10empty_typeEEEZZNS1_29radix_sort_onesweep_iterationIS3_Lb1EN6thrust23THRUST_200600_302600_NS6detail15normal_iteratorINS9_10device_ptrIiEEEESE_PS5_SF_jNS0_19identity_decomposerENS1_16block_id_wrapperIjLb0EEEEE10hipError_tT1_PNSt15iterator_traitsISK_E10value_typeET2_T3_PNSL_ISQ_E10value_typeET4_T5_PSV_SW_PNS1_23onesweep_lookback_stateEbbT6_jjT7_P12ihipStream_tbENKUlT_T0_SK_SP_E_clISE_PiSF_SF_EEDaS13_S14_SK_SP_EUlS13_E_NS1_11comp_targetILNS1_3genE2ELNS1_11target_archE906ELNS1_3gpuE6ELNS1_3repE0EEENS1_47radix_sort_onesweep_sort_config_static_selectorELNS0_4arch9wavefront6targetE0EEEvSK_.num_vgpr, 0
	.set _ZN7rocprim17ROCPRIM_400000_NS6detail17trampoline_kernelINS0_14default_configENS1_35radix_sort_onesweep_config_selectorIiNS0_10empty_typeEEEZZNS1_29radix_sort_onesweep_iterationIS3_Lb1EN6thrust23THRUST_200600_302600_NS6detail15normal_iteratorINS9_10device_ptrIiEEEESE_PS5_SF_jNS0_19identity_decomposerENS1_16block_id_wrapperIjLb0EEEEE10hipError_tT1_PNSt15iterator_traitsISK_E10value_typeET2_T3_PNSL_ISQ_E10value_typeET4_T5_PSV_SW_PNS1_23onesweep_lookback_stateEbbT6_jjT7_P12ihipStream_tbENKUlT_T0_SK_SP_E_clISE_PiSF_SF_EEDaS13_S14_SK_SP_EUlS13_E_NS1_11comp_targetILNS1_3genE2ELNS1_11target_archE906ELNS1_3gpuE6ELNS1_3repE0EEENS1_47radix_sort_onesweep_sort_config_static_selectorELNS0_4arch9wavefront6targetE0EEEvSK_.num_agpr, 0
	.set _ZN7rocprim17ROCPRIM_400000_NS6detail17trampoline_kernelINS0_14default_configENS1_35radix_sort_onesweep_config_selectorIiNS0_10empty_typeEEEZZNS1_29radix_sort_onesweep_iterationIS3_Lb1EN6thrust23THRUST_200600_302600_NS6detail15normal_iteratorINS9_10device_ptrIiEEEESE_PS5_SF_jNS0_19identity_decomposerENS1_16block_id_wrapperIjLb0EEEEE10hipError_tT1_PNSt15iterator_traitsISK_E10value_typeET2_T3_PNSL_ISQ_E10value_typeET4_T5_PSV_SW_PNS1_23onesweep_lookback_stateEbbT6_jjT7_P12ihipStream_tbENKUlT_T0_SK_SP_E_clISE_PiSF_SF_EEDaS13_S14_SK_SP_EUlS13_E_NS1_11comp_targetILNS1_3genE2ELNS1_11target_archE906ELNS1_3gpuE6ELNS1_3repE0EEENS1_47radix_sort_onesweep_sort_config_static_selectorELNS0_4arch9wavefront6targetE0EEEvSK_.numbered_sgpr, 0
	.set _ZN7rocprim17ROCPRIM_400000_NS6detail17trampoline_kernelINS0_14default_configENS1_35radix_sort_onesweep_config_selectorIiNS0_10empty_typeEEEZZNS1_29radix_sort_onesweep_iterationIS3_Lb1EN6thrust23THRUST_200600_302600_NS6detail15normal_iteratorINS9_10device_ptrIiEEEESE_PS5_SF_jNS0_19identity_decomposerENS1_16block_id_wrapperIjLb0EEEEE10hipError_tT1_PNSt15iterator_traitsISK_E10value_typeET2_T3_PNSL_ISQ_E10value_typeET4_T5_PSV_SW_PNS1_23onesweep_lookback_stateEbbT6_jjT7_P12ihipStream_tbENKUlT_T0_SK_SP_E_clISE_PiSF_SF_EEDaS13_S14_SK_SP_EUlS13_E_NS1_11comp_targetILNS1_3genE2ELNS1_11target_archE906ELNS1_3gpuE6ELNS1_3repE0EEENS1_47radix_sort_onesweep_sort_config_static_selectorELNS0_4arch9wavefront6targetE0EEEvSK_.num_named_barrier, 0
	.set _ZN7rocprim17ROCPRIM_400000_NS6detail17trampoline_kernelINS0_14default_configENS1_35radix_sort_onesweep_config_selectorIiNS0_10empty_typeEEEZZNS1_29radix_sort_onesweep_iterationIS3_Lb1EN6thrust23THRUST_200600_302600_NS6detail15normal_iteratorINS9_10device_ptrIiEEEESE_PS5_SF_jNS0_19identity_decomposerENS1_16block_id_wrapperIjLb0EEEEE10hipError_tT1_PNSt15iterator_traitsISK_E10value_typeET2_T3_PNSL_ISQ_E10value_typeET4_T5_PSV_SW_PNS1_23onesweep_lookback_stateEbbT6_jjT7_P12ihipStream_tbENKUlT_T0_SK_SP_E_clISE_PiSF_SF_EEDaS13_S14_SK_SP_EUlS13_E_NS1_11comp_targetILNS1_3genE2ELNS1_11target_archE906ELNS1_3gpuE6ELNS1_3repE0EEENS1_47radix_sort_onesweep_sort_config_static_selectorELNS0_4arch9wavefront6targetE0EEEvSK_.private_seg_size, 0
	.set _ZN7rocprim17ROCPRIM_400000_NS6detail17trampoline_kernelINS0_14default_configENS1_35radix_sort_onesweep_config_selectorIiNS0_10empty_typeEEEZZNS1_29radix_sort_onesweep_iterationIS3_Lb1EN6thrust23THRUST_200600_302600_NS6detail15normal_iteratorINS9_10device_ptrIiEEEESE_PS5_SF_jNS0_19identity_decomposerENS1_16block_id_wrapperIjLb0EEEEE10hipError_tT1_PNSt15iterator_traitsISK_E10value_typeET2_T3_PNSL_ISQ_E10value_typeET4_T5_PSV_SW_PNS1_23onesweep_lookback_stateEbbT6_jjT7_P12ihipStream_tbENKUlT_T0_SK_SP_E_clISE_PiSF_SF_EEDaS13_S14_SK_SP_EUlS13_E_NS1_11comp_targetILNS1_3genE2ELNS1_11target_archE906ELNS1_3gpuE6ELNS1_3repE0EEENS1_47radix_sort_onesweep_sort_config_static_selectorELNS0_4arch9wavefront6targetE0EEEvSK_.uses_vcc, 0
	.set _ZN7rocprim17ROCPRIM_400000_NS6detail17trampoline_kernelINS0_14default_configENS1_35radix_sort_onesweep_config_selectorIiNS0_10empty_typeEEEZZNS1_29radix_sort_onesweep_iterationIS3_Lb1EN6thrust23THRUST_200600_302600_NS6detail15normal_iteratorINS9_10device_ptrIiEEEESE_PS5_SF_jNS0_19identity_decomposerENS1_16block_id_wrapperIjLb0EEEEE10hipError_tT1_PNSt15iterator_traitsISK_E10value_typeET2_T3_PNSL_ISQ_E10value_typeET4_T5_PSV_SW_PNS1_23onesweep_lookback_stateEbbT6_jjT7_P12ihipStream_tbENKUlT_T0_SK_SP_E_clISE_PiSF_SF_EEDaS13_S14_SK_SP_EUlS13_E_NS1_11comp_targetILNS1_3genE2ELNS1_11target_archE906ELNS1_3gpuE6ELNS1_3repE0EEENS1_47radix_sort_onesweep_sort_config_static_selectorELNS0_4arch9wavefront6targetE0EEEvSK_.uses_flat_scratch, 0
	.set _ZN7rocprim17ROCPRIM_400000_NS6detail17trampoline_kernelINS0_14default_configENS1_35radix_sort_onesweep_config_selectorIiNS0_10empty_typeEEEZZNS1_29radix_sort_onesweep_iterationIS3_Lb1EN6thrust23THRUST_200600_302600_NS6detail15normal_iteratorINS9_10device_ptrIiEEEESE_PS5_SF_jNS0_19identity_decomposerENS1_16block_id_wrapperIjLb0EEEEE10hipError_tT1_PNSt15iterator_traitsISK_E10value_typeET2_T3_PNSL_ISQ_E10value_typeET4_T5_PSV_SW_PNS1_23onesweep_lookback_stateEbbT6_jjT7_P12ihipStream_tbENKUlT_T0_SK_SP_E_clISE_PiSF_SF_EEDaS13_S14_SK_SP_EUlS13_E_NS1_11comp_targetILNS1_3genE2ELNS1_11target_archE906ELNS1_3gpuE6ELNS1_3repE0EEENS1_47radix_sort_onesweep_sort_config_static_selectorELNS0_4arch9wavefront6targetE0EEEvSK_.has_dyn_sized_stack, 0
	.set _ZN7rocprim17ROCPRIM_400000_NS6detail17trampoline_kernelINS0_14default_configENS1_35radix_sort_onesweep_config_selectorIiNS0_10empty_typeEEEZZNS1_29radix_sort_onesweep_iterationIS3_Lb1EN6thrust23THRUST_200600_302600_NS6detail15normal_iteratorINS9_10device_ptrIiEEEESE_PS5_SF_jNS0_19identity_decomposerENS1_16block_id_wrapperIjLb0EEEEE10hipError_tT1_PNSt15iterator_traitsISK_E10value_typeET2_T3_PNSL_ISQ_E10value_typeET4_T5_PSV_SW_PNS1_23onesweep_lookback_stateEbbT6_jjT7_P12ihipStream_tbENKUlT_T0_SK_SP_E_clISE_PiSF_SF_EEDaS13_S14_SK_SP_EUlS13_E_NS1_11comp_targetILNS1_3genE2ELNS1_11target_archE906ELNS1_3gpuE6ELNS1_3repE0EEENS1_47radix_sort_onesweep_sort_config_static_selectorELNS0_4arch9wavefront6targetE0EEEvSK_.has_recursion, 0
	.set _ZN7rocprim17ROCPRIM_400000_NS6detail17trampoline_kernelINS0_14default_configENS1_35radix_sort_onesweep_config_selectorIiNS0_10empty_typeEEEZZNS1_29radix_sort_onesweep_iterationIS3_Lb1EN6thrust23THRUST_200600_302600_NS6detail15normal_iteratorINS9_10device_ptrIiEEEESE_PS5_SF_jNS0_19identity_decomposerENS1_16block_id_wrapperIjLb0EEEEE10hipError_tT1_PNSt15iterator_traitsISK_E10value_typeET2_T3_PNSL_ISQ_E10value_typeET4_T5_PSV_SW_PNS1_23onesweep_lookback_stateEbbT6_jjT7_P12ihipStream_tbENKUlT_T0_SK_SP_E_clISE_PiSF_SF_EEDaS13_S14_SK_SP_EUlS13_E_NS1_11comp_targetILNS1_3genE2ELNS1_11target_archE906ELNS1_3gpuE6ELNS1_3repE0EEENS1_47radix_sort_onesweep_sort_config_static_selectorELNS0_4arch9wavefront6targetE0EEEvSK_.has_indirect_call, 0
	.section	.AMDGPU.csdata,"",@progbits
; Kernel info:
; codeLenInByte = 0
; TotalNumSgprs: 0
; NumVgprs: 0
; ScratchSize: 0
; MemoryBound: 0
; FloatMode: 240
; IeeeMode: 1
; LDSByteSize: 0 bytes/workgroup (compile time only)
; SGPRBlocks: 0
; VGPRBlocks: 0
; NumSGPRsForWavesPerEU: 1
; NumVGPRsForWavesPerEU: 1
; Occupancy: 16
; WaveLimiterHint : 0
; COMPUTE_PGM_RSRC2:SCRATCH_EN: 0
; COMPUTE_PGM_RSRC2:USER_SGPR: 6
; COMPUTE_PGM_RSRC2:TRAP_HANDLER: 0
; COMPUTE_PGM_RSRC2:TGID_X_EN: 1
; COMPUTE_PGM_RSRC2:TGID_Y_EN: 0
; COMPUTE_PGM_RSRC2:TGID_Z_EN: 0
; COMPUTE_PGM_RSRC2:TIDIG_COMP_CNT: 0
	.section	.text._ZN7rocprim17ROCPRIM_400000_NS6detail17trampoline_kernelINS0_14default_configENS1_35radix_sort_onesweep_config_selectorIiNS0_10empty_typeEEEZZNS1_29radix_sort_onesweep_iterationIS3_Lb1EN6thrust23THRUST_200600_302600_NS6detail15normal_iteratorINS9_10device_ptrIiEEEESE_PS5_SF_jNS0_19identity_decomposerENS1_16block_id_wrapperIjLb0EEEEE10hipError_tT1_PNSt15iterator_traitsISK_E10value_typeET2_T3_PNSL_ISQ_E10value_typeET4_T5_PSV_SW_PNS1_23onesweep_lookback_stateEbbT6_jjT7_P12ihipStream_tbENKUlT_T0_SK_SP_E_clISE_PiSF_SF_EEDaS13_S14_SK_SP_EUlS13_E_NS1_11comp_targetILNS1_3genE4ELNS1_11target_archE910ELNS1_3gpuE8ELNS1_3repE0EEENS1_47radix_sort_onesweep_sort_config_static_selectorELNS0_4arch9wavefront6targetE0EEEvSK_,"axG",@progbits,_ZN7rocprim17ROCPRIM_400000_NS6detail17trampoline_kernelINS0_14default_configENS1_35radix_sort_onesweep_config_selectorIiNS0_10empty_typeEEEZZNS1_29radix_sort_onesweep_iterationIS3_Lb1EN6thrust23THRUST_200600_302600_NS6detail15normal_iteratorINS9_10device_ptrIiEEEESE_PS5_SF_jNS0_19identity_decomposerENS1_16block_id_wrapperIjLb0EEEEE10hipError_tT1_PNSt15iterator_traitsISK_E10value_typeET2_T3_PNSL_ISQ_E10value_typeET4_T5_PSV_SW_PNS1_23onesweep_lookback_stateEbbT6_jjT7_P12ihipStream_tbENKUlT_T0_SK_SP_E_clISE_PiSF_SF_EEDaS13_S14_SK_SP_EUlS13_E_NS1_11comp_targetILNS1_3genE4ELNS1_11target_archE910ELNS1_3gpuE8ELNS1_3repE0EEENS1_47radix_sort_onesweep_sort_config_static_selectorELNS0_4arch9wavefront6targetE0EEEvSK_,comdat
	.protected	_ZN7rocprim17ROCPRIM_400000_NS6detail17trampoline_kernelINS0_14default_configENS1_35radix_sort_onesweep_config_selectorIiNS0_10empty_typeEEEZZNS1_29radix_sort_onesweep_iterationIS3_Lb1EN6thrust23THRUST_200600_302600_NS6detail15normal_iteratorINS9_10device_ptrIiEEEESE_PS5_SF_jNS0_19identity_decomposerENS1_16block_id_wrapperIjLb0EEEEE10hipError_tT1_PNSt15iterator_traitsISK_E10value_typeET2_T3_PNSL_ISQ_E10value_typeET4_T5_PSV_SW_PNS1_23onesweep_lookback_stateEbbT6_jjT7_P12ihipStream_tbENKUlT_T0_SK_SP_E_clISE_PiSF_SF_EEDaS13_S14_SK_SP_EUlS13_E_NS1_11comp_targetILNS1_3genE4ELNS1_11target_archE910ELNS1_3gpuE8ELNS1_3repE0EEENS1_47radix_sort_onesweep_sort_config_static_selectorELNS0_4arch9wavefront6targetE0EEEvSK_ ; -- Begin function _ZN7rocprim17ROCPRIM_400000_NS6detail17trampoline_kernelINS0_14default_configENS1_35radix_sort_onesweep_config_selectorIiNS0_10empty_typeEEEZZNS1_29radix_sort_onesweep_iterationIS3_Lb1EN6thrust23THRUST_200600_302600_NS6detail15normal_iteratorINS9_10device_ptrIiEEEESE_PS5_SF_jNS0_19identity_decomposerENS1_16block_id_wrapperIjLb0EEEEE10hipError_tT1_PNSt15iterator_traitsISK_E10value_typeET2_T3_PNSL_ISQ_E10value_typeET4_T5_PSV_SW_PNS1_23onesweep_lookback_stateEbbT6_jjT7_P12ihipStream_tbENKUlT_T0_SK_SP_E_clISE_PiSF_SF_EEDaS13_S14_SK_SP_EUlS13_E_NS1_11comp_targetILNS1_3genE4ELNS1_11target_archE910ELNS1_3gpuE8ELNS1_3repE0EEENS1_47radix_sort_onesweep_sort_config_static_selectorELNS0_4arch9wavefront6targetE0EEEvSK_
	.globl	_ZN7rocprim17ROCPRIM_400000_NS6detail17trampoline_kernelINS0_14default_configENS1_35radix_sort_onesweep_config_selectorIiNS0_10empty_typeEEEZZNS1_29radix_sort_onesweep_iterationIS3_Lb1EN6thrust23THRUST_200600_302600_NS6detail15normal_iteratorINS9_10device_ptrIiEEEESE_PS5_SF_jNS0_19identity_decomposerENS1_16block_id_wrapperIjLb0EEEEE10hipError_tT1_PNSt15iterator_traitsISK_E10value_typeET2_T3_PNSL_ISQ_E10value_typeET4_T5_PSV_SW_PNS1_23onesweep_lookback_stateEbbT6_jjT7_P12ihipStream_tbENKUlT_T0_SK_SP_E_clISE_PiSF_SF_EEDaS13_S14_SK_SP_EUlS13_E_NS1_11comp_targetILNS1_3genE4ELNS1_11target_archE910ELNS1_3gpuE8ELNS1_3repE0EEENS1_47radix_sort_onesweep_sort_config_static_selectorELNS0_4arch9wavefront6targetE0EEEvSK_
	.p2align	8
	.type	_ZN7rocprim17ROCPRIM_400000_NS6detail17trampoline_kernelINS0_14default_configENS1_35radix_sort_onesweep_config_selectorIiNS0_10empty_typeEEEZZNS1_29radix_sort_onesweep_iterationIS3_Lb1EN6thrust23THRUST_200600_302600_NS6detail15normal_iteratorINS9_10device_ptrIiEEEESE_PS5_SF_jNS0_19identity_decomposerENS1_16block_id_wrapperIjLb0EEEEE10hipError_tT1_PNSt15iterator_traitsISK_E10value_typeET2_T3_PNSL_ISQ_E10value_typeET4_T5_PSV_SW_PNS1_23onesweep_lookback_stateEbbT6_jjT7_P12ihipStream_tbENKUlT_T0_SK_SP_E_clISE_PiSF_SF_EEDaS13_S14_SK_SP_EUlS13_E_NS1_11comp_targetILNS1_3genE4ELNS1_11target_archE910ELNS1_3gpuE8ELNS1_3repE0EEENS1_47radix_sort_onesweep_sort_config_static_selectorELNS0_4arch9wavefront6targetE0EEEvSK_,@function
_ZN7rocprim17ROCPRIM_400000_NS6detail17trampoline_kernelINS0_14default_configENS1_35radix_sort_onesweep_config_selectorIiNS0_10empty_typeEEEZZNS1_29radix_sort_onesweep_iterationIS3_Lb1EN6thrust23THRUST_200600_302600_NS6detail15normal_iteratorINS9_10device_ptrIiEEEESE_PS5_SF_jNS0_19identity_decomposerENS1_16block_id_wrapperIjLb0EEEEE10hipError_tT1_PNSt15iterator_traitsISK_E10value_typeET2_T3_PNSL_ISQ_E10value_typeET4_T5_PSV_SW_PNS1_23onesweep_lookback_stateEbbT6_jjT7_P12ihipStream_tbENKUlT_T0_SK_SP_E_clISE_PiSF_SF_EEDaS13_S14_SK_SP_EUlS13_E_NS1_11comp_targetILNS1_3genE4ELNS1_11target_archE910ELNS1_3gpuE8ELNS1_3repE0EEENS1_47radix_sort_onesweep_sort_config_static_selectorELNS0_4arch9wavefront6targetE0EEEvSK_: ; @_ZN7rocprim17ROCPRIM_400000_NS6detail17trampoline_kernelINS0_14default_configENS1_35radix_sort_onesweep_config_selectorIiNS0_10empty_typeEEEZZNS1_29radix_sort_onesweep_iterationIS3_Lb1EN6thrust23THRUST_200600_302600_NS6detail15normal_iteratorINS9_10device_ptrIiEEEESE_PS5_SF_jNS0_19identity_decomposerENS1_16block_id_wrapperIjLb0EEEEE10hipError_tT1_PNSt15iterator_traitsISK_E10value_typeET2_T3_PNSL_ISQ_E10value_typeET4_T5_PSV_SW_PNS1_23onesweep_lookback_stateEbbT6_jjT7_P12ihipStream_tbENKUlT_T0_SK_SP_E_clISE_PiSF_SF_EEDaS13_S14_SK_SP_EUlS13_E_NS1_11comp_targetILNS1_3genE4ELNS1_11target_archE910ELNS1_3gpuE8ELNS1_3repE0EEENS1_47radix_sort_onesweep_sort_config_static_selectorELNS0_4arch9wavefront6targetE0EEEvSK_
; %bb.0:
	.section	.rodata,"a",@progbits
	.p2align	6, 0x0
	.amdhsa_kernel _ZN7rocprim17ROCPRIM_400000_NS6detail17trampoline_kernelINS0_14default_configENS1_35radix_sort_onesweep_config_selectorIiNS0_10empty_typeEEEZZNS1_29radix_sort_onesweep_iterationIS3_Lb1EN6thrust23THRUST_200600_302600_NS6detail15normal_iteratorINS9_10device_ptrIiEEEESE_PS5_SF_jNS0_19identity_decomposerENS1_16block_id_wrapperIjLb0EEEEE10hipError_tT1_PNSt15iterator_traitsISK_E10value_typeET2_T3_PNSL_ISQ_E10value_typeET4_T5_PSV_SW_PNS1_23onesweep_lookback_stateEbbT6_jjT7_P12ihipStream_tbENKUlT_T0_SK_SP_E_clISE_PiSF_SF_EEDaS13_S14_SK_SP_EUlS13_E_NS1_11comp_targetILNS1_3genE4ELNS1_11target_archE910ELNS1_3gpuE8ELNS1_3repE0EEENS1_47radix_sort_onesweep_sort_config_static_selectorELNS0_4arch9wavefront6targetE0EEEvSK_
		.amdhsa_group_segment_fixed_size 0
		.amdhsa_private_segment_fixed_size 0
		.amdhsa_kernarg_size 88
		.amdhsa_user_sgpr_count 6
		.amdhsa_user_sgpr_private_segment_buffer 1
		.amdhsa_user_sgpr_dispatch_ptr 0
		.amdhsa_user_sgpr_queue_ptr 0
		.amdhsa_user_sgpr_kernarg_segment_ptr 1
		.amdhsa_user_sgpr_dispatch_id 0
		.amdhsa_user_sgpr_flat_scratch_init 0
		.amdhsa_user_sgpr_private_segment_size 0
		.amdhsa_wavefront_size32 1
		.amdhsa_uses_dynamic_stack 0
		.amdhsa_system_sgpr_private_segment_wavefront_offset 0
		.amdhsa_system_sgpr_workgroup_id_x 1
		.amdhsa_system_sgpr_workgroup_id_y 0
		.amdhsa_system_sgpr_workgroup_id_z 0
		.amdhsa_system_sgpr_workgroup_info 0
		.amdhsa_system_vgpr_workitem_id 0
		.amdhsa_next_free_vgpr 1
		.amdhsa_next_free_sgpr 1
		.amdhsa_reserve_vcc 0
		.amdhsa_reserve_flat_scratch 0
		.amdhsa_float_round_mode_32 0
		.amdhsa_float_round_mode_16_64 0
		.amdhsa_float_denorm_mode_32 3
		.amdhsa_float_denorm_mode_16_64 3
		.amdhsa_dx10_clamp 1
		.amdhsa_ieee_mode 1
		.amdhsa_fp16_overflow 0
		.amdhsa_workgroup_processor_mode 1
		.amdhsa_memory_ordered 1
		.amdhsa_forward_progress 1
		.amdhsa_shared_vgpr_count 0
		.amdhsa_exception_fp_ieee_invalid_op 0
		.amdhsa_exception_fp_denorm_src 0
		.amdhsa_exception_fp_ieee_div_zero 0
		.amdhsa_exception_fp_ieee_overflow 0
		.amdhsa_exception_fp_ieee_underflow 0
		.amdhsa_exception_fp_ieee_inexact 0
		.amdhsa_exception_int_div_zero 0
	.end_amdhsa_kernel
	.section	.text._ZN7rocprim17ROCPRIM_400000_NS6detail17trampoline_kernelINS0_14default_configENS1_35radix_sort_onesweep_config_selectorIiNS0_10empty_typeEEEZZNS1_29radix_sort_onesweep_iterationIS3_Lb1EN6thrust23THRUST_200600_302600_NS6detail15normal_iteratorINS9_10device_ptrIiEEEESE_PS5_SF_jNS0_19identity_decomposerENS1_16block_id_wrapperIjLb0EEEEE10hipError_tT1_PNSt15iterator_traitsISK_E10value_typeET2_T3_PNSL_ISQ_E10value_typeET4_T5_PSV_SW_PNS1_23onesweep_lookback_stateEbbT6_jjT7_P12ihipStream_tbENKUlT_T0_SK_SP_E_clISE_PiSF_SF_EEDaS13_S14_SK_SP_EUlS13_E_NS1_11comp_targetILNS1_3genE4ELNS1_11target_archE910ELNS1_3gpuE8ELNS1_3repE0EEENS1_47radix_sort_onesweep_sort_config_static_selectorELNS0_4arch9wavefront6targetE0EEEvSK_,"axG",@progbits,_ZN7rocprim17ROCPRIM_400000_NS6detail17trampoline_kernelINS0_14default_configENS1_35radix_sort_onesweep_config_selectorIiNS0_10empty_typeEEEZZNS1_29radix_sort_onesweep_iterationIS3_Lb1EN6thrust23THRUST_200600_302600_NS6detail15normal_iteratorINS9_10device_ptrIiEEEESE_PS5_SF_jNS0_19identity_decomposerENS1_16block_id_wrapperIjLb0EEEEE10hipError_tT1_PNSt15iterator_traitsISK_E10value_typeET2_T3_PNSL_ISQ_E10value_typeET4_T5_PSV_SW_PNS1_23onesweep_lookback_stateEbbT6_jjT7_P12ihipStream_tbENKUlT_T0_SK_SP_E_clISE_PiSF_SF_EEDaS13_S14_SK_SP_EUlS13_E_NS1_11comp_targetILNS1_3genE4ELNS1_11target_archE910ELNS1_3gpuE8ELNS1_3repE0EEENS1_47radix_sort_onesweep_sort_config_static_selectorELNS0_4arch9wavefront6targetE0EEEvSK_,comdat
.Lfunc_end376:
	.size	_ZN7rocprim17ROCPRIM_400000_NS6detail17trampoline_kernelINS0_14default_configENS1_35radix_sort_onesweep_config_selectorIiNS0_10empty_typeEEEZZNS1_29radix_sort_onesweep_iterationIS3_Lb1EN6thrust23THRUST_200600_302600_NS6detail15normal_iteratorINS9_10device_ptrIiEEEESE_PS5_SF_jNS0_19identity_decomposerENS1_16block_id_wrapperIjLb0EEEEE10hipError_tT1_PNSt15iterator_traitsISK_E10value_typeET2_T3_PNSL_ISQ_E10value_typeET4_T5_PSV_SW_PNS1_23onesweep_lookback_stateEbbT6_jjT7_P12ihipStream_tbENKUlT_T0_SK_SP_E_clISE_PiSF_SF_EEDaS13_S14_SK_SP_EUlS13_E_NS1_11comp_targetILNS1_3genE4ELNS1_11target_archE910ELNS1_3gpuE8ELNS1_3repE0EEENS1_47radix_sort_onesweep_sort_config_static_selectorELNS0_4arch9wavefront6targetE0EEEvSK_, .Lfunc_end376-_ZN7rocprim17ROCPRIM_400000_NS6detail17trampoline_kernelINS0_14default_configENS1_35radix_sort_onesweep_config_selectorIiNS0_10empty_typeEEEZZNS1_29radix_sort_onesweep_iterationIS3_Lb1EN6thrust23THRUST_200600_302600_NS6detail15normal_iteratorINS9_10device_ptrIiEEEESE_PS5_SF_jNS0_19identity_decomposerENS1_16block_id_wrapperIjLb0EEEEE10hipError_tT1_PNSt15iterator_traitsISK_E10value_typeET2_T3_PNSL_ISQ_E10value_typeET4_T5_PSV_SW_PNS1_23onesweep_lookback_stateEbbT6_jjT7_P12ihipStream_tbENKUlT_T0_SK_SP_E_clISE_PiSF_SF_EEDaS13_S14_SK_SP_EUlS13_E_NS1_11comp_targetILNS1_3genE4ELNS1_11target_archE910ELNS1_3gpuE8ELNS1_3repE0EEENS1_47radix_sort_onesweep_sort_config_static_selectorELNS0_4arch9wavefront6targetE0EEEvSK_
                                        ; -- End function
	.set _ZN7rocprim17ROCPRIM_400000_NS6detail17trampoline_kernelINS0_14default_configENS1_35radix_sort_onesweep_config_selectorIiNS0_10empty_typeEEEZZNS1_29radix_sort_onesweep_iterationIS3_Lb1EN6thrust23THRUST_200600_302600_NS6detail15normal_iteratorINS9_10device_ptrIiEEEESE_PS5_SF_jNS0_19identity_decomposerENS1_16block_id_wrapperIjLb0EEEEE10hipError_tT1_PNSt15iterator_traitsISK_E10value_typeET2_T3_PNSL_ISQ_E10value_typeET4_T5_PSV_SW_PNS1_23onesweep_lookback_stateEbbT6_jjT7_P12ihipStream_tbENKUlT_T0_SK_SP_E_clISE_PiSF_SF_EEDaS13_S14_SK_SP_EUlS13_E_NS1_11comp_targetILNS1_3genE4ELNS1_11target_archE910ELNS1_3gpuE8ELNS1_3repE0EEENS1_47radix_sort_onesweep_sort_config_static_selectorELNS0_4arch9wavefront6targetE0EEEvSK_.num_vgpr, 0
	.set _ZN7rocprim17ROCPRIM_400000_NS6detail17trampoline_kernelINS0_14default_configENS1_35radix_sort_onesweep_config_selectorIiNS0_10empty_typeEEEZZNS1_29radix_sort_onesweep_iterationIS3_Lb1EN6thrust23THRUST_200600_302600_NS6detail15normal_iteratorINS9_10device_ptrIiEEEESE_PS5_SF_jNS0_19identity_decomposerENS1_16block_id_wrapperIjLb0EEEEE10hipError_tT1_PNSt15iterator_traitsISK_E10value_typeET2_T3_PNSL_ISQ_E10value_typeET4_T5_PSV_SW_PNS1_23onesweep_lookback_stateEbbT6_jjT7_P12ihipStream_tbENKUlT_T0_SK_SP_E_clISE_PiSF_SF_EEDaS13_S14_SK_SP_EUlS13_E_NS1_11comp_targetILNS1_3genE4ELNS1_11target_archE910ELNS1_3gpuE8ELNS1_3repE0EEENS1_47radix_sort_onesweep_sort_config_static_selectorELNS0_4arch9wavefront6targetE0EEEvSK_.num_agpr, 0
	.set _ZN7rocprim17ROCPRIM_400000_NS6detail17trampoline_kernelINS0_14default_configENS1_35radix_sort_onesweep_config_selectorIiNS0_10empty_typeEEEZZNS1_29radix_sort_onesweep_iterationIS3_Lb1EN6thrust23THRUST_200600_302600_NS6detail15normal_iteratorINS9_10device_ptrIiEEEESE_PS5_SF_jNS0_19identity_decomposerENS1_16block_id_wrapperIjLb0EEEEE10hipError_tT1_PNSt15iterator_traitsISK_E10value_typeET2_T3_PNSL_ISQ_E10value_typeET4_T5_PSV_SW_PNS1_23onesweep_lookback_stateEbbT6_jjT7_P12ihipStream_tbENKUlT_T0_SK_SP_E_clISE_PiSF_SF_EEDaS13_S14_SK_SP_EUlS13_E_NS1_11comp_targetILNS1_3genE4ELNS1_11target_archE910ELNS1_3gpuE8ELNS1_3repE0EEENS1_47radix_sort_onesweep_sort_config_static_selectorELNS0_4arch9wavefront6targetE0EEEvSK_.numbered_sgpr, 0
	.set _ZN7rocprim17ROCPRIM_400000_NS6detail17trampoline_kernelINS0_14default_configENS1_35radix_sort_onesweep_config_selectorIiNS0_10empty_typeEEEZZNS1_29radix_sort_onesweep_iterationIS3_Lb1EN6thrust23THRUST_200600_302600_NS6detail15normal_iteratorINS9_10device_ptrIiEEEESE_PS5_SF_jNS0_19identity_decomposerENS1_16block_id_wrapperIjLb0EEEEE10hipError_tT1_PNSt15iterator_traitsISK_E10value_typeET2_T3_PNSL_ISQ_E10value_typeET4_T5_PSV_SW_PNS1_23onesweep_lookback_stateEbbT6_jjT7_P12ihipStream_tbENKUlT_T0_SK_SP_E_clISE_PiSF_SF_EEDaS13_S14_SK_SP_EUlS13_E_NS1_11comp_targetILNS1_3genE4ELNS1_11target_archE910ELNS1_3gpuE8ELNS1_3repE0EEENS1_47radix_sort_onesweep_sort_config_static_selectorELNS0_4arch9wavefront6targetE0EEEvSK_.num_named_barrier, 0
	.set _ZN7rocprim17ROCPRIM_400000_NS6detail17trampoline_kernelINS0_14default_configENS1_35radix_sort_onesweep_config_selectorIiNS0_10empty_typeEEEZZNS1_29radix_sort_onesweep_iterationIS3_Lb1EN6thrust23THRUST_200600_302600_NS6detail15normal_iteratorINS9_10device_ptrIiEEEESE_PS5_SF_jNS0_19identity_decomposerENS1_16block_id_wrapperIjLb0EEEEE10hipError_tT1_PNSt15iterator_traitsISK_E10value_typeET2_T3_PNSL_ISQ_E10value_typeET4_T5_PSV_SW_PNS1_23onesweep_lookback_stateEbbT6_jjT7_P12ihipStream_tbENKUlT_T0_SK_SP_E_clISE_PiSF_SF_EEDaS13_S14_SK_SP_EUlS13_E_NS1_11comp_targetILNS1_3genE4ELNS1_11target_archE910ELNS1_3gpuE8ELNS1_3repE0EEENS1_47radix_sort_onesweep_sort_config_static_selectorELNS0_4arch9wavefront6targetE0EEEvSK_.private_seg_size, 0
	.set _ZN7rocprim17ROCPRIM_400000_NS6detail17trampoline_kernelINS0_14default_configENS1_35radix_sort_onesweep_config_selectorIiNS0_10empty_typeEEEZZNS1_29radix_sort_onesweep_iterationIS3_Lb1EN6thrust23THRUST_200600_302600_NS6detail15normal_iteratorINS9_10device_ptrIiEEEESE_PS5_SF_jNS0_19identity_decomposerENS1_16block_id_wrapperIjLb0EEEEE10hipError_tT1_PNSt15iterator_traitsISK_E10value_typeET2_T3_PNSL_ISQ_E10value_typeET4_T5_PSV_SW_PNS1_23onesweep_lookback_stateEbbT6_jjT7_P12ihipStream_tbENKUlT_T0_SK_SP_E_clISE_PiSF_SF_EEDaS13_S14_SK_SP_EUlS13_E_NS1_11comp_targetILNS1_3genE4ELNS1_11target_archE910ELNS1_3gpuE8ELNS1_3repE0EEENS1_47radix_sort_onesweep_sort_config_static_selectorELNS0_4arch9wavefront6targetE0EEEvSK_.uses_vcc, 0
	.set _ZN7rocprim17ROCPRIM_400000_NS6detail17trampoline_kernelINS0_14default_configENS1_35radix_sort_onesweep_config_selectorIiNS0_10empty_typeEEEZZNS1_29radix_sort_onesweep_iterationIS3_Lb1EN6thrust23THRUST_200600_302600_NS6detail15normal_iteratorINS9_10device_ptrIiEEEESE_PS5_SF_jNS0_19identity_decomposerENS1_16block_id_wrapperIjLb0EEEEE10hipError_tT1_PNSt15iterator_traitsISK_E10value_typeET2_T3_PNSL_ISQ_E10value_typeET4_T5_PSV_SW_PNS1_23onesweep_lookback_stateEbbT6_jjT7_P12ihipStream_tbENKUlT_T0_SK_SP_E_clISE_PiSF_SF_EEDaS13_S14_SK_SP_EUlS13_E_NS1_11comp_targetILNS1_3genE4ELNS1_11target_archE910ELNS1_3gpuE8ELNS1_3repE0EEENS1_47radix_sort_onesweep_sort_config_static_selectorELNS0_4arch9wavefront6targetE0EEEvSK_.uses_flat_scratch, 0
	.set _ZN7rocprim17ROCPRIM_400000_NS6detail17trampoline_kernelINS0_14default_configENS1_35radix_sort_onesweep_config_selectorIiNS0_10empty_typeEEEZZNS1_29radix_sort_onesweep_iterationIS3_Lb1EN6thrust23THRUST_200600_302600_NS6detail15normal_iteratorINS9_10device_ptrIiEEEESE_PS5_SF_jNS0_19identity_decomposerENS1_16block_id_wrapperIjLb0EEEEE10hipError_tT1_PNSt15iterator_traitsISK_E10value_typeET2_T3_PNSL_ISQ_E10value_typeET4_T5_PSV_SW_PNS1_23onesweep_lookback_stateEbbT6_jjT7_P12ihipStream_tbENKUlT_T0_SK_SP_E_clISE_PiSF_SF_EEDaS13_S14_SK_SP_EUlS13_E_NS1_11comp_targetILNS1_3genE4ELNS1_11target_archE910ELNS1_3gpuE8ELNS1_3repE0EEENS1_47radix_sort_onesweep_sort_config_static_selectorELNS0_4arch9wavefront6targetE0EEEvSK_.has_dyn_sized_stack, 0
	.set _ZN7rocprim17ROCPRIM_400000_NS6detail17trampoline_kernelINS0_14default_configENS1_35radix_sort_onesweep_config_selectorIiNS0_10empty_typeEEEZZNS1_29radix_sort_onesweep_iterationIS3_Lb1EN6thrust23THRUST_200600_302600_NS6detail15normal_iteratorINS9_10device_ptrIiEEEESE_PS5_SF_jNS0_19identity_decomposerENS1_16block_id_wrapperIjLb0EEEEE10hipError_tT1_PNSt15iterator_traitsISK_E10value_typeET2_T3_PNSL_ISQ_E10value_typeET4_T5_PSV_SW_PNS1_23onesweep_lookback_stateEbbT6_jjT7_P12ihipStream_tbENKUlT_T0_SK_SP_E_clISE_PiSF_SF_EEDaS13_S14_SK_SP_EUlS13_E_NS1_11comp_targetILNS1_3genE4ELNS1_11target_archE910ELNS1_3gpuE8ELNS1_3repE0EEENS1_47radix_sort_onesweep_sort_config_static_selectorELNS0_4arch9wavefront6targetE0EEEvSK_.has_recursion, 0
	.set _ZN7rocprim17ROCPRIM_400000_NS6detail17trampoline_kernelINS0_14default_configENS1_35radix_sort_onesweep_config_selectorIiNS0_10empty_typeEEEZZNS1_29radix_sort_onesweep_iterationIS3_Lb1EN6thrust23THRUST_200600_302600_NS6detail15normal_iteratorINS9_10device_ptrIiEEEESE_PS5_SF_jNS0_19identity_decomposerENS1_16block_id_wrapperIjLb0EEEEE10hipError_tT1_PNSt15iterator_traitsISK_E10value_typeET2_T3_PNSL_ISQ_E10value_typeET4_T5_PSV_SW_PNS1_23onesweep_lookback_stateEbbT6_jjT7_P12ihipStream_tbENKUlT_T0_SK_SP_E_clISE_PiSF_SF_EEDaS13_S14_SK_SP_EUlS13_E_NS1_11comp_targetILNS1_3genE4ELNS1_11target_archE910ELNS1_3gpuE8ELNS1_3repE0EEENS1_47radix_sort_onesweep_sort_config_static_selectorELNS0_4arch9wavefront6targetE0EEEvSK_.has_indirect_call, 0
	.section	.AMDGPU.csdata,"",@progbits
; Kernel info:
; codeLenInByte = 0
; TotalNumSgprs: 0
; NumVgprs: 0
; ScratchSize: 0
; MemoryBound: 0
; FloatMode: 240
; IeeeMode: 1
; LDSByteSize: 0 bytes/workgroup (compile time only)
; SGPRBlocks: 0
; VGPRBlocks: 0
; NumSGPRsForWavesPerEU: 1
; NumVGPRsForWavesPerEU: 1
; Occupancy: 16
; WaveLimiterHint : 0
; COMPUTE_PGM_RSRC2:SCRATCH_EN: 0
; COMPUTE_PGM_RSRC2:USER_SGPR: 6
; COMPUTE_PGM_RSRC2:TRAP_HANDLER: 0
; COMPUTE_PGM_RSRC2:TGID_X_EN: 1
; COMPUTE_PGM_RSRC2:TGID_Y_EN: 0
; COMPUTE_PGM_RSRC2:TGID_Z_EN: 0
; COMPUTE_PGM_RSRC2:TIDIG_COMP_CNT: 0
	.section	.text._ZN7rocprim17ROCPRIM_400000_NS6detail17trampoline_kernelINS0_14default_configENS1_35radix_sort_onesweep_config_selectorIiNS0_10empty_typeEEEZZNS1_29radix_sort_onesweep_iterationIS3_Lb1EN6thrust23THRUST_200600_302600_NS6detail15normal_iteratorINS9_10device_ptrIiEEEESE_PS5_SF_jNS0_19identity_decomposerENS1_16block_id_wrapperIjLb0EEEEE10hipError_tT1_PNSt15iterator_traitsISK_E10value_typeET2_T3_PNSL_ISQ_E10value_typeET4_T5_PSV_SW_PNS1_23onesweep_lookback_stateEbbT6_jjT7_P12ihipStream_tbENKUlT_T0_SK_SP_E_clISE_PiSF_SF_EEDaS13_S14_SK_SP_EUlS13_E_NS1_11comp_targetILNS1_3genE3ELNS1_11target_archE908ELNS1_3gpuE7ELNS1_3repE0EEENS1_47radix_sort_onesweep_sort_config_static_selectorELNS0_4arch9wavefront6targetE0EEEvSK_,"axG",@progbits,_ZN7rocprim17ROCPRIM_400000_NS6detail17trampoline_kernelINS0_14default_configENS1_35radix_sort_onesweep_config_selectorIiNS0_10empty_typeEEEZZNS1_29radix_sort_onesweep_iterationIS3_Lb1EN6thrust23THRUST_200600_302600_NS6detail15normal_iteratorINS9_10device_ptrIiEEEESE_PS5_SF_jNS0_19identity_decomposerENS1_16block_id_wrapperIjLb0EEEEE10hipError_tT1_PNSt15iterator_traitsISK_E10value_typeET2_T3_PNSL_ISQ_E10value_typeET4_T5_PSV_SW_PNS1_23onesweep_lookback_stateEbbT6_jjT7_P12ihipStream_tbENKUlT_T0_SK_SP_E_clISE_PiSF_SF_EEDaS13_S14_SK_SP_EUlS13_E_NS1_11comp_targetILNS1_3genE3ELNS1_11target_archE908ELNS1_3gpuE7ELNS1_3repE0EEENS1_47radix_sort_onesweep_sort_config_static_selectorELNS0_4arch9wavefront6targetE0EEEvSK_,comdat
	.protected	_ZN7rocprim17ROCPRIM_400000_NS6detail17trampoline_kernelINS0_14default_configENS1_35radix_sort_onesweep_config_selectorIiNS0_10empty_typeEEEZZNS1_29radix_sort_onesweep_iterationIS3_Lb1EN6thrust23THRUST_200600_302600_NS6detail15normal_iteratorINS9_10device_ptrIiEEEESE_PS5_SF_jNS0_19identity_decomposerENS1_16block_id_wrapperIjLb0EEEEE10hipError_tT1_PNSt15iterator_traitsISK_E10value_typeET2_T3_PNSL_ISQ_E10value_typeET4_T5_PSV_SW_PNS1_23onesweep_lookback_stateEbbT6_jjT7_P12ihipStream_tbENKUlT_T0_SK_SP_E_clISE_PiSF_SF_EEDaS13_S14_SK_SP_EUlS13_E_NS1_11comp_targetILNS1_3genE3ELNS1_11target_archE908ELNS1_3gpuE7ELNS1_3repE0EEENS1_47radix_sort_onesweep_sort_config_static_selectorELNS0_4arch9wavefront6targetE0EEEvSK_ ; -- Begin function _ZN7rocprim17ROCPRIM_400000_NS6detail17trampoline_kernelINS0_14default_configENS1_35radix_sort_onesweep_config_selectorIiNS0_10empty_typeEEEZZNS1_29radix_sort_onesweep_iterationIS3_Lb1EN6thrust23THRUST_200600_302600_NS6detail15normal_iteratorINS9_10device_ptrIiEEEESE_PS5_SF_jNS0_19identity_decomposerENS1_16block_id_wrapperIjLb0EEEEE10hipError_tT1_PNSt15iterator_traitsISK_E10value_typeET2_T3_PNSL_ISQ_E10value_typeET4_T5_PSV_SW_PNS1_23onesweep_lookback_stateEbbT6_jjT7_P12ihipStream_tbENKUlT_T0_SK_SP_E_clISE_PiSF_SF_EEDaS13_S14_SK_SP_EUlS13_E_NS1_11comp_targetILNS1_3genE3ELNS1_11target_archE908ELNS1_3gpuE7ELNS1_3repE0EEENS1_47radix_sort_onesweep_sort_config_static_selectorELNS0_4arch9wavefront6targetE0EEEvSK_
	.globl	_ZN7rocprim17ROCPRIM_400000_NS6detail17trampoline_kernelINS0_14default_configENS1_35radix_sort_onesweep_config_selectorIiNS0_10empty_typeEEEZZNS1_29radix_sort_onesweep_iterationIS3_Lb1EN6thrust23THRUST_200600_302600_NS6detail15normal_iteratorINS9_10device_ptrIiEEEESE_PS5_SF_jNS0_19identity_decomposerENS1_16block_id_wrapperIjLb0EEEEE10hipError_tT1_PNSt15iterator_traitsISK_E10value_typeET2_T3_PNSL_ISQ_E10value_typeET4_T5_PSV_SW_PNS1_23onesweep_lookback_stateEbbT6_jjT7_P12ihipStream_tbENKUlT_T0_SK_SP_E_clISE_PiSF_SF_EEDaS13_S14_SK_SP_EUlS13_E_NS1_11comp_targetILNS1_3genE3ELNS1_11target_archE908ELNS1_3gpuE7ELNS1_3repE0EEENS1_47radix_sort_onesweep_sort_config_static_selectorELNS0_4arch9wavefront6targetE0EEEvSK_
	.p2align	8
	.type	_ZN7rocprim17ROCPRIM_400000_NS6detail17trampoline_kernelINS0_14default_configENS1_35radix_sort_onesweep_config_selectorIiNS0_10empty_typeEEEZZNS1_29radix_sort_onesweep_iterationIS3_Lb1EN6thrust23THRUST_200600_302600_NS6detail15normal_iteratorINS9_10device_ptrIiEEEESE_PS5_SF_jNS0_19identity_decomposerENS1_16block_id_wrapperIjLb0EEEEE10hipError_tT1_PNSt15iterator_traitsISK_E10value_typeET2_T3_PNSL_ISQ_E10value_typeET4_T5_PSV_SW_PNS1_23onesweep_lookback_stateEbbT6_jjT7_P12ihipStream_tbENKUlT_T0_SK_SP_E_clISE_PiSF_SF_EEDaS13_S14_SK_SP_EUlS13_E_NS1_11comp_targetILNS1_3genE3ELNS1_11target_archE908ELNS1_3gpuE7ELNS1_3repE0EEENS1_47radix_sort_onesweep_sort_config_static_selectorELNS0_4arch9wavefront6targetE0EEEvSK_,@function
_ZN7rocprim17ROCPRIM_400000_NS6detail17trampoline_kernelINS0_14default_configENS1_35radix_sort_onesweep_config_selectorIiNS0_10empty_typeEEEZZNS1_29radix_sort_onesweep_iterationIS3_Lb1EN6thrust23THRUST_200600_302600_NS6detail15normal_iteratorINS9_10device_ptrIiEEEESE_PS5_SF_jNS0_19identity_decomposerENS1_16block_id_wrapperIjLb0EEEEE10hipError_tT1_PNSt15iterator_traitsISK_E10value_typeET2_T3_PNSL_ISQ_E10value_typeET4_T5_PSV_SW_PNS1_23onesweep_lookback_stateEbbT6_jjT7_P12ihipStream_tbENKUlT_T0_SK_SP_E_clISE_PiSF_SF_EEDaS13_S14_SK_SP_EUlS13_E_NS1_11comp_targetILNS1_3genE3ELNS1_11target_archE908ELNS1_3gpuE7ELNS1_3repE0EEENS1_47radix_sort_onesweep_sort_config_static_selectorELNS0_4arch9wavefront6targetE0EEEvSK_: ; @_ZN7rocprim17ROCPRIM_400000_NS6detail17trampoline_kernelINS0_14default_configENS1_35radix_sort_onesweep_config_selectorIiNS0_10empty_typeEEEZZNS1_29radix_sort_onesweep_iterationIS3_Lb1EN6thrust23THRUST_200600_302600_NS6detail15normal_iteratorINS9_10device_ptrIiEEEESE_PS5_SF_jNS0_19identity_decomposerENS1_16block_id_wrapperIjLb0EEEEE10hipError_tT1_PNSt15iterator_traitsISK_E10value_typeET2_T3_PNSL_ISQ_E10value_typeET4_T5_PSV_SW_PNS1_23onesweep_lookback_stateEbbT6_jjT7_P12ihipStream_tbENKUlT_T0_SK_SP_E_clISE_PiSF_SF_EEDaS13_S14_SK_SP_EUlS13_E_NS1_11comp_targetILNS1_3genE3ELNS1_11target_archE908ELNS1_3gpuE7ELNS1_3repE0EEENS1_47radix_sort_onesweep_sort_config_static_selectorELNS0_4arch9wavefront6targetE0EEEvSK_
; %bb.0:
	.section	.rodata,"a",@progbits
	.p2align	6, 0x0
	.amdhsa_kernel _ZN7rocprim17ROCPRIM_400000_NS6detail17trampoline_kernelINS0_14default_configENS1_35radix_sort_onesweep_config_selectorIiNS0_10empty_typeEEEZZNS1_29radix_sort_onesweep_iterationIS3_Lb1EN6thrust23THRUST_200600_302600_NS6detail15normal_iteratorINS9_10device_ptrIiEEEESE_PS5_SF_jNS0_19identity_decomposerENS1_16block_id_wrapperIjLb0EEEEE10hipError_tT1_PNSt15iterator_traitsISK_E10value_typeET2_T3_PNSL_ISQ_E10value_typeET4_T5_PSV_SW_PNS1_23onesweep_lookback_stateEbbT6_jjT7_P12ihipStream_tbENKUlT_T0_SK_SP_E_clISE_PiSF_SF_EEDaS13_S14_SK_SP_EUlS13_E_NS1_11comp_targetILNS1_3genE3ELNS1_11target_archE908ELNS1_3gpuE7ELNS1_3repE0EEENS1_47radix_sort_onesweep_sort_config_static_selectorELNS0_4arch9wavefront6targetE0EEEvSK_
		.amdhsa_group_segment_fixed_size 0
		.amdhsa_private_segment_fixed_size 0
		.amdhsa_kernarg_size 88
		.amdhsa_user_sgpr_count 6
		.amdhsa_user_sgpr_private_segment_buffer 1
		.amdhsa_user_sgpr_dispatch_ptr 0
		.amdhsa_user_sgpr_queue_ptr 0
		.amdhsa_user_sgpr_kernarg_segment_ptr 1
		.amdhsa_user_sgpr_dispatch_id 0
		.amdhsa_user_sgpr_flat_scratch_init 0
		.amdhsa_user_sgpr_private_segment_size 0
		.amdhsa_wavefront_size32 1
		.amdhsa_uses_dynamic_stack 0
		.amdhsa_system_sgpr_private_segment_wavefront_offset 0
		.amdhsa_system_sgpr_workgroup_id_x 1
		.amdhsa_system_sgpr_workgroup_id_y 0
		.amdhsa_system_sgpr_workgroup_id_z 0
		.amdhsa_system_sgpr_workgroup_info 0
		.amdhsa_system_vgpr_workitem_id 0
		.amdhsa_next_free_vgpr 1
		.amdhsa_next_free_sgpr 1
		.amdhsa_reserve_vcc 0
		.amdhsa_reserve_flat_scratch 0
		.amdhsa_float_round_mode_32 0
		.amdhsa_float_round_mode_16_64 0
		.amdhsa_float_denorm_mode_32 3
		.amdhsa_float_denorm_mode_16_64 3
		.amdhsa_dx10_clamp 1
		.amdhsa_ieee_mode 1
		.amdhsa_fp16_overflow 0
		.amdhsa_workgroup_processor_mode 1
		.amdhsa_memory_ordered 1
		.amdhsa_forward_progress 1
		.amdhsa_shared_vgpr_count 0
		.amdhsa_exception_fp_ieee_invalid_op 0
		.amdhsa_exception_fp_denorm_src 0
		.amdhsa_exception_fp_ieee_div_zero 0
		.amdhsa_exception_fp_ieee_overflow 0
		.amdhsa_exception_fp_ieee_underflow 0
		.amdhsa_exception_fp_ieee_inexact 0
		.amdhsa_exception_int_div_zero 0
	.end_amdhsa_kernel
	.section	.text._ZN7rocprim17ROCPRIM_400000_NS6detail17trampoline_kernelINS0_14default_configENS1_35radix_sort_onesweep_config_selectorIiNS0_10empty_typeEEEZZNS1_29radix_sort_onesweep_iterationIS3_Lb1EN6thrust23THRUST_200600_302600_NS6detail15normal_iteratorINS9_10device_ptrIiEEEESE_PS5_SF_jNS0_19identity_decomposerENS1_16block_id_wrapperIjLb0EEEEE10hipError_tT1_PNSt15iterator_traitsISK_E10value_typeET2_T3_PNSL_ISQ_E10value_typeET4_T5_PSV_SW_PNS1_23onesweep_lookback_stateEbbT6_jjT7_P12ihipStream_tbENKUlT_T0_SK_SP_E_clISE_PiSF_SF_EEDaS13_S14_SK_SP_EUlS13_E_NS1_11comp_targetILNS1_3genE3ELNS1_11target_archE908ELNS1_3gpuE7ELNS1_3repE0EEENS1_47radix_sort_onesweep_sort_config_static_selectorELNS0_4arch9wavefront6targetE0EEEvSK_,"axG",@progbits,_ZN7rocprim17ROCPRIM_400000_NS6detail17trampoline_kernelINS0_14default_configENS1_35radix_sort_onesweep_config_selectorIiNS0_10empty_typeEEEZZNS1_29radix_sort_onesweep_iterationIS3_Lb1EN6thrust23THRUST_200600_302600_NS6detail15normal_iteratorINS9_10device_ptrIiEEEESE_PS5_SF_jNS0_19identity_decomposerENS1_16block_id_wrapperIjLb0EEEEE10hipError_tT1_PNSt15iterator_traitsISK_E10value_typeET2_T3_PNSL_ISQ_E10value_typeET4_T5_PSV_SW_PNS1_23onesweep_lookback_stateEbbT6_jjT7_P12ihipStream_tbENKUlT_T0_SK_SP_E_clISE_PiSF_SF_EEDaS13_S14_SK_SP_EUlS13_E_NS1_11comp_targetILNS1_3genE3ELNS1_11target_archE908ELNS1_3gpuE7ELNS1_3repE0EEENS1_47radix_sort_onesweep_sort_config_static_selectorELNS0_4arch9wavefront6targetE0EEEvSK_,comdat
.Lfunc_end377:
	.size	_ZN7rocprim17ROCPRIM_400000_NS6detail17trampoline_kernelINS0_14default_configENS1_35radix_sort_onesweep_config_selectorIiNS0_10empty_typeEEEZZNS1_29radix_sort_onesweep_iterationIS3_Lb1EN6thrust23THRUST_200600_302600_NS6detail15normal_iteratorINS9_10device_ptrIiEEEESE_PS5_SF_jNS0_19identity_decomposerENS1_16block_id_wrapperIjLb0EEEEE10hipError_tT1_PNSt15iterator_traitsISK_E10value_typeET2_T3_PNSL_ISQ_E10value_typeET4_T5_PSV_SW_PNS1_23onesweep_lookback_stateEbbT6_jjT7_P12ihipStream_tbENKUlT_T0_SK_SP_E_clISE_PiSF_SF_EEDaS13_S14_SK_SP_EUlS13_E_NS1_11comp_targetILNS1_3genE3ELNS1_11target_archE908ELNS1_3gpuE7ELNS1_3repE0EEENS1_47radix_sort_onesweep_sort_config_static_selectorELNS0_4arch9wavefront6targetE0EEEvSK_, .Lfunc_end377-_ZN7rocprim17ROCPRIM_400000_NS6detail17trampoline_kernelINS0_14default_configENS1_35radix_sort_onesweep_config_selectorIiNS0_10empty_typeEEEZZNS1_29radix_sort_onesweep_iterationIS3_Lb1EN6thrust23THRUST_200600_302600_NS6detail15normal_iteratorINS9_10device_ptrIiEEEESE_PS5_SF_jNS0_19identity_decomposerENS1_16block_id_wrapperIjLb0EEEEE10hipError_tT1_PNSt15iterator_traitsISK_E10value_typeET2_T3_PNSL_ISQ_E10value_typeET4_T5_PSV_SW_PNS1_23onesweep_lookback_stateEbbT6_jjT7_P12ihipStream_tbENKUlT_T0_SK_SP_E_clISE_PiSF_SF_EEDaS13_S14_SK_SP_EUlS13_E_NS1_11comp_targetILNS1_3genE3ELNS1_11target_archE908ELNS1_3gpuE7ELNS1_3repE0EEENS1_47radix_sort_onesweep_sort_config_static_selectorELNS0_4arch9wavefront6targetE0EEEvSK_
                                        ; -- End function
	.set _ZN7rocprim17ROCPRIM_400000_NS6detail17trampoline_kernelINS0_14default_configENS1_35radix_sort_onesweep_config_selectorIiNS0_10empty_typeEEEZZNS1_29radix_sort_onesweep_iterationIS3_Lb1EN6thrust23THRUST_200600_302600_NS6detail15normal_iteratorINS9_10device_ptrIiEEEESE_PS5_SF_jNS0_19identity_decomposerENS1_16block_id_wrapperIjLb0EEEEE10hipError_tT1_PNSt15iterator_traitsISK_E10value_typeET2_T3_PNSL_ISQ_E10value_typeET4_T5_PSV_SW_PNS1_23onesweep_lookback_stateEbbT6_jjT7_P12ihipStream_tbENKUlT_T0_SK_SP_E_clISE_PiSF_SF_EEDaS13_S14_SK_SP_EUlS13_E_NS1_11comp_targetILNS1_3genE3ELNS1_11target_archE908ELNS1_3gpuE7ELNS1_3repE0EEENS1_47radix_sort_onesweep_sort_config_static_selectorELNS0_4arch9wavefront6targetE0EEEvSK_.num_vgpr, 0
	.set _ZN7rocprim17ROCPRIM_400000_NS6detail17trampoline_kernelINS0_14default_configENS1_35radix_sort_onesweep_config_selectorIiNS0_10empty_typeEEEZZNS1_29radix_sort_onesweep_iterationIS3_Lb1EN6thrust23THRUST_200600_302600_NS6detail15normal_iteratorINS9_10device_ptrIiEEEESE_PS5_SF_jNS0_19identity_decomposerENS1_16block_id_wrapperIjLb0EEEEE10hipError_tT1_PNSt15iterator_traitsISK_E10value_typeET2_T3_PNSL_ISQ_E10value_typeET4_T5_PSV_SW_PNS1_23onesweep_lookback_stateEbbT6_jjT7_P12ihipStream_tbENKUlT_T0_SK_SP_E_clISE_PiSF_SF_EEDaS13_S14_SK_SP_EUlS13_E_NS1_11comp_targetILNS1_3genE3ELNS1_11target_archE908ELNS1_3gpuE7ELNS1_3repE0EEENS1_47radix_sort_onesweep_sort_config_static_selectorELNS0_4arch9wavefront6targetE0EEEvSK_.num_agpr, 0
	.set _ZN7rocprim17ROCPRIM_400000_NS6detail17trampoline_kernelINS0_14default_configENS1_35radix_sort_onesweep_config_selectorIiNS0_10empty_typeEEEZZNS1_29radix_sort_onesweep_iterationIS3_Lb1EN6thrust23THRUST_200600_302600_NS6detail15normal_iteratorINS9_10device_ptrIiEEEESE_PS5_SF_jNS0_19identity_decomposerENS1_16block_id_wrapperIjLb0EEEEE10hipError_tT1_PNSt15iterator_traitsISK_E10value_typeET2_T3_PNSL_ISQ_E10value_typeET4_T5_PSV_SW_PNS1_23onesweep_lookback_stateEbbT6_jjT7_P12ihipStream_tbENKUlT_T0_SK_SP_E_clISE_PiSF_SF_EEDaS13_S14_SK_SP_EUlS13_E_NS1_11comp_targetILNS1_3genE3ELNS1_11target_archE908ELNS1_3gpuE7ELNS1_3repE0EEENS1_47radix_sort_onesweep_sort_config_static_selectorELNS0_4arch9wavefront6targetE0EEEvSK_.numbered_sgpr, 0
	.set _ZN7rocprim17ROCPRIM_400000_NS6detail17trampoline_kernelINS0_14default_configENS1_35radix_sort_onesweep_config_selectorIiNS0_10empty_typeEEEZZNS1_29radix_sort_onesweep_iterationIS3_Lb1EN6thrust23THRUST_200600_302600_NS6detail15normal_iteratorINS9_10device_ptrIiEEEESE_PS5_SF_jNS0_19identity_decomposerENS1_16block_id_wrapperIjLb0EEEEE10hipError_tT1_PNSt15iterator_traitsISK_E10value_typeET2_T3_PNSL_ISQ_E10value_typeET4_T5_PSV_SW_PNS1_23onesweep_lookback_stateEbbT6_jjT7_P12ihipStream_tbENKUlT_T0_SK_SP_E_clISE_PiSF_SF_EEDaS13_S14_SK_SP_EUlS13_E_NS1_11comp_targetILNS1_3genE3ELNS1_11target_archE908ELNS1_3gpuE7ELNS1_3repE0EEENS1_47radix_sort_onesweep_sort_config_static_selectorELNS0_4arch9wavefront6targetE0EEEvSK_.num_named_barrier, 0
	.set _ZN7rocprim17ROCPRIM_400000_NS6detail17trampoline_kernelINS0_14default_configENS1_35radix_sort_onesweep_config_selectorIiNS0_10empty_typeEEEZZNS1_29radix_sort_onesweep_iterationIS3_Lb1EN6thrust23THRUST_200600_302600_NS6detail15normal_iteratorINS9_10device_ptrIiEEEESE_PS5_SF_jNS0_19identity_decomposerENS1_16block_id_wrapperIjLb0EEEEE10hipError_tT1_PNSt15iterator_traitsISK_E10value_typeET2_T3_PNSL_ISQ_E10value_typeET4_T5_PSV_SW_PNS1_23onesweep_lookback_stateEbbT6_jjT7_P12ihipStream_tbENKUlT_T0_SK_SP_E_clISE_PiSF_SF_EEDaS13_S14_SK_SP_EUlS13_E_NS1_11comp_targetILNS1_3genE3ELNS1_11target_archE908ELNS1_3gpuE7ELNS1_3repE0EEENS1_47radix_sort_onesweep_sort_config_static_selectorELNS0_4arch9wavefront6targetE0EEEvSK_.private_seg_size, 0
	.set _ZN7rocprim17ROCPRIM_400000_NS6detail17trampoline_kernelINS0_14default_configENS1_35radix_sort_onesweep_config_selectorIiNS0_10empty_typeEEEZZNS1_29radix_sort_onesweep_iterationIS3_Lb1EN6thrust23THRUST_200600_302600_NS6detail15normal_iteratorINS9_10device_ptrIiEEEESE_PS5_SF_jNS0_19identity_decomposerENS1_16block_id_wrapperIjLb0EEEEE10hipError_tT1_PNSt15iterator_traitsISK_E10value_typeET2_T3_PNSL_ISQ_E10value_typeET4_T5_PSV_SW_PNS1_23onesweep_lookback_stateEbbT6_jjT7_P12ihipStream_tbENKUlT_T0_SK_SP_E_clISE_PiSF_SF_EEDaS13_S14_SK_SP_EUlS13_E_NS1_11comp_targetILNS1_3genE3ELNS1_11target_archE908ELNS1_3gpuE7ELNS1_3repE0EEENS1_47radix_sort_onesweep_sort_config_static_selectorELNS0_4arch9wavefront6targetE0EEEvSK_.uses_vcc, 0
	.set _ZN7rocprim17ROCPRIM_400000_NS6detail17trampoline_kernelINS0_14default_configENS1_35radix_sort_onesweep_config_selectorIiNS0_10empty_typeEEEZZNS1_29radix_sort_onesweep_iterationIS3_Lb1EN6thrust23THRUST_200600_302600_NS6detail15normal_iteratorINS9_10device_ptrIiEEEESE_PS5_SF_jNS0_19identity_decomposerENS1_16block_id_wrapperIjLb0EEEEE10hipError_tT1_PNSt15iterator_traitsISK_E10value_typeET2_T3_PNSL_ISQ_E10value_typeET4_T5_PSV_SW_PNS1_23onesweep_lookback_stateEbbT6_jjT7_P12ihipStream_tbENKUlT_T0_SK_SP_E_clISE_PiSF_SF_EEDaS13_S14_SK_SP_EUlS13_E_NS1_11comp_targetILNS1_3genE3ELNS1_11target_archE908ELNS1_3gpuE7ELNS1_3repE0EEENS1_47radix_sort_onesweep_sort_config_static_selectorELNS0_4arch9wavefront6targetE0EEEvSK_.uses_flat_scratch, 0
	.set _ZN7rocprim17ROCPRIM_400000_NS6detail17trampoline_kernelINS0_14default_configENS1_35radix_sort_onesweep_config_selectorIiNS0_10empty_typeEEEZZNS1_29radix_sort_onesweep_iterationIS3_Lb1EN6thrust23THRUST_200600_302600_NS6detail15normal_iteratorINS9_10device_ptrIiEEEESE_PS5_SF_jNS0_19identity_decomposerENS1_16block_id_wrapperIjLb0EEEEE10hipError_tT1_PNSt15iterator_traitsISK_E10value_typeET2_T3_PNSL_ISQ_E10value_typeET4_T5_PSV_SW_PNS1_23onesweep_lookback_stateEbbT6_jjT7_P12ihipStream_tbENKUlT_T0_SK_SP_E_clISE_PiSF_SF_EEDaS13_S14_SK_SP_EUlS13_E_NS1_11comp_targetILNS1_3genE3ELNS1_11target_archE908ELNS1_3gpuE7ELNS1_3repE0EEENS1_47radix_sort_onesweep_sort_config_static_selectorELNS0_4arch9wavefront6targetE0EEEvSK_.has_dyn_sized_stack, 0
	.set _ZN7rocprim17ROCPRIM_400000_NS6detail17trampoline_kernelINS0_14default_configENS1_35radix_sort_onesweep_config_selectorIiNS0_10empty_typeEEEZZNS1_29radix_sort_onesweep_iterationIS3_Lb1EN6thrust23THRUST_200600_302600_NS6detail15normal_iteratorINS9_10device_ptrIiEEEESE_PS5_SF_jNS0_19identity_decomposerENS1_16block_id_wrapperIjLb0EEEEE10hipError_tT1_PNSt15iterator_traitsISK_E10value_typeET2_T3_PNSL_ISQ_E10value_typeET4_T5_PSV_SW_PNS1_23onesweep_lookback_stateEbbT6_jjT7_P12ihipStream_tbENKUlT_T0_SK_SP_E_clISE_PiSF_SF_EEDaS13_S14_SK_SP_EUlS13_E_NS1_11comp_targetILNS1_3genE3ELNS1_11target_archE908ELNS1_3gpuE7ELNS1_3repE0EEENS1_47radix_sort_onesweep_sort_config_static_selectorELNS0_4arch9wavefront6targetE0EEEvSK_.has_recursion, 0
	.set _ZN7rocprim17ROCPRIM_400000_NS6detail17trampoline_kernelINS0_14default_configENS1_35radix_sort_onesweep_config_selectorIiNS0_10empty_typeEEEZZNS1_29radix_sort_onesweep_iterationIS3_Lb1EN6thrust23THRUST_200600_302600_NS6detail15normal_iteratorINS9_10device_ptrIiEEEESE_PS5_SF_jNS0_19identity_decomposerENS1_16block_id_wrapperIjLb0EEEEE10hipError_tT1_PNSt15iterator_traitsISK_E10value_typeET2_T3_PNSL_ISQ_E10value_typeET4_T5_PSV_SW_PNS1_23onesweep_lookback_stateEbbT6_jjT7_P12ihipStream_tbENKUlT_T0_SK_SP_E_clISE_PiSF_SF_EEDaS13_S14_SK_SP_EUlS13_E_NS1_11comp_targetILNS1_3genE3ELNS1_11target_archE908ELNS1_3gpuE7ELNS1_3repE0EEENS1_47radix_sort_onesweep_sort_config_static_selectorELNS0_4arch9wavefront6targetE0EEEvSK_.has_indirect_call, 0
	.section	.AMDGPU.csdata,"",@progbits
; Kernel info:
; codeLenInByte = 0
; TotalNumSgprs: 0
; NumVgprs: 0
; ScratchSize: 0
; MemoryBound: 0
; FloatMode: 240
; IeeeMode: 1
; LDSByteSize: 0 bytes/workgroup (compile time only)
; SGPRBlocks: 0
; VGPRBlocks: 0
; NumSGPRsForWavesPerEU: 1
; NumVGPRsForWavesPerEU: 1
; Occupancy: 16
; WaveLimiterHint : 0
; COMPUTE_PGM_RSRC2:SCRATCH_EN: 0
; COMPUTE_PGM_RSRC2:USER_SGPR: 6
; COMPUTE_PGM_RSRC2:TRAP_HANDLER: 0
; COMPUTE_PGM_RSRC2:TGID_X_EN: 1
; COMPUTE_PGM_RSRC2:TGID_Y_EN: 0
; COMPUTE_PGM_RSRC2:TGID_Z_EN: 0
; COMPUTE_PGM_RSRC2:TIDIG_COMP_CNT: 0
	.section	.text._ZN7rocprim17ROCPRIM_400000_NS6detail17trampoline_kernelINS0_14default_configENS1_35radix_sort_onesweep_config_selectorIiNS0_10empty_typeEEEZZNS1_29radix_sort_onesweep_iterationIS3_Lb1EN6thrust23THRUST_200600_302600_NS6detail15normal_iteratorINS9_10device_ptrIiEEEESE_PS5_SF_jNS0_19identity_decomposerENS1_16block_id_wrapperIjLb0EEEEE10hipError_tT1_PNSt15iterator_traitsISK_E10value_typeET2_T3_PNSL_ISQ_E10value_typeET4_T5_PSV_SW_PNS1_23onesweep_lookback_stateEbbT6_jjT7_P12ihipStream_tbENKUlT_T0_SK_SP_E_clISE_PiSF_SF_EEDaS13_S14_SK_SP_EUlS13_E_NS1_11comp_targetILNS1_3genE10ELNS1_11target_archE1201ELNS1_3gpuE5ELNS1_3repE0EEENS1_47radix_sort_onesweep_sort_config_static_selectorELNS0_4arch9wavefront6targetE0EEEvSK_,"axG",@progbits,_ZN7rocprim17ROCPRIM_400000_NS6detail17trampoline_kernelINS0_14default_configENS1_35radix_sort_onesweep_config_selectorIiNS0_10empty_typeEEEZZNS1_29radix_sort_onesweep_iterationIS3_Lb1EN6thrust23THRUST_200600_302600_NS6detail15normal_iteratorINS9_10device_ptrIiEEEESE_PS5_SF_jNS0_19identity_decomposerENS1_16block_id_wrapperIjLb0EEEEE10hipError_tT1_PNSt15iterator_traitsISK_E10value_typeET2_T3_PNSL_ISQ_E10value_typeET4_T5_PSV_SW_PNS1_23onesweep_lookback_stateEbbT6_jjT7_P12ihipStream_tbENKUlT_T0_SK_SP_E_clISE_PiSF_SF_EEDaS13_S14_SK_SP_EUlS13_E_NS1_11comp_targetILNS1_3genE10ELNS1_11target_archE1201ELNS1_3gpuE5ELNS1_3repE0EEENS1_47radix_sort_onesweep_sort_config_static_selectorELNS0_4arch9wavefront6targetE0EEEvSK_,comdat
	.protected	_ZN7rocprim17ROCPRIM_400000_NS6detail17trampoline_kernelINS0_14default_configENS1_35radix_sort_onesweep_config_selectorIiNS0_10empty_typeEEEZZNS1_29radix_sort_onesweep_iterationIS3_Lb1EN6thrust23THRUST_200600_302600_NS6detail15normal_iteratorINS9_10device_ptrIiEEEESE_PS5_SF_jNS0_19identity_decomposerENS1_16block_id_wrapperIjLb0EEEEE10hipError_tT1_PNSt15iterator_traitsISK_E10value_typeET2_T3_PNSL_ISQ_E10value_typeET4_T5_PSV_SW_PNS1_23onesweep_lookback_stateEbbT6_jjT7_P12ihipStream_tbENKUlT_T0_SK_SP_E_clISE_PiSF_SF_EEDaS13_S14_SK_SP_EUlS13_E_NS1_11comp_targetILNS1_3genE10ELNS1_11target_archE1201ELNS1_3gpuE5ELNS1_3repE0EEENS1_47radix_sort_onesweep_sort_config_static_selectorELNS0_4arch9wavefront6targetE0EEEvSK_ ; -- Begin function _ZN7rocprim17ROCPRIM_400000_NS6detail17trampoline_kernelINS0_14default_configENS1_35radix_sort_onesweep_config_selectorIiNS0_10empty_typeEEEZZNS1_29radix_sort_onesweep_iterationIS3_Lb1EN6thrust23THRUST_200600_302600_NS6detail15normal_iteratorINS9_10device_ptrIiEEEESE_PS5_SF_jNS0_19identity_decomposerENS1_16block_id_wrapperIjLb0EEEEE10hipError_tT1_PNSt15iterator_traitsISK_E10value_typeET2_T3_PNSL_ISQ_E10value_typeET4_T5_PSV_SW_PNS1_23onesweep_lookback_stateEbbT6_jjT7_P12ihipStream_tbENKUlT_T0_SK_SP_E_clISE_PiSF_SF_EEDaS13_S14_SK_SP_EUlS13_E_NS1_11comp_targetILNS1_3genE10ELNS1_11target_archE1201ELNS1_3gpuE5ELNS1_3repE0EEENS1_47radix_sort_onesweep_sort_config_static_selectorELNS0_4arch9wavefront6targetE0EEEvSK_
	.globl	_ZN7rocprim17ROCPRIM_400000_NS6detail17trampoline_kernelINS0_14default_configENS1_35radix_sort_onesweep_config_selectorIiNS0_10empty_typeEEEZZNS1_29radix_sort_onesweep_iterationIS3_Lb1EN6thrust23THRUST_200600_302600_NS6detail15normal_iteratorINS9_10device_ptrIiEEEESE_PS5_SF_jNS0_19identity_decomposerENS1_16block_id_wrapperIjLb0EEEEE10hipError_tT1_PNSt15iterator_traitsISK_E10value_typeET2_T3_PNSL_ISQ_E10value_typeET4_T5_PSV_SW_PNS1_23onesweep_lookback_stateEbbT6_jjT7_P12ihipStream_tbENKUlT_T0_SK_SP_E_clISE_PiSF_SF_EEDaS13_S14_SK_SP_EUlS13_E_NS1_11comp_targetILNS1_3genE10ELNS1_11target_archE1201ELNS1_3gpuE5ELNS1_3repE0EEENS1_47radix_sort_onesweep_sort_config_static_selectorELNS0_4arch9wavefront6targetE0EEEvSK_
	.p2align	8
	.type	_ZN7rocprim17ROCPRIM_400000_NS6detail17trampoline_kernelINS0_14default_configENS1_35radix_sort_onesweep_config_selectorIiNS0_10empty_typeEEEZZNS1_29radix_sort_onesweep_iterationIS3_Lb1EN6thrust23THRUST_200600_302600_NS6detail15normal_iteratorINS9_10device_ptrIiEEEESE_PS5_SF_jNS0_19identity_decomposerENS1_16block_id_wrapperIjLb0EEEEE10hipError_tT1_PNSt15iterator_traitsISK_E10value_typeET2_T3_PNSL_ISQ_E10value_typeET4_T5_PSV_SW_PNS1_23onesweep_lookback_stateEbbT6_jjT7_P12ihipStream_tbENKUlT_T0_SK_SP_E_clISE_PiSF_SF_EEDaS13_S14_SK_SP_EUlS13_E_NS1_11comp_targetILNS1_3genE10ELNS1_11target_archE1201ELNS1_3gpuE5ELNS1_3repE0EEENS1_47radix_sort_onesweep_sort_config_static_selectorELNS0_4arch9wavefront6targetE0EEEvSK_,@function
_ZN7rocprim17ROCPRIM_400000_NS6detail17trampoline_kernelINS0_14default_configENS1_35radix_sort_onesweep_config_selectorIiNS0_10empty_typeEEEZZNS1_29radix_sort_onesweep_iterationIS3_Lb1EN6thrust23THRUST_200600_302600_NS6detail15normal_iteratorINS9_10device_ptrIiEEEESE_PS5_SF_jNS0_19identity_decomposerENS1_16block_id_wrapperIjLb0EEEEE10hipError_tT1_PNSt15iterator_traitsISK_E10value_typeET2_T3_PNSL_ISQ_E10value_typeET4_T5_PSV_SW_PNS1_23onesweep_lookback_stateEbbT6_jjT7_P12ihipStream_tbENKUlT_T0_SK_SP_E_clISE_PiSF_SF_EEDaS13_S14_SK_SP_EUlS13_E_NS1_11comp_targetILNS1_3genE10ELNS1_11target_archE1201ELNS1_3gpuE5ELNS1_3repE0EEENS1_47radix_sort_onesweep_sort_config_static_selectorELNS0_4arch9wavefront6targetE0EEEvSK_: ; @_ZN7rocprim17ROCPRIM_400000_NS6detail17trampoline_kernelINS0_14default_configENS1_35radix_sort_onesweep_config_selectorIiNS0_10empty_typeEEEZZNS1_29radix_sort_onesweep_iterationIS3_Lb1EN6thrust23THRUST_200600_302600_NS6detail15normal_iteratorINS9_10device_ptrIiEEEESE_PS5_SF_jNS0_19identity_decomposerENS1_16block_id_wrapperIjLb0EEEEE10hipError_tT1_PNSt15iterator_traitsISK_E10value_typeET2_T3_PNSL_ISQ_E10value_typeET4_T5_PSV_SW_PNS1_23onesweep_lookback_stateEbbT6_jjT7_P12ihipStream_tbENKUlT_T0_SK_SP_E_clISE_PiSF_SF_EEDaS13_S14_SK_SP_EUlS13_E_NS1_11comp_targetILNS1_3genE10ELNS1_11target_archE1201ELNS1_3gpuE5ELNS1_3repE0EEENS1_47radix_sort_onesweep_sort_config_static_selectorELNS0_4arch9wavefront6targetE0EEEvSK_
; %bb.0:
	.section	.rodata,"a",@progbits
	.p2align	6, 0x0
	.amdhsa_kernel _ZN7rocprim17ROCPRIM_400000_NS6detail17trampoline_kernelINS0_14default_configENS1_35radix_sort_onesweep_config_selectorIiNS0_10empty_typeEEEZZNS1_29radix_sort_onesweep_iterationIS3_Lb1EN6thrust23THRUST_200600_302600_NS6detail15normal_iteratorINS9_10device_ptrIiEEEESE_PS5_SF_jNS0_19identity_decomposerENS1_16block_id_wrapperIjLb0EEEEE10hipError_tT1_PNSt15iterator_traitsISK_E10value_typeET2_T3_PNSL_ISQ_E10value_typeET4_T5_PSV_SW_PNS1_23onesweep_lookback_stateEbbT6_jjT7_P12ihipStream_tbENKUlT_T0_SK_SP_E_clISE_PiSF_SF_EEDaS13_S14_SK_SP_EUlS13_E_NS1_11comp_targetILNS1_3genE10ELNS1_11target_archE1201ELNS1_3gpuE5ELNS1_3repE0EEENS1_47radix_sort_onesweep_sort_config_static_selectorELNS0_4arch9wavefront6targetE0EEEvSK_
		.amdhsa_group_segment_fixed_size 0
		.amdhsa_private_segment_fixed_size 0
		.amdhsa_kernarg_size 88
		.amdhsa_user_sgpr_count 6
		.amdhsa_user_sgpr_private_segment_buffer 1
		.amdhsa_user_sgpr_dispatch_ptr 0
		.amdhsa_user_sgpr_queue_ptr 0
		.amdhsa_user_sgpr_kernarg_segment_ptr 1
		.amdhsa_user_sgpr_dispatch_id 0
		.amdhsa_user_sgpr_flat_scratch_init 0
		.amdhsa_user_sgpr_private_segment_size 0
		.amdhsa_wavefront_size32 1
		.amdhsa_uses_dynamic_stack 0
		.amdhsa_system_sgpr_private_segment_wavefront_offset 0
		.amdhsa_system_sgpr_workgroup_id_x 1
		.amdhsa_system_sgpr_workgroup_id_y 0
		.amdhsa_system_sgpr_workgroup_id_z 0
		.amdhsa_system_sgpr_workgroup_info 0
		.amdhsa_system_vgpr_workitem_id 0
		.amdhsa_next_free_vgpr 1
		.amdhsa_next_free_sgpr 1
		.amdhsa_reserve_vcc 0
		.amdhsa_reserve_flat_scratch 0
		.amdhsa_float_round_mode_32 0
		.amdhsa_float_round_mode_16_64 0
		.amdhsa_float_denorm_mode_32 3
		.amdhsa_float_denorm_mode_16_64 3
		.amdhsa_dx10_clamp 1
		.amdhsa_ieee_mode 1
		.amdhsa_fp16_overflow 0
		.amdhsa_workgroup_processor_mode 1
		.amdhsa_memory_ordered 1
		.amdhsa_forward_progress 1
		.amdhsa_shared_vgpr_count 0
		.amdhsa_exception_fp_ieee_invalid_op 0
		.amdhsa_exception_fp_denorm_src 0
		.amdhsa_exception_fp_ieee_div_zero 0
		.amdhsa_exception_fp_ieee_overflow 0
		.amdhsa_exception_fp_ieee_underflow 0
		.amdhsa_exception_fp_ieee_inexact 0
		.amdhsa_exception_int_div_zero 0
	.end_amdhsa_kernel
	.section	.text._ZN7rocprim17ROCPRIM_400000_NS6detail17trampoline_kernelINS0_14default_configENS1_35radix_sort_onesweep_config_selectorIiNS0_10empty_typeEEEZZNS1_29radix_sort_onesweep_iterationIS3_Lb1EN6thrust23THRUST_200600_302600_NS6detail15normal_iteratorINS9_10device_ptrIiEEEESE_PS5_SF_jNS0_19identity_decomposerENS1_16block_id_wrapperIjLb0EEEEE10hipError_tT1_PNSt15iterator_traitsISK_E10value_typeET2_T3_PNSL_ISQ_E10value_typeET4_T5_PSV_SW_PNS1_23onesweep_lookback_stateEbbT6_jjT7_P12ihipStream_tbENKUlT_T0_SK_SP_E_clISE_PiSF_SF_EEDaS13_S14_SK_SP_EUlS13_E_NS1_11comp_targetILNS1_3genE10ELNS1_11target_archE1201ELNS1_3gpuE5ELNS1_3repE0EEENS1_47radix_sort_onesweep_sort_config_static_selectorELNS0_4arch9wavefront6targetE0EEEvSK_,"axG",@progbits,_ZN7rocprim17ROCPRIM_400000_NS6detail17trampoline_kernelINS0_14default_configENS1_35radix_sort_onesweep_config_selectorIiNS0_10empty_typeEEEZZNS1_29radix_sort_onesweep_iterationIS3_Lb1EN6thrust23THRUST_200600_302600_NS6detail15normal_iteratorINS9_10device_ptrIiEEEESE_PS5_SF_jNS0_19identity_decomposerENS1_16block_id_wrapperIjLb0EEEEE10hipError_tT1_PNSt15iterator_traitsISK_E10value_typeET2_T3_PNSL_ISQ_E10value_typeET4_T5_PSV_SW_PNS1_23onesweep_lookback_stateEbbT6_jjT7_P12ihipStream_tbENKUlT_T0_SK_SP_E_clISE_PiSF_SF_EEDaS13_S14_SK_SP_EUlS13_E_NS1_11comp_targetILNS1_3genE10ELNS1_11target_archE1201ELNS1_3gpuE5ELNS1_3repE0EEENS1_47radix_sort_onesweep_sort_config_static_selectorELNS0_4arch9wavefront6targetE0EEEvSK_,comdat
.Lfunc_end378:
	.size	_ZN7rocprim17ROCPRIM_400000_NS6detail17trampoline_kernelINS0_14default_configENS1_35radix_sort_onesweep_config_selectorIiNS0_10empty_typeEEEZZNS1_29radix_sort_onesweep_iterationIS3_Lb1EN6thrust23THRUST_200600_302600_NS6detail15normal_iteratorINS9_10device_ptrIiEEEESE_PS5_SF_jNS0_19identity_decomposerENS1_16block_id_wrapperIjLb0EEEEE10hipError_tT1_PNSt15iterator_traitsISK_E10value_typeET2_T3_PNSL_ISQ_E10value_typeET4_T5_PSV_SW_PNS1_23onesweep_lookback_stateEbbT6_jjT7_P12ihipStream_tbENKUlT_T0_SK_SP_E_clISE_PiSF_SF_EEDaS13_S14_SK_SP_EUlS13_E_NS1_11comp_targetILNS1_3genE10ELNS1_11target_archE1201ELNS1_3gpuE5ELNS1_3repE0EEENS1_47radix_sort_onesweep_sort_config_static_selectorELNS0_4arch9wavefront6targetE0EEEvSK_, .Lfunc_end378-_ZN7rocprim17ROCPRIM_400000_NS6detail17trampoline_kernelINS0_14default_configENS1_35radix_sort_onesweep_config_selectorIiNS0_10empty_typeEEEZZNS1_29radix_sort_onesweep_iterationIS3_Lb1EN6thrust23THRUST_200600_302600_NS6detail15normal_iteratorINS9_10device_ptrIiEEEESE_PS5_SF_jNS0_19identity_decomposerENS1_16block_id_wrapperIjLb0EEEEE10hipError_tT1_PNSt15iterator_traitsISK_E10value_typeET2_T3_PNSL_ISQ_E10value_typeET4_T5_PSV_SW_PNS1_23onesweep_lookback_stateEbbT6_jjT7_P12ihipStream_tbENKUlT_T0_SK_SP_E_clISE_PiSF_SF_EEDaS13_S14_SK_SP_EUlS13_E_NS1_11comp_targetILNS1_3genE10ELNS1_11target_archE1201ELNS1_3gpuE5ELNS1_3repE0EEENS1_47radix_sort_onesweep_sort_config_static_selectorELNS0_4arch9wavefront6targetE0EEEvSK_
                                        ; -- End function
	.set _ZN7rocprim17ROCPRIM_400000_NS6detail17trampoline_kernelINS0_14default_configENS1_35radix_sort_onesweep_config_selectorIiNS0_10empty_typeEEEZZNS1_29radix_sort_onesweep_iterationIS3_Lb1EN6thrust23THRUST_200600_302600_NS6detail15normal_iteratorINS9_10device_ptrIiEEEESE_PS5_SF_jNS0_19identity_decomposerENS1_16block_id_wrapperIjLb0EEEEE10hipError_tT1_PNSt15iterator_traitsISK_E10value_typeET2_T3_PNSL_ISQ_E10value_typeET4_T5_PSV_SW_PNS1_23onesweep_lookback_stateEbbT6_jjT7_P12ihipStream_tbENKUlT_T0_SK_SP_E_clISE_PiSF_SF_EEDaS13_S14_SK_SP_EUlS13_E_NS1_11comp_targetILNS1_3genE10ELNS1_11target_archE1201ELNS1_3gpuE5ELNS1_3repE0EEENS1_47radix_sort_onesweep_sort_config_static_selectorELNS0_4arch9wavefront6targetE0EEEvSK_.num_vgpr, 0
	.set _ZN7rocprim17ROCPRIM_400000_NS6detail17trampoline_kernelINS0_14default_configENS1_35radix_sort_onesweep_config_selectorIiNS0_10empty_typeEEEZZNS1_29radix_sort_onesweep_iterationIS3_Lb1EN6thrust23THRUST_200600_302600_NS6detail15normal_iteratorINS9_10device_ptrIiEEEESE_PS5_SF_jNS0_19identity_decomposerENS1_16block_id_wrapperIjLb0EEEEE10hipError_tT1_PNSt15iterator_traitsISK_E10value_typeET2_T3_PNSL_ISQ_E10value_typeET4_T5_PSV_SW_PNS1_23onesweep_lookback_stateEbbT6_jjT7_P12ihipStream_tbENKUlT_T0_SK_SP_E_clISE_PiSF_SF_EEDaS13_S14_SK_SP_EUlS13_E_NS1_11comp_targetILNS1_3genE10ELNS1_11target_archE1201ELNS1_3gpuE5ELNS1_3repE0EEENS1_47radix_sort_onesweep_sort_config_static_selectorELNS0_4arch9wavefront6targetE0EEEvSK_.num_agpr, 0
	.set _ZN7rocprim17ROCPRIM_400000_NS6detail17trampoline_kernelINS0_14default_configENS1_35radix_sort_onesweep_config_selectorIiNS0_10empty_typeEEEZZNS1_29radix_sort_onesweep_iterationIS3_Lb1EN6thrust23THRUST_200600_302600_NS6detail15normal_iteratorINS9_10device_ptrIiEEEESE_PS5_SF_jNS0_19identity_decomposerENS1_16block_id_wrapperIjLb0EEEEE10hipError_tT1_PNSt15iterator_traitsISK_E10value_typeET2_T3_PNSL_ISQ_E10value_typeET4_T5_PSV_SW_PNS1_23onesweep_lookback_stateEbbT6_jjT7_P12ihipStream_tbENKUlT_T0_SK_SP_E_clISE_PiSF_SF_EEDaS13_S14_SK_SP_EUlS13_E_NS1_11comp_targetILNS1_3genE10ELNS1_11target_archE1201ELNS1_3gpuE5ELNS1_3repE0EEENS1_47radix_sort_onesweep_sort_config_static_selectorELNS0_4arch9wavefront6targetE0EEEvSK_.numbered_sgpr, 0
	.set _ZN7rocprim17ROCPRIM_400000_NS6detail17trampoline_kernelINS0_14default_configENS1_35radix_sort_onesweep_config_selectorIiNS0_10empty_typeEEEZZNS1_29radix_sort_onesweep_iterationIS3_Lb1EN6thrust23THRUST_200600_302600_NS6detail15normal_iteratorINS9_10device_ptrIiEEEESE_PS5_SF_jNS0_19identity_decomposerENS1_16block_id_wrapperIjLb0EEEEE10hipError_tT1_PNSt15iterator_traitsISK_E10value_typeET2_T3_PNSL_ISQ_E10value_typeET4_T5_PSV_SW_PNS1_23onesweep_lookback_stateEbbT6_jjT7_P12ihipStream_tbENKUlT_T0_SK_SP_E_clISE_PiSF_SF_EEDaS13_S14_SK_SP_EUlS13_E_NS1_11comp_targetILNS1_3genE10ELNS1_11target_archE1201ELNS1_3gpuE5ELNS1_3repE0EEENS1_47radix_sort_onesweep_sort_config_static_selectorELNS0_4arch9wavefront6targetE0EEEvSK_.num_named_barrier, 0
	.set _ZN7rocprim17ROCPRIM_400000_NS6detail17trampoline_kernelINS0_14default_configENS1_35radix_sort_onesweep_config_selectorIiNS0_10empty_typeEEEZZNS1_29radix_sort_onesweep_iterationIS3_Lb1EN6thrust23THRUST_200600_302600_NS6detail15normal_iteratorINS9_10device_ptrIiEEEESE_PS5_SF_jNS0_19identity_decomposerENS1_16block_id_wrapperIjLb0EEEEE10hipError_tT1_PNSt15iterator_traitsISK_E10value_typeET2_T3_PNSL_ISQ_E10value_typeET4_T5_PSV_SW_PNS1_23onesweep_lookback_stateEbbT6_jjT7_P12ihipStream_tbENKUlT_T0_SK_SP_E_clISE_PiSF_SF_EEDaS13_S14_SK_SP_EUlS13_E_NS1_11comp_targetILNS1_3genE10ELNS1_11target_archE1201ELNS1_3gpuE5ELNS1_3repE0EEENS1_47radix_sort_onesweep_sort_config_static_selectorELNS0_4arch9wavefront6targetE0EEEvSK_.private_seg_size, 0
	.set _ZN7rocprim17ROCPRIM_400000_NS6detail17trampoline_kernelINS0_14default_configENS1_35radix_sort_onesweep_config_selectorIiNS0_10empty_typeEEEZZNS1_29radix_sort_onesweep_iterationIS3_Lb1EN6thrust23THRUST_200600_302600_NS6detail15normal_iteratorINS9_10device_ptrIiEEEESE_PS5_SF_jNS0_19identity_decomposerENS1_16block_id_wrapperIjLb0EEEEE10hipError_tT1_PNSt15iterator_traitsISK_E10value_typeET2_T3_PNSL_ISQ_E10value_typeET4_T5_PSV_SW_PNS1_23onesweep_lookback_stateEbbT6_jjT7_P12ihipStream_tbENKUlT_T0_SK_SP_E_clISE_PiSF_SF_EEDaS13_S14_SK_SP_EUlS13_E_NS1_11comp_targetILNS1_3genE10ELNS1_11target_archE1201ELNS1_3gpuE5ELNS1_3repE0EEENS1_47radix_sort_onesweep_sort_config_static_selectorELNS0_4arch9wavefront6targetE0EEEvSK_.uses_vcc, 0
	.set _ZN7rocprim17ROCPRIM_400000_NS6detail17trampoline_kernelINS0_14default_configENS1_35radix_sort_onesweep_config_selectorIiNS0_10empty_typeEEEZZNS1_29radix_sort_onesweep_iterationIS3_Lb1EN6thrust23THRUST_200600_302600_NS6detail15normal_iteratorINS9_10device_ptrIiEEEESE_PS5_SF_jNS0_19identity_decomposerENS1_16block_id_wrapperIjLb0EEEEE10hipError_tT1_PNSt15iterator_traitsISK_E10value_typeET2_T3_PNSL_ISQ_E10value_typeET4_T5_PSV_SW_PNS1_23onesweep_lookback_stateEbbT6_jjT7_P12ihipStream_tbENKUlT_T0_SK_SP_E_clISE_PiSF_SF_EEDaS13_S14_SK_SP_EUlS13_E_NS1_11comp_targetILNS1_3genE10ELNS1_11target_archE1201ELNS1_3gpuE5ELNS1_3repE0EEENS1_47radix_sort_onesweep_sort_config_static_selectorELNS0_4arch9wavefront6targetE0EEEvSK_.uses_flat_scratch, 0
	.set _ZN7rocprim17ROCPRIM_400000_NS6detail17trampoline_kernelINS0_14default_configENS1_35radix_sort_onesweep_config_selectorIiNS0_10empty_typeEEEZZNS1_29radix_sort_onesweep_iterationIS3_Lb1EN6thrust23THRUST_200600_302600_NS6detail15normal_iteratorINS9_10device_ptrIiEEEESE_PS5_SF_jNS0_19identity_decomposerENS1_16block_id_wrapperIjLb0EEEEE10hipError_tT1_PNSt15iterator_traitsISK_E10value_typeET2_T3_PNSL_ISQ_E10value_typeET4_T5_PSV_SW_PNS1_23onesweep_lookback_stateEbbT6_jjT7_P12ihipStream_tbENKUlT_T0_SK_SP_E_clISE_PiSF_SF_EEDaS13_S14_SK_SP_EUlS13_E_NS1_11comp_targetILNS1_3genE10ELNS1_11target_archE1201ELNS1_3gpuE5ELNS1_3repE0EEENS1_47radix_sort_onesweep_sort_config_static_selectorELNS0_4arch9wavefront6targetE0EEEvSK_.has_dyn_sized_stack, 0
	.set _ZN7rocprim17ROCPRIM_400000_NS6detail17trampoline_kernelINS0_14default_configENS1_35radix_sort_onesweep_config_selectorIiNS0_10empty_typeEEEZZNS1_29radix_sort_onesweep_iterationIS3_Lb1EN6thrust23THRUST_200600_302600_NS6detail15normal_iteratorINS9_10device_ptrIiEEEESE_PS5_SF_jNS0_19identity_decomposerENS1_16block_id_wrapperIjLb0EEEEE10hipError_tT1_PNSt15iterator_traitsISK_E10value_typeET2_T3_PNSL_ISQ_E10value_typeET4_T5_PSV_SW_PNS1_23onesweep_lookback_stateEbbT6_jjT7_P12ihipStream_tbENKUlT_T0_SK_SP_E_clISE_PiSF_SF_EEDaS13_S14_SK_SP_EUlS13_E_NS1_11comp_targetILNS1_3genE10ELNS1_11target_archE1201ELNS1_3gpuE5ELNS1_3repE0EEENS1_47radix_sort_onesweep_sort_config_static_selectorELNS0_4arch9wavefront6targetE0EEEvSK_.has_recursion, 0
	.set _ZN7rocprim17ROCPRIM_400000_NS6detail17trampoline_kernelINS0_14default_configENS1_35radix_sort_onesweep_config_selectorIiNS0_10empty_typeEEEZZNS1_29radix_sort_onesweep_iterationIS3_Lb1EN6thrust23THRUST_200600_302600_NS6detail15normal_iteratorINS9_10device_ptrIiEEEESE_PS5_SF_jNS0_19identity_decomposerENS1_16block_id_wrapperIjLb0EEEEE10hipError_tT1_PNSt15iterator_traitsISK_E10value_typeET2_T3_PNSL_ISQ_E10value_typeET4_T5_PSV_SW_PNS1_23onesweep_lookback_stateEbbT6_jjT7_P12ihipStream_tbENKUlT_T0_SK_SP_E_clISE_PiSF_SF_EEDaS13_S14_SK_SP_EUlS13_E_NS1_11comp_targetILNS1_3genE10ELNS1_11target_archE1201ELNS1_3gpuE5ELNS1_3repE0EEENS1_47radix_sort_onesweep_sort_config_static_selectorELNS0_4arch9wavefront6targetE0EEEvSK_.has_indirect_call, 0
	.section	.AMDGPU.csdata,"",@progbits
; Kernel info:
; codeLenInByte = 0
; TotalNumSgprs: 0
; NumVgprs: 0
; ScratchSize: 0
; MemoryBound: 0
; FloatMode: 240
; IeeeMode: 1
; LDSByteSize: 0 bytes/workgroup (compile time only)
; SGPRBlocks: 0
; VGPRBlocks: 0
; NumSGPRsForWavesPerEU: 1
; NumVGPRsForWavesPerEU: 1
; Occupancy: 16
; WaveLimiterHint : 0
; COMPUTE_PGM_RSRC2:SCRATCH_EN: 0
; COMPUTE_PGM_RSRC2:USER_SGPR: 6
; COMPUTE_PGM_RSRC2:TRAP_HANDLER: 0
; COMPUTE_PGM_RSRC2:TGID_X_EN: 1
; COMPUTE_PGM_RSRC2:TGID_Y_EN: 0
; COMPUTE_PGM_RSRC2:TGID_Z_EN: 0
; COMPUTE_PGM_RSRC2:TIDIG_COMP_CNT: 0
	.section	.text._ZN7rocprim17ROCPRIM_400000_NS6detail17trampoline_kernelINS0_14default_configENS1_35radix_sort_onesweep_config_selectorIiNS0_10empty_typeEEEZZNS1_29radix_sort_onesweep_iterationIS3_Lb1EN6thrust23THRUST_200600_302600_NS6detail15normal_iteratorINS9_10device_ptrIiEEEESE_PS5_SF_jNS0_19identity_decomposerENS1_16block_id_wrapperIjLb0EEEEE10hipError_tT1_PNSt15iterator_traitsISK_E10value_typeET2_T3_PNSL_ISQ_E10value_typeET4_T5_PSV_SW_PNS1_23onesweep_lookback_stateEbbT6_jjT7_P12ihipStream_tbENKUlT_T0_SK_SP_E_clISE_PiSF_SF_EEDaS13_S14_SK_SP_EUlS13_E_NS1_11comp_targetILNS1_3genE9ELNS1_11target_archE1100ELNS1_3gpuE3ELNS1_3repE0EEENS1_47radix_sort_onesweep_sort_config_static_selectorELNS0_4arch9wavefront6targetE0EEEvSK_,"axG",@progbits,_ZN7rocprim17ROCPRIM_400000_NS6detail17trampoline_kernelINS0_14default_configENS1_35radix_sort_onesweep_config_selectorIiNS0_10empty_typeEEEZZNS1_29radix_sort_onesweep_iterationIS3_Lb1EN6thrust23THRUST_200600_302600_NS6detail15normal_iteratorINS9_10device_ptrIiEEEESE_PS5_SF_jNS0_19identity_decomposerENS1_16block_id_wrapperIjLb0EEEEE10hipError_tT1_PNSt15iterator_traitsISK_E10value_typeET2_T3_PNSL_ISQ_E10value_typeET4_T5_PSV_SW_PNS1_23onesweep_lookback_stateEbbT6_jjT7_P12ihipStream_tbENKUlT_T0_SK_SP_E_clISE_PiSF_SF_EEDaS13_S14_SK_SP_EUlS13_E_NS1_11comp_targetILNS1_3genE9ELNS1_11target_archE1100ELNS1_3gpuE3ELNS1_3repE0EEENS1_47radix_sort_onesweep_sort_config_static_selectorELNS0_4arch9wavefront6targetE0EEEvSK_,comdat
	.protected	_ZN7rocprim17ROCPRIM_400000_NS6detail17trampoline_kernelINS0_14default_configENS1_35radix_sort_onesweep_config_selectorIiNS0_10empty_typeEEEZZNS1_29radix_sort_onesweep_iterationIS3_Lb1EN6thrust23THRUST_200600_302600_NS6detail15normal_iteratorINS9_10device_ptrIiEEEESE_PS5_SF_jNS0_19identity_decomposerENS1_16block_id_wrapperIjLb0EEEEE10hipError_tT1_PNSt15iterator_traitsISK_E10value_typeET2_T3_PNSL_ISQ_E10value_typeET4_T5_PSV_SW_PNS1_23onesweep_lookback_stateEbbT6_jjT7_P12ihipStream_tbENKUlT_T0_SK_SP_E_clISE_PiSF_SF_EEDaS13_S14_SK_SP_EUlS13_E_NS1_11comp_targetILNS1_3genE9ELNS1_11target_archE1100ELNS1_3gpuE3ELNS1_3repE0EEENS1_47radix_sort_onesweep_sort_config_static_selectorELNS0_4arch9wavefront6targetE0EEEvSK_ ; -- Begin function _ZN7rocprim17ROCPRIM_400000_NS6detail17trampoline_kernelINS0_14default_configENS1_35radix_sort_onesweep_config_selectorIiNS0_10empty_typeEEEZZNS1_29radix_sort_onesweep_iterationIS3_Lb1EN6thrust23THRUST_200600_302600_NS6detail15normal_iteratorINS9_10device_ptrIiEEEESE_PS5_SF_jNS0_19identity_decomposerENS1_16block_id_wrapperIjLb0EEEEE10hipError_tT1_PNSt15iterator_traitsISK_E10value_typeET2_T3_PNSL_ISQ_E10value_typeET4_T5_PSV_SW_PNS1_23onesweep_lookback_stateEbbT6_jjT7_P12ihipStream_tbENKUlT_T0_SK_SP_E_clISE_PiSF_SF_EEDaS13_S14_SK_SP_EUlS13_E_NS1_11comp_targetILNS1_3genE9ELNS1_11target_archE1100ELNS1_3gpuE3ELNS1_3repE0EEENS1_47radix_sort_onesweep_sort_config_static_selectorELNS0_4arch9wavefront6targetE0EEEvSK_
	.globl	_ZN7rocprim17ROCPRIM_400000_NS6detail17trampoline_kernelINS0_14default_configENS1_35radix_sort_onesweep_config_selectorIiNS0_10empty_typeEEEZZNS1_29radix_sort_onesweep_iterationIS3_Lb1EN6thrust23THRUST_200600_302600_NS6detail15normal_iteratorINS9_10device_ptrIiEEEESE_PS5_SF_jNS0_19identity_decomposerENS1_16block_id_wrapperIjLb0EEEEE10hipError_tT1_PNSt15iterator_traitsISK_E10value_typeET2_T3_PNSL_ISQ_E10value_typeET4_T5_PSV_SW_PNS1_23onesweep_lookback_stateEbbT6_jjT7_P12ihipStream_tbENKUlT_T0_SK_SP_E_clISE_PiSF_SF_EEDaS13_S14_SK_SP_EUlS13_E_NS1_11comp_targetILNS1_3genE9ELNS1_11target_archE1100ELNS1_3gpuE3ELNS1_3repE0EEENS1_47radix_sort_onesweep_sort_config_static_selectorELNS0_4arch9wavefront6targetE0EEEvSK_
	.p2align	8
	.type	_ZN7rocprim17ROCPRIM_400000_NS6detail17trampoline_kernelINS0_14default_configENS1_35radix_sort_onesweep_config_selectorIiNS0_10empty_typeEEEZZNS1_29radix_sort_onesweep_iterationIS3_Lb1EN6thrust23THRUST_200600_302600_NS6detail15normal_iteratorINS9_10device_ptrIiEEEESE_PS5_SF_jNS0_19identity_decomposerENS1_16block_id_wrapperIjLb0EEEEE10hipError_tT1_PNSt15iterator_traitsISK_E10value_typeET2_T3_PNSL_ISQ_E10value_typeET4_T5_PSV_SW_PNS1_23onesweep_lookback_stateEbbT6_jjT7_P12ihipStream_tbENKUlT_T0_SK_SP_E_clISE_PiSF_SF_EEDaS13_S14_SK_SP_EUlS13_E_NS1_11comp_targetILNS1_3genE9ELNS1_11target_archE1100ELNS1_3gpuE3ELNS1_3repE0EEENS1_47radix_sort_onesweep_sort_config_static_selectorELNS0_4arch9wavefront6targetE0EEEvSK_,@function
_ZN7rocprim17ROCPRIM_400000_NS6detail17trampoline_kernelINS0_14default_configENS1_35radix_sort_onesweep_config_selectorIiNS0_10empty_typeEEEZZNS1_29radix_sort_onesweep_iterationIS3_Lb1EN6thrust23THRUST_200600_302600_NS6detail15normal_iteratorINS9_10device_ptrIiEEEESE_PS5_SF_jNS0_19identity_decomposerENS1_16block_id_wrapperIjLb0EEEEE10hipError_tT1_PNSt15iterator_traitsISK_E10value_typeET2_T3_PNSL_ISQ_E10value_typeET4_T5_PSV_SW_PNS1_23onesweep_lookback_stateEbbT6_jjT7_P12ihipStream_tbENKUlT_T0_SK_SP_E_clISE_PiSF_SF_EEDaS13_S14_SK_SP_EUlS13_E_NS1_11comp_targetILNS1_3genE9ELNS1_11target_archE1100ELNS1_3gpuE3ELNS1_3repE0EEENS1_47radix_sort_onesweep_sort_config_static_selectorELNS0_4arch9wavefront6targetE0EEEvSK_: ; @_ZN7rocprim17ROCPRIM_400000_NS6detail17trampoline_kernelINS0_14default_configENS1_35radix_sort_onesweep_config_selectorIiNS0_10empty_typeEEEZZNS1_29radix_sort_onesweep_iterationIS3_Lb1EN6thrust23THRUST_200600_302600_NS6detail15normal_iteratorINS9_10device_ptrIiEEEESE_PS5_SF_jNS0_19identity_decomposerENS1_16block_id_wrapperIjLb0EEEEE10hipError_tT1_PNSt15iterator_traitsISK_E10value_typeET2_T3_PNSL_ISQ_E10value_typeET4_T5_PSV_SW_PNS1_23onesweep_lookback_stateEbbT6_jjT7_P12ihipStream_tbENKUlT_T0_SK_SP_E_clISE_PiSF_SF_EEDaS13_S14_SK_SP_EUlS13_E_NS1_11comp_targetILNS1_3genE9ELNS1_11target_archE1100ELNS1_3gpuE3ELNS1_3repE0EEENS1_47radix_sort_onesweep_sort_config_static_selectorELNS0_4arch9wavefront6targetE0EEEvSK_
; %bb.0:
	.section	.rodata,"a",@progbits
	.p2align	6, 0x0
	.amdhsa_kernel _ZN7rocprim17ROCPRIM_400000_NS6detail17trampoline_kernelINS0_14default_configENS1_35radix_sort_onesweep_config_selectorIiNS0_10empty_typeEEEZZNS1_29radix_sort_onesweep_iterationIS3_Lb1EN6thrust23THRUST_200600_302600_NS6detail15normal_iteratorINS9_10device_ptrIiEEEESE_PS5_SF_jNS0_19identity_decomposerENS1_16block_id_wrapperIjLb0EEEEE10hipError_tT1_PNSt15iterator_traitsISK_E10value_typeET2_T3_PNSL_ISQ_E10value_typeET4_T5_PSV_SW_PNS1_23onesweep_lookback_stateEbbT6_jjT7_P12ihipStream_tbENKUlT_T0_SK_SP_E_clISE_PiSF_SF_EEDaS13_S14_SK_SP_EUlS13_E_NS1_11comp_targetILNS1_3genE9ELNS1_11target_archE1100ELNS1_3gpuE3ELNS1_3repE0EEENS1_47radix_sort_onesweep_sort_config_static_selectorELNS0_4arch9wavefront6targetE0EEEvSK_
		.amdhsa_group_segment_fixed_size 0
		.amdhsa_private_segment_fixed_size 0
		.amdhsa_kernarg_size 88
		.amdhsa_user_sgpr_count 6
		.amdhsa_user_sgpr_private_segment_buffer 1
		.amdhsa_user_sgpr_dispatch_ptr 0
		.amdhsa_user_sgpr_queue_ptr 0
		.amdhsa_user_sgpr_kernarg_segment_ptr 1
		.amdhsa_user_sgpr_dispatch_id 0
		.amdhsa_user_sgpr_flat_scratch_init 0
		.amdhsa_user_sgpr_private_segment_size 0
		.amdhsa_wavefront_size32 1
		.amdhsa_uses_dynamic_stack 0
		.amdhsa_system_sgpr_private_segment_wavefront_offset 0
		.amdhsa_system_sgpr_workgroup_id_x 1
		.amdhsa_system_sgpr_workgroup_id_y 0
		.amdhsa_system_sgpr_workgroup_id_z 0
		.amdhsa_system_sgpr_workgroup_info 0
		.amdhsa_system_vgpr_workitem_id 0
		.amdhsa_next_free_vgpr 1
		.amdhsa_next_free_sgpr 1
		.amdhsa_reserve_vcc 0
		.amdhsa_reserve_flat_scratch 0
		.amdhsa_float_round_mode_32 0
		.amdhsa_float_round_mode_16_64 0
		.amdhsa_float_denorm_mode_32 3
		.amdhsa_float_denorm_mode_16_64 3
		.amdhsa_dx10_clamp 1
		.amdhsa_ieee_mode 1
		.amdhsa_fp16_overflow 0
		.amdhsa_workgroup_processor_mode 1
		.amdhsa_memory_ordered 1
		.amdhsa_forward_progress 1
		.amdhsa_shared_vgpr_count 0
		.amdhsa_exception_fp_ieee_invalid_op 0
		.amdhsa_exception_fp_denorm_src 0
		.amdhsa_exception_fp_ieee_div_zero 0
		.amdhsa_exception_fp_ieee_overflow 0
		.amdhsa_exception_fp_ieee_underflow 0
		.amdhsa_exception_fp_ieee_inexact 0
		.amdhsa_exception_int_div_zero 0
	.end_amdhsa_kernel
	.section	.text._ZN7rocprim17ROCPRIM_400000_NS6detail17trampoline_kernelINS0_14default_configENS1_35radix_sort_onesweep_config_selectorIiNS0_10empty_typeEEEZZNS1_29radix_sort_onesweep_iterationIS3_Lb1EN6thrust23THRUST_200600_302600_NS6detail15normal_iteratorINS9_10device_ptrIiEEEESE_PS5_SF_jNS0_19identity_decomposerENS1_16block_id_wrapperIjLb0EEEEE10hipError_tT1_PNSt15iterator_traitsISK_E10value_typeET2_T3_PNSL_ISQ_E10value_typeET4_T5_PSV_SW_PNS1_23onesweep_lookback_stateEbbT6_jjT7_P12ihipStream_tbENKUlT_T0_SK_SP_E_clISE_PiSF_SF_EEDaS13_S14_SK_SP_EUlS13_E_NS1_11comp_targetILNS1_3genE9ELNS1_11target_archE1100ELNS1_3gpuE3ELNS1_3repE0EEENS1_47radix_sort_onesweep_sort_config_static_selectorELNS0_4arch9wavefront6targetE0EEEvSK_,"axG",@progbits,_ZN7rocprim17ROCPRIM_400000_NS6detail17trampoline_kernelINS0_14default_configENS1_35radix_sort_onesweep_config_selectorIiNS0_10empty_typeEEEZZNS1_29radix_sort_onesweep_iterationIS3_Lb1EN6thrust23THRUST_200600_302600_NS6detail15normal_iteratorINS9_10device_ptrIiEEEESE_PS5_SF_jNS0_19identity_decomposerENS1_16block_id_wrapperIjLb0EEEEE10hipError_tT1_PNSt15iterator_traitsISK_E10value_typeET2_T3_PNSL_ISQ_E10value_typeET4_T5_PSV_SW_PNS1_23onesweep_lookback_stateEbbT6_jjT7_P12ihipStream_tbENKUlT_T0_SK_SP_E_clISE_PiSF_SF_EEDaS13_S14_SK_SP_EUlS13_E_NS1_11comp_targetILNS1_3genE9ELNS1_11target_archE1100ELNS1_3gpuE3ELNS1_3repE0EEENS1_47radix_sort_onesweep_sort_config_static_selectorELNS0_4arch9wavefront6targetE0EEEvSK_,comdat
.Lfunc_end379:
	.size	_ZN7rocprim17ROCPRIM_400000_NS6detail17trampoline_kernelINS0_14default_configENS1_35radix_sort_onesweep_config_selectorIiNS0_10empty_typeEEEZZNS1_29radix_sort_onesweep_iterationIS3_Lb1EN6thrust23THRUST_200600_302600_NS6detail15normal_iteratorINS9_10device_ptrIiEEEESE_PS5_SF_jNS0_19identity_decomposerENS1_16block_id_wrapperIjLb0EEEEE10hipError_tT1_PNSt15iterator_traitsISK_E10value_typeET2_T3_PNSL_ISQ_E10value_typeET4_T5_PSV_SW_PNS1_23onesweep_lookback_stateEbbT6_jjT7_P12ihipStream_tbENKUlT_T0_SK_SP_E_clISE_PiSF_SF_EEDaS13_S14_SK_SP_EUlS13_E_NS1_11comp_targetILNS1_3genE9ELNS1_11target_archE1100ELNS1_3gpuE3ELNS1_3repE0EEENS1_47radix_sort_onesweep_sort_config_static_selectorELNS0_4arch9wavefront6targetE0EEEvSK_, .Lfunc_end379-_ZN7rocprim17ROCPRIM_400000_NS6detail17trampoline_kernelINS0_14default_configENS1_35radix_sort_onesweep_config_selectorIiNS0_10empty_typeEEEZZNS1_29radix_sort_onesweep_iterationIS3_Lb1EN6thrust23THRUST_200600_302600_NS6detail15normal_iteratorINS9_10device_ptrIiEEEESE_PS5_SF_jNS0_19identity_decomposerENS1_16block_id_wrapperIjLb0EEEEE10hipError_tT1_PNSt15iterator_traitsISK_E10value_typeET2_T3_PNSL_ISQ_E10value_typeET4_T5_PSV_SW_PNS1_23onesweep_lookback_stateEbbT6_jjT7_P12ihipStream_tbENKUlT_T0_SK_SP_E_clISE_PiSF_SF_EEDaS13_S14_SK_SP_EUlS13_E_NS1_11comp_targetILNS1_3genE9ELNS1_11target_archE1100ELNS1_3gpuE3ELNS1_3repE0EEENS1_47radix_sort_onesweep_sort_config_static_selectorELNS0_4arch9wavefront6targetE0EEEvSK_
                                        ; -- End function
	.set _ZN7rocprim17ROCPRIM_400000_NS6detail17trampoline_kernelINS0_14default_configENS1_35radix_sort_onesweep_config_selectorIiNS0_10empty_typeEEEZZNS1_29radix_sort_onesweep_iterationIS3_Lb1EN6thrust23THRUST_200600_302600_NS6detail15normal_iteratorINS9_10device_ptrIiEEEESE_PS5_SF_jNS0_19identity_decomposerENS1_16block_id_wrapperIjLb0EEEEE10hipError_tT1_PNSt15iterator_traitsISK_E10value_typeET2_T3_PNSL_ISQ_E10value_typeET4_T5_PSV_SW_PNS1_23onesweep_lookback_stateEbbT6_jjT7_P12ihipStream_tbENKUlT_T0_SK_SP_E_clISE_PiSF_SF_EEDaS13_S14_SK_SP_EUlS13_E_NS1_11comp_targetILNS1_3genE9ELNS1_11target_archE1100ELNS1_3gpuE3ELNS1_3repE0EEENS1_47radix_sort_onesweep_sort_config_static_selectorELNS0_4arch9wavefront6targetE0EEEvSK_.num_vgpr, 0
	.set _ZN7rocprim17ROCPRIM_400000_NS6detail17trampoline_kernelINS0_14default_configENS1_35radix_sort_onesweep_config_selectorIiNS0_10empty_typeEEEZZNS1_29radix_sort_onesweep_iterationIS3_Lb1EN6thrust23THRUST_200600_302600_NS6detail15normal_iteratorINS9_10device_ptrIiEEEESE_PS5_SF_jNS0_19identity_decomposerENS1_16block_id_wrapperIjLb0EEEEE10hipError_tT1_PNSt15iterator_traitsISK_E10value_typeET2_T3_PNSL_ISQ_E10value_typeET4_T5_PSV_SW_PNS1_23onesweep_lookback_stateEbbT6_jjT7_P12ihipStream_tbENKUlT_T0_SK_SP_E_clISE_PiSF_SF_EEDaS13_S14_SK_SP_EUlS13_E_NS1_11comp_targetILNS1_3genE9ELNS1_11target_archE1100ELNS1_3gpuE3ELNS1_3repE0EEENS1_47radix_sort_onesweep_sort_config_static_selectorELNS0_4arch9wavefront6targetE0EEEvSK_.num_agpr, 0
	.set _ZN7rocprim17ROCPRIM_400000_NS6detail17trampoline_kernelINS0_14default_configENS1_35radix_sort_onesweep_config_selectorIiNS0_10empty_typeEEEZZNS1_29radix_sort_onesweep_iterationIS3_Lb1EN6thrust23THRUST_200600_302600_NS6detail15normal_iteratorINS9_10device_ptrIiEEEESE_PS5_SF_jNS0_19identity_decomposerENS1_16block_id_wrapperIjLb0EEEEE10hipError_tT1_PNSt15iterator_traitsISK_E10value_typeET2_T3_PNSL_ISQ_E10value_typeET4_T5_PSV_SW_PNS1_23onesweep_lookback_stateEbbT6_jjT7_P12ihipStream_tbENKUlT_T0_SK_SP_E_clISE_PiSF_SF_EEDaS13_S14_SK_SP_EUlS13_E_NS1_11comp_targetILNS1_3genE9ELNS1_11target_archE1100ELNS1_3gpuE3ELNS1_3repE0EEENS1_47radix_sort_onesweep_sort_config_static_selectorELNS0_4arch9wavefront6targetE0EEEvSK_.numbered_sgpr, 0
	.set _ZN7rocprim17ROCPRIM_400000_NS6detail17trampoline_kernelINS0_14default_configENS1_35radix_sort_onesweep_config_selectorIiNS0_10empty_typeEEEZZNS1_29radix_sort_onesweep_iterationIS3_Lb1EN6thrust23THRUST_200600_302600_NS6detail15normal_iteratorINS9_10device_ptrIiEEEESE_PS5_SF_jNS0_19identity_decomposerENS1_16block_id_wrapperIjLb0EEEEE10hipError_tT1_PNSt15iterator_traitsISK_E10value_typeET2_T3_PNSL_ISQ_E10value_typeET4_T5_PSV_SW_PNS1_23onesweep_lookback_stateEbbT6_jjT7_P12ihipStream_tbENKUlT_T0_SK_SP_E_clISE_PiSF_SF_EEDaS13_S14_SK_SP_EUlS13_E_NS1_11comp_targetILNS1_3genE9ELNS1_11target_archE1100ELNS1_3gpuE3ELNS1_3repE0EEENS1_47radix_sort_onesweep_sort_config_static_selectorELNS0_4arch9wavefront6targetE0EEEvSK_.num_named_barrier, 0
	.set _ZN7rocprim17ROCPRIM_400000_NS6detail17trampoline_kernelINS0_14default_configENS1_35radix_sort_onesweep_config_selectorIiNS0_10empty_typeEEEZZNS1_29radix_sort_onesweep_iterationIS3_Lb1EN6thrust23THRUST_200600_302600_NS6detail15normal_iteratorINS9_10device_ptrIiEEEESE_PS5_SF_jNS0_19identity_decomposerENS1_16block_id_wrapperIjLb0EEEEE10hipError_tT1_PNSt15iterator_traitsISK_E10value_typeET2_T3_PNSL_ISQ_E10value_typeET4_T5_PSV_SW_PNS1_23onesweep_lookback_stateEbbT6_jjT7_P12ihipStream_tbENKUlT_T0_SK_SP_E_clISE_PiSF_SF_EEDaS13_S14_SK_SP_EUlS13_E_NS1_11comp_targetILNS1_3genE9ELNS1_11target_archE1100ELNS1_3gpuE3ELNS1_3repE0EEENS1_47radix_sort_onesweep_sort_config_static_selectorELNS0_4arch9wavefront6targetE0EEEvSK_.private_seg_size, 0
	.set _ZN7rocprim17ROCPRIM_400000_NS6detail17trampoline_kernelINS0_14default_configENS1_35radix_sort_onesweep_config_selectorIiNS0_10empty_typeEEEZZNS1_29radix_sort_onesweep_iterationIS3_Lb1EN6thrust23THRUST_200600_302600_NS6detail15normal_iteratorINS9_10device_ptrIiEEEESE_PS5_SF_jNS0_19identity_decomposerENS1_16block_id_wrapperIjLb0EEEEE10hipError_tT1_PNSt15iterator_traitsISK_E10value_typeET2_T3_PNSL_ISQ_E10value_typeET4_T5_PSV_SW_PNS1_23onesweep_lookback_stateEbbT6_jjT7_P12ihipStream_tbENKUlT_T0_SK_SP_E_clISE_PiSF_SF_EEDaS13_S14_SK_SP_EUlS13_E_NS1_11comp_targetILNS1_3genE9ELNS1_11target_archE1100ELNS1_3gpuE3ELNS1_3repE0EEENS1_47radix_sort_onesweep_sort_config_static_selectorELNS0_4arch9wavefront6targetE0EEEvSK_.uses_vcc, 0
	.set _ZN7rocprim17ROCPRIM_400000_NS6detail17trampoline_kernelINS0_14default_configENS1_35radix_sort_onesweep_config_selectorIiNS0_10empty_typeEEEZZNS1_29radix_sort_onesweep_iterationIS3_Lb1EN6thrust23THRUST_200600_302600_NS6detail15normal_iteratorINS9_10device_ptrIiEEEESE_PS5_SF_jNS0_19identity_decomposerENS1_16block_id_wrapperIjLb0EEEEE10hipError_tT1_PNSt15iterator_traitsISK_E10value_typeET2_T3_PNSL_ISQ_E10value_typeET4_T5_PSV_SW_PNS1_23onesweep_lookback_stateEbbT6_jjT7_P12ihipStream_tbENKUlT_T0_SK_SP_E_clISE_PiSF_SF_EEDaS13_S14_SK_SP_EUlS13_E_NS1_11comp_targetILNS1_3genE9ELNS1_11target_archE1100ELNS1_3gpuE3ELNS1_3repE0EEENS1_47radix_sort_onesweep_sort_config_static_selectorELNS0_4arch9wavefront6targetE0EEEvSK_.uses_flat_scratch, 0
	.set _ZN7rocprim17ROCPRIM_400000_NS6detail17trampoline_kernelINS0_14default_configENS1_35radix_sort_onesweep_config_selectorIiNS0_10empty_typeEEEZZNS1_29radix_sort_onesweep_iterationIS3_Lb1EN6thrust23THRUST_200600_302600_NS6detail15normal_iteratorINS9_10device_ptrIiEEEESE_PS5_SF_jNS0_19identity_decomposerENS1_16block_id_wrapperIjLb0EEEEE10hipError_tT1_PNSt15iterator_traitsISK_E10value_typeET2_T3_PNSL_ISQ_E10value_typeET4_T5_PSV_SW_PNS1_23onesweep_lookback_stateEbbT6_jjT7_P12ihipStream_tbENKUlT_T0_SK_SP_E_clISE_PiSF_SF_EEDaS13_S14_SK_SP_EUlS13_E_NS1_11comp_targetILNS1_3genE9ELNS1_11target_archE1100ELNS1_3gpuE3ELNS1_3repE0EEENS1_47radix_sort_onesweep_sort_config_static_selectorELNS0_4arch9wavefront6targetE0EEEvSK_.has_dyn_sized_stack, 0
	.set _ZN7rocprim17ROCPRIM_400000_NS6detail17trampoline_kernelINS0_14default_configENS1_35radix_sort_onesweep_config_selectorIiNS0_10empty_typeEEEZZNS1_29radix_sort_onesweep_iterationIS3_Lb1EN6thrust23THRUST_200600_302600_NS6detail15normal_iteratorINS9_10device_ptrIiEEEESE_PS5_SF_jNS0_19identity_decomposerENS1_16block_id_wrapperIjLb0EEEEE10hipError_tT1_PNSt15iterator_traitsISK_E10value_typeET2_T3_PNSL_ISQ_E10value_typeET4_T5_PSV_SW_PNS1_23onesweep_lookback_stateEbbT6_jjT7_P12ihipStream_tbENKUlT_T0_SK_SP_E_clISE_PiSF_SF_EEDaS13_S14_SK_SP_EUlS13_E_NS1_11comp_targetILNS1_3genE9ELNS1_11target_archE1100ELNS1_3gpuE3ELNS1_3repE0EEENS1_47radix_sort_onesweep_sort_config_static_selectorELNS0_4arch9wavefront6targetE0EEEvSK_.has_recursion, 0
	.set _ZN7rocprim17ROCPRIM_400000_NS6detail17trampoline_kernelINS0_14default_configENS1_35radix_sort_onesweep_config_selectorIiNS0_10empty_typeEEEZZNS1_29radix_sort_onesweep_iterationIS3_Lb1EN6thrust23THRUST_200600_302600_NS6detail15normal_iteratorINS9_10device_ptrIiEEEESE_PS5_SF_jNS0_19identity_decomposerENS1_16block_id_wrapperIjLb0EEEEE10hipError_tT1_PNSt15iterator_traitsISK_E10value_typeET2_T3_PNSL_ISQ_E10value_typeET4_T5_PSV_SW_PNS1_23onesweep_lookback_stateEbbT6_jjT7_P12ihipStream_tbENKUlT_T0_SK_SP_E_clISE_PiSF_SF_EEDaS13_S14_SK_SP_EUlS13_E_NS1_11comp_targetILNS1_3genE9ELNS1_11target_archE1100ELNS1_3gpuE3ELNS1_3repE0EEENS1_47radix_sort_onesweep_sort_config_static_selectorELNS0_4arch9wavefront6targetE0EEEvSK_.has_indirect_call, 0
	.section	.AMDGPU.csdata,"",@progbits
; Kernel info:
; codeLenInByte = 0
; TotalNumSgprs: 0
; NumVgprs: 0
; ScratchSize: 0
; MemoryBound: 0
; FloatMode: 240
; IeeeMode: 1
; LDSByteSize: 0 bytes/workgroup (compile time only)
; SGPRBlocks: 0
; VGPRBlocks: 0
; NumSGPRsForWavesPerEU: 1
; NumVGPRsForWavesPerEU: 1
; Occupancy: 16
; WaveLimiterHint : 0
; COMPUTE_PGM_RSRC2:SCRATCH_EN: 0
; COMPUTE_PGM_RSRC2:USER_SGPR: 6
; COMPUTE_PGM_RSRC2:TRAP_HANDLER: 0
; COMPUTE_PGM_RSRC2:TGID_X_EN: 1
; COMPUTE_PGM_RSRC2:TGID_Y_EN: 0
; COMPUTE_PGM_RSRC2:TGID_Z_EN: 0
; COMPUTE_PGM_RSRC2:TIDIG_COMP_CNT: 0
	.section	.text._ZN7rocprim17ROCPRIM_400000_NS6detail17trampoline_kernelINS0_14default_configENS1_35radix_sort_onesweep_config_selectorIiNS0_10empty_typeEEEZZNS1_29radix_sort_onesweep_iterationIS3_Lb1EN6thrust23THRUST_200600_302600_NS6detail15normal_iteratorINS9_10device_ptrIiEEEESE_PS5_SF_jNS0_19identity_decomposerENS1_16block_id_wrapperIjLb0EEEEE10hipError_tT1_PNSt15iterator_traitsISK_E10value_typeET2_T3_PNSL_ISQ_E10value_typeET4_T5_PSV_SW_PNS1_23onesweep_lookback_stateEbbT6_jjT7_P12ihipStream_tbENKUlT_T0_SK_SP_E_clISE_PiSF_SF_EEDaS13_S14_SK_SP_EUlS13_E_NS1_11comp_targetILNS1_3genE8ELNS1_11target_archE1030ELNS1_3gpuE2ELNS1_3repE0EEENS1_47radix_sort_onesweep_sort_config_static_selectorELNS0_4arch9wavefront6targetE0EEEvSK_,"axG",@progbits,_ZN7rocprim17ROCPRIM_400000_NS6detail17trampoline_kernelINS0_14default_configENS1_35radix_sort_onesweep_config_selectorIiNS0_10empty_typeEEEZZNS1_29radix_sort_onesweep_iterationIS3_Lb1EN6thrust23THRUST_200600_302600_NS6detail15normal_iteratorINS9_10device_ptrIiEEEESE_PS5_SF_jNS0_19identity_decomposerENS1_16block_id_wrapperIjLb0EEEEE10hipError_tT1_PNSt15iterator_traitsISK_E10value_typeET2_T3_PNSL_ISQ_E10value_typeET4_T5_PSV_SW_PNS1_23onesweep_lookback_stateEbbT6_jjT7_P12ihipStream_tbENKUlT_T0_SK_SP_E_clISE_PiSF_SF_EEDaS13_S14_SK_SP_EUlS13_E_NS1_11comp_targetILNS1_3genE8ELNS1_11target_archE1030ELNS1_3gpuE2ELNS1_3repE0EEENS1_47radix_sort_onesweep_sort_config_static_selectorELNS0_4arch9wavefront6targetE0EEEvSK_,comdat
	.protected	_ZN7rocprim17ROCPRIM_400000_NS6detail17trampoline_kernelINS0_14default_configENS1_35radix_sort_onesweep_config_selectorIiNS0_10empty_typeEEEZZNS1_29radix_sort_onesweep_iterationIS3_Lb1EN6thrust23THRUST_200600_302600_NS6detail15normal_iteratorINS9_10device_ptrIiEEEESE_PS5_SF_jNS0_19identity_decomposerENS1_16block_id_wrapperIjLb0EEEEE10hipError_tT1_PNSt15iterator_traitsISK_E10value_typeET2_T3_PNSL_ISQ_E10value_typeET4_T5_PSV_SW_PNS1_23onesweep_lookback_stateEbbT6_jjT7_P12ihipStream_tbENKUlT_T0_SK_SP_E_clISE_PiSF_SF_EEDaS13_S14_SK_SP_EUlS13_E_NS1_11comp_targetILNS1_3genE8ELNS1_11target_archE1030ELNS1_3gpuE2ELNS1_3repE0EEENS1_47radix_sort_onesweep_sort_config_static_selectorELNS0_4arch9wavefront6targetE0EEEvSK_ ; -- Begin function _ZN7rocprim17ROCPRIM_400000_NS6detail17trampoline_kernelINS0_14default_configENS1_35radix_sort_onesweep_config_selectorIiNS0_10empty_typeEEEZZNS1_29radix_sort_onesweep_iterationIS3_Lb1EN6thrust23THRUST_200600_302600_NS6detail15normal_iteratorINS9_10device_ptrIiEEEESE_PS5_SF_jNS0_19identity_decomposerENS1_16block_id_wrapperIjLb0EEEEE10hipError_tT1_PNSt15iterator_traitsISK_E10value_typeET2_T3_PNSL_ISQ_E10value_typeET4_T5_PSV_SW_PNS1_23onesweep_lookback_stateEbbT6_jjT7_P12ihipStream_tbENKUlT_T0_SK_SP_E_clISE_PiSF_SF_EEDaS13_S14_SK_SP_EUlS13_E_NS1_11comp_targetILNS1_3genE8ELNS1_11target_archE1030ELNS1_3gpuE2ELNS1_3repE0EEENS1_47radix_sort_onesweep_sort_config_static_selectorELNS0_4arch9wavefront6targetE0EEEvSK_
	.globl	_ZN7rocprim17ROCPRIM_400000_NS6detail17trampoline_kernelINS0_14default_configENS1_35radix_sort_onesweep_config_selectorIiNS0_10empty_typeEEEZZNS1_29radix_sort_onesweep_iterationIS3_Lb1EN6thrust23THRUST_200600_302600_NS6detail15normal_iteratorINS9_10device_ptrIiEEEESE_PS5_SF_jNS0_19identity_decomposerENS1_16block_id_wrapperIjLb0EEEEE10hipError_tT1_PNSt15iterator_traitsISK_E10value_typeET2_T3_PNSL_ISQ_E10value_typeET4_T5_PSV_SW_PNS1_23onesweep_lookback_stateEbbT6_jjT7_P12ihipStream_tbENKUlT_T0_SK_SP_E_clISE_PiSF_SF_EEDaS13_S14_SK_SP_EUlS13_E_NS1_11comp_targetILNS1_3genE8ELNS1_11target_archE1030ELNS1_3gpuE2ELNS1_3repE0EEENS1_47radix_sort_onesweep_sort_config_static_selectorELNS0_4arch9wavefront6targetE0EEEvSK_
	.p2align	8
	.type	_ZN7rocprim17ROCPRIM_400000_NS6detail17trampoline_kernelINS0_14default_configENS1_35radix_sort_onesweep_config_selectorIiNS0_10empty_typeEEEZZNS1_29radix_sort_onesweep_iterationIS3_Lb1EN6thrust23THRUST_200600_302600_NS6detail15normal_iteratorINS9_10device_ptrIiEEEESE_PS5_SF_jNS0_19identity_decomposerENS1_16block_id_wrapperIjLb0EEEEE10hipError_tT1_PNSt15iterator_traitsISK_E10value_typeET2_T3_PNSL_ISQ_E10value_typeET4_T5_PSV_SW_PNS1_23onesweep_lookback_stateEbbT6_jjT7_P12ihipStream_tbENKUlT_T0_SK_SP_E_clISE_PiSF_SF_EEDaS13_S14_SK_SP_EUlS13_E_NS1_11comp_targetILNS1_3genE8ELNS1_11target_archE1030ELNS1_3gpuE2ELNS1_3repE0EEENS1_47radix_sort_onesweep_sort_config_static_selectorELNS0_4arch9wavefront6targetE0EEEvSK_,@function
_ZN7rocprim17ROCPRIM_400000_NS6detail17trampoline_kernelINS0_14default_configENS1_35radix_sort_onesweep_config_selectorIiNS0_10empty_typeEEEZZNS1_29radix_sort_onesweep_iterationIS3_Lb1EN6thrust23THRUST_200600_302600_NS6detail15normal_iteratorINS9_10device_ptrIiEEEESE_PS5_SF_jNS0_19identity_decomposerENS1_16block_id_wrapperIjLb0EEEEE10hipError_tT1_PNSt15iterator_traitsISK_E10value_typeET2_T3_PNSL_ISQ_E10value_typeET4_T5_PSV_SW_PNS1_23onesweep_lookback_stateEbbT6_jjT7_P12ihipStream_tbENKUlT_T0_SK_SP_E_clISE_PiSF_SF_EEDaS13_S14_SK_SP_EUlS13_E_NS1_11comp_targetILNS1_3genE8ELNS1_11target_archE1030ELNS1_3gpuE2ELNS1_3repE0EEENS1_47radix_sort_onesweep_sort_config_static_selectorELNS0_4arch9wavefront6targetE0EEEvSK_: ; @_ZN7rocprim17ROCPRIM_400000_NS6detail17trampoline_kernelINS0_14default_configENS1_35radix_sort_onesweep_config_selectorIiNS0_10empty_typeEEEZZNS1_29radix_sort_onesweep_iterationIS3_Lb1EN6thrust23THRUST_200600_302600_NS6detail15normal_iteratorINS9_10device_ptrIiEEEESE_PS5_SF_jNS0_19identity_decomposerENS1_16block_id_wrapperIjLb0EEEEE10hipError_tT1_PNSt15iterator_traitsISK_E10value_typeET2_T3_PNSL_ISQ_E10value_typeET4_T5_PSV_SW_PNS1_23onesweep_lookback_stateEbbT6_jjT7_P12ihipStream_tbENKUlT_T0_SK_SP_E_clISE_PiSF_SF_EEDaS13_S14_SK_SP_EUlS13_E_NS1_11comp_targetILNS1_3genE8ELNS1_11target_archE1030ELNS1_3gpuE2ELNS1_3repE0EEENS1_47radix_sort_onesweep_sort_config_static_selectorELNS0_4arch9wavefront6targetE0EEEvSK_
; %bb.0:
	s_clause 0x3
	s_load_dwordx4 s[20:23], s[4:5], 0x44
	s_load_dwordx2 s[10:11], s[4:5], 0x38
	s_load_dwordx4 s[16:19], s[4:5], 0x0
	s_load_dwordx4 s[12:15], s[4:5], 0x28
	v_mbcnt_lo_u32_b32 v12, -1, 0
	v_lshlrev_b32_e32 v11, 2, v0
	s_mov_b32 s0, -1
	s_waitcnt lgkmcnt(0)
	s_cmp_ge_u32 s6, s22
	s_cbranch_scc0 .LBB380_48
; %bb.1:
	s_load_dword s2, s[4:5], 0x20
	s_lshl_b32 s0, s6, 12
	s_mov_b32 s1, 0
	s_lshl_b32 s3, s22, 12
	v_and_b32_e32 v4, 0xf80, v11
	v_lshlrev_b32_e32 v6, 2, v12
	s_lshl_b64 s[0:1], s[0:1], 2
	v_bfrev_b32_e32 v3, 1
	v_lshlrev_b32_e32 v7, 2, v4
	v_or_b32_e32 v9, v12, v4
	v_mov_b32_e32 v4, v3
	v_mov_b32_e32 v5, v3
	s_waitcnt lgkmcnt(0)
	s_sub_i32 s9, s2, s3
	s_add_u32 s0, s16, s0
	s_addc_u32 s1, s17, s1
	v_add_co_u32 v6, s0, s0, v6
	v_add_co_ci_u32_e64 v8, null, s1, 0, s0
	v_add_co_u32 v7, s0, v6, v7
	v_add_co_ci_u32_e64 v8, null, 0, v8, s0
	v_mov_b32_e32 v6, v3
	s_mov_b32 s0, exec_lo
	v_cmpx_gt_u32_e64 s9, v9
	s_cbranch_execz .LBB380_3
; %bb.2:
	global_load_dword v13, v[7:8], off
	v_mov_b32_e32 v14, v3
	v_mov_b32_e32 v15, v3
	;; [unrolled: 1-line block ×3, first 2 shown]
	s_waitcnt vmcnt(0)
	v_mov_b32_e32 v3, v13
	v_mov_b32_e32 v4, v14
	;; [unrolled: 1-line block ×4, first 2 shown]
.LBB380_3:
	s_or_b32 exec_lo, exec_lo, s0
	v_or_b32_e32 v10, 32, v9
	s_mov_b32 s0, exec_lo
	v_cmpx_gt_u32_e64 s9, v10
	s_cbranch_execz .LBB380_5
; %bb.4:
	global_load_dword v4, v[7:8], off offset:128
.LBB380_5:
	s_or_b32 exec_lo, exec_lo, s0
	v_or_b32_e32 v10, 64, v9
	s_mov_b32 s0, exec_lo
	v_cmpx_gt_u32_e64 s9, v10
	s_cbranch_execz .LBB380_7
; %bb.6:
	global_load_dword v5, v[7:8], off offset:256
.LBB380_7:
	;; [unrolled: 8-line block ×3, first 2 shown]
	s_or_b32 exec_lo, exec_lo, s0
	s_clause 0x1
	s_load_dword s0, s[4:5], 0x64
	s_load_dword s22, s[4:5], 0x58
	s_add_u32 s1, s4, 0x58
	s_addc_u32 s2, s5, 0
	v_mov_b32_e32 v10, 0
	v_xor_b32_e32 v13, 0x7fffffff, v3
	v_lshrrev_b32_e32 v3, s20, v13
	s_waitcnt lgkmcnt(0)
	s_lshr_b32 s3, s0, 16
	s_cmp_lt_u32 s6, s22
	s_cselect_b32 s0, 12, 18
	s_add_u32 s0, s1, s0
	s_addc_u32 s1, s2, 0
	global_load_ushort v7, v10, s[0:1]
	s_lshl_b32 s0, -1, s21
	s_not_b32 s23, s0
	v_and_b32_e32 v3, s23, v3
	v_and_b32_e32 v8, 1, v3
	v_lshlrev_b32_e32 v9, 30, v3
	v_lshlrev_b32_e32 v14, 29, v3
	;; [unrolled: 1-line block ×4, first 2 shown]
	v_add_co_u32 v8, s0, v8, -1
	v_cndmask_b32_e64 v15, 0, 1, s0
	v_not_b32_e32 v19, v9
	v_cmp_gt_i32_e64 s0, 0, v9
	v_not_b32_e32 v9, v14
	v_lshlrev_b32_e32 v18, 26, v3
	v_cmp_ne_u32_e32 vcc_lo, 0, v15
	v_ashrrev_i32_e32 v19, 31, v19
	v_lshlrev_b32_e32 v15, 25, v3
	v_ashrrev_i32_e32 v9, 31, v9
	v_xor_b32_e32 v8, vcc_lo, v8
	v_cmp_gt_i32_e32 vcc_lo, 0, v14
	v_not_b32_e32 v14, v16
	v_xor_b32_e32 v19, s0, v19
	v_cmp_gt_i32_e64 s0, 0, v16
	v_and_b32_e32 v8, exec_lo, v8
	v_not_b32_e32 v16, v17
	v_ashrrev_i32_e32 v14, 31, v14
	v_xor_b32_e32 v9, vcc_lo, v9
	v_cmp_gt_i32_e32 vcc_lo, 0, v17
	v_and_b32_e32 v8, v8, v19
	v_not_b32_e32 v17, v18
	v_ashrrev_i32_e32 v16, 31, v16
	v_xor_b32_e32 v14, s0, v14
	v_cmp_gt_i32_e64 s0, 0, v18
	v_and_b32_e32 v8, v8, v9
	v_not_b32_e32 v9, v15
	v_ashrrev_i32_e32 v17, 31, v17
	v_xor_b32_e32 v16, vcc_lo, v16
	v_cmp_gt_i32_e32 vcc_lo, 0, v15
	v_and_b32_e32 v8, v8, v14
	v_lshlrev_b32_e32 v14, 24, v3
	v_ashrrev_i32_e32 v9, 31, v9
	v_xor_b32_e32 v15, s0, v17
	v_and_b32_e32 v8, v8, v16
	v_not_b32_e32 v16, v14
	v_xor_b32_e32 v9, vcc_lo, v9
	v_cmp_gt_i32_e32 vcc_lo, 0, v14
	v_and_b32_e32 v8, v8, v15
	v_mad_u32_u24 v15, v2, s3, v1
	v_ashrrev_i32_e32 v14, 31, v16
	v_mul_u32_u24_e32 v16, 36, v0
	v_and_b32_e32 v17, v8, v9
	ds_write2_b32 v16, v10, v10 offset0:32 offset1:33
	ds_write2_b32 v16, v10, v10 offset0:34 offset1:35
	;; [unrolled: 1-line block ×4, first 2 shown]
	ds_write_b32 v16, v10 offset:160
	s_waitcnt vmcnt(0) lgkmcnt(0)
	s_barrier
	buffer_gl0_inv
	; wave barrier
	v_mad_u64_u32 v[8:9], null, v15, v7, v[0:1]
	v_xor_b32_e32 v7, vcc_lo, v14
	v_mul_lo_u32 v9, 0x84, v3
	v_and_b32_e32 v7, v17, v7
	v_lshrrev_b32_e32 v8, 3, v8
	v_mbcnt_lo_u32_b32 v14, v7, 0
	v_and_b32_e32 v3, 0x1ffffffc, v8
	v_cmp_ne_u32_e64 s0, 0, v7
	v_cmp_eq_u32_e32 vcc_lo, 0, v14
	v_add_nc_u32_e32 v17, v3, v9
	s_and_b32 s1, s0, vcc_lo
	s_and_saveexec_b32 s0, s1
; %bb.10:
	v_bcnt_u32_b32 v7, v7, 0
	ds_write_b32 v17, v7 offset:128
; %bb.11:
	s_or_b32 exec_lo, exec_lo, s0
	v_xor_b32_e32 v15, 0x7fffffff, v4
	; wave barrier
	v_lshrrev_b32_e32 v4, s20, v15
	v_and_b32_e32 v4, s23, v4
	v_and_b32_e32 v8, 1, v4
	v_lshlrev_b32_e32 v9, 30, v4
	v_lshlrev_b32_e32 v10, 29, v4
	;; [unrolled: 1-line block ×4, first 2 shown]
	v_add_co_u32 v8, s0, v8, -1
	v_cndmask_b32_e64 v19, 0, 1, s0
	v_not_b32_e32 v23, v9
	v_cmp_gt_i32_e64 s0, 0, v9
	v_not_b32_e32 v9, v10
	v_lshlrev_b32_e32 v21, 26, v4
	v_cmp_ne_u32_e32 vcc_lo, 0, v19
	v_ashrrev_i32_e32 v19, 31, v23
	v_lshlrev_b32_e32 v22, 25, v4
	v_ashrrev_i32_e32 v9, 31, v9
	v_mul_lo_u32 v7, 0x84, v4
	v_xor_b32_e32 v8, vcc_lo, v8
	v_cmp_gt_i32_e32 vcc_lo, 0, v10
	v_not_b32_e32 v10, v18
	v_xor_b32_e32 v19, s0, v19
	v_cmp_gt_i32_e64 s0, 0, v18
	v_and_b32_e32 v8, exec_lo, v8
	v_not_b32_e32 v18, v20
	v_ashrrev_i32_e32 v10, 31, v10
	v_xor_b32_e32 v9, vcc_lo, v9
	v_cmp_gt_i32_e32 vcc_lo, 0, v20
	v_and_b32_e32 v8, v8, v19
	v_not_b32_e32 v19, v21
	v_ashrrev_i32_e32 v18, 31, v18
	v_xor_b32_e32 v10, s0, v10
	v_lshlrev_b32_e32 v4, 24, v4
	v_and_b32_e32 v8, v8, v9
	v_cmp_gt_i32_e64 s0, 0, v21
	v_not_b32_e32 v9, v22
	v_ashrrev_i32_e32 v19, 31, v19
	v_xor_b32_e32 v18, vcc_lo, v18
	v_and_b32_e32 v8, v8, v10
	v_cmp_gt_i32_e32 vcc_lo, 0, v22
	v_not_b32_e32 v10, v4
	v_ashrrev_i32_e32 v9, 31, v9
	v_xor_b32_e32 v19, s0, v19
	v_and_b32_e32 v8, v8, v18
	v_cmp_gt_i32_e64 s0, 0, v4
	v_ashrrev_i32_e32 v4, 31, v10
	v_xor_b32_e32 v9, vcc_lo, v9
	v_add_nc_u32_e32 v21, v3, v7
	v_and_b32_e32 v8, v8, v19
	v_xor_b32_e32 v4, s0, v4
	ds_read_b32 v18, v21 offset:128
	v_and_b32_e32 v7, v8, v9
	; wave barrier
	v_and_b32_e32 v4, v7, v4
	v_mbcnt_lo_u32_b32 v20, v4, 0
	v_cmp_ne_u32_e64 s0, 0, v4
	v_cmp_eq_u32_e32 vcc_lo, 0, v20
	s_and_b32 s1, s0, vcc_lo
	s_and_saveexec_b32 s0, s1
	s_cbranch_execz .LBB380_13
; %bb.12:
	s_waitcnt lgkmcnt(0)
	v_bcnt_u32_b32 v4, v4, v18
	ds_write_b32 v21, v4 offset:128
.LBB380_13:
	s_or_b32 exec_lo, exec_lo, s0
	v_xor_b32_e32 v19, 0x7fffffff, v5
	; wave barrier
	v_lshrrev_b32_e32 v4, s20, v19
	v_and_b32_e32 v4, s23, v4
	v_and_b32_e32 v7, 1, v4
	v_lshlrev_b32_e32 v8, 30, v4
	v_lshlrev_b32_e32 v9, 29, v4
	;; [unrolled: 1-line block ×4, first 2 shown]
	v_add_co_u32 v7, s0, v7, -1
	v_cndmask_b32_e64 v22, 0, 1, s0
	v_not_b32_e32 v26, v8
	v_cmp_gt_i32_e64 s0, 0, v8
	v_not_b32_e32 v8, v9
	v_lshlrev_b32_e32 v24, 26, v4
	v_cmp_ne_u32_e32 vcc_lo, 0, v22
	v_ashrrev_i32_e32 v22, 31, v26
	v_lshlrev_b32_e32 v25, 25, v4
	v_ashrrev_i32_e32 v8, 31, v8
	v_mul_lo_u32 v5, 0x84, v4
	v_xor_b32_e32 v7, vcc_lo, v7
	v_cmp_gt_i32_e32 vcc_lo, 0, v9
	v_not_b32_e32 v9, v10
	v_xor_b32_e32 v22, s0, v22
	v_cmp_gt_i32_e64 s0, 0, v10
	v_and_b32_e32 v7, exec_lo, v7
	v_not_b32_e32 v10, v23
	v_ashrrev_i32_e32 v9, 31, v9
	v_xor_b32_e32 v8, vcc_lo, v8
	v_cmp_gt_i32_e32 vcc_lo, 0, v23
	v_and_b32_e32 v7, v7, v22
	v_not_b32_e32 v22, v24
	v_ashrrev_i32_e32 v10, 31, v10
	v_xor_b32_e32 v9, s0, v9
	v_lshlrev_b32_e32 v4, 24, v4
	v_and_b32_e32 v7, v7, v8
	v_cmp_gt_i32_e64 s0, 0, v24
	v_not_b32_e32 v8, v25
	v_ashrrev_i32_e32 v22, 31, v22
	v_xor_b32_e32 v10, vcc_lo, v10
	v_and_b32_e32 v7, v7, v9
	v_cmp_gt_i32_e32 vcc_lo, 0, v25
	v_not_b32_e32 v9, v4
	v_ashrrev_i32_e32 v8, 31, v8
	v_xor_b32_e32 v22, s0, v22
	v_and_b32_e32 v7, v7, v10
	v_cmp_gt_i32_e64 s0, 0, v4
	v_ashrrev_i32_e32 v4, 31, v9
	v_xor_b32_e32 v8, vcc_lo, v8
	v_add_nc_u32_e32 v25, v3, v5
	v_and_b32_e32 v7, v7, v22
	v_xor_b32_e32 v4, s0, v4
	ds_read_b32 v22, v25 offset:128
	v_and_b32_e32 v5, v7, v8
	; wave barrier
	v_and_b32_e32 v4, v5, v4
	v_mbcnt_lo_u32_b32 v24, v4, 0
	v_cmp_ne_u32_e64 s0, 0, v4
	v_cmp_eq_u32_e32 vcc_lo, 0, v24
	s_and_b32 s1, s0, vcc_lo
	s_and_saveexec_b32 s0, s1
	s_cbranch_execz .LBB380_15
; %bb.14:
	s_waitcnt lgkmcnt(0)
	v_bcnt_u32_b32 v4, v4, v22
	ds_write_b32 v25, v4 offset:128
.LBB380_15:
	s_or_b32 exec_lo, exec_lo, s0
	v_xor_b32_e32 v23, 0x7fffffff, v6
	; wave barrier
	v_lshrrev_b32_e32 v4, s20, v23
	v_and_b32_e32 v4, s23, v4
	v_and_b32_e32 v6, 1, v4
	v_lshlrev_b32_e32 v7, 30, v4
	v_lshlrev_b32_e32 v8, 29, v4
	;; [unrolled: 1-line block ×4, first 2 shown]
	v_add_co_u32 v6, s0, v6, -1
	v_cndmask_b32_e64 v10, 0, 1, s0
	v_not_b32_e32 v29, v7
	v_cmp_gt_i32_e64 s0, 0, v7
	v_not_b32_e32 v7, v8
	v_lshlrev_b32_e32 v27, 26, v4
	v_cmp_ne_u32_e32 vcc_lo, 0, v10
	v_ashrrev_i32_e32 v10, 31, v29
	v_lshlrev_b32_e32 v28, 25, v4
	v_ashrrev_i32_e32 v7, 31, v7
	v_mul_lo_u32 v5, 0x84, v4
	v_xor_b32_e32 v6, vcc_lo, v6
	v_cmp_gt_i32_e32 vcc_lo, 0, v8
	v_not_b32_e32 v8, v9
	v_xor_b32_e32 v10, s0, v10
	v_cmp_gt_i32_e64 s0, 0, v9
	v_and_b32_e32 v6, exec_lo, v6
	v_not_b32_e32 v9, v26
	v_ashrrev_i32_e32 v8, 31, v8
	v_xor_b32_e32 v7, vcc_lo, v7
	v_cmp_gt_i32_e32 vcc_lo, 0, v26
	v_and_b32_e32 v6, v6, v10
	v_not_b32_e32 v10, v27
	v_ashrrev_i32_e32 v9, 31, v9
	v_xor_b32_e32 v8, s0, v8
	v_lshlrev_b32_e32 v4, 24, v4
	v_and_b32_e32 v6, v6, v7
	v_cmp_gt_i32_e64 s0, 0, v27
	v_not_b32_e32 v7, v28
	v_ashrrev_i32_e32 v10, 31, v10
	v_xor_b32_e32 v9, vcc_lo, v9
	v_and_b32_e32 v6, v6, v8
	v_cmp_gt_i32_e32 vcc_lo, 0, v28
	v_not_b32_e32 v8, v4
	v_ashrrev_i32_e32 v7, 31, v7
	v_xor_b32_e32 v10, s0, v10
	v_and_b32_e32 v6, v6, v9
	v_cmp_gt_i32_e64 s0, 0, v4
	v_ashrrev_i32_e32 v4, 31, v8
	v_xor_b32_e32 v7, vcc_lo, v7
	v_add_nc_u32_e32 v28, v3, v5
	v_and_b32_e32 v6, v6, v10
	v_xor_b32_e32 v3, s0, v4
	ds_read_b32 v26, v28 offset:128
	v_and_b32_e32 v4, v6, v7
	; wave barrier
	v_and_b32_e32 v3, v4, v3
	v_mbcnt_lo_u32_b32 v27, v3, 0
	v_cmp_ne_u32_e64 s0, 0, v3
	v_cmp_eq_u32_e32 vcc_lo, 0, v27
	s_and_b32 s1, s0, vcc_lo
	s_and_saveexec_b32 s0, s1
	s_cbranch_execz .LBB380_17
; %bb.16:
	s_waitcnt lgkmcnt(0)
	v_bcnt_u32_b32 v3, v3, v26
	ds_write_b32 v28, v3 offset:128
.LBB380_17:
	s_or_b32 exec_lo, exec_lo, s0
	; wave barrier
	s_waitcnt lgkmcnt(0)
	s_barrier
	buffer_gl0_inv
	ds_read2_b32 v[9:10], v16 offset0:32 offset1:33
	ds_read2_b32 v[7:8], v16 offset0:34 offset1:35
	;; [unrolled: 1-line block ×4, first 2 shown]
	ds_read_b32 v29, v16 offset:160
	v_and_b32_e32 v32, 16, v12
	v_and_b32_e32 v33, 31, v0
	s_mov_b32 s8, exec_lo
	v_cmp_eq_u32_e64 s3, 0, v32
	s_waitcnt lgkmcnt(3)
	v_add3_u32 v30, v10, v9, v7
	s_waitcnt lgkmcnt(2)
	v_add3_u32 v30, v30, v8, v5
	;; [unrolled: 2-line block ×4, first 2 shown]
	v_and_b32_e32 v30, 15, v12
	v_mov_b32_dpp v31, v29 row_shr:1 row_mask:0xf bank_mask:0xf
	v_cmp_eq_u32_e32 vcc_lo, 0, v30
	v_cmp_lt_u32_e64 s0, 1, v30
	v_cmp_lt_u32_e64 s1, 3, v30
	;; [unrolled: 1-line block ×3, first 2 shown]
	v_cndmask_b32_e64 v31, v31, 0, vcc_lo
	v_add_nc_u32_e32 v29, v31, v29
	v_mov_b32_dpp v31, v29 row_shr:2 row_mask:0xf bank_mask:0xf
	v_cndmask_b32_e64 v31, 0, v31, s0
	v_add_nc_u32_e32 v29, v29, v31
	v_mov_b32_dpp v31, v29 row_shr:4 row_mask:0xf bank_mask:0xf
	v_cndmask_b32_e64 v31, 0, v31, s1
	;; [unrolled: 3-line block ×3, first 2 shown]
	v_bfe_i32 v31, v12, 4, 1
	v_add_nc_u32_e32 v29, v29, v30
	ds_swizzle_b32 v30, v29 offset:swizzle(BROADCAST,32,15)
	s_waitcnt lgkmcnt(0)
	v_and_b32_e32 v31, v31, v30
	v_lshrrev_b32_e32 v30, 5, v0
	v_add_nc_u32_e32 v29, v29, v31
	v_cmpx_eq_u32_e32 31, v33
; %bb.18:
	v_lshlrev_b32_e32 v31, 2, v30
	ds_write_b32 v31, v29
; %bb.19:
	s_or_b32 exec_lo, exec_lo, s8
	v_cmp_lt_u32_e64 s7, 31, v0
	s_mov_b32 s24, exec_lo
	s_waitcnt lgkmcnt(0)
	s_barrier
	buffer_gl0_inv
	v_cmpx_gt_u32_e32 32, v0
	s_cbranch_execz .LBB380_21
; %bb.20:
	ds_read_b32 v31, v11
	s_waitcnt lgkmcnt(0)
	v_mov_b32_dpp v32, v31 row_shr:1 row_mask:0xf bank_mask:0xf
	v_cndmask_b32_e64 v32, v32, 0, vcc_lo
	v_add_nc_u32_e32 v31, v32, v31
	v_mov_b32_dpp v32, v31 row_shr:2 row_mask:0xf bank_mask:0xf
	v_cndmask_b32_e64 v32, 0, v32, s0
	v_add_nc_u32_e32 v31, v31, v32
	v_mov_b32_dpp v32, v31 row_shr:4 row_mask:0xf bank_mask:0xf
	v_cndmask_b32_e64 v32, 0, v32, s1
	v_add_nc_u32_e32 v31, v31, v32
	v_mov_b32_dpp v32, v31 row_shr:8 row_mask:0xf bank_mask:0xf
	v_cndmask_b32_e64 v32, 0, v32, s2
	v_add_nc_u32_e32 v31, v31, v32
	ds_swizzle_b32 v32, v31 offset:swizzle(BROADCAST,32,15)
	s_waitcnt lgkmcnt(0)
	v_cndmask_b32_e64 v32, v32, 0, s3
	v_add_nc_u32_e32 v31, v31, v32
	ds_write_b32 v11, v31
.LBB380_21:
	s_or_b32 exec_lo, exec_lo, s24
	v_mov_b32_e32 v31, 0
	s_waitcnt lgkmcnt(0)
	s_barrier
	buffer_gl0_inv
	s_and_saveexec_b32 s0, s7
; %bb.22:
	v_lshl_add_u32 v30, v30, 2, -4
	ds_read_b32 v31, v30
; %bb.23:
	s_or_b32 exec_lo, exec_lo, s0
	v_sub_co_u32 v30, vcc_lo, v12, 1
	s_waitcnt lgkmcnt(0)
	v_add_nc_u32_e32 v29, v31, v29
	v_cmp_gt_i32_e64 s0, 0, v30
	v_cndmask_b32_e64 v30, v30, v12, s0
	v_cmp_gt_u32_e64 s0, 0x100, v0
	v_lshlrev_b32_e32 v30, 2, v30
	ds_bpermute_b32 v29, v30, v29
	s_waitcnt lgkmcnt(0)
	v_cndmask_b32_e32 v29, v29, v31, vcc_lo
	v_cmp_ne_u32_e32 vcc_lo, 0, v0
	v_cndmask_b32_e32 v29, 0, v29, vcc_lo
	v_cmp_lt_u32_e32 vcc_lo, 0xff, v0
	v_add_nc_u32_e32 v9, v29, v9
	v_add_nc_u32_e32 v10, v9, v10
	;; [unrolled: 1-line block ×8, first 2 shown]
	ds_write2_b32 v16, v29, v9 offset0:32 offset1:33
	ds_write2_b32 v16, v10, v7 offset0:34 offset1:35
	;; [unrolled: 1-line block ×4, first 2 shown]
	ds_write_b32 v16, v4 offset:160
	s_waitcnt lgkmcnt(0)
	s_barrier
	buffer_gl0_inv
	ds_read_b32 v3, v17 offset:128
	ds_read_b32 v6, v21 offset:128
	;; [unrolled: 1-line block ×4, first 2 shown]
                                        ; implicit-def: $vgpr9
                                        ; implicit-def: $vgpr10
	s_and_saveexec_b32 s2, s0
	s_cbranch_execz .LBB380_27
; %bb.24:
	v_mul_u32_u24_e32 v7, 0x84, v0
	v_add_nc_u32_e32 v8, 1, v0
	s_mov_b32 s3, exec_lo
	ds_read_b32 v9, v7 offset:128
	v_mov_b32_e32 v7, 0x1000
	v_cmpx_ne_u32_e32 0x100, v8
; %bb.25:
	v_mul_u32_u24_e32 v7, 0x84, v8
	ds_read_b32 v7, v7 offset:128
; %bb.26:
	s_or_b32 exec_lo, exec_lo, s3
	s_waitcnt lgkmcnt(0)
	v_sub_nc_u32_e32 v10, v7, v9
.LBB380_27:
	s_or_b32 exec_lo, exec_lo, s2
	v_lshlrev_b32_e32 v7, 2, v14
	v_lshlrev_b32_e32 v8, 2, v20
	v_lshlrev_b32_e32 v14, 2, v18
	v_lshlrev_b32_e32 v18, 2, v27
	v_lshlrev_b32_e32 v20, 2, v26
	s_waitcnt lgkmcnt(0)
	v_lshlrev_b32_e32 v4, 2, v4
	v_lshlrev_b32_e32 v6, 2, v6
	v_lshlrev_b32_e32 v16, 2, v24
	v_lshlrev_b32_e32 v17, 2, v22
	v_lshlrev_b32_e32 v5, 2, v5
	v_lshl_add_u32 v3, v3, 2, v7
	v_add3_u32 v7, v18, v20, v4
	v_mov_b32_e32 v4, 0
	v_add3_u32 v6, v8, v14, v6
	v_add3_u32 v5, v16, v17, v5
	s_barrier
	buffer_gl0_inv
	ds_write_b32 v3, v13 offset:1024
	ds_write_b32 v6, v15 offset:1024
	;; [unrolled: 1-line block ×4, first 2 shown]
	s_and_saveexec_b32 s1, s0
	s_cbranch_execz .LBB380_37
; %bb.28:
	v_lshl_add_u32 v3, s6, 8, v0
	v_mov_b32_e32 v13, 0
	s_mov_b32 s2, 0
	s_mov_b32 s3, s6
	v_lshlrev_b64 v[5:6], 2, v[3:4]
	v_or_b32_e32 v3, 2.0, v10
	v_add_co_u32 v5, s0, s10, v5
	v_add_co_ci_u32_e64 v6, null, s11, v6, s0
                                        ; implicit-def: $sgpr0
	global_store_dword v[5:6], v3, off
	s_branch .LBB380_31
	.p2align	6
.LBB380_29:                             ;   in Loop: Header=BB380_31 Depth=1
	s_or_b32 exec_lo, exec_lo, s8
.LBB380_30:                             ;   in Loop: Header=BB380_31 Depth=1
	s_or_b32 exec_lo, exec_lo, s7
	v_and_b32_e32 v7, 0x3fffffff, v3
	v_cmp_gt_i32_e64 s0, -2.0, v3
	v_add_nc_u32_e32 v13, v7, v13
	s_and_b32 s7, exec_lo, s0
	s_or_b32 s2, s7, s2
	s_andn2_b32 exec_lo, exec_lo, s2
	s_cbranch_execz .LBB380_36
.LBB380_31:                             ; =>This Loop Header: Depth=1
                                        ;     Child Loop BB380_34 Depth 2
	s_or_b32 s0, s0, exec_lo
	s_cmp_eq_u32 s3, 0
	s_cbranch_scc1 .LBB380_35
; %bb.32:                               ;   in Loop: Header=BB380_31 Depth=1
	s_add_i32 s3, s3, -1
	s_mov_b32 s7, exec_lo
	v_lshl_or_b32 v3, s3, 8, v0
	v_lshlrev_b64 v[7:8], 2, v[3:4]
	v_add_co_u32 v7, s0, s10, v7
	v_add_co_ci_u32_e64 v8, null, s11, v8, s0
	global_load_dword v3, v[7:8], off glc dlc
	s_waitcnt vmcnt(0)
	v_cmpx_gt_u32_e32 2.0, v3
	s_cbranch_execz .LBB380_30
; %bb.33:                               ;   in Loop: Header=BB380_31 Depth=1
	s_mov_b32 s8, 0
.LBB380_34:                             ;   Parent Loop BB380_31 Depth=1
                                        ; =>  This Inner Loop Header: Depth=2
	global_load_dword v3, v[7:8], off glc dlc
	s_waitcnt vmcnt(0)
	v_cmp_lt_u32_e64 s0, 0x3fffffff, v3
	s_or_b32 s8, s0, s8
	s_andn2_b32 exec_lo, exec_lo, s8
	s_cbranch_execnz .LBB380_34
	s_branch .LBB380_29
.LBB380_35:                             ;   in Loop: Header=BB380_31 Depth=1
                                        ; implicit-def: $sgpr3
	s_and_b32 s7, exec_lo, s0
	s_or_b32 s2, s7, s2
	s_andn2_b32 exec_lo, exec_lo, s2
	s_cbranch_execnz .LBB380_31
.LBB380_36:
	s_or_b32 exec_lo, exec_lo, s2
	v_add_nc_u32_e32 v3, v13, v10
	v_sub_nc_u32_e32 v4, v13, v9
	v_or_b32_e32 v3, 0x80000000, v3
	global_store_dword v[5:6], v3, off
	global_load_dword v3, v11, s[12:13]
	s_waitcnt vmcnt(0)
	v_add_nc_u32_e32 v3, v4, v3
	ds_write_b32 v11, v3
.LBB380_37:
	s_or_b32 exec_lo, exec_lo, s1
	s_mov_b32 s1, exec_lo
	s_waitcnt lgkmcnt(0)
	s_waitcnt_vscnt null, 0x0
	s_barrier
	buffer_gl0_inv
	v_cmpx_gt_u32_e64 s9, v0
	s_cbranch_execz .LBB380_39
; %bb.38:
	ds_read_b32 v5, v11 offset:1024
	v_mov_b32_e32 v4, 0
	s_waitcnt lgkmcnt(0)
	v_lshrrev_b32_e32 v3, s20, v5
	v_xor_b32_e32 v5, 0x7fffffff, v5
	v_and_b32_e32 v3, s23, v3
	v_lshlrev_b32_e32 v3, 2, v3
	ds_read_b32 v3, v3
	s_waitcnt lgkmcnt(0)
	v_add_nc_u32_e32 v3, v3, v0
	v_lshlrev_b64 v[3:4], 2, v[3:4]
	v_add_co_u32 v3, s0, s18, v3
	v_add_co_ci_u32_e64 v4, null, s19, v4, s0
	global_store_dword v[3:4], v5, off
.LBB380_39:
	s_or_b32 exec_lo, exec_lo, s1
	v_or_b32_e32 v3, 0x400, v0
	s_mov_b32 s1, exec_lo
	v_cmpx_gt_u32_e64 s9, v3
	s_cbranch_execz .LBB380_41
; %bb.40:
	ds_read_b32 v5, v11 offset:5120
	s_waitcnt lgkmcnt(0)
	v_lshrrev_b32_e32 v4, s20, v5
	v_xor_b32_e32 v5, 0x7fffffff, v5
	v_and_b32_e32 v4, s23, v4
	v_lshlrev_b32_e32 v4, 2, v4
	ds_read_b32 v6, v4
	v_mov_b32_e32 v4, 0
	s_waitcnt lgkmcnt(0)
	v_add_nc_u32_e32 v3, v6, v3
	v_lshlrev_b64 v[3:4], 2, v[3:4]
	v_add_co_u32 v3, s0, s18, v3
	v_add_co_ci_u32_e64 v4, null, s19, v4, s0
	global_store_dword v[3:4], v5, off
.LBB380_41:
	s_or_b32 exec_lo, exec_lo, s1
	v_or_b32_e32 v3, 0x800, v0
	s_mov_b32 s1, exec_lo
	v_cmpx_gt_u32_e64 s9, v3
	s_cbranch_execz .LBB380_43
; %bb.42:
	ds_read_b32 v5, v11 offset:9216
	s_waitcnt lgkmcnt(0)
	v_lshrrev_b32_e32 v4, s20, v5
	v_xor_b32_e32 v5, 0x7fffffff, v5
	v_and_b32_e32 v4, s23, v4
	v_lshlrev_b32_e32 v4, 2, v4
	ds_read_b32 v6, v4
	v_mov_b32_e32 v4, 0
	s_waitcnt lgkmcnt(0)
	v_add_nc_u32_e32 v3, v6, v3
	v_lshlrev_b64 v[3:4], 2, v[3:4]
	v_add_co_u32 v3, s0, s18, v3
	v_add_co_ci_u32_e64 v4, null, s19, v4, s0
	global_store_dword v[3:4], v5, off
.LBB380_43:
	;; [unrolled: 21-line block ×3, first 2 shown]
	s_or_b32 exec_lo, exec_lo, s1
	s_add_i32 s22, s22, -1
	s_cmp_eq_u32 s6, s22
	s_cselect_b32 s0, -1, 0
	s_xor_b32 s1, vcc_lo, -1
	s_and_b32 s1, s1, s0
	s_and_saveexec_b32 s0, s1
	s_cbranch_execz .LBB380_47
; %bb.46:
	ds_read_b32 v3, v11
	s_waitcnt lgkmcnt(0)
	v_add3_u32 v3, v9, v10, v3
	global_store_dword v11, v3, s[14:15]
.LBB380_47:
	s_or_b32 exec_lo, exec_lo, s0
	s_mov_b32 s0, 0
.LBB380_48:
	s_and_b32 vcc_lo, exec_lo, s0
	s_cbranch_vccz .LBB380_79
; %bb.49:
	s_lshl_b32 s0, s6, 12
	s_mov_b32 s1, 0
	v_lshlrev_b32_e32 v3, 4, v0
	v_lshlrev_b32_e32 v4, 2, v12
	s_lshl_b64 s[0:1], s[0:1], 2
	v_mov_b32_e32 v13, 0
	s_add_u32 s0, s16, s0
	s_addc_u32 s1, s17, s1
	v_and_b32_e32 v3, 0x3e00, v3
	v_add_co_u32 v4, s0, s0, v4
	v_add_co_ci_u32_e64 v5, null, s1, 0, s0
	s_add_u32 s1, s4, 0x58
	v_add_co_u32 v6, vcc_lo, v4, v3
	v_add_co_ci_u32_e64 v7, null, 0, v5, vcc_lo
	s_addc_u32 s2, s5, 0
	global_load_dword v8, v[6:7], off
	s_clause 0x1
	s_load_dword s0, s[4:5], 0x64
	s_load_dword s7, s[4:5], 0x58
	s_waitcnt lgkmcnt(0)
	s_lshr_b32 s3, s0, 16
	s_cmp_lt_u32 s6, s7
	v_mad_u32_u24 v1, v2, s3, v1
	s_cselect_b32 s0, 12, 18
	s_add_u32 s0, s1, s0
	s_addc_u32 s1, s2, 0
	global_load_ushort v10, v13, s[0:1]
	s_clause 0x2
	global_load_dword v5, v[6:7], off offset:128
	global_load_dword v4, v[6:7], off offset:256
	;; [unrolled: 1-line block ×3, first 2 shown]
	s_lshl_b32 s0, -1, s21
	s_not_b32 s8, s0
	s_waitcnt vmcnt(4)
	v_xor_b32_e32 v9, 0x7fffffff, v8
	v_lshrrev_b32_e32 v6, s20, v9
	v_and_b32_e32 v6, s8, v6
	v_and_b32_e32 v7, 1, v6
	v_lshlrev_b32_e32 v8, 30, v6
	v_lshlrev_b32_e32 v14, 29, v6
	;; [unrolled: 1-line block ×4, first 2 shown]
	v_add_co_u32 v7, s0, v7, -1
	v_cndmask_b32_e64 v16, 0, 1, s0
	v_not_b32_e32 v20, v8
	v_cmp_gt_i32_e64 s0, 0, v8
	v_not_b32_e32 v8, v14
	v_lshlrev_b32_e32 v18, 26, v6
	v_cmp_ne_u32_e32 vcc_lo, 0, v16
	v_ashrrev_i32_e32 v20, 31, v20
	v_lshlrev_b32_e32 v19, 25, v6
	v_ashrrev_i32_e32 v8, 31, v8
	v_lshlrev_b32_e32 v16, 24, v6
	v_xor_b32_e32 v7, vcc_lo, v7
	v_cmp_gt_i32_e32 vcc_lo, 0, v14
	v_not_b32_e32 v14, v15
	v_xor_b32_e32 v20, s0, v20
	v_cmp_gt_i32_e64 s0, 0, v15
	v_and_b32_e32 v7, exec_lo, v7
	v_not_b32_e32 v15, v17
	v_ashrrev_i32_e32 v14, 31, v14
	v_xor_b32_e32 v8, vcc_lo, v8
	v_cmp_gt_i32_e32 vcc_lo, 0, v17
	v_and_b32_e32 v7, v7, v20
	v_not_b32_e32 v17, v18
	v_ashrrev_i32_e32 v15, 31, v15
	v_xor_b32_e32 v14, s0, v14
	v_cmp_gt_i32_e64 s0, 0, v18
	v_and_b32_e32 v7, v7, v8
	v_not_b32_e32 v8, v19
	v_ashrrev_i32_e32 v17, 31, v17
	v_xor_b32_e32 v15, vcc_lo, v15
	v_cmp_gt_i32_e32 vcc_lo, 0, v19
	v_and_b32_e32 v7, v7, v14
	v_not_b32_e32 v14, v16
	v_ashrrev_i32_e32 v8, 31, v8
	v_xor_b32_e32 v17, s0, v17
	v_cmp_gt_i32_e64 s0, 0, v16
	v_and_b32_e32 v7, v7, v15
	v_ashrrev_i32_e32 v15, 31, v14
	v_xor_b32_e32 v8, vcc_lo, v8
	s_waitcnt vmcnt(3)
	v_mad_u64_u32 v[1:2], null, v1, v10, v[0:1]
	v_and_b32_e32 v7, v7, v17
	v_xor_b32_e32 v2, s0, v15
	v_mul_lo_u32 v6, 0x84, v6
	v_mul_u32_u24_e32 v14, 36, v0
	v_and_b32_e32 v7, v7, v8
	v_lshrrev_b32_e32 v1, 3, v1
	ds_write2_b32 v14, v13, v13 offset0:32 offset1:33
	ds_write2_b32 v14, v13, v13 offset0:34 offset1:35
	;; [unrolled: 1-line block ×3, first 2 shown]
	v_and_b32_e32 v2, v7, v2
	v_and_b32_e32 v1, 0x1ffffffc, v1
	ds_write2_b32 v14, v13, v13 offset0:38 offset1:39
	ds_write_b32 v14, v13 offset:160
	s_waitcnt vmcnt(0) lgkmcnt(0)
	s_waitcnt_vscnt null, 0x0
	s_barrier
	v_mbcnt_lo_u32_b32 v10, v2, 0
	v_cmp_ne_u32_e64 s0, 0, v2
	v_add_nc_u32_e32 v15, v1, v6
	buffer_gl0_inv
	v_cmp_eq_u32_e32 vcc_lo, 0, v10
	; wave barrier
	s_and_b32 s1, s0, vcc_lo
	s_and_saveexec_b32 s0, s1
; %bb.50:
	v_bcnt_u32_b32 v2, v2, 0
	ds_write_b32 v15, v2 offset:128
; %bb.51:
	s_or_b32 exec_lo, exec_lo, s0
	v_xor_b32_e32 v13, 0x7fffffff, v5
	; wave barrier
	v_lshrrev_b32_e32 v2, s20, v13
	v_and_b32_e32 v2, s8, v2
	v_and_b32_e32 v6, 1, v2
	v_lshlrev_b32_e32 v7, 30, v2
	v_lshlrev_b32_e32 v8, 29, v2
	;; [unrolled: 1-line block ×4, first 2 shown]
	v_add_co_u32 v6, s0, v6, -1
	v_cndmask_b32_e64 v17, 0, 1, s0
	v_not_b32_e32 v21, v7
	v_cmp_gt_i32_e64 s0, 0, v7
	v_not_b32_e32 v7, v8
	v_lshlrev_b32_e32 v19, 26, v2
	v_cmp_ne_u32_e32 vcc_lo, 0, v17
	v_ashrrev_i32_e32 v17, 31, v21
	v_lshlrev_b32_e32 v20, 25, v2
	v_ashrrev_i32_e32 v7, 31, v7
	v_mul_lo_u32 v5, 0x84, v2
	v_xor_b32_e32 v6, vcc_lo, v6
	v_cmp_gt_i32_e32 vcc_lo, 0, v8
	v_not_b32_e32 v8, v16
	v_xor_b32_e32 v17, s0, v17
	v_cmp_gt_i32_e64 s0, 0, v16
	v_and_b32_e32 v6, exec_lo, v6
	v_not_b32_e32 v16, v18
	v_ashrrev_i32_e32 v8, 31, v8
	v_xor_b32_e32 v7, vcc_lo, v7
	v_cmp_gt_i32_e32 vcc_lo, 0, v18
	v_and_b32_e32 v6, v6, v17
	v_not_b32_e32 v17, v19
	v_ashrrev_i32_e32 v16, 31, v16
	v_xor_b32_e32 v8, s0, v8
	v_lshlrev_b32_e32 v2, 24, v2
	v_and_b32_e32 v6, v6, v7
	v_cmp_gt_i32_e64 s0, 0, v19
	v_not_b32_e32 v7, v20
	v_ashrrev_i32_e32 v17, 31, v17
	v_xor_b32_e32 v16, vcc_lo, v16
	v_and_b32_e32 v6, v6, v8
	v_cmp_gt_i32_e32 vcc_lo, 0, v20
	v_not_b32_e32 v8, v2
	v_ashrrev_i32_e32 v7, 31, v7
	v_xor_b32_e32 v17, s0, v17
	v_and_b32_e32 v6, v6, v16
	v_cmp_gt_i32_e64 s0, 0, v2
	v_ashrrev_i32_e32 v2, 31, v8
	v_xor_b32_e32 v7, vcc_lo, v7
	v_add_nc_u32_e32 v19, v1, v5
	v_and_b32_e32 v6, v6, v17
	v_xor_b32_e32 v2, s0, v2
	ds_read_b32 v16, v19 offset:128
	v_and_b32_e32 v5, v6, v7
	; wave barrier
	v_and_b32_e32 v2, v5, v2
	v_mbcnt_lo_u32_b32 v18, v2, 0
	v_cmp_ne_u32_e64 s0, 0, v2
	v_cmp_eq_u32_e32 vcc_lo, 0, v18
	s_and_b32 s1, s0, vcc_lo
	s_and_saveexec_b32 s0, s1
	s_cbranch_execz .LBB380_53
; %bb.52:
	s_waitcnt lgkmcnt(0)
	v_bcnt_u32_b32 v2, v2, v16
	ds_write_b32 v19, v2 offset:128
.LBB380_53:
	s_or_b32 exec_lo, exec_lo, s0
	v_xor_b32_e32 v17, 0x7fffffff, v4
	; wave barrier
	v_lshrrev_b32_e32 v2, s20, v17
	v_and_b32_e32 v2, s8, v2
	v_and_b32_e32 v5, 1, v2
	v_lshlrev_b32_e32 v6, 30, v2
	v_lshlrev_b32_e32 v7, 29, v2
	;; [unrolled: 1-line block ×4, first 2 shown]
	v_add_co_u32 v5, s0, v5, -1
	v_cndmask_b32_e64 v20, 0, 1, s0
	v_not_b32_e32 v24, v6
	v_cmp_gt_i32_e64 s0, 0, v6
	v_not_b32_e32 v6, v7
	v_lshlrev_b32_e32 v22, 26, v2
	v_cmp_ne_u32_e32 vcc_lo, 0, v20
	v_ashrrev_i32_e32 v20, 31, v24
	v_lshlrev_b32_e32 v23, 25, v2
	v_ashrrev_i32_e32 v6, 31, v6
	v_mul_lo_u32 v4, 0x84, v2
	v_xor_b32_e32 v5, vcc_lo, v5
	v_cmp_gt_i32_e32 vcc_lo, 0, v7
	v_not_b32_e32 v7, v8
	v_xor_b32_e32 v20, s0, v20
	v_cmp_gt_i32_e64 s0, 0, v8
	v_and_b32_e32 v5, exec_lo, v5
	v_not_b32_e32 v8, v21
	v_ashrrev_i32_e32 v7, 31, v7
	v_xor_b32_e32 v6, vcc_lo, v6
	v_cmp_gt_i32_e32 vcc_lo, 0, v21
	v_and_b32_e32 v5, v5, v20
	v_not_b32_e32 v20, v22
	v_ashrrev_i32_e32 v8, 31, v8
	v_xor_b32_e32 v7, s0, v7
	v_lshlrev_b32_e32 v2, 24, v2
	v_and_b32_e32 v5, v5, v6
	v_cmp_gt_i32_e64 s0, 0, v22
	v_not_b32_e32 v6, v23
	v_ashrrev_i32_e32 v20, 31, v20
	v_xor_b32_e32 v8, vcc_lo, v8
	v_and_b32_e32 v5, v5, v7
	v_cmp_gt_i32_e32 vcc_lo, 0, v23
	v_not_b32_e32 v7, v2
	v_ashrrev_i32_e32 v6, 31, v6
	v_xor_b32_e32 v20, s0, v20
	v_and_b32_e32 v5, v5, v8
	v_cmp_gt_i32_e64 s0, 0, v2
	v_ashrrev_i32_e32 v2, 31, v7
	v_xor_b32_e32 v6, vcc_lo, v6
	v_add_nc_u32_e32 v23, v1, v4
	v_and_b32_e32 v5, v5, v20
	v_xor_b32_e32 v2, s0, v2
	ds_read_b32 v20, v23 offset:128
	v_and_b32_e32 v4, v5, v6
	; wave barrier
	v_and_b32_e32 v2, v4, v2
	v_mbcnt_lo_u32_b32 v22, v2, 0
	v_cmp_ne_u32_e64 s0, 0, v2
	v_cmp_eq_u32_e32 vcc_lo, 0, v22
	s_and_b32 s1, s0, vcc_lo
	s_and_saveexec_b32 s0, s1
	s_cbranch_execz .LBB380_55
; %bb.54:
	s_waitcnt lgkmcnt(0)
	v_bcnt_u32_b32 v2, v2, v20
	ds_write_b32 v23, v2 offset:128
.LBB380_55:
	s_or_b32 exec_lo, exec_lo, s0
	v_xor_b32_e32 v21, 0x7fffffff, v3
	; wave barrier
	v_lshrrev_b32_e32 v2, s20, v21
	v_and_b32_e32 v2, s8, v2
	v_and_b32_e32 v4, 1, v2
	v_lshlrev_b32_e32 v5, 30, v2
	v_lshlrev_b32_e32 v6, 29, v2
	;; [unrolled: 1-line block ×4, first 2 shown]
	v_add_co_u32 v4, s0, v4, -1
	v_cndmask_b32_e64 v8, 0, 1, s0
	v_not_b32_e32 v27, v5
	v_cmp_gt_i32_e64 s0, 0, v5
	v_not_b32_e32 v5, v6
	v_lshlrev_b32_e32 v25, 26, v2
	v_cmp_ne_u32_e32 vcc_lo, 0, v8
	v_ashrrev_i32_e32 v8, 31, v27
	v_lshlrev_b32_e32 v26, 25, v2
	v_ashrrev_i32_e32 v5, 31, v5
	v_mul_lo_u32 v3, 0x84, v2
	v_xor_b32_e32 v4, vcc_lo, v4
	v_cmp_gt_i32_e32 vcc_lo, 0, v6
	v_not_b32_e32 v6, v7
	v_xor_b32_e32 v8, s0, v8
	v_cmp_gt_i32_e64 s0, 0, v7
	v_and_b32_e32 v4, exec_lo, v4
	v_not_b32_e32 v7, v24
	v_ashrrev_i32_e32 v6, 31, v6
	v_xor_b32_e32 v5, vcc_lo, v5
	v_cmp_gt_i32_e32 vcc_lo, 0, v24
	v_and_b32_e32 v4, v4, v8
	v_not_b32_e32 v8, v25
	v_ashrrev_i32_e32 v7, 31, v7
	v_xor_b32_e32 v6, s0, v6
	v_lshlrev_b32_e32 v2, 24, v2
	v_and_b32_e32 v4, v4, v5
	v_cmp_gt_i32_e64 s0, 0, v25
	v_not_b32_e32 v5, v26
	v_ashrrev_i32_e32 v8, 31, v8
	v_xor_b32_e32 v7, vcc_lo, v7
	v_and_b32_e32 v4, v4, v6
	v_cmp_gt_i32_e32 vcc_lo, 0, v26
	v_not_b32_e32 v6, v2
	v_ashrrev_i32_e32 v5, 31, v5
	v_xor_b32_e32 v8, s0, v8
	v_and_b32_e32 v4, v4, v7
	v_cmp_gt_i32_e64 s0, 0, v2
	v_ashrrev_i32_e32 v2, 31, v6
	v_xor_b32_e32 v5, vcc_lo, v5
	v_add_nc_u32_e32 v26, v1, v3
	v_and_b32_e32 v4, v4, v8
	v_xor_b32_e32 v1, s0, v2
	ds_read_b32 v24, v26 offset:128
	v_and_b32_e32 v2, v4, v5
	; wave barrier
	v_and_b32_e32 v1, v2, v1
	v_mbcnt_lo_u32_b32 v25, v1, 0
	v_cmp_ne_u32_e64 s0, 0, v1
	v_cmp_eq_u32_e32 vcc_lo, 0, v25
	s_and_b32 s1, s0, vcc_lo
	s_and_saveexec_b32 s0, s1
	s_cbranch_execz .LBB380_57
; %bb.56:
	s_waitcnt lgkmcnt(0)
	v_bcnt_u32_b32 v1, v1, v24
	ds_write_b32 v26, v1 offset:128
.LBB380_57:
	s_or_b32 exec_lo, exec_lo, s0
	; wave barrier
	s_waitcnt lgkmcnt(0)
	s_barrier
	buffer_gl0_inv
	ds_read2_b32 v[7:8], v14 offset0:32 offset1:33
	ds_read2_b32 v[5:6], v14 offset0:34 offset1:35
	;; [unrolled: 1-line block ×4, first 2 shown]
	ds_read_b32 v27, v14 offset:160
	v_and_b32_e32 v30, 16, v12
	v_and_b32_e32 v31, 31, v0
	s_mov_b32 s5, exec_lo
	v_cmp_eq_u32_e64 s3, 0, v30
	s_waitcnt lgkmcnt(3)
	v_add3_u32 v28, v8, v7, v5
	s_waitcnt lgkmcnt(2)
	v_add3_u32 v28, v28, v6, v3
	;; [unrolled: 2-line block ×4, first 2 shown]
	v_and_b32_e32 v28, 15, v12
	v_mov_b32_dpp v29, v27 row_shr:1 row_mask:0xf bank_mask:0xf
	v_cmp_eq_u32_e32 vcc_lo, 0, v28
	v_cmp_lt_u32_e64 s0, 1, v28
	v_cmp_lt_u32_e64 s1, 3, v28
	;; [unrolled: 1-line block ×3, first 2 shown]
	v_cndmask_b32_e64 v29, v29, 0, vcc_lo
	v_add_nc_u32_e32 v27, v29, v27
	v_mov_b32_dpp v29, v27 row_shr:2 row_mask:0xf bank_mask:0xf
	v_cndmask_b32_e64 v29, 0, v29, s0
	v_add_nc_u32_e32 v27, v27, v29
	v_mov_b32_dpp v29, v27 row_shr:4 row_mask:0xf bank_mask:0xf
	v_cndmask_b32_e64 v29, 0, v29, s1
	;; [unrolled: 3-line block ×3, first 2 shown]
	v_bfe_i32 v29, v12, 4, 1
	v_add_nc_u32_e32 v27, v27, v28
	ds_swizzle_b32 v28, v27 offset:swizzle(BROADCAST,32,15)
	s_waitcnt lgkmcnt(0)
	v_and_b32_e32 v29, v29, v28
	v_lshrrev_b32_e32 v28, 5, v0
	v_add_nc_u32_e32 v27, v27, v29
	v_cmpx_eq_u32_e32 31, v31
; %bb.58:
	v_lshlrev_b32_e32 v29, 2, v28
	ds_write_b32 v29, v27
; %bb.59:
	s_or_b32 exec_lo, exec_lo, s5
	v_cmp_lt_u32_e64 s4, 31, v0
	s_mov_b32 s9, exec_lo
	s_waitcnt lgkmcnt(0)
	s_barrier
	buffer_gl0_inv
	v_cmpx_gt_u32_e32 32, v0
	s_cbranch_execz .LBB380_61
; %bb.60:
	ds_read_b32 v29, v11
	s_waitcnt lgkmcnt(0)
	v_mov_b32_dpp v30, v29 row_shr:1 row_mask:0xf bank_mask:0xf
	v_cndmask_b32_e64 v30, v30, 0, vcc_lo
	v_add_nc_u32_e32 v29, v30, v29
	v_mov_b32_dpp v30, v29 row_shr:2 row_mask:0xf bank_mask:0xf
	v_cndmask_b32_e64 v30, 0, v30, s0
	v_add_nc_u32_e32 v29, v29, v30
	v_mov_b32_dpp v30, v29 row_shr:4 row_mask:0xf bank_mask:0xf
	v_cndmask_b32_e64 v30, 0, v30, s1
	;; [unrolled: 3-line block ×3, first 2 shown]
	v_add_nc_u32_e32 v29, v29, v30
	ds_swizzle_b32 v30, v29 offset:swizzle(BROADCAST,32,15)
	s_waitcnt lgkmcnt(0)
	v_cndmask_b32_e64 v30, v30, 0, s3
	v_add_nc_u32_e32 v29, v29, v30
	ds_write_b32 v11, v29
.LBB380_61:
	s_or_b32 exec_lo, exec_lo, s9
	v_mov_b32_e32 v29, 0
	s_waitcnt lgkmcnt(0)
	s_barrier
	buffer_gl0_inv
	s_and_saveexec_b32 s0, s4
; %bb.62:
	v_lshl_add_u32 v28, v28, 2, -4
	ds_read_b32 v29, v28
; %bb.63:
	s_or_b32 exec_lo, exec_lo, s0
	v_sub_co_u32 v28, vcc_lo, v12, 1
	s_waitcnt lgkmcnt(0)
	v_add_nc_u32_e32 v27, v29, v27
	v_cmp_gt_i32_e64 s0, 0, v28
	v_cndmask_b32_e64 v12, v28, v12, s0
	v_cmp_gt_u32_e64 s0, 0x100, v0
	v_lshlrev_b32_e32 v12, 2, v12
	ds_bpermute_b32 v12, v12, v27
	s_waitcnt lgkmcnt(0)
	v_cndmask_b32_e32 v12, v12, v29, vcc_lo
	v_cmp_ne_u32_e32 vcc_lo, 0, v0
	v_cndmask_b32_e32 v12, 0, v12, vcc_lo
	v_cmp_lt_u32_e32 vcc_lo, 0xff, v0
	v_add_nc_u32_e32 v7, v12, v7
	v_add_nc_u32_e32 v8, v7, v8
	;; [unrolled: 1-line block ×8, first 2 shown]
	ds_write2_b32 v14, v12, v7 offset0:32 offset1:33
	ds_write2_b32 v14, v8, v5 offset0:34 offset1:35
	ds_write2_b32 v14, v6, v3 offset0:36 offset1:37
	ds_write2_b32 v14, v4, v1 offset0:38 offset1:39
	ds_write_b32 v14, v2 offset:160
	s_waitcnt lgkmcnt(0)
	s_barrier
	buffer_gl0_inv
	ds_read_b32 v1, v15 offset:128
	ds_read_b32 v4, v19 offset:128
	;; [unrolled: 1-line block ×4, first 2 shown]
                                        ; implicit-def: $vgpr7
                                        ; implicit-def: $vgpr8
	s_and_saveexec_b32 s2, s0
	s_cbranch_execz .LBB380_67
; %bb.64:
	v_mul_u32_u24_e32 v5, 0x84, v0
	v_add_nc_u32_e32 v6, 1, v0
	s_mov_b32 s3, exec_lo
	ds_read_b32 v7, v5 offset:128
	v_mov_b32_e32 v5, 0x1000
	v_cmpx_ne_u32_e32 0x100, v6
; %bb.65:
	v_mul_u32_u24_e32 v5, 0x84, v6
	ds_read_b32 v5, v5 offset:128
; %bb.66:
	s_or_b32 exec_lo, exec_lo, s3
	s_waitcnt lgkmcnt(0)
	v_sub_nc_u32_e32 v8, v5, v7
.LBB380_67:
	s_or_b32 exec_lo, exec_lo, s2
	v_lshlrev_b32_e32 v5, 2, v10
	v_lshlrev_b32_e32 v10, 2, v16
	;; [unrolled: 1-line block ×4, first 2 shown]
	s_waitcnt lgkmcnt(0)
	v_lshlrev_b32_e32 v2, 2, v2
	v_lshlrev_b32_e32 v6, 2, v18
	;; [unrolled: 1-line block ×6, first 2 shown]
	v_lshl_add_u32 v1, v1, 2, v5
	v_add3_u32 v5, v15, v16, v2
	v_mov_b32_e32 v2, 0
	v_add3_u32 v4, v6, v10, v4
	v_add3_u32 v3, v12, v14, v3
	s_barrier
	buffer_gl0_inv
	ds_write_b32 v1, v9 offset:1024
	ds_write_b32 v4, v13 offset:1024
	;; [unrolled: 1-line block ×4, first 2 shown]
	s_and_saveexec_b32 s1, s0
	s_cbranch_execz .LBB380_77
; %bb.68:
	v_lshl_add_u32 v1, s6, 8, v0
	v_mov_b32_e32 v9, 0
	s_mov_b32 s2, 0
	s_mov_b32 s3, s6
	v_lshlrev_b64 v[3:4], 2, v[1:2]
	v_or_b32_e32 v1, 2.0, v8
	v_add_co_u32 v3, s0, s10, v3
	v_add_co_ci_u32_e64 v4, null, s11, v4, s0
                                        ; implicit-def: $sgpr0
	global_store_dword v[3:4], v1, off
	s_branch .LBB380_71
	.p2align	6
.LBB380_69:                             ;   in Loop: Header=BB380_71 Depth=1
	s_or_b32 exec_lo, exec_lo, s5
.LBB380_70:                             ;   in Loop: Header=BB380_71 Depth=1
	s_or_b32 exec_lo, exec_lo, s4
	v_and_b32_e32 v5, 0x3fffffff, v1
	v_cmp_gt_i32_e64 s0, -2.0, v1
	v_add_nc_u32_e32 v9, v5, v9
	s_and_b32 s4, exec_lo, s0
	s_or_b32 s2, s4, s2
	s_andn2_b32 exec_lo, exec_lo, s2
	s_cbranch_execz .LBB380_76
.LBB380_71:                             ; =>This Loop Header: Depth=1
                                        ;     Child Loop BB380_74 Depth 2
	s_or_b32 s0, s0, exec_lo
	s_cmp_eq_u32 s3, 0
	s_cbranch_scc1 .LBB380_75
; %bb.72:                               ;   in Loop: Header=BB380_71 Depth=1
	s_add_i32 s3, s3, -1
	s_mov_b32 s4, exec_lo
	v_lshl_or_b32 v1, s3, 8, v0
	v_lshlrev_b64 v[5:6], 2, v[1:2]
	v_add_co_u32 v5, s0, s10, v5
	v_add_co_ci_u32_e64 v6, null, s11, v6, s0
	global_load_dword v1, v[5:6], off glc dlc
	s_waitcnt vmcnt(0)
	v_cmpx_gt_u32_e32 2.0, v1
	s_cbranch_execz .LBB380_70
; %bb.73:                               ;   in Loop: Header=BB380_71 Depth=1
	s_mov_b32 s5, 0
.LBB380_74:                             ;   Parent Loop BB380_71 Depth=1
                                        ; =>  This Inner Loop Header: Depth=2
	global_load_dword v1, v[5:6], off glc dlc
	s_waitcnt vmcnt(0)
	v_cmp_lt_u32_e64 s0, 0x3fffffff, v1
	s_or_b32 s5, s0, s5
	s_andn2_b32 exec_lo, exec_lo, s5
	s_cbranch_execnz .LBB380_74
	s_branch .LBB380_69
.LBB380_75:                             ;   in Loop: Header=BB380_71 Depth=1
                                        ; implicit-def: $sgpr3
	s_and_b32 s4, exec_lo, s0
	s_or_b32 s2, s4, s2
	s_andn2_b32 exec_lo, exec_lo, s2
	s_cbranch_execnz .LBB380_71
.LBB380_76:
	s_or_b32 exec_lo, exec_lo, s2
	v_add_nc_u32_e32 v1, v9, v8
	v_sub_nc_u32_e32 v2, v9, v7
	v_or_b32_e32 v1, 0x80000000, v1
	global_store_dword v[3:4], v1, off
	global_load_dword v1, v11, s[12:13]
	s_waitcnt vmcnt(0)
	v_add_nc_u32_e32 v1, v2, v1
	ds_write_b32 v11, v1
.LBB380_77:
	s_or_b32 exec_lo, exec_lo, s1
	s_waitcnt lgkmcnt(0)
	s_waitcnt_vscnt null, 0x0
	s_barrier
	buffer_gl0_inv
	ds_read2st64_b32 v[1:2], v11 offset0:4 offset1:20
	ds_read2st64_b32 v[3:4], v11 offset0:36 offset1:52
	s_add_i32 s7, s7, -1
	s_cmp_eq_u32 s6, s7
	s_waitcnt lgkmcnt(1)
	v_lshrrev_b32_e32 v5, s20, v1
	v_lshrrev_b32_e32 v6, s20, v2
	s_waitcnt lgkmcnt(0)
	v_lshrrev_b32_e32 v9, s20, v3
	v_lshrrev_b32_e32 v10, s20, v4
	v_xor_b32_e32 v15, 0x7fffffff, v1
	v_and_b32_e32 v5, s8, v5
	v_and_b32_e32 v6, s8, v6
	v_and_b32_e32 v9, s8, v9
	v_xor_b32_e32 v16, 0x7fffffff, v2
	v_xor_b32_e32 v4, 0x7fffffff, v4
	v_lshlrev_b32_e32 v5, 2, v5
	v_lshlrev_b32_e32 v6, 2, v6
	ds_read_b32 v5, v5
	ds_read_b32 v12, v6
	v_lshlrev_b32_e32 v6, 2, v9
	v_and_b32_e32 v9, s8, v10
	ds_read_b32 v13, v6
	v_lshlrev_b32_e32 v6, 2, v9
	ds_read_b32 v14, v6
	v_mov_b32_e32 v6, 0
	s_waitcnt lgkmcnt(3)
	v_add_nc_u32_e32 v5, v5, v0
	v_lshlrev_b64 v[9:10], 2, v[5:6]
	s_waitcnt lgkmcnt(2)
	v_add3_u32 v5, v12, v0, 0x400
	v_lshlrev_b64 v[1:2], 2, v[5:6]
	s_waitcnt lgkmcnt(1)
	v_add3_u32 v5, v13, v0, 0x800
	v_add_co_u32 v9, s0, s18, v9
	v_add_co_ci_u32_e64 v10, null, s19, v10, s0
	v_lshlrev_b64 v[12:13], 2, v[5:6]
	s_waitcnt lgkmcnt(0)
	v_add3_u32 v5, v14, v0, 0xc00
	v_add_co_u32 v0, s0, s18, v1
	v_add_co_ci_u32_e64 v1, null, s19, v2, s0
	v_xor_b32_e32 v14, 0x7fffffff, v3
	v_lshlrev_b64 v[2:3], 2, v[5:6]
	global_store_dword v[9:10], v15, off
	global_store_dword v[0:1], v16, off
	v_add_co_u32 v0, s0, s18, v12
	v_add_co_ci_u32_e64 v1, null, s19, v13, s0
	v_add_co_u32 v2, s0, s18, v2
	v_add_co_ci_u32_e64 v3, null, s19, v3, s0
	s_cselect_b32 s0, -1, 0
	s_xor_b32 s1, vcc_lo, -1
	global_store_dword v[0:1], v14, off
	s_and_b32 s0, s1, s0
	global_store_dword v[2:3], v4, off
	s_and_saveexec_b32 s1, s0
	s_cbranch_execz .LBB380_79
; %bb.78:
	ds_read_b32 v0, v11
	s_waitcnt lgkmcnt(0)
	v_add3_u32 v0, v7, v8, v0
	global_store_dword v11, v0, s[14:15]
.LBB380_79:
	s_endpgm
	.section	.rodata,"a",@progbits
	.p2align	6, 0x0
	.amdhsa_kernel _ZN7rocprim17ROCPRIM_400000_NS6detail17trampoline_kernelINS0_14default_configENS1_35radix_sort_onesweep_config_selectorIiNS0_10empty_typeEEEZZNS1_29radix_sort_onesweep_iterationIS3_Lb1EN6thrust23THRUST_200600_302600_NS6detail15normal_iteratorINS9_10device_ptrIiEEEESE_PS5_SF_jNS0_19identity_decomposerENS1_16block_id_wrapperIjLb0EEEEE10hipError_tT1_PNSt15iterator_traitsISK_E10value_typeET2_T3_PNSL_ISQ_E10value_typeET4_T5_PSV_SW_PNS1_23onesweep_lookback_stateEbbT6_jjT7_P12ihipStream_tbENKUlT_T0_SK_SP_E_clISE_PiSF_SF_EEDaS13_S14_SK_SP_EUlS13_E_NS1_11comp_targetILNS1_3genE8ELNS1_11target_archE1030ELNS1_3gpuE2ELNS1_3repE0EEENS1_47radix_sort_onesweep_sort_config_static_selectorELNS0_4arch9wavefront6targetE0EEEvSK_
		.amdhsa_group_segment_fixed_size 37000
		.amdhsa_private_segment_fixed_size 0
		.amdhsa_kernarg_size 344
		.amdhsa_user_sgpr_count 6
		.amdhsa_user_sgpr_private_segment_buffer 1
		.amdhsa_user_sgpr_dispatch_ptr 0
		.amdhsa_user_sgpr_queue_ptr 0
		.amdhsa_user_sgpr_kernarg_segment_ptr 1
		.amdhsa_user_sgpr_dispatch_id 0
		.amdhsa_user_sgpr_flat_scratch_init 0
		.amdhsa_user_sgpr_private_segment_size 0
		.amdhsa_wavefront_size32 1
		.amdhsa_uses_dynamic_stack 0
		.amdhsa_system_sgpr_private_segment_wavefront_offset 0
		.amdhsa_system_sgpr_workgroup_id_x 1
		.amdhsa_system_sgpr_workgroup_id_y 0
		.amdhsa_system_sgpr_workgroup_id_z 0
		.amdhsa_system_sgpr_workgroup_info 0
		.amdhsa_system_vgpr_workitem_id 2
		.amdhsa_next_free_vgpr 34
		.amdhsa_next_free_sgpr 25
		.amdhsa_reserve_vcc 1
		.amdhsa_reserve_flat_scratch 0
		.amdhsa_float_round_mode_32 0
		.amdhsa_float_round_mode_16_64 0
		.amdhsa_float_denorm_mode_32 3
		.amdhsa_float_denorm_mode_16_64 3
		.amdhsa_dx10_clamp 1
		.amdhsa_ieee_mode 1
		.amdhsa_fp16_overflow 0
		.amdhsa_workgroup_processor_mode 1
		.amdhsa_memory_ordered 1
		.amdhsa_forward_progress 1
		.amdhsa_shared_vgpr_count 0
		.amdhsa_exception_fp_ieee_invalid_op 0
		.amdhsa_exception_fp_denorm_src 0
		.amdhsa_exception_fp_ieee_div_zero 0
		.amdhsa_exception_fp_ieee_overflow 0
		.amdhsa_exception_fp_ieee_underflow 0
		.amdhsa_exception_fp_ieee_inexact 0
		.amdhsa_exception_int_div_zero 0
	.end_amdhsa_kernel
	.section	.text._ZN7rocprim17ROCPRIM_400000_NS6detail17trampoline_kernelINS0_14default_configENS1_35radix_sort_onesweep_config_selectorIiNS0_10empty_typeEEEZZNS1_29radix_sort_onesweep_iterationIS3_Lb1EN6thrust23THRUST_200600_302600_NS6detail15normal_iteratorINS9_10device_ptrIiEEEESE_PS5_SF_jNS0_19identity_decomposerENS1_16block_id_wrapperIjLb0EEEEE10hipError_tT1_PNSt15iterator_traitsISK_E10value_typeET2_T3_PNSL_ISQ_E10value_typeET4_T5_PSV_SW_PNS1_23onesweep_lookback_stateEbbT6_jjT7_P12ihipStream_tbENKUlT_T0_SK_SP_E_clISE_PiSF_SF_EEDaS13_S14_SK_SP_EUlS13_E_NS1_11comp_targetILNS1_3genE8ELNS1_11target_archE1030ELNS1_3gpuE2ELNS1_3repE0EEENS1_47radix_sort_onesweep_sort_config_static_selectorELNS0_4arch9wavefront6targetE0EEEvSK_,"axG",@progbits,_ZN7rocprim17ROCPRIM_400000_NS6detail17trampoline_kernelINS0_14default_configENS1_35radix_sort_onesweep_config_selectorIiNS0_10empty_typeEEEZZNS1_29radix_sort_onesweep_iterationIS3_Lb1EN6thrust23THRUST_200600_302600_NS6detail15normal_iteratorINS9_10device_ptrIiEEEESE_PS5_SF_jNS0_19identity_decomposerENS1_16block_id_wrapperIjLb0EEEEE10hipError_tT1_PNSt15iterator_traitsISK_E10value_typeET2_T3_PNSL_ISQ_E10value_typeET4_T5_PSV_SW_PNS1_23onesweep_lookback_stateEbbT6_jjT7_P12ihipStream_tbENKUlT_T0_SK_SP_E_clISE_PiSF_SF_EEDaS13_S14_SK_SP_EUlS13_E_NS1_11comp_targetILNS1_3genE8ELNS1_11target_archE1030ELNS1_3gpuE2ELNS1_3repE0EEENS1_47radix_sort_onesweep_sort_config_static_selectorELNS0_4arch9wavefront6targetE0EEEvSK_,comdat
.Lfunc_end380:
	.size	_ZN7rocprim17ROCPRIM_400000_NS6detail17trampoline_kernelINS0_14default_configENS1_35radix_sort_onesweep_config_selectorIiNS0_10empty_typeEEEZZNS1_29radix_sort_onesweep_iterationIS3_Lb1EN6thrust23THRUST_200600_302600_NS6detail15normal_iteratorINS9_10device_ptrIiEEEESE_PS5_SF_jNS0_19identity_decomposerENS1_16block_id_wrapperIjLb0EEEEE10hipError_tT1_PNSt15iterator_traitsISK_E10value_typeET2_T3_PNSL_ISQ_E10value_typeET4_T5_PSV_SW_PNS1_23onesweep_lookback_stateEbbT6_jjT7_P12ihipStream_tbENKUlT_T0_SK_SP_E_clISE_PiSF_SF_EEDaS13_S14_SK_SP_EUlS13_E_NS1_11comp_targetILNS1_3genE8ELNS1_11target_archE1030ELNS1_3gpuE2ELNS1_3repE0EEENS1_47radix_sort_onesweep_sort_config_static_selectorELNS0_4arch9wavefront6targetE0EEEvSK_, .Lfunc_end380-_ZN7rocprim17ROCPRIM_400000_NS6detail17trampoline_kernelINS0_14default_configENS1_35radix_sort_onesweep_config_selectorIiNS0_10empty_typeEEEZZNS1_29radix_sort_onesweep_iterationIS3_Lb1EN6thrust23THRUST_200600_302600_NS6detail15normal_iteratorINS9_10device_ptrIiEEEESE_PS5_SF_jNS0_19identity_decomposerENS1_16block_id_wrapperIjLb0EEEEE10hipError_tT1_PNSt15iterator_traitsISK_E10value_typeET2_T3_PNSL_ISQ_E10value_typeET4_T5_PSV_SW_PNS1_23onesweep_lookback_stateEbbT6_jjT7_P12ihipStream_tbENKUlT_T0_SK_SP_E_clISE_PiSF_SF_EEDaS13_S14_SK_SP_EUlS13_E_NS1_11comp_targetILNS1_3genE8ELNS1_11target_archE1030ELNS1_3gpuE2ELNS1_3repE0EEENS1_47radix_sort_onesweep_sort_config_static_selectorELNS0_4arch9wavefront6targetE0EEEvSK_
                                        ; -- End function
	.set _ZN7rocprim17ROCPRIM_400000_NS6detail17trampoline_kernelINS0_14default_configENS1_35radix_sort_onesweep_config_selectorIiNS0_10empty_typeEEEZZNS1_29radix_sort_onesweep_iterationIS3_Lb1EN6thrust23THRUST_200600_302600_NS6detail15normal_iteratorINS9_10device_ptrIiEEEESE_PS5_SF_jNS0_19identity_decomposerENS1_16block_id_wrapperIjLb0EEEEE10hipError_tT1_PNSt15iterator_traitsISK_E10value_typeET2_T3_PNSL_ISQ_E10value_typeET4_T5_PSV_SW_PNS1_23onesweep_lookback_stateEbbT6_jjT7_P12ihipStream_tbENKUlT_T0_SK_SP_E_clISE_PiSF_SF_EEDaS13_S14_SK_SP_EUlS13_E_NS1_11comp_targetILNS1_3genE8ELNS1_11target_archE1030ELNS1_3gpuE2ELNS1_3repE0EEENS1_47radix_sort_onesweep_sort_config_static_selectorELNS0_4arch9wavefront6targetE0EEEvSK_.num_vgpr, 34
	.set _ZN7rocprim17ROCPRIM_400000_NS6detail17trampoline_kernelINS0_14default_configENS1_35radix_sort_onesweep_config_selectorIiNS0_10empty_typeEEEZZNS1_29radix_sort_onesweep_iterationIS3_Lb1EN6thrust23THRUST_200600_302600_NS6detail15normal_iteratorINS9_10device_ptrIiEEEESE_PS5_SF_jNS0_19identity_decomposerENS1_16block_id_wrapperIjLb0EEEEE10hipError_tT1_PNSt15iterator_traitsISK_E10value_typeET2_T3_PNSL_ISQ_E10value_typeET4_T5_PSV_SW_PNS1_23onesweep_lookback_stateEbbT6_jjT7_P12ihipStream_tbENKUlT_T0_SK_SP_E_clISE_PiSF_SF_EEDaS13_S14_SK_SP_EUlS13_E_NS1_11comp_targetILNS1_3genE8ELNS1_11target_archE1030ELNS1_3gpuE2ELNS1_3repE0EEENS1_47radix_sort_onesweep_sort_config_static_selectorELNS0_4arch9wavefront6targetE0EEEvSK_.num_agpr, 0
	.set _ZN7rocprim17ROCPRIM_400000_NS6detail17trampoline_kernelINS0_14default_configENS1_35radix_sort_onesweep_config_selectorIiNS0_10empty_typeEEEZZNS1_29radix_sort_onesweep_iterationIS3_Lb1EN6thrust23THRUST_200600_302600_NS6detail15normal_iteratorINS9_10device_ptrIiEEEESE_PS5_SF_jNS0_19identity_decomposerENS1_16block_id_wrapperIjLb0EEEEE10hipError_tT1_PNSt15iterator_traitsISK_E10value_typeET2_T3_PNSL_ISQ_E10value_typeET4_T5_PSV_SW_PNS1_23onesweep_lookback_stateEbbT6_jjT7_P12ihipStream_tbENKUlT_T0_SK_SP_E_clISE_PiSF_SF_EEDaS13_S14_SK_SP_EUlS13_E_NS1_11comp_targetILNS1_3genE8ELNS1_11target_archE1030ELNS1_3gpuE2ELNS1_3repE0EEENS1_47radix_sort_onesweep_sort_config_static_selectorELNS0_4arch9wavefront6targetE0EEEvSK_.numbered_sgpr, 25
	.set _ZN7rocprim17ROCPRIM_400000_NS6detail17trampoline_kernelINS0_14default_configENS1_35radix_sort_onesweep_config_selectorIiNS0_10empty_typeEEEZZNS1_29radix_sort_onesweep_iterationIS3_Lb1EN6thrust23THRUST_200600_302600_NS6detail15normal_iteratorINS9_10device_ptrIiEEEESE_PS5_SF_jNS0_19identity_decomposerENS1_16block_id_wrapperIjLb0EEEEE10hipError_tT1_PNSt15iterator_traitsISK_E10value_typeET2_T3_PNSL_ISQ_E10value_typeET4_T5_PSV_SW_PNS1_23onesweep_lookback_stateEbbT6_jjT7_P12ihipStream_tbENKUlT_T0_SK_SP_E_clISE_PiSF_SF_EEDaS13_S14_SK_SP_EUlS13_E_NS1_11comp_targetILNS1_3genE8ELNS1_11target_archE1030ELNS1_3gpuE2ELNS1_3repE0EEENS1_47radix_sort_onesweep_sort_config_static_selectorELNS0_4arch9wavefront6targetE0EEEvSK_.num_named_barrier, 0
	.set _ZN7rocprim17ROCPRIM_400000_NS6detail17trampoline_kernelINS0_14default_configENS1_35radix_sort_onesweep_config_selectorIiNS0_10empty_typeEEEZZNS1_29radix_sort_onesweep_iterationIS3_Lb1EN6thrust23THRUST_200600_302600_NS6detail15normal_iteratorINS9_10device_ptrIiEEEESE_PS5_SF_jNS0_19identity_decomposerENS1_16block_id_wrapperIjLb0EEEEE10hipError_tT1_PNSt15iterator_traitsISK_E10value_typeET2_T3_PNSL_ISQ_E10value_typeET4_T5_PSV_SW_PNS1_23onesweep_lookback_stateEbbT6_jjT7_P12ihipStream_tbENKUlT_T0_SK_SP_E_clISE_PiSF_SF_EEDaS13_S14_SK_SP_EUlS13_E_NS1_11comp_targetILNS1_3genE8ELNS1_11target_archE1030ELNS1_3gpuE2ELNS1_3repE0EEENS1_47radix_sort_onesweep_sort_config_static_selectorELNS0_4arch9wavefront6targetE0EEEvSK_.private_seg_size, 0
	.set _ZN7rocprim17ROCPRIM_400000_NS6detail17trampoline_kernelINS0_14default_configENS1_35radix_sort_onesweep_config_selectorIiNS0_10empty_typeEEEZZNS1_29radix_sort_onesweep_iterationIS3_Lb1EN6thrust23THRUST_200600_302600_NS6detail15normal_iteratorINS9_10device_ptrIiEEEESE_PS5_SF_jNS0_19identity_decomposerENS1_16block_id_wrapperIjLb0EEEEE10hipError_tT1_PNSt15iterator_traitsISK_E10value_typeET2_T3_PNSL_ISQ_E10value_typeET4_T5_PSV_SW_PNS1_23onesweep_lookback_stateEbbT6_jjT7_P12ihipStream_tbENKUlT_T0_SK_SP_E_clISE_PiSF_SF_EEDaS13_S14_SK_SP_EUlS13_E_NS1_11comp_targetILNS1_3genE8ELNS1_11target_archE1030ELNS1_3gpuE2ELNS1_3repE0EEENS1_47radix_sort_onesweep_sort_config_static_selectorELNS0_4arch9wavefront6targetE0EEEvSK_.uses_vcc, 1
	.set _ZN7rocprim17ROCPRIM_400000_NS6detail17trampoline_kernelINS0_14default_configENS1_35radix_sort_onesweep_config_selectorIiNS0_10empty_typeEEEZZNS1_29radix_sort_onesweep_iterationIS3_Lb1EN6thrust23THRUST_200600_302600_NS6detail15normal_iteratorINS9_10device_ptrIiEEEESE_PS5_SF_jNS0_19identity_decomposerENS1_16block_id_wrapperIjLb0EEEEE10hipError_tT1_PNSt15iterator_traitsISK_E10value_typeET2_T3_PNSL_ISQ_E10value_typeET4_T5_PSV_SW_PNS1_23onesweep_lookback_stateEbbT6_jjT7_P12ihipStream_tbENKUlT_T0_SK_SP_E_clISE_PiSF_SF_EEDaS13_S14_SK_SP_EUlS13_E_NS1_11comp_targetILNS1_3genE8ELNS1_11target_archE1030ELNS1_3gpuE2ELNS1_3repE0EEENS1_47radix_sort_onesweep_sort_config_static_selectorELNS0_4arch9wavefront6targetE0EEEvSK_.uses_flat_scratch, 0
	.set _ZN7rocprim17ROCPRIM_400000_NS6detail17trampoline_kernelINS0_14default_configENS1_35radix_sort_onesweep_config_selectorIiNS0_10empty_typeEEEZZNS1_29radix_sort_onesweep_iterationIS3_Lb1EN6thrust23THRUST_200600_302600_NS6detail15normal_iteratorINS9_10device_ptrIiEEEESE_PS5_SF_jNS0_19identity_decomposerENS1_16block_id_wrapperIjLb0EEEEE10hipError_tT1_PNSt15iterator_traitsISK_E10value_typeET2_T3_PNSL_ISQ_E10value_typeET4_T5_PSV_SW_PNS1_23onesweep_lookback_stateEbbT6_jjT7_P12ihipStream_tbENKUlT_T0_SK_SP_E_clISE_PiSF_SF_EEDaS13_S14_SK_SP_EUlS13_E_NS1_11comp_targetILNS1_3genE8ELNS1_11target_archE1030ELNS1_3gpuE2ELNS1_3repE0EEENS1_47radix_sort_onesweep_sort_config_static_selectorELNS0_4arch9wavefront6targetE0EEEvSK_.has_dyn_sized_stack, 0
	.set _ZN7rocprim17ROCPRIM_400000_NS6detail17trampoline_kernelINS0_14default_configENS1_35radix_sort_onesweep_config_selectorIiNS0_10empty_typeEEEZZNS1_29radix_sort_onesweep_iterationIS3_Lb1EN6thrust23THRUST_200600_302600_NS6detail15normal_iteratorINS9_10device_ptrIiEEEESE_PS5_SF_jNS0_19identity_decomposerENS1_16block_id_wrapperIjLb0EEEEE10hipError_tT1_PNSt15iterator_traitsISK_E10value_typeET2_T3_PNSL_ISQ_E10value_typeET4_T5_PSV_SW_PNS1_23onesweep_lookback_stateEbbT6_jjT7_P12ihipStream_tbENKUlT_T0_SK_SP_E_clISE_PiSF_SF_EEDaS13_S14_SK_SP_EUlS13_E_NS1_11comp_targetILNS1_3genE8ELNS1_11target_archE1030ELNS1_3gpuE2ELNS1_3repE0EEENS1_47radix_sort_onesweep_sort_config_static_selectorELNS0_4arch9wavefront6targetE0EEEvSK_.has_recursion, 0
	.set _ZN7rocprim17ROCPRIM_400000_NS6detail17trampoline_kernelINS0_14default_configENS1_35radix_sort_onesweep_config_selectorIiNS0_10empty_typeEEEZZNS1_29radix_sort_onesweep_iterationIS3_Lb1EN6thrust23THRUST_200600_302600_NS6detail15normal_iteratorINS9_10device_ptrIiEEEESE_PS5_SF_jNS0_19identity_decomposerENS1_16block_id_wrapperIjLb0EEEEE10hipError_tT1_PNSt15iterator_traitsISK_E10value_typeET2_T3_PNSL_ISQ_E10value_typeET4_T5_PSV_SW_PNS1_23onesweep_lookback_stateEbbT6_jjT7_P12ihipStream_tbENKUlT_T0_SK_SP_E_clISE_PiSF_SF_EEDaS13_S14_SK_SP_EUlS13_E_NS1_11comp_targetILNS1_3genE8ELNS1_11target_archE1030ELNS1_3gpuE2ELNS1_3repE0EEENS1_47radix_sort_onesweep_sort_config_static_selectorELNS0_4arch9wavefront6targetE0EEEvSK_.has_indirect_call, 0
	.section	.AMDGPU.csdata,"",@progbits
; Kernel info:
; codeLenInByte = 6652
; TotalNumSgprs: 27
; NumVgprs: 34
; ScratchSize: 0
; MemoryBound: 0
; FloatMode: 240
; IeeeMode: 1
; LDSByteSize: 37000 bytes/workgroup (compile time only)
; SGPRBlocks: 0
; VGPRBlocks: 4
; NumSGPRsForWavesPerEU: 27
; NumVGPRsForWavesPerEU: 34
; Occupancy: 16
; WaveLimiterHint : 1
; COMPUTE_PGM_RSRC2:SCRATCH_EN: 0
; COMPUTE_PGM_RSRC2:USER_SGPR: 6
; COMPUTE_PGM_RSRC2:TRAP_HANDLER: 0
; COMPUTE_PGM_RSRC2:TGID_X_EN: 1
; COMPUTE_PGM_RSRC2:TGID_Y_EN: 0
; COMPUTE_PGM_RSRC2:TGID_Z_EN: 0
; COMPUTE_PGM_RSRC2:TIDIG_COMP_CNT: 2
	.section	.text._ZN7rocprim17ROCPRIM_400000_NS6detail17trampoline_kernelINS0_14default_configENS1_35radix_sort_onesweep_config_selectorIiNS0_10empty_typeEEEZZNS1_29radix_sort_onesweep_iterationIS3_Lb1EN6thrust23THRUST_200600_302600_NS6detail15normal_iteratorINS9_10device_ptrIiEEEESE_PS5_SF_jNS0_19identity_decomposerENS1_16block_id_wrapperIjLb0EEEEE10hipError_tT1_PNSt15iterator_traitsISK_E10value_typeET2_T3_PNSL_ISQ_E10value_typeET4_T5_PSV_SW_PNS1_23onesweep_lookback_stateEbbT6_jjT7_P12ihipStream_tbENKUlT_T0_SK_SP_E_clIPiSE_SF_SF_EEDaS13_S14_SK_SP_EUlS13_E_NS1_11comp_targetILNS1_3genE0ELNS1_11target_archE4294967295ELNS1_3gpuE0ELNS1_3repE0EEENS1_47radix_sort_onesweep_sort_config_static_selectorELNS0_4arch9wavefront6targetE0EEEvSK_,"axG",@progbits,_ZN7rocprim17ROCPRIM_400000_NS6detail17trampoline_kernelINS0_14default_configENS1_35radix_sort_onesweep_config_selectorIiNS0_10empty_typeEEEZZNS1_29radix_sort_onesweep_iterationIS3_Lb1EN6thrust23THRUST_200600_302600_NS6detail15normal_iteratorINS9_10device_ptrIiEEEESE_PS5_SF_jNS0_19identity_decomposerENS1_16block_id_wrapperIjLb0EEEEE10hipError_tT1_PNSt15iterator_traitsISK_E10value_typeET2_T3_PNSL_ISQ_E10value_typeET4_T5_PSV_SW_PNS1_23onesweep_lookback_stateEbbT6_jjT7_P12ihipStream_tbENKUlT_T0_SK_SP_E_clIPiSE_SF_SF_EEDaS13_S14_SK_SP_EUlS13_E_NS1_11comp_targetILNS1_3genE0ELNS1_11target_archE4294967295ELNS1_3gpuE0ELNS1_3repE0EEENS1_47radix_sort_onesweep_sort_config_static_selectorELNS0_4arch9wavefront6targetE0EEEvSK_,comdat
	.protected	_ZN7rocprim17ROCPRIM_400000_NS6detail17trampoline_kernelINS0_14default_configENS1_35radix_sort_onesweep_config_selectorIiNS0_10empty_typeEEEZZNS1_29radix_sort_onesweep_iterationIS3_Lb1EN6thrust23THRUST_200600_302600_NS6detail15normal_iteratorINS9_10device_ptrIiEEEESE_PS5_SF_jNS0_19identity_decomposerENS1_16block_id_wrapperIjLb0EEEEE10hipError_tT1_PNSt15iterator_traitsISK_E10value_typeET2_T3_PNSL_ISQ_E10value_typeET4_T5_PSV_SW_PNS1_23onesweep_lookback_stateEbbT6_jjT7_P12ihipStream_tbENKUlT_T0_SK_SP_E_clIPiSE_SF_SF_EEDaS13_S14_SK_SP_EUlS13_E_NS1_11comp_targetILNS1_3genE0ELNS1_11target_archE4294967295ELNS1_3gpuE0ELNS1_3repE0EEENS1_47radix_sort_onesweep_sort_config_static_selectorELNS0_4arch9wavefront6targetE0EEEvSK_ ; -- Begin function _ZN7rocprim17ROCPRIM_400000_NS6detail17trampoline_kernelINS0_14default_configENS1_35radix_sort_onesweep_config_selectorIiNS0_10empty_typeEEEZZNS1_29radix_sort_onesweep_iterationIS3_Lb1EN6thrust23THRUST_200600_302600_NS6detail15normal_iteratorINS9_10device_ptrIiEEEESE_PS5_SF_jNS0_19identity_decomposerENS1_16block_id_wrapperIjLb0EEEEE10hipError_tT1_PNSt15iterator_traitsISK_E10value_typeET2_T3_PNSL_ISQ_E10value_typeET4_T5_PSV_SW_PNS1_23onesweep_lookback_stateEbbT6_jjT7_P12ihipStream_tbENKUlT_T0_SK_SP_E_clIPiSE_SF_SF_EEDaS13_S14_SK_SP_EUlS13_E_NS1_11comp_targetILNS1_3genE0ELNS1_11target_archE4294967295ELNS1_3gpuE0ELNS1_3repE0EEENS1_47radix_sort_onesweep_sort_config_static_selectorELNS0_4arch9wavefront6targetE0EEEvSK_
	.globl	_ZN7rocprim17ROCPRIM_400000_NS6detail17trampoline_kernelINS0_14default_configENS1_35radix_sort_onesweep_config_selectorIiNS0_10empty_typeEEEZZNS1_29radix_sort_onesweep_iterationIS3_Lb1EN6thrust23THRUST_200600_302600_NS6detail15normal_iteratorINS9_10device_ptrIiEEEESE_PS5_SF_jNS0_19identity_decomposerENS1_16block_id_wrapperIjLb0EEEEE10hipError_tT1_PNSt15iterator_traitsISK_E10value_typeET2_T3_PNSL_ISQ_E10value_typeET4_T5_PSV_SW_PNS1_23onesweep_lookback_stateEbbT6_jjT7_P12ihipStream_tbENKUlT_T0_SK_SP_E_clIPiSE_SF_SF_EEDaS13_S14_SK_SP_EUlS13_E_NS1_11comp_targetILNS1_3genE0ELNS1_11target_archE4294967295ELNS1_3gpuE0ELNS1_3repE0EEENS1_47radix_sort_onesweep_sort_config_static_selectorELNS0_4arch9wavefront6targetE0EEEvSK_
	.p2align	8
	.type	_ZN7rocprim17ROCPRIM_400000_NS6detail17trampoline_kernelINS0_14default_configENS1_35radix_sort_onesweep_config_selectorIiNS0_10empty_typeEEEZZNS1_29radix_sort_onesweep_iterationIS3_Lb1EN6thrust23THRUST_200600_302600_NS6detail15normal_iteratorINS9_10device_ptrIiEEEESE_PS5_SF_jNS0_19identity_decomposerENS1_16block_id_wrapperIjLb0EEEEE10hipError_tT1_PNSt15iterator_traitsISK_E10value_typeET2_T3_PNSL_ISQ_E10value_typeET4_T5_PSV_SW_PNS1_23onesweep_lookback_stateEbbT6_jjT7_P12ihipStream_tbENKUlT_T0_SK_SP_E_clIPiSE_SF_SF_EEDaS13_S14_SK_SP_EUlS13_E_NS1_11comp_targetILNS1_3genE0ELNS1_11target_archE4294967295ELNS1_3gpuE0ELNS1_3repE0EEENS1_47radix_sort_onesweep_sort_config_static_selectorELNS0_4arch9wavefront6targetE0EEEvSK_,@function
_ZN7rocprim17ROCPRIM_400000_NS6detail17trampoline_kernelINS0_14default_configENS1_35radix_sort_onesweep_config_selectorIiNS0_10empty_typeEEEZZNS1_29radix_sort_onesweep_iterationIS3_Lb1EN6thrust23THRUST_200600_302600_NS6detail15normal_iteratorINS9_10device_ptrIiEEEESE_PS5_SF_jNS0_19identity_decomposerENS1_16block_id_wrapperIjLb0EEEEE10hipError_tT1_PNSt15iterator_traitsISK_E10value_typeET2_T3_PNSL_ISQ_E10value_typeET4_T5_PSV_SW_PNS1_23onesweep_lookback_stateEbbT6_jjT7_P12ihipStream_tbENKUlT_T0_SK_SP_E_clIPiSE_SF_SF_EEDaS13_S14_SK_SP_EUlS13_E_NS1_11comp_targetILNS1_3genE0ELNS1_11target_archE4294967295ELNS1_3gpuE0ELNS1_3repE0EEENS1_47radix_sort_onesweep_sort_config_static_selectorELNS0_4arch9wavefront6targetE0EEEvSK_: ; @_ZN7rocprim17ROCPRIM_400000_NS6detail17trampoline_kernelINS0_14default_configENS1_35radix_sort_onesweep_config_selectorIiNS0_10empty_typeEEEZZNS1_29radix_sort_onesweep_iterationIS3_Lb1EN6thrust23THRUST_200600_302600_NS6detail15normal_iteratorINS9_10device_ptrIiEEEESE_PS5_SF_jNS0_19identity_decomposerENS1_16block_id_wrapperIjLb0EEEEE10hipError_tT1_PNSt15iterator_traitsISK_E10value_typeET2_T3_PNSL_ISQ_E10value_typeET4_T5_PSV_SW_PNS1_23onesweep_lookback_stateEbbT6_jjT7_P12ihipStream_tbENKUlT_T0_SK_SP_E_clIPiSE_SF_SF_EEDaS13_S14_SK_SP_EUlS13_E_NS1_11comp_targetILNS1_3genE0ELNS1_11target_archE4294967295ELNS1_3gpuE0ELNS1_3repE0EEENS1_47radix_sort_onesweep_sort_config_static_selectorELNS0_4arch9wavefront6targetE0EEEvSK_
; %bb.0:
	.section	.rodata,"a",@progbits
	.p2align	6, 0x0
	.amdhsa_kernel _ZN7rocprim17ROCPRIM_400000_NS6detail17trampoline_kernelINS0_14default_configENS1_35radix_sort_onesweep_config_selectorIiNS0_10empty_typeEEEZZNS1_29radix_sort_onesweep_iterationIS3_Lb1EN6thrust23THRUST_200600_302600_NS6detail15normal_iteratorINS9_10device_ptrIiEEEESE_PS5_SF_jNS0_19identity_decomposerENS1_16block_id_wrapperIjLb0EEEEE10hipError_tT1_PNSt15iterator_traitsISK_E10value_typeET2_T3_PNSL_ISQ_E10value_typeET4_T5_PSV_SW_PNS1_23onesweep_lookback_stateEbbT6_jjT7_P12ihipStream_tbENKUlT_T0_SK_SP_E_clIPiSE_SF_SF_EEDaS13_S14_SK_SP_EUlS13_E_NS1_11comp_targetILNS1_3genE0ELNS1_11target_archE4294967295ELNS1_3gpuE0ELNS1_3repE0EEENS1_47radix_sort_onesweep_sort_config_static_selectorELNS0_4arch9wavefront6targetE0EEEvSK_
		.amdhsa_group_segment_fixed_size 0
		.amdhsa_private_segment_fixed_size 0
		.amdhsa_kernarg_size 88
		.amdhsa_user_sgpr_count 6
		.amdhsa_user_sgpr_private_segment_buffer 1
		.amdhsa_user_sgpr_dispatch_ptr 0
		.amdhsa_user_sgpr_queue_ptr 0
		.amdhsa_user_sgpr_kernarg_segment_ptr 1
		.amdhsa_user_sgpr_dispatch_id 0
		.amdhsa_user_sgpr_flat_scratch_init 0
		.amdhsa_user_sgpr_private_segment_size 0
		.amdhsa_wavefront_size32 1
		.amdhsa_uses_dynamic_stack 0
		.amdhsa_system_sgpr_private_segment_wavefront_offset 0
		.amdhsa_system_sgpr_workgroup_id_x 1
		.amdhsa_system_sgpr_workgroup_id_y 0
		.amdhsa_system_sgpr_workgroup_id_z 0
		.amdhsa_system_sgpr_workgroup_info 0
		.amdhsa_system_vgpr_workitem_id 0
		.amdhsa_next_free_vgpr 1
		.amdhsa_next_free_sgpr 1
		.amdhsa_reserve_vcc 0
		.amdhsa_reserve_flat_scratch 0
		.amdhsa_float_round_mode_32 0
		.amdhsa_float_round_mode_16_64 0
		.amdhsa_float_denorm_mode_32 3
		.amdhsa_float_denorm_mode_16_64 3
		.amdhsa_dx10_clamp 1
		.amdhsa_ieee_mode 1
		.amdhsa_fp16_overflow 0
		.amdhsa_workgroup_processor_mode 1
		.amdhsa_memory_ordered 1
		.amdhsa_forward_progress 1
		.amdhsa_shared_vgpr_count 0
		.amdhsa_exception_fp_ieee_invalid_op 0
		.amdhsa_exception_fp_denorm_src 0
		.amdhsa_exception_fp_ieee_div_zero 0
		.amdhsa_exception_fp_ieee_overflow 0
		.amdhsa_exception_fp_ieee_underflow 0
		.amdhsa_exception_fp_ieee_inexact 0
		.amdhsa_exception_int_div_zero 0
	.end_amdhsa_kernel
	.section	.text._ZN7rocprim17ROCPRIM_400000_NS6detail17trampoline_kernelINS0_14default_configENS1_35radix_sort_onesweep_config_selectorIiNS0_10empty_typeEEEZZNS1_29radix_sort_onesweep_iterationIS3_Lb1EN6thrust23THRUST_200600_302600_NS6detail15normal_iteratorINS9_10device_ptrIiEEEESE_PS5_SF_jNS0_19identity_decomposerENS1_16block_id_wrapperIjLb0EEEEE10hipError_tT1_PNSt15iterator_traitsISK_E10value_typeET2_T3_PNSL_ISQ_E10value_typeET4_T5_PSV_SW_PNS1_23onesweep_lookback_stateEbbT6_jjT7_P12ihipStream_tbENKUlT_T0_SK_SP_E_clIPiSE_SF_SF_EEDaS13_S14_SK_SP_EUlS13_E_NS1_11comp_targetILNS1_3genE0ELNS1_11target_archE4294967295ELNS1_3gpuE0ELNS1_3repE0EEENS1_47radix_sort_onesweep_sort_config_static_selectorELNS0_4arch9wavefront6targetE0EEEvSK_,"axG",@progbits,_ZN7rocprim17ROCPRIM_400000_NS6detail17trampoline_kernelINS0_14default_configENS1_35radix_sort_onesweep_config_selectorIiNS0_10empty_typeEEEZZNS1_29radix_sort_onesweep_iterationIS3_Lb1EN6thrust23THRUST_200600_302600_NS6detail15normal_iteratorINS9_10device_ptrIiEEEESE_PS5_SF_jNS0_19identity_decomposerENS1_16block_id_wrapperIjLb0EEEEE10hipError_tT1_PNSt15iterator_traitsISK_E10value_typeET2_T3_PNSL_ISQ_E10value_typeET4_T5_PSV_SW_PNS1_23onesweep_lookback_stateEbbT6_jjT7_P12ihipStream_tbENKUlT_T0_SK_SP_E_clIPiSE_SF_SF_EEDaS13_S14_SK_SP_EUlS13_E_NS1_11comp_targetILNS1_3genE0ELNS1_11target_archE4294967295ELNS1_3gpuE0ELNS1_3repE0EEENS1_47radix_sort_onesweep_sort_config_static_selectorELNS0_4arch9wavefront6targetE0EEEvSK_,comdat
.Lfunc_end381:
	.size	_ZN7rocprim17ROCPRIM_400000_NS6detail17trampoline_kernelINS0_14default_configENS1_35radix_sort_onesweep_config_selectorIiNS0_10empty_typeEEEZZNS1_29radix_sort_onesweep_iterationIS3_Lb1EN6thrust23THRUST_200600_302600_NS6detail15normal_iteratorINS9_10device_ptrIiEEEESE_PS5_SF_jNS0_19identity_decomposerENS1_16block_id_wrapperIjLb0EEEEE10hipError_tT1_PNSt15iterator_traitsISK_E10value_typeET2_T3_PNSL_ISQ_E10value_typeET4_T5_PSV_SW_PNS1_23onesweep_lookback_stateEbbT6_jjT7_P12ihipStream_tbENKUlT_T0_SK_SP_E_clIPiSE_SF_SF_EEDaS13_S14_SK_SP_EUlS13_E_NS1_11comp_targetILNS1_3genE0ELNS1_11target_archE4294967295ELNS1_3gpuE0ELNS1_3repE0EEENS1_47radix_sort_onesweep_sort_config_static_selectorELNS0_4arch9wavefront6targetE0EEEvSK_, .Lfunc_end381-_ZN7rocprim17ROCPRIM_400000_NS6detail17trampoline_kernelINS0_14default_configENS1_35radix_sort_onesweep_config_selectorIiNS0_10empty_typeEEEZZNS1_29radix_sort_onesweep_iterationIS3_Lb1EN6thrust23THRUST_200600_302600_NS6detail15normal_iteratorINS9_10device_ptrIiEEEESE_PS5_SF_jNS0_19identity_decomposerENS1_16block_id_wrapperIjLb0EEEEE10hipError_tT1_PNSt15iterator_traitsISK_E10value_typeET2_T3_PNSL_ISQ_E10value_typeET4_T5_PSV_SW_PNS1_23onesweep_lookback_stateEbbT6_jjT7_P12ihipStream_tbENKUlT_T0_SK_SP_E_clIPiSE_SF_SF_EEDaS13_S14_SK_SP_EUlS13_E_NS1_11comp_targetILNS1_3genE0ELNS1_11target_archE4294967295ELNS1_3gpuE0ELNS1_3repE0EEENS1_47radix_sort_onesweep_sort_config_static_selectorELNS0_4arch9wavefront6targetE0EEEvSK_
                                        ; -- End function
	.set _ZN7rocprim17ROCPRIM_400000_NS6detail17trampoline_kernelINS0_14default_configENS1_35radix_sort_onesweep_config_selectorIiNS0_10empty_typeEEEZZNS1_29radix_sort_onesweep_iterationIS3_Lb1EN6thrust23THRUST_200600_302600_NS6detail15normal_iteratorINS9_10device_ptrIiEEEESE_PS5_SF_jNS0_19identity_decomposerENS1_16block_id_wrapperIjLb0EEEEE10hipError_tT1_PNSt15iterator_traitsISK_E10value_typeET2_T3_PNSL_ISQ_E10value_typeET4_T5_PSV_SW_PNS1_23onesweep_lookback_stateEbbT6_jjT7_P12ihipStream_tbENKUlT_T0_SK_SP_E_clIPiSE_SF_SF_EEDaS13_S14_SK_SP_EUlS13_E_NS1_11comp_targetILNS1_3genE0ELNS1_11target_archE4294967295ELNS1_3gpuE0ELNS1_3repE0EEENS1_47radix_sort_onesweep_sort_config_static_selectorELNS0_4arch9wavefront6targetE0EEEvSK_.num_vgpr, 0
	.set _ZN7rocprim17ROCPRIM_400000_NS6detail17trampoline_kernelINS0_14default_configENS1_35radix_sort_onesweep_config_selectorIiNS0_10empty_typeEEEZZNS1_29radix_sort_onesweep_iterationIS3_Lb1EN6thrust23THRUST_200600_302600_NS6detail15normal_iteratorINS9_10device_ptrIiEEEESE_PS5_SF_jNS0_19identity_decomposerENS1_16block_id_wrapperIjLb0EEEEE10hipError_tT1_PNSt15iterator_traitsISK_E10value_typeET2_T3_PNSL_ISQ_E10value_typeET4_T5_PSV_SW_PNS1_23onesweep_lookback_stateEbbT6_jjT7_P12ihipStream_tbENKUlT_T0_SK_SP_E_clIPiSE_SF_SF_EEDaS13_S14_SK_SP_EUlS13_E_NS1_11comp_targetILNS1_3genE0ELNS1_11target_archE4294967295ELNS1_3gpuE0ELNS1_3repE0EEENS1_47radix_sort_onesweep_sort_config_static_selectorELNS0_4arch9wavefront6targetE0EEEvSK_.num_agpr, 0
	.set _ZN7rocprim17ROCPRIM_400000_NS6detail17trampoline_kernelINS0_14default_configENS1_35radix_sort_onesweep_config_selectorIiNS0_10empty_typeEEEZZNS1_29radix_sort_onesweep_iterationIS3_Lb1EN6thrust23THRUST_200600_302600_NS6detail15normal_iteratorINS9_10device_ptrIiEEEESE_PS5_SF_jNS0_19identity_decomposerENS1_16block_id_wrapperIjLb0EEEEE10hipError_tT1_PNSt15iterator_traitsISK_E10value_typeET2_T3_PNSL_ISQ_E10value_typeET4_T5_PSV_SW_PNS1_23onesweep_lookback_stateEbbT6_jjT7_P12ihipStream_tbENKUlT_T0_SK_SP_E_clIPiSE_SF_SF_EEDaS13_S14_SK_SP_EUlS13_E_NS1_11comp_targetILNS1_3genE0ELNS1_11target_archE4294967295ELNS1_3gpuE0ELNS1_3repE0EEENS1_47radix_sort_onesweep_sort_config_static_selectorELNS0_4arch9wavefront6targetE0EEEvSK_.numbered_sgpr, 0
	.set _ZN7rocprim17ROCPRIM_400000_NS6detail17trampoline_kernelINS0_14default_configENS1_35radix_sort_onesweep_config_selectorIiNS0_10empty_typeEEEZZNS1_29radix_sort_onesweep_iterationIS3_Lb1EN6thrust23THRUST_200600_302600_NS6detail15normal_iteratorINS9_10device_ptrIiEEEESE_PS5_SF_jNS0_19identity_decomposerENS1_16block_id_wrapperIjLb0EEEEE10hipError_tT1_PNSt15iterator_traitsISK_E10value_typeET2_T3_PNSL_ISQ_E10value_typeET4_T5_PSV_SW_PNS1_23onesweep_lookback_stateEbbT6_jjT7_P12ihipStream_tbENKUlT_T0_SK_SP_E_clIPiSE_SF_SF_EEDaS13_S14_SK_SP_EUlS13_E_NS1_11comp_targetILNS1_3genE0ELNS1_11target_archE4294967295ELNS1_3gpuE0ELNS1_3repE0EEENS1_47radix_sort_onesweep_sort_config_static_selectorELNS0_4arch9wavefront6targetE0EEEvSK_.num_named_barrier, 0
	.set _ZN7rocprim17ROCPRIM_400000_NS6detail17trampoline_kernelINS0_14default_configENS1_35radix_sort_onesweep_config_selectorIiNS0_10empty_typeEEEZZNS1_29radix_sort_onesweep_iterationIS3_Lb1EN6thrust23THRUST_200600_302600_NS6detail15normal_iteratorINS9_10device_ptrIiEEEESE_PS5_SF_jNS0_19identity_decomposerENS1_16block_id_wrapperIjLb0EEEEE10hipError_tT1_PNSt15iterator_traitsISK_E10value_typeET2_T3_PNSL_ISQ_E10value_typeET4_T5_PSV_SW_PNS1_23onesweep_lookback_stateEbbT6_jjT7_P12ihipStream_tbENKUlT_T0_SK_SP_E_clIPiSE_SF_SF_EEDaS13_S14_SK_SP_EUlS13_E_NS1_11comp_targetILNS1_3genE0ELNS1_11target_archE4294967295ELNS1_3gpuE0ELNS1_3repE0EEENS1_47radix_sort_onesweep_sort_config_static_selectorELNS0_4arch9wavefront6targetE0EEEvSK_.private_seg_size, 0
	.set _ZN7rocprim17ROCPRIM_400000_NS6detail17trampoline_kernelINS0_14default_configENS1_35radix_sort_onesweep_config_selectorIiNS0_10empty_typeEEEZZNS1_29radix_sort_onesweep_iterationIS3_Lb1EN6thrust23THRUST_200600_302600_NS6detail15normal_iteratorINS9_10device_ptrIiEEEESE_PS5_SF_jNS0_19identity_decomposerENS1_16block_id_wrapperIjLb0EEEEE10hipError_tT1_PNSt15iterator_traitsISK_E10value_typeET2_T3_PNSL_ISQ_E10value_typeET4_T5_PSV_SW_PNS1_23onesweep_lookback_stateEbbT6_jjT7_P12ihipStream_tbENKUlT_T0_SK_SP_E_clIPiSE_SF_SF_EEDaS13_S14_SK_SP_EUlS13_E_NS1_11comp_targetILNS1_3genE0ELNS1_11target_archE4294967295ELNS1_3gpuE0ELNS1_3repE0EEENS1_47radix_sort_onesweep_sort_config_static_selectorELNS0_4arch9wavefront6targetE0EEEvSK_.uses_vcc, 0
	.set _ZN7rocprim17ROCPRIM_400000_NS6detail17trampoline_kernelINS0_14default_configENS1_35radix_sort_onesweep_config_selectorIiNS0_10empty_typeEEEZZNS1_29radix_sort_onesweep_iterationIS3_Lb1EN6thrust23THRUST_200600_302600_NS6detail15normal_iteratorINS9_10device_ptrIiEEEESE_PS5_SF_jNS0_19identity_decomposerENS1_16block_id_wrapperIjLb0EEEEE10hipError_tT1_PNSt15iterator_traitsISK_E10value_typeET2_T3_PNSL_ISQ_E10value_typeET4_T5_PSV_SW_PNS1_23onesweep_lookback_stateEbbT6_jjT7_P12ihipStream_tbENKUlT_T0_SK_SP_E_clIPiSE_SF_SF_EEDaS13_S14_SK_SP_EUlS13_E_NS1_11comp_targetILNS1_3genE0ELNS1_11target_archE4294967295ELNS1_3gpuE0ELNS1_3repE0EEENS1_47radix_sort_onesweep_sort_config_static_selectorELNS0_4arch9wavefront6targetE0EEEvSK_.uses_flat_scratch, 0
	.set _ZN7rocprim17ROCPRIM_400000_NS6detail17trampoline_kernelINS0_14default_configENS1_35radix_sort_onesweep_config_selectorIiNS0_10empty_typeEEEZZNS1_29radix_sort_onesweep_iterationIS3_Lb1EN6thrust23THRUST_200600_302600_NS6detail15normal_iteratorINS9_10device_ptrIiEEEESE_PS5_SF_jNS0_19identity_decomposerENS1_16block_id_wrapperIjLb0EEEEE10hipError_tT1_PNSt15iterator_traitsISK_E10value_typeET2_T3_PNSL_ISQ_E10value_typeET4_T5_PSV_SW_PNS1_23onesweep_lookback_stateEbbT6_jjT7_P12ihipStream_tbENKUlT_T0_SK_SP_E_clIPiSE_SF_SF_EEDaS13_S14_SK_SP_EUlS13_E_NS1_11comp_targetILNS1_3genE0ELNS1_11target_archE4294967295ELNS1_3gpuE0ELNS1_3repE0EEENS1_47radix_sort_onesweep_sort_config_static_selectorELNS0_4arch9wavefront6targetE0EEEvSK_.has_dyn_sized_stack, 0
	.set _ZN7rocprim17ROCPRIM_400000_NS6detail17trampoline_kernelINS0_14default_configENS1_35radix_sort_onesweep_config_selectorIiNS0_10empty_typeEEEZZNS1_29radix_sort_onesweep_iterationIS3_Lb1EN6thrust23THRUST_200600_302600_NS6detail15normal_iteratorINS9_10device_ptrIiEEEESE_PS5_SF_jNS0_19identity_decomposerENS1_16block_id_wrapperIjLb0EEEEE10hipError_tT1_PNSt15iterator_traitsISK_E10value_typeET2_T3_PNSL_ISQ_E10value_typeET4_T5_PSV_SW_PNS1_23onesweep_lookback_stateEbbT6_jjT7_P12ihipStream_tbENKUlT_T0_SK_SP_E_clIPiSE_SF_SF_EEDaS13_S14_SK_SP_EUlS13_E_NS1_11comp_targetILNS1_3genE0ELNS1_11target_archE4294967295ELNS1_3gpuE0ELNS1_3repE0EEENS1_47radix_sort_onesweep_sort_config_static_selectorELNS0_4arch9wavefront6targetE0EEEvSK_.has_recursion, 0
	.set _ZN7rocprim17ROCPRIM_400000_NS6detail17trampoline_kernelINS0_14default_configENS1_35radix_sort_onesweep_config_selectorIiNS0_10empty_typeEEEZZNS1_29radix_sort_onesweep_iterationIS3_Lb1EN6thrust23THRUST_200600_302600_NS6detail15normal_iteratorINS9_10device_ptrIiEEEESE_PS5_SF_jNS0_19identity_decomposerENS1_16block_id_wrapperIjLb0EEEEE10hipError_tT1_PNSt15iterator_traitsISK_E10value_typeET2_T3_PNSL_ISQ_E10value_typeET4_T5_PSV_SW_PNS1_23onesweep_lookback_stateEbbT6_jjT7_P12ihipStream_tbENKUlT_T0_SK_SP_E_clIPiSE_SF_SF_EEDaS13_S14_SK_SP_EUlS13_E_NS1_11comp_targetILNS1_3genE0ELNS1_11target_archE4294967295ELNS1_3gpuE0ELNS1_3repE0EEENS1_47radix_sort_onesweep_sort_config_static_selectorELNS0_4arch9wavefront6targetE0EEEvSK_.has_indirect_call, 0
	.section	.AMDGPU.csdata,"",@progbits
; Kernel info:
; codeLenInByte = 0
; TotalNumSgprs: 0
; NumVgprs: 0
; ScratchSize: 0
; MemoryBound: 0
; FloatMode: 240
; IeeeMode: 1
; LDSByteSize: 0 bytes/workgroup (compile time only)
; SGPRBlocks: 0
; VGPRBlocks: 0
; NumSGPRsForWavesPerEU: 1
; NumVGPRsForWavesPerEU: 1
; Occupancy: 16
; WaveLimiterHint : 0
; COMPUTE_PGM_RSRC2:SCRATCH_EN: 0
; COMPUTE_PGM_RSRC2:USER_SGPR: 6
; COMPUTE_PGM_RSRC2:TRAP_HANDLER: 0
; COMPUTE_PGM_RSRC2:TGID_X_EN: 1
; COMPUTE_PGM_RSRC2:TGID_Y_EN: 0
; COMPUTE_PGM_RSRC2:TGID_Z_EN: 0
; COMPUTE_PGM_RSRC2:TIDIG_COMP_CNT: 0
	.section	.text._ZN7rocprim17ROCPRIM_400000_NS6detail17trampoline_kernelINS0_14default_configENS1_35radix_sort_onesweep_config_selectorIiNS0_10empty_typeEEEZZNS1_29radix_sort_onesweep_iterationIS3_Lb1EN6thrust23THRUST_200600_302600_NS6detail15normal_iteratorINS9_10device_ptrIiEEEESE_PS5_SF_jNS0_19identity_decomposerENS1_16block_id_wrapperIjLb0EEEEE10hipError_tT1_PNSt15iterator_traitsISK_E10value_typeET2_T3_PNSL_ISQ_E10value_typeET4_T5_PSV_SW_PNS1_23onesweep_lookback_stateEbbT6_jjT7_P12ihipStream_tbENKUlT_T0_SK_SP_E_clIPiSE_SF_SF_EEDaS13_S14_SK_SP_EUlS13_E_NS1_11comp_targetILNS1_3genE6ELNS1_11target_archE950ELNS1_3gpuE13ELNS1_3repE0EEENS1_47radix_sort_onesweep_sort_config_static_selectorELNS0_4arch9wavefront6targetE0EEEvSK_,"axG",@progbits,_ZN7rocprim17ROCPRIM_400000_NS6detail17trampoline_kernelINS0_14default_configENS1_35radix_sort_onesweep_config_selectorIiNS0_10empty_typeEEEZZNS1_29radix_sort_onesweep_iterationIS3_Lb1EN6thrust23THRUST_200600_302600_NS6detail15normal_iteratorINS9_10device_ptrIiEEEESE_PS5_SF_jNS0_19identity_decomposerENS1_16block_id_wrapperIjLb0EEEEE10hipError_tT1_PNSt15iterator_traitsISK_E10value_typeET2_T3_PNSL_ISQ_E10value_typeET4_T5_PSV_SW_PNS1_23onesweep_lookback_stateEbbT6_jjT7_P12ihipStream_tbENKUlT_T0_SK_SP_E_clIPiSE_SF_SF_EEDaS13_S14_SK_SP_EUlS13_E_NS1_11comp_targetILNS1_3genE6ELNS1_11target_archE950ELNS1_3gpuE13ELNS1_3repE0EEENS1_47radix_sort_onesweep_sort_config_static_selectorELNS0_4arch9wavefront6targetE0EEEvSK_,comdat
	.protected	_ZN7rocprim17ROCPRIM_400000_NS6detail17trampoline_kernelINS0_14default_configENS1_35radix_sort_onesweep_config_selectorIiNS0_10empty_typeEEEZZNS1_29radix_sort_onesweep_iterationIS3_Lb1EN6thrust23THRUST_200600_302600_NS6detail15normal_iteratorINS9_10device_ptrIiEEEESE_PS5_SF_jNS0_19identity_decomposerENS1_16block_id_wrapperIjLb0EEEEE10hipError_tT1_PNSt15iterator_traitsISK_E10value_typeET2_T3_PNSL_ISQ_E10value_typeET4_T5_PSV_SW_PNS1_23onesweep_lookback_stateEbbT6_jjT7_P12ihipStream_tbENKUlT_T0_SK_SP_E_clIPiSE_SF_SF_EEDaS13_S14_SK_SP_EUlS13_E_NS1_11comp_targetILNS1_3genE6ELNS1_11target_archE950ELNS1_3gpuE13ELNS1_3repE0EEENS1_47radix_sort_onesweep_sort_config_static_selectorELNS0_4arch9wavefront6targetE0EEEvSK_ ; -- Begin function _ZN7rocprim17ROCPRIM_400000_NS6detail17trampoline_kernelINS0_14default_configENS1_35radix_sort_onesweep_config_selectorIiNS0_10empty_typeEEEZZNS1_29radix_sort_onesweep_iterationIS3_Lb1EN6thrust23THRUST_200600_302600_NS6detail15normal_iteratorINS9_10device_ptrIiEEEESE_PS5_SF_jNS0_19identity_decomposerENS1_16block_id_wrapperIjLb0EEEEE10hipError_tT1_PNSt15iterator_traitsISK_E10value_typeET2_T3_PNSL_ISQ_E10value_typeET4_T5_PSV_SW_PNS1_23onesweep_lookback_stateEbbT6_jjT7_P12ihipStream_tbENKUlT_T0_SK_SP_E_clIPiSE_SF_SF_EEDaS13_S14_SK_SP_EUlS13_E_NS1_11comp_targetILNS1_3genE6ELNS1_11target_archE950ELNS1_3gpuE13ELNS1_3repE0EEENS1_47radix_sort_onesweep_sort_config_static_selectorELNS0_4arch9wavefront6targetE0EEEvSK_
	.globl	_ZN7rocprim17ROCPRIM_400000_NS6detail17trampoline_kernelINS0_14default_configENS1_35radix_sort_onesweep_config_selectorIiNS0_10empty_typeEEEZZNS1_29radix_sort_onesweep_iterationIS3_Lb1EN6thrust23THRUST_200600_302600_NS6detail15normal_iteratorINS9_10device_ptrIiEEEESE_PS5_SF_jNS0_19identity_decomposerENS1_16block_id_wrapperIjLb0EEEEE10hipError_tT1_PNSt15iterator_traitsISK_E10value_typeET2_T3_PNSL_ISQ_E10value_typeET4_T5_PSV_SW_PNS1_23onesweep_lookback_stateEbbT6_jjT7_P12ihipStream_tbENKUlT_T0_SK_SP_E_clIPiSE_SF_SF_EEDaS13_S14_SK_SP_EUlS13_E_NS1_11comp_targetILNS1_3genE6ELNS1_11target_archE950ELNS1_3gpuE13ELNS1_3repE0EEENS1_47radix_sort_onesweep_sort_config_static_selectorELNS0_4arch9wavefront6targetE0EEEvSK_
	.p2align	8
	.type	_ZN7rocprim17ROCPRIM_400000_NS6detail17trampoline_kernelINS0_14default_configENS1_35radix_sort_onesweep_config_selectorIiNS0_10empty_typeEEEZZNS1_29radix_sort_onesweep_iterationIS3_Lb1EN6thrust23THRUST_200600_302600_NS6detail15normal_iteratorINS9_10device_ptrIiEEEESE_PS5_SF_jNS0_19identity_decomposerENS1_16block_id_wrapperIjLb0EEEEE10hipError_tT1_PNSt15iterator_traitsISK_E10value_typeET2_T3_PNSL_ISQ_E10value_typeET4_T5_PSV_SW_PNS1_23onesweep_lookback_stateEbbT6_jjT7_P12ihipStream_tbENKUlT_T0_SK_SP_E_clIPiSE_SF_SF_EEDaS13_S14_SK_SP_EUlS13_E_NS1_11comp_targetILNS1_3genE6ELNS1_11target_archE950ELNS1_3gpuE13ELNS1_3repE0EEENS1_47radix_sort_onesweep_sort_config_static_selectorELNS0_4arch9wavefront6targetE0EEEvSK_,@function
_ZN7rocprim17ROCPRIM_400000_NS6detail17trampoline_kernelINS0_14default_configENS1_35radix_sort_onesweep_config_selectorIiNS0_10empty_typeEEEZZNS1_29radix_sort_onesweep_iterationIS3_Lb1EN6thrust23THRUST_200600_302600_NS6detail15normal_iteratorINS9_10device_ptrIiEEEESE_PS5_SF_jNS0_19identity_decomposerENS1_16block_id_wrapperIjLb0EEEEE10hipError_tT1_PNSt15iterator_traitsISK_E10value_typeET2_T3_PNSL_ISQ_E10value_typeET4_T5_PSV_SW_PNS1_23onesweep_lookback_stateEbbT6_jjT7_P12ihipStream_tbENKUlT_T0_SK_SP_E_clIPiSE_SF_SF_EEDaS13_S14_SK_SP_EUlS13_E_NS1_11comp_targetILNS1_3genE6ELNS1_11target_archE950ELNS1_3gpuE13ELNS1_3repE0EEENS1_47radix_sort_onesweep_sort_config_static_selectorELNS0_4arch9wavefront6targetE0EEEvSK_: ; @_ZN7rocprim17ROCPRIM_400000_NS6detail17trampoline_kernelINS0_14default_configENS1_35radix_sort_onesweep_config_selectorIiNS0_10empty_typeEEEZZNS1_29radix_sort_onesweep_iterationIS3_Lb1EN6thrust23THRUST_200600_302600_NS6detail15normal_iteratorINS9_10device_ptrIiEEEESE_PS5_SF_jNS0_19identity_decomposerENS1_16block_id_wrapperIjLb0EEEEE10hipError_tT1_PNSt15iterator_traitsISK_E10value_typeET2_T3_PNSL_ISQ_E10value_typeET4_T5_PSV_SW_PNS1_23onesweep_lookback_stateEbbT6_jjT7_P12ihipStream_tbENKUlT_T0_SK_SP_E_clIPiSE_SF_SF_EEDaS13_S14_SK_SP_EUlS13_E_NS1_11comp_targetILNS1_3genE6ELNS1_11target_archE950ELNS1_3gpuE13ELNS1_3repE0EEENS1_47radix_sort_onesweep_sort_config_static_selectorELNS0_4arch9wavefront6targetE0EEEvSK_
; %bb.0:
	.section	.rodata,"a",@progbits
	.p2align	6, 0x0
	.amdhsa_kernel _ZN7rocprim17ROCPRIM_400000_NS6detail17trampoline_kernelINS0_14default_configENS1_35radix_sort_onesweep_config_selectorIiNS0_10empty_typeEEEZZNS1_29radix_sort_onesweep_iterationIS3_Lb1EN6thrust23THRUST_200600_302600_NS6detail15normal_iteratorINS9_10device_ptrIiEEEESE_PS5_SF_jNS0_19identity_decomposerENS1_16block_id_wrapperIjLb0EEEEE10hipError_tT1_PNSt15iterator_traitsISK_E10value_typeET2_T3_PNSL_ISQ_E10value_typeET4_T5_PSV_SW_PNS1_23onesweep_lookback_stateEbbT6_jjT7_P12ihipStream_tbENKUlT_T0_SK_SP_E_clIPiSE_SF_SF_EEDaS13_S14_SK_SP_EUlS13_E_NS1_11comp_targetILNS1_3genE6ELNS1_11target_archE950ELNS1_3gpuE13ELNS1_3repE0EEENS1_47radix_sort_onesweep_sort_config_static_selectorELNS0_4arch9wavefront6targetE0EEEvSK_
		.amdhsa_group_segment_fixed_size 0
		.amdhsa_private_segment_fixed_size 0
		.amdhsa_kernarg_size 88
		.amdhsa_user_sgpr_count 6
		.amdhsa_user_sgpr_private_segment_buffer 1
		.amdhsa_user_sgpr_dispatch_ptr 0
		.amdhsa_user_sgpr_queue_ptr 0
		.amdhsa_user_sgpr_kernarg_segment_ptr 1
		.amdhsa_user_sgpr_dispatch_id 0
		.amdhsa_user_sgpr_flat_scratch_init 0
		.amdhsa_user_sgpr_private_segment_size 0
		.amdhsa_wavefront_size32 1
		.amdhsa_uses_dynamic_stack 0
		.amdhsa_system_sgpr_private_segment_wavefront_offset 0
		.amdhsa_system_sgpr_workgroup_id_x 1
		.amdhsa_system_sgpr_workgroup_id_y 0
		.amdhsa_system_sgpr_workgroup_id_z 0
		.amdhsa_system_sgpr_workgroup_info 0
		.amdhsa_system_vgpr_workitem_id 0
		.amdhsa_next_free_vgpr 1
		.amdhsa_next_free_sgpr 1
		.amdhsa_reserve_vcc 0
		.amdhsa_reserve_flat_scratch 0
		.amdhsa_float_round_mode_32 0
		.amdhsa_float_round_mode_16_64 0
		.amdhsa_float_denorm_mode_32 3
		.amdhsa_float_denorm_mode_16_64 3
		.amdhsa_dx10_clamp 1
		.amdhsa_ieee_mode 1
		.amdhsa_fp16_overflow 0
		.amdhsa_workgroup_processor_mode 1
		.amdhsa_memory_ordered 1
		.amdhsa_forward_progress 1
		.amdhsa_shared_vgpr_count 0
		.amdhsa_exception_fp_ieee_invalid_op 0
		.amdhsa_exception_fp_denorm_src 0
		.amdhsa_exception_fp_ieee_div_zero 0
		.amdhsa_exception_fp_ieee_overflow 0
		.amdhsa_exception_fp_ieee_underflow 0
		.amdhsa_exception_fp_ieee_inexact 0
		.amdhsa_exception_int_div_zero 0
	.end_amdhsa_kernel
	.section	.text._ZN7rocprim17ROCPRIM_400000_NS6detail17trampoline_kernelINS0_14default_configENS1_35radix_sort_onesweep_config_selectorIiNS0_10empty_typeEEEZZNS1_29radix_sort_onesweep_iterationIS3_Lb1EN6thrust23THRUST_200600_302600_NS6detail15normal_iteratorINS9_10device_ptrIiEEEESE_PS5_SF_jNS0_19identity_decomposerENS1_16block_id_wrapperIjLb0EEEEE10hipError_tT1_PNSt15iterator_traitsISK_E10value_typeET2_T3_PNSL_ISQ_E10value_typeET4_T5_PSV_SW_PNS1_23onesweep_lookback_stateEbbT6_jjT7_P12ihipStream_tbENKUlT_T0_SK_SP_E_clIPiSE_SF_SF_EEDaS13_S14_SK_SP_EUlS13_E_NS1_11comp_targetILNS1_3genE6ELNS1_11target_archE950ELNS1_3gpuE13ELNS1_3repE0EEENS1_47radix_sort_onesweep_sort_config_static_selectorELNS0_4arch9wavefront6targetE0EEEvSK_,"axG",@progbits,_ZN7rocprim17ROCPRIM_400000_NS6detail17trampoline_kernelINS0_14default_configENS1_35radix_sort_onesweep_config_selectorIiNS0_10empty_typeEEEZZNS1_29radix_sort_onesweep_iterationIS3_Lb1EN6thrust23THRUST_200600_302600_NS6detail15normal_iteratorINS9_10device_ptrIiEEEESE_PS5_SF_jNS0_19identity_decomposerENS1_16block_id_wrapperIjLb0EEEEE10hipError_tT1_PNSt15iterator_traitsISK_E10value_typeET2_T3_PNSL_ISQ_E10value_typeET4_T5_PSV_SW_PNS1_23onesweep_lookback_stateEbbT6_jjT7_P12ihipStream_tbENKUlT_T0_SK_SP_E_clIPiSE_SF_SF_EEDaS13_S14_SK_SP_EUlS13_E_NS1_11comp_targetILNS1_3genE6ELNS1_11target_archE950ELNS1_3gpuE13ELNS1_3repE0EEENS1_47radix_sort_onesweep_sort_config_static_selectorELNS0_4arch9wavefront6targetE0EEEvSK_,comdat
.Lfunc_end382:
	.size	_ZN7rocprim17ROCPRIM_400000_NS6detail17trampoline_kernelINS0_14default_configENS1_35radix_sort_onesweep_config_selectorIiNS0_10empty_typeEEEZZNS1_29radix_sort_onesweep_iterationIS3_Lb1EN6thrust23THRUST_200600_302600_NS6detail15normal_iteratorINS9_10device_ptrIiEEEESE_PS5_SF_jNS0_19identity_decomposerENS1_16block_id_wrapperIjLb0EEEEE10hipError_tT1_PNSt15iterator_traitsISK_E10value_typeET2_T3_PNSL_ISQ_E10value_typeET4_T5_PSV_SW_PNS1_23onesweep_lookback_stateEbbT6_jjT7_P12ihipStream_tbENKUlT_T0_SK_SP_E_clIPiSE_SF_SF_EEDaS13_S14_SK_SP_EUlS13_E_NS1_11comp_targetILNS1_3genE6ELNS1_11target_archE950ELNS1_3gpuE13ELNS1_3repE0EEENS1_47radix_sort_onesweep_sort_config_static_selectorELNS0_4arch9wavefront6targetE0EEEvSK_, .Lfunc_end382-_ZN7rocprim17ROCPRIM_400000_NS6detail17trampoline_kernelINS0_14default_configENS1_35radix_sort_onesweep_config_selectorIiNS0_10empty_typeEEEZZNS1_29radix_sort_onesweep_iterationIS3_Lb1EN6thrust23THRUST_200600_302600_NS6detail15normal_iteratorINS9_10device_ptrIiEEEESE_PS5_SF_jNS0_19identity_decomposerENS1_16block_id_wrapperIjLb0EEEEE10hipError_tT1_PNSt15iterator_traitsISK_E10value_typeET2_T3_PNSL_ISQ_E10value_typeET4_T5_PSV_SW_PNS1_23onesweep_lookback_stateEbbT6_jjT7_P12ihipStream_tbENKUlT_T0_SK_SP_E_clIPiSE_SF_SF_EEDaS13_S14_SK_SP_EUlS13_E_NS1_11comp_targetILNS1_3genE6ELNS1_11target_archE950ELNS1_3gpuE13ELNS1_3repE0EEENS1_47radix_sort_onesweep_sort_config_static_selectorELNS0_4arch9wavefront6targetE0EEEvSK_
                                        ; -- End function
	.set _ZN7rocprim17ROCPRIM_400000_NS6detail17trampoline_kernelINS0_14default_configENS1_35radix_sort_onesweep_config_selectorIiNS0_10empty_typeEEEZZNS1_29radix_sort_onesweep_iterationIS3_Lb1EN6thrust23THRUST_200600_302600_NS6detail15normal_iteratorINS9_10device_ptrIiEEEESE_PS5_SF_jNS0_19identity_decomposerENS1_16block_id_wrapperIjLb0EEEEE10hipError_tT1_PNSt15iterator_traitsISK_E10value_typeET2_T3_PNSL_ISQ_E10value_typeET4_T5_PSV_SW_PNS1_23onesweep_lookback_stateEbbT6_jjT7_P12ihipStream_tbENKUlT_T0_SK_SP_E_clIPiSE_SF_SF_EEDaS13_S14_SK_SP_EUlS13_E_NS1_11comp_targetILNS1_3genE6ELNS1_11target_archE950ELNS1_3gpuE13ELNS1_3repE0EEENS1_47radix_sort_onesweep_sort_config_static_selectorELNS0_4arch9wavefront6targetE0EEEvSK_.num_vgpr, 0
	.set _ZN7rocprim17ROCPRIM_400000_NS6detail17trampoline_kernelINS0_14default_configENS1_35radix_sort_onesweep_config_selectorIiNS0_10empty_typeEEEZZNS1_29radix_sort_onesweep_iterationIS3_Lb1EN6thrust23THRUST_200600_302600_NS6detail15normal_iteratorINS9_10device_ptrIiEEEESE_PS5_SF_jNS0_19identity_decomposerENS1_16block_id_wrapperIjLb0EEEEE10hipError_tT1_PNSt15iterator_traitsISK_E10value_typeET2_T3_PNSL_ISQ_E10value_typeET4_T5_PSV_SW_PNS1_23onesweep_lookback_stateEbbT6_jjT7_P12ihipStream_tbENKUlT_T0_SK_SP_E_clIPiSE_SF_SF_EEDaS13_S14_SK_SP_EUlS13_E_NS1_11comp_targetILNS1_3genE6ELNS1_11target_archE950ELNS1_3gpuE13ELNS1_3repE0EEENS1_47radix_sort_onesweep_sort_config_static_selectorELNS0_4arch9wavefront6targetE0EEEvSK_.num_agpr, 0
	.set _ZN7rocprim17ROCPRIM_400000_NS6detail17trampoline_kernelINS0_14default_configENS1_35radix_sort_onesweep_config_selectorIiNS0_10empty_typeEEEZZNS1_29radix_sort_onesweep_iterationIS3_Lb1EN6thrust23THRUST_200600_302600_NS6detail15normal_iteratorINS9_10device_ptrIiEEEESE_PS5_SF_jNS0_19identity_decomposerENS1_16block_id_wrapperIjLb0EEEEE10hipError_tT1_PNSt15iterator_traitsISK_E10value_typeET2_T3_PNSL_ISQ_E10value_typeET4_T5_PSV_SW_PNS1_23onesweep_lookback_stateEbbT6_jjT7_P12ihipStream_tbENKUlT_T0_SK_SP_E_clIPiSE_SF_SF_EEDaS13_S14_SK_SP_EUlS13_E_NS1_11comp_targetILNS1_3genE6ELNS1_11target_archE950ELNS1_3gpuE13ELNS1_3repE0EEENS1_47radix_sort_onesweep_sort_config_static_selectorELNS0_4arch9wavefront6targetE0EEEvSK_.numbered_sgpr, 0
	.set _ZN7rocprim17ROCPRIM_400000_NS6detail17trampoline_kernelINS0_14default_configENS1_35radix_sort_onesweep_config_selectorIiNS0_10empty_typeEEEZZNS1_29radix_sort_onesweep_iterationIS3_Lb1EN6thrust23THRUST_200600_302600_NS6detail15normal_iteratorINS9_10device_ptrIiEEEESE_PS5_SF_jNS0_19identity_decomposerENS1_16block_id_wrapperIjLb0EEEEE10hipError_tT1_PNSt15iterator_traitsISK_E10value_typeET2_T3_PNSL_ISQ_E10value_typeET4_T5_PSV_SW_PNS1_23onesweep_lookback_stateEbbT6_jjT7_P12ihipStream_tbENKUlT_T0_SK_SP_E_clIPiSE_SF_SF_EEDaS13_S14_SK_SP_EUlS13_E_NS1_11comp_targetILNS1_3genE6ELNS1_11target_archE950ELNS1_3gpuE13ELNS1_3repE0EEENS1_47radix_sort_onesweep_sort_config_static_selectorELNS0_4arch9wavefront6targetE0EEEvSK_.num_named_barrier, 0
	.set _ZN7rocprim17ROCPRIM_400000_NS6detail17trampoline_kernelINS0_14default_configENS1_35radix_sort_onesweep_config_selectorIiNS0_10empty_typeEEEZZNS1_29radix_sort_onesweep_iterationIS3_Lb1EN6thrust23THRUST_200600_302600_NS6detail15normal_iteratorINS9_10device_ptrIiEEEESE_PS5_SF_jNS0_19identity_decomposerENS1_16block_id_wrapperIjLb0EEEEE10hipError_tT1_PNSt15iterator_traitsISK_E10value_typeET2_T3_PNSL_ISQ_E10value_typeET4_T5_PSV_SW_PNS1_23onesweep_lookback_stateEbbT6_jjT7_P12ihipStream_tbENKUlT_T0_SK_SP_E_clIPiSE_SF_SF_EEDaS13_S14_SK_SP_EUlS13_E_NS1_11comp_targetILNS1_3genE6ELNS1_11target_archE950ELNS1_3gpuE13ELNS1_3repE0EEENS1_47radix_sort_onesweep_sort_config_static_selectorELNS0_4arch9wavefront6targetE0EEEvSK_.private_seg_size, 0
	.set _ZN7rocprim17ROCPRIM_400000_NS6detail17trampoline_kernelINS0_14default_configENS1_35radix_sort_onesweep_config_selectorIiNS0_10empty_typeEEEZZNS1_29radix_sort_onesweep_iterationIS3_Lb1EN6thrust23THRUST_200600_302600_NS6detail15normal_iteratorINS9_10device_ptrIiEEEESE_PS5_SF_jNS0_19identity_decomposerENS1_16block_id_wrapperIjLb0EEEEE10hipError_tT1_PNSt15iterator_traitsISK_E10value_typeET2_T3_PNSL_ISQ_E10value_typeET4_T5_PSV_SW_PNS1_23onesweep_lookback_stateEbbT6_jjT7_P12ihipStream_tbENKUlT_T0_SK_SP_E_clIPiSE_SF_SF_EEDaS13_S14_SK_SP_EUlS13_E_NS1_11comp_targetILNS1_3genE6ELNS1_11target_archE950ELNS1_3gpuE13ELNS1_3repE0EEENS1_47radix_sort_onesweep_sort_config_static_selectorELNS0_4arch9wavefront6targetE0EEEvSK_.uses_vcc, 0
	.set _ZN7rocprim17ROCPRIM_400000_NS6detail17trampoline_kernelINS0_14default_configENS1_35radix_sort_onesweep_config_selectorIiNS0_10empty_typeEEEZZNS1_29radix_sort_onesweep_iterationIS3_Lb1EN6thrust23THRUST_200600_302600_NS6detail15normal_iteratorINS9_10device_ptrIiEEEESE_PS5_SF_jNS0_19identity_decomposerENS1_16block_id_wrapperIjLb0EEEEE10hipError_tT1_PNSt15iterator_traitsISK_E10value_typeET2_T3_PNSL_ISQ_E10value_typeET4_T5_PSV_SW_PNS1_23onesweep_lookback_stateEbbT6_jjT7_P12ihipStream_tbENKUlT_T0_SK_SP_E_clIPiSE_SF_SF_EEDaS13_S14_SK_SP_EUlS13_E_NS1_11comp_targetILNS1_3genE6ELNS1_11target_archE950ELNS1_3gpuE13ELNS1_3repE0EEENS1_47radix_sort_onesweep_sort_config_static_selectorELNS0_4arch9wavefront6targetE0EEEvSK_.uses_flat_scratch, 0
	.set _ZN7rocprim17ROCPRIM_400000_NS6detail17trampoline_kernelINS0_14default_configENS1_35radix_sort_onesweep_config_selectorIiNS0_10empty_typeEEEZZNS1_29radix_sort_onesweep_iterationIS3_Lb1EN6thrust23THRUST_200600_302600_NS6detail15normal_iteratorINS9_10device_ptrIiEEEESE_PS5_SF_jNS0_19identity_decomposerENS1_16block_id_wrapperIjLb0EEEEE10hipError_tT1_PNSt15iterator_traitsISK_E10value_typeET2_T3_PNSL_ISQ_E10value_typeET4_T5_PSV_SW_PNS1_23onesweep_lookback_stateEbbT6_jjT7_P12ihipStream_tbENKUlT_T0_SK_SP_E_clIPiSE_SF_SF_EEDaS13_S14_SK_SP_EUlS13_E_NS1_11comp_targetILNS1_3genE6ELNS1_11target_archE950ELNS1_3gpuE13ELNS1_3repE0EEENS1_47radix_sort_onesweep_sort_config_static_selectorELNS0_4arch9wavefront6targetE0EEEvSK_.has_dyn_sized_stack, 0
	.set _ZN7rocprim17ROCPRIM_400000_NS6detail17trampoline_kernelINS0_14default_configENS1_35radix_sort_onesweep_config_selectorIiNS0_10empty_typeEEEZZNS1_29radix_sort_onesweep_iterationIS3_Lb1EN6thrust23THRUST_200600_302600_NS6detail15normal_iteratorINS9_10device_ptrIiEEEESE_PS5_SF_jNS0_19identity_decomposerENS1_16block_id_wrapperIjLb0EEEEE10hipError_tT1_PNSt15iterator_traitsISK_E10value_typeET2_T3_PNSL_ISQ_E10value_typeET4_T5_PSV_SW_PNS1_23onesweep_lookback_stateEbbT6_jjT7_P12ihipStream_tbENKUlT_T0_SK_SP_E_clIPiSE_SF_SF_EEDaS13_S14_SK_SP_EUlS13_E_NS1_11comp_targetILNS1_3genE6ELNS1_11target_archE950ELNS1_3gpuE13ELNS1_3repE0EEENS1_47radix_sort_onesweep_sort_config_static_selectorELNS0_4arch9wavefront6targetE0EEEvSK_.has_recursion, 0
	.set _ZN7rocprim17ROCPRIM_400000_NS6detail17trampoline_kernelINS0_14default_configENS1_35radix_sort_onesweep_config_selectorIiNS0_10empty_typeEEEZZNS1_29radix_sort_onesweep_iterationIS3_Lb1EN6thrust23THRUST_200600_302600_NS6detail15normal_iteratorINS9_10device_ptrIiEEEESE_PS5_SF_jNS0_19identity_decomposerENS1_16block_id_wrapperIjLb0EEEEE10hipError_tT1_PNSt15iterator_traitsISK_E10value_typeET2_T3_PNSL_ISQ_E10value_typeET4_T5_PSV_SW_PNS1_23onesweep_lookback_stateEbbT6_jjT7_P12ihipStream_tbENKUlT_T0_SK_SP_E_clIPiSE_SF_SF_EEDaS13_S14_SK_SP_EUlS13_E_NS1_11comp_targetILNS1_3genE6ELNS1_11target_archE950ELNS1_3gpuE13ELNS1_3repE0EEENS1_47radix_sort_onesweep_sort_config_static_selectorELNS0_4arch9wavefront6targetE0EEEvSK_.has_indirect_call, 0
	.section	.AMDGPU.csdata,"",@progbits
; Kernel info:
; codeLenInByte = 0
; TotalNumSgprs: 0
; NumVgprs: 0
; ScratchSize: 0
; MemoryBound: 0
; FloatMode: 240
; IeeeMode: 1
; LDSByteSize: 0 bytes/workgroup (compile time only)
; SGPRBlocks: 0
; VGPRBlocks: 0
; NumSGPRsForWavesPerEU: 1
; NumVGPRsForWavesPerEU: 1
; Occupancy: 16
; WaveLimiterHint : 0
; COMPUTE_PGM_RSRC2:SCRATCH_EN: 0
; COMPUTE_PGM_RSRC2:USER_SGPR: 6
; COMPUTE_PGM_RSRC2:TRAP_HANDLER: 0
; COMPUTE_PGM_RSRC2:TGID_X_EN: 1
; COMPUTE_PGM_RSRC2:TGID_Y_EN: 0
; COMPUTE_PGM_RSRC2:TGID_Z_EN: 0
; COMPUTE_PGM_RSRC2:TIDIG_COMP_CNT: 0
	.section	.text._ZN7rocprim17ROCPRIM_400000_NS6detail17trampoline_kernelINS0_14default_configENS1_35radix_sort_onesweep_config_selectorIiNS0_10empty_typeEEEZZNS1_29radix_sort_onesweep_iterationIS3_Lb1EN6thrust23THRUST_200600_302600_NS6detail15normal_iteratorINS9_10device_ptrIiEEEESE_PS5_SF_jNS0_19identity_decomposerENS1_16block_id_wrapperIjLb0EEEEE10hipError_tT1_PNSt15iterator_traitsISK_E10value_typeET2_T3_PNSL_ISQ_E10value_typeET4_T5_PSV_SW_PNS1_23onesweep_lookback_stateEbbT6_jjT7_P12ihipStream_tbENKUlT_T0_SK_SP_E_clIPiSE_SF_SF_EEDaS13_S14_SK_SP_EUlS13_E_NS1_11comp_targetILNS1_3genE5ELNS1_11target_archE942ELNS1_3gpuE9ELNS1_3repE0EEENS1_47radix_sort_onesweep_sort_config_static_selectorELNS0_4arch9wavefront6targetE0EEEvSK_,"axG",@progbits,_ZN7rocprim17ROCPRIM_400000_NS6detail17trampoline_kernelINS0_14default_configENS1_35radix_sort_onesweep_config_selectorIiNS0_10empty_typeEEEZZNS1_29radix_sort_onesweep_iterationIS3_Lb1EN6thrust23THRUST_200600_302600_NS6detail15normal_iteratorINS9_10device_ptrIiEEEESE_PS5_SF_jNS0_19identity_decomposerENS1_16block_id_wrapperIjLb0EEEEE10hipError_tT1_PNSt15iterator_traitsISK_E10value_typeET2_T3_PNSL_ISQ_E10value_typeET4_T5_PSV_SW_PNS1_23onesweep_lookback_stateEbbT6_jjT7_P12ihipStream_tbENKUlT_T0_SK_SP_E_clIPiSE_SF_SF_EEDaS13_S14_SK_SP_EUlS13_E_NS1_11comp_targetILNS1_3genE5ELNS1_11target_archE942ELNS1_3gpuE9ELNS1_3repE0EEENS1_47radix_sort_onesweep_sort_config_static_selectorELNS0_4arch9wavefront6targetE0EEEvSK_,comdat
	.protected	_ZN7rocprim17ROCPRIM_400000_NS6detail17trampoline_kernelINS0_14default_configENS1_35radix_sort_onesweep_config_selectorIiNS0_10empty_typeEEEZZNS1_29radix_sort_onesweep_iterationIS3_Lb1EN6thrust23THRUST_200600_302600_NS6detail15normal_iteratorINS9_10device_ptrIiEEEESE_PS5_SF_jNS0_19identity_decomposerENS1_16block_id_wrapperIjLb0EEEEE10hipError_tT1_PNSt15iterator_traitsISK_E10value_typeET2_T3_PNSL_ISQ_E10value_typeET4_T5_PSV_SW_PNS1_23onesweep_lookback_stateEbbT6_jjT7_P12ihipStream_tbENKUlT_T0_SK_SP_E_clIPiSE_SF_SF_EEDaS13_S14_SK_SP_EUlS13_E_NS1_11comp_targetILNS1_3genE5ELNS1_11target_archE942ELNS1_3gpuE9ELNS1_3repE0EEENS1_47radix_sort_onesweep_sort_config_static_selectorELNS0_4arch9wavefront6targetE0EEEvSK_ ; -- Begin function _ZN7rocprim17ROCPRIM_400000_NS6detail17trampoline_kernelINS0_14default_configENS1_35radix_sort_onesweep_config_selectorIiNS0_10empty_typeEEEZZNS1_29radix_sort_onesweep_iterationIS3_Lb1EN6thrust23THRUST_200600_302600_NS6detail15normal_iteratorINS9_10device_ptrIiEEEESE_PS5_SF_jNS0_19identity_decomposerENS1_16block_id_wrapperIjLb0EEEEE10hipError_tT1_PNSt15iterator_traitsISK_E10value_typeET2_T3_PNSL_ISQ_E10value_typeET4_T5_PSV_SW_PNS1_23onesweep_lookback_stateEbbT6_jjT7_P12ihipStream_tbENKUlT_T0_SK_SP_E_clIPiSE_SF_SF_EEDaS13_S14_SK_SP_EUlS13_E_NS1_11comp_targetILNS1_3genE5ELNS1_11target_archE942ELNS1_3gpuE9ELNS1_3repE0EEENS1_47radix_sort_onesweep_sort_config_static_selectorELNS0_4arch9wavefront6targetE0EEEvSK_
	.globl	_ZN7rocprim17ROCPRIM_400000_NS6detail17trampoline_kernelINS0_14default_configENS1_35radix_sort_onesweep_config_selectorIiNS0_10empty_typeEEEZZNS1_29radix_sort_onesweep_iterationIS3_Lb1EN6thrust23THRUST_200600_302600_NS6detail15normal_iteratorINS9_10device_ptrIiEEEESE_PS5_SF_jNS0_19identity_decomposerENS1_16block_id_wrapperIjLb0EEEEE10hipError_tT1_PNSt15iterator_traitsISK_E10value_typeET2_T3_PNSL_ISQ_E10value_typeET4_T5_PSV_SW_PNS1_23onesweep_lookback_stateEbbT6_jjT7_P12ihipStream_tbENKUlT_T0_SK_SP_E_clIPiSE_SF_SF_EEDaS13_S14_SK_SP_EUlS13_E_NS1_11comp_targetILNS1_3genE5ELNS1_11target_archE942ELNS1_3gpuE9ELNS1_3repE0EEENS1_47radix_sort_onesweep_sort_config_static_selectorELNS0_4arch9wavefront6targetE0EEEvSK_
	.p2align	8
	.type	_ZN7rocprim17ROCPRIM_400000_NS6detail17trampoline_kernelINS0_14default_configENS1_35radix_sort_onesweep_config_selectorIiNS0_10empty_typeEEEZZNS1_29radix_sort_onesweep_iterationIS3_Lb1EN6thrust23THRUST_200600_302600_NS6detail15normal_iteratorINS9_10device_ptrIiEEEESE_PS5_SF_jNS0_19identity_decomposerENS1_16block_id_wrapperIjLb0EEEEE10hipError_tT1_PNSt15iterator_traitsISK_E10value_typeET2_T3_PNSL_ISQ_E10value_typeET4_T5_PSV_SW_PNS1_23onesweep_lookback_stateEbbT6_jjT7_P12ihipStream_tbENKUlT_T0_SK_SP_E_clIPiSE_SF_SF_EEDaS13_S14_SK_SP_EUlS13_E_NS1_11comp_targetILNS1_3genE5ELNS1_11target_archE942ELNS1_3gpuE9ELNS1_3repE0EEENS1_47radix_sort_onesweep_sort_config_static_selectorELNS0_4arch9wavefront6targetE0EEEvSK_,@function
_ZN7rocprim17ROCPRIM_400000_NS6detail17trampoline_kernelINS0_14default_configENS1_35radix_sort_onesweep_config_selectorIiNS0_10empty_typeEEEZZNS1_29radix_sort_onesweep_iterationIS3_Lb1EN6thrust23THRUST_200600_302600_NS6detail15normal_iteratorINS9_10device_ptrIiEEEESE_PS5_SF_jNS0_19identity_decomposerENS1_16block_id_wrapperIjLb0EEEEE10hipError_tT1_PNSt15iterator_traitsISK_E10value_typeET2_T3_PNSL_ISQ_E10value_typeET4_T5_PSV_SW_PNS1_23onesweep_lookback_stateEbbT6_jjT7_P12ihipStream_tbENKUlT_T0_SK_SP_E_clIPiSE_SF_SF_EEDaS13_S14_SK_SP_EUlS13_E_NS1_11comp_targetILNS1_3genE5ELNS1_11target_archE942ELNS1_3gpuE9ELNS1_3repE0EEENS1_47radix_sort_onesweep_sort_config_static_selectorELNS0_4arch9wavefront6targetE0EEEvSK_: ; @_ZN7rocprim17ROCPRIM_400000_NS6detail17trampoline_kernelINS0_14default_configENS1_35radix_sort_onesweep_config_selectorIiNS0_10empty_typeEEEZZNS1_29radix_sort_onesweep_iterationIS3_Lb1EN6thrust23THRUST_200600_302600_NS6detail15normal_iteratorINS9_10device_ptrIiEEEESE_PS5_SF_jNS0_19identity_decomposerENS1_16block_id_wrapperIjLb0EEEEE10hipError_tT1_PNSt15iterator_traitsISK_E10value_typeET2_T3_PNSL_ISQ_E10value_typeET4_T5_PSV_SW_PNS1_23onesweep_lookback_stateEbbT6_jjT7_P12ihipStream_tbENKUlT_T0_SK_SP_E_clIPiSE_SF_SF_EEDaS13_S14_SK_SP_EUlS13_E_NS1_11comp_targetILNS1_3genE5ELNS1_11target_archE942ELNS1_3gpuE9ELNS1_3repE0EEENS1_47radix_sort_onesweep_sort_config_static_selectorELNS0_4arch9wavefront6targetE0EEEvSK_
; %bb.0:
	.section	.rodata,"a",@progbits
	.p2align	6, 0x0
	.amdhsa_kernel _ZN7rocprim17ROCPRIM_400000_NS6detail17trampoline_kernelINS0_14default_configENS1_35radix_sort_onesweep_config_selectorIiNS0_10empty_typeEEEZZNS1_29radix_sort_onesweep_iterationIS3_Lb1EN6thrust23THRUST_200600_302600_NS6detail15normal_iteratorINS9_10device_ptrIiEEEESE_PS5_SF_jNS0_19identity_decomposerENS1_16block_id_wrapperIjLb0EEEEE10hipError_tT1_PNSt15iterator_traitsISK_E10value_typeET2_T3_PNSL_ISQ_E10value_typeET4_T5_PSV_SW_PNS1_23onesweep_lookback_stateEbbT6_jjT7_P12ihipStream_tbENKUlT_T0_SK_SP_E_clIPiSE_SF_SF_EEDaS13_S14_SK_SP_EUlS13_E_NS1_11comp_targetILNS1_3genE5ELNS1_11target_archE942ELNS1_3gpuE9ELNS1_3repE0EEENS1_47radix_sort_onesweep_sort_config_static_selectorELNS0_4arch9wavefront6targetE0EEEvSK_
		.amdhsa_group_segment_fixed_size 0
		.amdhsa_private_segment_fixed_size 0
		.amdhsa_kernarg_size 88
		.amdhsa_user_sgpr_count 6
		.amdhsa_user_sgpr_private_segment_buffer 1
		.amdhsa_user_sgpr_dispatch_ptr 0
		.amdhsa_user_sgpr_queue_ptr 0
		.amdhsa_user_sgpr_kernarg_segment_ptr 1
		.amdhsa_user_sgpr_dispatch_id 0
		.amdhsa_user_sgpr_flat_scratch_init 0
		.amdhsa_user_sgpr_private_segment_size 0
		.amdhsa_wavefront_size32 1
		.amdhsa_uses_dynamic_stack 0
		.amdhsa_system_sgpr_private_segment_wavefront_offset 0
		.amdhsa_system_sgpr_workgroup_id_x 1
		.amdhsa_system_sgpr_workgroup_id_y 0
		.amdhsa_system_sgpr_workgroup_id_z 0
		.amdhsa_system_sgpr_workgroup_info 0
		.amdhsa_system_vgpr_workitem_id 0
		.amdhsa_next_free_vgpr 1
		.amdhsa_next_free_sgpr 1
		.amdhsa_reserve_vcc 0
		.amdhsa_reserve_flat_scratch 0
		.amdhsa_float_round_mode_32 0
		.amdhsa_float_round_mode_16_64 0
		.amdhsa_float_denorm_mode_32 3
		.amdhsa_float_denorm_mode_16_64 3
		.amdhsa_dx10_clamp 1
		.amdhsa_ieee_mode 1
		.amdhsa_fp16_overflow 0
		.amdhsa_workgroup_processor_mode 1
		.amdhsa_memory_ordered 1
		.amdhsa_forward_progress 1
		.amdhsa_shared_vgpr_count 0
		.amdhsa_exception_fp_ieee_invalid_op 0
		.amdhsa_exception_fp_denorm_src 0
		.amdhsa_exception_fp_ieee_div_zero 0
		.amdhsa_exception_fp_ieee_overflow 0
		.amdhsa_exception_fp_ieee_underflow 0
		.amdhsa_exception_fp_ieee_inexact 0
		.amdhsa_exception_int_div_zero 0
	.end_amdhsa_kernel
	.section	.text._ZN7rocprim17ROCPRIM_400000_NS6detail17trampoline_kernelINS0_14default_configENS1_35radix_sort_onesweep_config_selectorIiNS0_10empty_typeEEEZZNS1_29radix_sort_onesweep_iterationIS3_Lb1EN6thrust23THRUST_200600_302600_NS6detail15normal_iteratorINS9_10device_ptrIiEEEESE_PS5_SF_jNS0_19identity_decomposerENS1_16block_id_wrapperIjLb0EEEEE10hipError_tT1_PNSt15iterator_traitsISK_E10value_typeET2_T3_PNSL_ISQ_E10value_typeET4_T5_PSV_SW_PNS1_23onesweep_lookback_stateEbbT6_jjT7_P12ihipStream_tbENKUlT_T0_SK_SP_E_clIPiSE_SF_SF_EEDaS13_S14_SK_SP_EUlS13_E_NS1_11comp_targetILNS1_3genE5ELNS1_11target_archE942ELNS1_3gpuE9ELNS1_3repE0EEENS1_47radix_sort_onesweep_sort_config_static_selectorELNS0_4arch9wavefront6targetE0EEEvSK_,"axG",@progbits,_ZN7rocprim17ROCPRIM_400000_NS6detail17trampoline_kernelINS0_14default_configENS1_35radix_sort_onesweep_config_selectorIiNS0_10empty_typeEEEZZNS1_29radix_sort_onesweep_iterationIS3_Lb1EN6thrust23THRUST_200600_302600_NS6detail15normal_iteratorINS9_10device_ptrIiEEEESE_PS5_SF_jNS0_19identity_decomposerENS1_16block_id_wrapperIjLb0EEEEE10hipError_tT1_PNSt15iterator_traitsISK_E10value_typeET2_T3_PNSL_ISQ_E10value_typeET4_T5_PSV_SW_PNS1_23onesweep_lookback_stateEbbT6_jjT7_P12ihipStream_tbENKUlT_T0_SK_SP_E_clIPiSE_SF_SF_EEDaS13_S14_SK_SP_EUlS13_E_NS1_11comp_targetILNS1_3genE5ELNS1_11target_archE942ELNS1_3gpuE9ELNS1_3repE0EEENS1_47radix_sort_onesweep_sort_config_static_selectorELNS0_4arch9wavefront6targetE0EEEvSK_,comdat
.Lfunc_end383:
	.size	_ZN7rocprim17ROCPRIM_400000_NS6detail17trampoline_kernelINS0_14default_configENS1_35radix_sort_onesweep_config_selectorIiNS0_10empty_typeEEEZZNS1_29radix_sort_onesweep_iterationIS3_Lb1EN6thrust23THRUST_200600_302600_NS6detail15normal_iteratorINS9_10device_ptrIiEEEESE_PS5_SF_jNS0_19identity_decomposerENS1_16block_id_wrapperIjLb0EEEEE10hipError_tT1_PNSt15iterator_traitsISK_E10value_typeET2_T3_PNSL_ISQ_E10value_typeET4_T5_PSV_SW_PNS1_23onesweep_lookback_stateEbbT6_jjT7_P12ihipStream_tbENKUlT_T0_SK_SP_E_clIPiSE_SF_SF_EEDaS13_S14_SK_SP_EUlS13_E_NS1_11comp_targetILNS1_3genE5ELNS1_11target_archE942ELNS1_3gpuE9ELNS1_3repE0EEENS1_47radix_sort_onesweep_sort_config_static_selectorELNS0_4arch9wavefront6targetE0EEEvSK_, .Lfunc_end383-_ZN7rocprim17ROCPRIM_400000_NS6detail17trampoline_kernelINS0_14default_configENS1_35radix_sort_onesweep_config_selectorIiNS0_10empty_typeEEEZZNS1_29radix_sort_onesweep_iterationIS3_Lb1EN6thrust23THRUST_200600_302600_NS6detail15normal_iteratorINS9_10device_ptrIiEEEESE_PS5_SF_jNS0_19identity_decomposerENS1_16block_id_wrapperIjLb0EEEEE10hipError_tT1_PNSt15iterator_traitsISK_E10value_typeET2_T3_PNSL_ISQ_E10value_typeET4_T5_PSV_SW_PNS1_23onesweep_lookback_stateEbbT6_jjT7_P12ihipStream_tbENKUlT_T0_SK_SP_E_clIPiSE_SF_SF_EEDaS13_S14_SK_SP_EUlS13_E_NS1_11comp_targetILNS1_3genE5ELNS1_11target_archE942ELNS1_3gpuE9ELNS1_3repE0EEENS1_47radix_sort_onesweep_sort_config_static_selectorELNS0_4arch9wavefront6targetE0EEEvSK_
                                        ; -- End function
	.set _ZN7rocprim17ROCPRIM_400000_NS6detail17trampoline_kernelINS0_14default_configENS1_35radix_sort_onesweep_config_selectorIiNS0_10empty_typeEEEZZNS1_29radix_sort_onesweep_iterationIS3_Lb1EN6thrust23THRUST_200600_302600_NS6detail15normal_iteratorINS9_10device_ptrIiEEEESE_PS5_SF_jNS0_19identity_decomposerENS1_16block_id_wrapperIjLb0EEEEE10hipError_tT1_PNSt15iterator_traitsISK_E10value_typeET2_T3_PNSL_ISQ_E10value_typeET4_T5_PSV_SW_PNS1_23onesweep_lookback_stateEbbT6_jjT7_P12ihipStream_tbENKUlT_T0_SK_SP_E_clIPiSE_SF_SF_EEDaS13_S14_SK_SP_EUlS13_E_NS1_11comp_targetILNS1_3genE5ELNS1_11target_archE942ELNS1_3gpuE9ELNS1_3repE0EEENS1_47radix_sort_onesweep_sort_config_static_selectorELNS0_4arch9wavefront6targetE0EEEvSK_.num_vgpr, 0
	.set _ZN7rocprim17ROCPRIM_400000_NS6detail17trampoline_kernelINS0_14default_configENS1_35radix_sort_onesweep_config_selectorIiNS0_10empty_typeEEEZZNS1_29radix_sort_onesweep_iterationIS3_Lb1EN6thrust23THRUST_200600_302600_NS6detail15normal_iteratorINS9_10device_ptrIiEEEESE_PS5_SF_jNS0_19identity_decomposerENS1_16block_id_wrapperIjLb0EEEEE10hipError_tT1_PNSt15iterator_traitsISK_E10value_typeET2_T3_PNSL_ISQ_E10value_typeET4_T5_PSV_SW_PNS1_23onesweep_lookback_stateEbbT6_jjT7_P12ihipStream_tbENKUlT_T0_SK_SP_E_clIPiSE_SF_SF_EEDaS13_S14_SK_SP_EUlS13_E_NS1_11comp_targetILNS1_3genE5ELNS1_11target_archE942ELNS1_3gpuE9ELNS1_3repE0EEENS1_47radix_sort_onesweep_sort_config_static_selectorELNS0_4arch9wavefront6targetE0EEEvSK_.num_agpr, 0
	.set _ZN7rocprim17ROCPRIM_400000_NS6detail17trampoline_kernelINS0_14default_configENS1_35radix_sort_onesweep_config_selectorIiNS0_10empty_typeEEEZZNS1_29radix_sort_onesweep_iterationIS3_Lb1EN6thrust23THRUST_200600_302600_NS6detail15normal_iteratorINS9_10device_ptrIiEEEESE_PS5_SF_jNS0_19identity_decomposerENS1_16block_id_wrapperIjLb0EEEEE10hipError_tT1_PNSt15iterator_traitsISK_E10value_typeET2_T3_PNSL_ISQ_E10value_typeET4_T5_PSV_SW_PNS1_23onesweep_lookback_stateEbbT6_jjT7_P12ihipStream_tbENKUlT_T0_SK_SP_E_clIPiSE_SF_SF_EEDaS13_S14_SK_SP_EUlS13_E_NS1_11comp_targetILNS1_3genE5ELNS1_11target_archE942ELNS1_3gpuE9ELNS1_3repE0EEENS1_47radix_sort_onesweep_sort_config_static_selectorELNS0_4arch9wavefront6targetE0EEEvSK_.numbered_sgpr, 0
	.set _ZN7rocprim17ROCPRIM_400000_NS6detail17trampoline_kernelINS0_14default_configENS1_35radix_sort_onesweep_config_selectorIiNS0_10empty_typeEEEZZNS1_29radix_sort_onesweep_iterationIS3_Lb1EN6thrust23THRUST_200600_302600_NS6detail15normal_iteratorINS9_10device_ptrIiEEEESE_PS5_SF_jNS0_19identity_decomposerENS1_16block_id_wrapperIjLb0EEEEE10hipError_tT1_PNSt15iterator_traitsISK_E10value_typeET2_T3_PNSL_ISQ_E10value_typeET4_T5_PSV_SW_PNS1_23onesweep_lookback_stateEbbT6_jjT7_P12ihipStream_tbENKUlT_T0_SK_SP_E_clIPiSE_SF_SF_EEDaS13_S14_SK_SP_EUlS13_E_NS1_11comp_targetILNS1_3genE5ELNS1_11target_archE942ELNS1_3gpuE9ELNS1_3repE0EEENS1_47radix_sort_onesweep_sort_config_static_selectorELNS0_4arch9wavefront6targetE0EEEvSK_.num_named_barrier, 0
	.set _ZN7rocprim17ROCPRIM_400000_NS6detail17trampoline_kernelINS0_14default_configENS1_35radix_sort_onesweep_config_selectorIiNS0_10empty_typeEEEZZNS1_29radix_sort_onesweep_iterationIS3_Lb1EN6thrust23THRUST_200600_302600_NS6detail15normal_iteratorINS9_10device_ptrIiEEEESE_PS5_SF_jNS0_19identity_decomposerENS1_16block_id_wrapperIjLb0EEEEE10hipError_tT1_PNSt15iterator_traitsISK_E10value_typeET2_T3_PNSL_ISQ_E10value_typeET4_T5_PSV_SW_PNS1_23onesweep_lookback_stateEbbT6_jjT7_P12ihipStream_tbENKUlT_T0_SK_SP_E_clIPiSE_SF_SF_EEDaS13_S14_SK_SP_EUlS13_E_NS1_11comp_targetILNS1_3genE5ELNS1_11target_archE942ELNS1_3gpuE9ELNS1_3repE0EEENS1_47radix_sort_onesweep_sort_config_static_selectorELNS0_4arch9wavefront6targetE0EEEvSK_.private_seg_size, 0
	.set _ZN7rocprim17ROCPRIM_400000_NS6detail17trampoline_kernelINS0_14default_configENS1_35radix_sort_onesweep_config_selectorIiNS0_10empty_typeEEEZZNS1_29radix_sort_onesweep_iterationIS3_Lb1EN6thrust23THRUST_200600_302600_NS6detail15normal_iteratorINS9_10device_ptrIiEEEESE_PS5_SF_jNS0_19identity_decomposerENS1_16block_id_wrapperIjLb0EEEEE10hipError_tT1_PNSt15iterator_traitsISK_E10value_typeET2_T3_PNSL_ISQ_E10value_typeET4_T5_PSV_SW_PNS1_23onesweep_lookback_stateEbbT6_jjT7_P12ihipStream_tbENKUlT_T0_SK_SP_E_clIPiSE_SF_SF_EEDaS13_S14_SK_SP_EUlS13_E_NS1_11comp_targetILNS1_3genE5ELNS1_11target_archE942ELNS1_3gpuE9ELNS1_3repE0EEENS1_47radix_sort_onesweep_sort_config_static_selectorELNS0_4arch9wavefront6targetE0EEEvSK_.uses_vcc, 0
	.set _ZN7rocprim17ROCPRIM_400000_NS6detail17trampoline_kernelINS0_14default_configENS1_35radix_sort_onesweep_config_selectorIiNS0_10empty_typeEEEZZNS1_29radix_sort_onesweep_iterationIS3_Lb1EN6thrust23THRUST_200600_302600_NS6detail15normal_iteratorINS9_10device_ptrIiEEEESE_PS5_SF_jNS0_19identity_decomposerENS1_16block_id_wrapperIjLb0EEEEE10hipError_tT1_PNSt15iterator_traitsISK_E10value_typeET2_T3_PNSL_ISQ_E10value_typeET4_T5_PSV_SW_PNS1_23onesweep_lookback_stateEbbT6_jjT7_P12ihipStream_tbENKUlT_T0_SK_SP_E_clIPiSE_SF_SF_EEDaS13_S14_SK_SP_EUlS13_E_NS1_11comp_targetILNS1_3genE5ELNS1_11target_archE942ELNS1_3gpuE9ELNS1_3repE0EEENS1_47radix_sort_onesweep_sort_config_static_selectorELNS0_4arch9wavefront6targetE0EEEvSK_.uses_flat_scratch, 0
	.set _ZN7rocprim17ROCPRIM_400000_NS6detail17trampoline_kernelINS0_14default_configENS1_35radix_sort_onesweep_config_selectorIiNS0_10empty_typeEEEZZNS1_29radix_sort_onesweep_iterationIS3_Lb1EN6thrust23THRUST_200600_302600_NS6detail15normal_iteratorINS9_10device_ptrIiEEEESE_PS5_SF_jNS0_19identity_decomposerENS1_16block_id_wrapperIjLb0EEEEE10hipError_tT1_PNSt15iterator_traitsISK_E10value_typeET2_T3_PNSL_ISQ_E10value_typeET4_T5_PSV_SW_PNS1_23onesweep_lookback_stateEbbT6_jjT7_P12ihipStream_tbENKUlT_T0_SK_SP_E_clIPiSE_SF_SF_EEDaS13_S14_SK_SP_EUlS13_E_NS1_11comp_targetILNS1_3genE5ELNS1_11target_archE942ELNS1_3gpuE9ELNS1_3repE0EEENS1_47radix_sort_onesweep_sort_config_static_selectorELNS0_4arch9wavefront6targetE0EEEvSK_.has_dyn_sized_stack, 0
	.set _ZN7rocprim17ROCPRIM_400000_NS6detail17trampoline_kernelINS0_14default_configENS1_35radix_sort_onesweep_config_selectorIiNS0_10empty_typeEEEZZNS1_29radix_sort_onesweep_iterationIS3_Lb1EN6thrust23THRUST_200600_302600_NS6detail15normal_iteratorINS9_10device_ptrIiEEEESE_PS5_SF_jNS0_19identity_decomposerENS1_16block_id_wrapperIjLb0EEEEE10hipError_tT1_PNSt15iterator_traitsISK_E10value_typeET2_T3_PNSL_ISQ_E10value_typeET4_T5_PSV_SW_PNS1_23onesweep_lookback_stateEbbT6_jjT7_P12ihipStream_tbENKUlT_T0_SK_SP_E_clIPiSE_SF_SF_EEDaS13_S14_SK_SP_EUlS13_E_NS1_11comp_targetILNS1_3genE5ELNS1_11target_archE942ELNS1_3gpuE9ELNS1_3repE0EEENS1_47radix_sort_onesweep_sort_config_static_selectorELNS0_4arch9wavefront6targetE0EEEvSK_.has_recursion, 0
	.set _ZN7rocprim17ROCPRIM_400000_NS6detail17trampoline_kernelINS0_14default_configENS1_35radix_sort_onesweep_config_selectorIiNS0_10empty_typeEEEZZNS1_29radix_sort_onesweep_iterationIS3_Lb1EN6thrust23THRUST_200600_302600_NS6detail15normal_iteratorINS9_10device_ptrIiEEEESE_PS5_SF_jNS0_19identity_decomposerENS1_16block_id_wrapperIjLb0EEEEE10hipError_tT1_PNSt15iterator_traitsISK_E10value_typeET2_T3_PNSL_ISQ_E10value_typeET4_T5_PSV_SW_PNS1_23onesweep_lookback_stateEbbT6_jjT7_P12ihipStream_tbENKUlT_T0_SK_SP_E_clIPiSE_SF_SF_EEDaS13_S14_SK_SP_EUlS13_E_NS1_11comp_targetILNS1_3genE5ELNS1_11target_archE942ELNS1_3gpuE9ELNS1_3repE0EEENS1_47radix_sort_onesweep_sort_config_static_selectorELNS0_4arch9wavefront6targetE0EEEvSK_.has_indirect_call, 0
	.section	.AMDGPU.csdata,"",@progbits
; Kernel info:
; codeLenInByte = 0
; TotalNumSgprs: 0
; NumVgprs: 0
; ScratchSize: 0
; MemoryBound: 0
; FloatMode: 240
; IeeeMode: 1
; LDSByteSize: 0 bytes/workgroup (compile time only)
; SGPRBlocks: 0
; VGPRBlocks: 0
; NumSGPRsForWavesPerEU: 1
; NumVGPRsForWavesPerEU: 1
; Occupancy: 16
; WaveLimiterHint : 0
; COMPUTE_PGM_RSRC2:SCRATCH_EN: 0
; COMPUTE_PGM_RSRC2:USER_SGPR: 6
; COMPUTE_PGM_RSRC2:TRAP_HANDLER: 0
; COMPUTE_PGM_RSRC2:TGID_X_EN: 1
; COMPUTE_PGM_RSRC2:TGID_Y_EN: 0
; COMPUTE_PGM_RSRC2:TGID_Z_EN: 0
; COMPUTE_PGM_RSRC2:TIDIG_COMP_CNT: 0
	.section	.text._ZN7rocprim17ROCPRIM_400000_NS6detail17trampoline_kernelINS0_14default_configENS1_35radix_sort_onesweep_config_selectorIiNS0_10empty_typeEEEZZNS1_29radix_sort_onesweep_iterationIS3_Lb1EN6thrust23THRUST_200600_302600_NS6detail15normal_iteratorINS9_10device_ptrIiEEEESE_PS5_SF_jNS0_19identity_decomposerENS1_16block_id_wrapperIjLb0EEEEE10hipError_tT1_PNSt15iterator_traitsISK_E10value_typeET2_T3_PNSL_ISQ_E10value_typeET4_T5_PSV_SW_PNS1_23onesweep_lookback_stateEbbT6_jjT7_P12ihipStream_tbENKUlT_T0_SK_SP_E_clIPiSE_SF_SF_EEDaS13_S14_SK_SP_EUlS13_E_NS1_11comp_targetILNS1_3genE2ELNS1_11target_archE906ELNS1_3gpuE6ELNS1_3repE0EEENS1_47radix_sort_onesweep_sort_config_static_selectorELNS0_4arch9wavefront6targetE0EEEvSK_,"axG",@progbits,_ZN7rocprim17ROCPRIM_400000_NS6detail17trampoline_kernelINS0_14default_configENS1_35radix_sort_onesweep_config_selectorIiNS0_10empty_typeEEEZZNS1_29radix_sort_onesweep_iterationIS3_Lb1EN6thrust23THRUST_200600_302600_NS6detail15normal_iteratorINS9_10device_ptrIiEEEESE_PS5_SF_jNS0_19identity_decomposerENS1_16block_id_wrapperIjLb0EEEEE10hipError_tT1_PNSt15iterator_traitsISK_E10value_typeET2_T3_PNSL_ISQ_E10value_typeET4_T5_PSV_SW_PNS1_23onesweep_lookback_stateEbbT6_jjT7_P12ihipStream_tbENKUlT_T0_SK_SP_E_clIPiSE_SF_SF_EEDaS13_S14_SK_SP_EUlS13_E_NS1_11comp_targetILNS1_3genE2ELNS1_11target_archE906ELNS1_3gpuE6ELNS1_3repE0EEENS1_47radix_sort_onesweep_sort_config_static_selectorELNS0_4arch9wavefront6targetE0EEEvSK_,comdat
	.protected	_ZN7rocprim17ROCPRIM_400000_NS6detail17trampoline_kernelINS0_14default_configENS1_35radix_sort_onesweep_config_selectorIiNS0_10empty_typeEEEZZNS1_29radix_sort_onesweep_iterationIS3_Lb1EN6thrust23THRUST_200600_302600_NS6detail15normal_iteratorINS9_10device_ptrIiEEEESE_PS5_SF_jNS0_19identity_decomposerENS1_16block_id_wrapperIjLb0EEEEE10hipError_tT1_PNSt15iterator_traitsISK_E10value_typeET2_T3_PNSL_ISQ_E10value_typeET4_T5_PSV_SW_PNS1_23onesweep_lookback_stateEbbT6_jjT7_P12ihipStream_tbENKUlT_T0_SK_SP_E_clIPiSE_SF_SF_EEDaS13_S14_SK_SP_EUlS13_E_NS1_11comp_targetILNS1_3genE2ELNS1_11target_archE906ELNS1_3gpuE6ELNS1_3repE0EEENS1_47radix_sort_onesweep_sort_config_static_selectorELNS0_4arch9wavefront6targetE0EEEvSK_ ; -- Begin function _ZN7rocprim17ROCPRIM_400000_NS6detail17trampoline_kernelINS0_14default_configENS1_35radix_sort_onesweep_config_selectorIiNS0_10empty_typeEEEZZNS1_29radix_sort_onesweep_iterationIS3_Lb1EN6thrust23THRUST_200600_302600_NS6detail15normal_iteratorINS9_10device_ptrIiEEEESE_PS5_SF_jNS0_19identity_decomposerENS1_16block_id_wrapperIjLb0EEEEE10hipError_tT1_PNSt15iterator_traitsISK_E10value_typeET2_T3_PNSL_ISQ_E10value_typeET4_T5_PSV_SW_PNS1_23onesweep_lookback_stateEbbT6_jjT7_P12ihipStream_tbENKUlT_T0_SK_SP_E_clIPiSE_SF_SF_EEDaS13_S14_SK_SP_EUlS13_E_NS1_11comp_targetILNS1_3genE2ELNS1_11target_archE906ELNS1_3gpuE6ELNS1_3repE0EEENS1_47radix_sort_onesweep_sort_config_static_selectorELNS0_4arch9wavefront6targetE0EEEvSK_
	.globl	_ZN7rocprim17ROCPRIM_400000_NS6detail17trampoline_kernelINS0_14default_configENS1_35radix_sort_onesweep_config_selectorIiNS0_10empty_typeEEEZZNS1_29radix_sort_onesweep_iterationIS3_Lb1EN6thrust23THRUST_200600_302600_NS6detail15normal_iteratorINS9_10device_ptrIiEEEESE_PS5_SF_jNS0_19identity_decomposerENS1_16block_id_wrapperIjLb0EEEEE10hipError_tT1_PNSt15iterator_traitsISK_E10value_typeET2_T3_PNSL_ISQ_E10value_typeET4_T5_PSV_SW_PNS1_23onesweep_lookback_stateEbbT6_jjT7_P12ihipStream_tbENKUlT_T0_SK_SP_E_clIPiSE_SF_SF_EEDaS13_S14_SK_SP_EUlS13_E_NS1_11comp_targetILNS1_3genE2ELNS1_11target_archE906ELNS1_3gpuE6ELNS1_3repE0EEENS1_47radix_sort_onesweep_sort_config_static_selectorELNS0_4arch9wavefront6targetE0EEEvSK_
	.p2align	8
	.type	_ZN7rocprim17ROCPRIM_400000_NS6detail17trampoline_kernelINS0_14default_configENS1_35radix_sort_onesweep_config_selectorIiNS0_10empty_typeEEEZZNS1_29radix_sort_onesweep_iterationIS3_Lb1EN6thrust23THRUST_200600_302600_NS6detail15normal_iteratorINS9_10device_ptrIiEEEESE_PS5_SF_jNS0_19identity_decomposerENS1_16block_id_wrapperIjLb0EEEEE10hipError_tT1_PNSt15iterator_traitsISK_E10value_typeET2_T3_PNSL_ISQ_E10value_typeET4_T5_PSV_SW_PNS1_23onesweep_lookback_stateEbbT6_jjT7_P12ihipStream_tbENKUlT_T0_SK_SP_E_clIPiSE_SF_SF_EEDaS13_S14_SK_SP_EUlS13_E_NS1_11comp_targetILNS1_3genE2ELNS1_11target_archE906ELNS1_3gpuE6ELNS1_3repE0EEENS1_47radix_sort_onesweep_sort_config_static_selectorELNS0_4arch9wavefront6targetE0EEEvSK_,@function
_ZN7rocprim17ROCPRIM_400000_NS6detail17trampoline_kernelINS0_14default_configENS1_35radix_sort_onesweep_config_selectorIiNS0_10empty_typeEEEZZNS1_29radix_sort_onesweep_iterationIS3_Lb1EN6thrust23THRUST_200600_302600_NS6detail15normal_iteratorINS9_10device_ptrIiEEEESE_PS5_SF_jNS0_19identity_decomposerENS1_16block_id_wrapperIjLb0EEEEE10hipError_tT1_PNSt15iterator_traitsISK_E10value_typeET2_T3_PNSL_ISQ_E10value_typeET4_T5_PSV_SW_PNS1_23onesweep_lookback_stateEbbT6_jjT7_P12ihipStream_tbENKUlT_T0_SK_SP_E_clIPiSE_SF_SF_EEDaS13_S14_SK_SP_EUlS13_E_NS1_11comp_targetILNS1_3genE2ELNS1_11target_archE906ELNS1_3gpuE6ELNS1_3repE0EEENS1_47radix_sort_onesweep_sort_config_static_selectorELNS0_4arch9wavefront6targetE0EEEvSK_: ; @_ZN7rocprim17ROCPRIM_400000_NS6detail17trampoline_kernelINS0_14default_configENS1_35radix_sort_onesweep_config_selectorIiNS0_10empty_typeEEEZZNS1_29radix_sort_onesweep_iterationIS3_Lb1EN6thrust23THRUST_200600_302600_NS6detail15normal_iteratorINS9_10device_ptrIiEEEESE_PS5_SF_jNS0_19identity_decomposerENS1_16block_id_wrapperIjLb0EEEEE10hipError_tT1_PNSt15iterator_traitsISK_E10value_typeET2_T3_PNSL_ISQ_E10value_typeET4_T5_PSV_SW_PNS1_23onesweep_lookback_stateEbbT6_jjT7_P12ihipStream_tbENKUlT_T0_SK_SP_E_clIPiSE_SF_SF_EEDaS13_S14_SK_SP_EUlS13_E_NS1_11comp_targetILNS1_3genE2ELNS1_11target_archE906ELNS1_3gpuE6ELNS1_3repE0EEENS1_47radix_sort_onesweep_sort_config_static_selectorELNS0_4arch9wavefront6targetE0EEEvSK_
; %bb.0:
	.section	.rodata,"a",@progbits
	.p2align	6, 0x0
	.amdhsa_kernel _ZN7rocprim17ROCPRIM_400000_NS6detail17trampoline_kernelINS0_14default_configENS1_35radix_sort_onesweep_config_selectorIiNS0_10empty_typeEEEZZNS1_29radix_sort_onesweep_iterationIS3_Lb1EN6thrust23THRUST_200600_302600_NS6detail15normal_iteratorINS9_10device_ptrIiEEEESE_PS5_SF_jNS0_19identity_decomposerENS1_16block_id_wrapperIjLb0EEEEE10hipError_tT1_PNSt15iterator_traitsISK_E10value_typeET2_T3_PNSL_ISQ_E10value_typeET4_T5_PSV_SW_PNS1_23onesweep_lookback_stateEbbT6_jjT7_P12ihipStream_tbENKUlT_T0_SK_SP_E_clIPiSE_SF_SF_EEDaS13_S14_SK_SP_EUlS13_E_NS1_11comp_targetILNS1_3genE2ELNS1_11target_archE906ELNS1_3gpuE6ELNS1_3repE0EEENS1_47radix_sort_onesweep_sort_config_static_selectorELNS0_4arch9wavefront6targetE0EEEvSK_
		.amdhsa_group_segment_fixed_size 0
		.amdhsa_private_segment_fixed_size 0
		.amdhsa_kernarg_size 88
		.amdhsa_user_sgpr_count 6
		.amdhsa_user_sgpr_private_segment_buffer 1
		.amdhsa_user_sgpr_dispatch_ptr 0
		.amdhsa_user_sgpr_queue_ptr 0
		.amdhsa_user_sgpr_kernarg_segment_ptr 1
		.amdhsa_user_sgpr_dispatch_id 0
		.amdhsa_user_sgpr_flat_scratch_init 0
		.amdhsa_user_sgpr_private_segment_size 0
		.amdhsa_wavefront_size32 1
		.amdhsa_uses_dynamic_stack 0
		.amdhsa_system_sgpr_private_segment_wavefront_offset 0
		.amdhsa_system_sgpr_workgroup_id_x 1
		.amdhsa_system_sgpr_workgroup_id_y 0
		.amdhsa_system_sgpr_workgroup_id_z 0
		.amdhsa_system_sgpr_workgroup_info 0
		.amdhsa_system_vgpr_workitem_id 0
		.amdhsa_next_free_vgpr 1
		.amdhsa_next_free_sgpr 1
		.amdhsa_reserve_vcc 0
		.amdhsa_reserve_flat_scratch 0
		.amdhsa_float_round_mode_32 0
		.amdhsa_float_round_mode_16_64 0
		.amdhsa_float_denorm_mode_32 3
		.amdhsa_float_denorm_mode_16_64 3
		.amdhsa_dx10_clamp 1
		.amdhsa_ieee_mode 1
		.amdhsa_fp16_overflow 0
		.amdhsa_workgroup_processor_mode 1
		.amdhsa_memory_ordered 1
		.amdhsa_forward_progress 1
		.amdhsa_shared_vgpr_count 0
		.amdhsa_exception_fp_ieee_invalid_op 0
		.amdhsa_exception_fp_denorm_src 0
		.amdhsa_exception_fp_ieee_div_zero 0
		.amdhsa_exception_fp_ieee_overflow 0
		.amdhsa_exception_fp_ieee_underflow 0
		.amdhsa_exception_fp_ieee_inexact 0
		.amdhsa_exception_int_div_zero 0
	.end_amdhsa_kernel
	.section	.text._ZN7rocprim17ROCPRIM_400000_NS6detail17trampoline_kernelINS0_14default_configENS1_35radix_sort_onesweep_config_selectorIiNS0_10empty_typeEEEZZNS1_29radix_sort_onesweep_iterationIS3_Lb1EN6thrust23THRUST_200600_302600_NS6detail15normal_iteratorINS9_10device_ptrIiEEEESE_PS5_SF_jNS0_19identity_decomposerENS1_16block_id_wrapperIjLb0EEEEE10hipError_tT1_PNSt15iterator_traitsISK_E10value_typeET2_T3_PNSL_ISQ_E10value_typeET4_T5_PSV_SW_PNS1_23onesweep_lookback_stateEbbT6_jjT7_P12ihipStream_tbENKUlT_T0_SK_SP_E_clIPiSE_SF_SF_EEDaS13_S14_SK_SP_EUlS13_E_NS1_11comp_targetILNS1_3genE2ELNS1_11target_archE906ELNS1_3gpuE6ELNS1_3repE0EEENS1_47radix_sort_onesweep_sort_config_static_selectorELNS0_4arch9wavefront6targetE0EEEvSK_,"axG",@progbits,_ZN7rocprim17ROCPRIM_400000_NS6detail17trampoline_kernelINS0_14default_configENS1_35radix_sort_onesweep_config_selectorIiNS0_10empty_typeEEEZZNS1_29radix_sort_onesweep_iterationIS3_Lb1EN6thrust23THRUST_200600_302600_NS6detail15normal_iteratorINS9_10device_ptrIiEEEESE_PS5_SF_jNS0_19identity_decomposerENS1_16block_id_wrapperIjLb0EEEEE10hipError_tT1_PNSt15iterator_traitsISK_E10value_typeET2_T3_PNSL_ISQ_E10value_typeET4_T5_PSV_SW_PNS1_23onesweep_lookback_stateEbbT6_jjT7_P12ihipStream_tbENKUlT_T0_SK_SP_E_clIPiSE_SF_SF_EEDaS13_S14_SK_SP_EUlS13_E_NS1_11comp_targetILNS1_3genE2ELNS1_11target_archE906ELNS1_3gpuE6ELNS1_3repE0EEENS1_47radix_sort_onesweep_sort_config_static_selectorELNS0_4arch9wavefront6targetE0EEEvSK_,comdat
.Lfunc_end384:
	.size	_ZN7rocprim17ROCPRIM_400000_NS6detail17trampoline_kernelINS0_14default_configENS1_35radix_sort_onesweep_config_selectorIiNS0_10empty_typeEEEZZNS1_29radix_sort_onesweep_iterationIS3_Lb1EN6thrust23THRUST_200600_302600_NS6detail15normal_iteratorINS9_10device_ptrIiEEEESE_PS5_SF_jNS0_19identity_decomposerENS1_16block_id_wrapperIjLb0EEEEE10hipError_tT1_PNSt15iterator_traitsISK_E10value_typeET2_T3_PNSL_ISQ_E10value_typeET4_T5_PSV_SW_PNS1_23onesweep_lookback_stateEbbT6_jjT7_P12ihipStream_tbENKUlT_T0_SK_SP_E_clIPiSE_SF_SF_EEDaS13_S14_SK_SP_EUlS13_E_NS1_11comp_targetILNS1_3genE2ELNS1_11target_archE906ELNS1_3gpuE6ELNS1_3repE0EEENS1_47radix_sort_onesweep_sort_config_static_selectorELNS0_4arch9wavefront6targetE0EEEvSK_, .Lfunc_end384-_ZN7rocprim17ROCPRIM_400000_NS6detail17trampoline_kernelINS0_14default_configENS1_35radix_sort_onesweep_config_selectorIiNS0_10empty_typeEEEZZNS1_29radix_sort_onesweep_iterationIS3_Lb1EN6thrust23THRUST_200600_302600_NS6detail15normal_iteratorINS9_10device_ptrIiEEEESE_PS5_SF_jNS0_19identity_decomposerENS1_16block_id_wrapperIjLb0EEEEE10hipError_tT1_PNSt15iterator_traitsISK_E10value_typeET2_T3_PNSL_ISQ_E10value_typeET4_T5_PSV_SW_PNS1_23onesweep_lookback_stateEbbT6_jjT7_P12ihipStream_tbENKUlT_T0_SK_SP_E_clIPiSE_SF_SF_EEDaS13_S14_SK_SP_EUlS13_E_NS1_11comp_targetILNS1_3genE2ELNS1_11target_archE906ELNS1_3gpuE6ELNS1_3repE0EEENS1_47radix_sort_onesweep_sort_config_static_selectorELNS0_4arch9wavefront6targetE0EEEvSK_
                                        ; -- End function
	.set _ZN7rocprim17ROCPRIM_400000_NS6detail17trampoline_kernelINS0_14default_configENS1_35radix_sort_onesweep_config_selectorIiNS0_10empty_typeEEEZZNS1_29radix_sort_onesweep_iterationIS3_Lb1EN6thrust23THRUST_200600_302600_NS6detail15normal_iteratorINS9_10device_ptrIiEEEESE_PS5_SF_jNS0_19identity_decomposerENS1_16block_id_wrapperIjLb0EEEEE10hipError_tT1_PNSt15iterator_traitsISK_E10value_typeET2_T3_PNSL_ISQ_E10value_typeET4_T5_PSV_SW_PNS1_23onesweep_lookback_stateEbbT6_jjT7_P12ihipStream_tbENKUlT_T0_SK_SP_E_clIPiSE_SF_SF_EEDaS13_S14_SK_SP_EUlS13_E_NS1_11comp_targetILNS1_3genE2ELNS1_11target_archE906ELNS1_3gpuE6ELNS1_3repE0EEENS1_47radix_sort_onesweep_sort_config_static_selectorELNS0_4arch9wavefront6targetE0EEEvSK_.num_vgpr, 0
	.set _ZN7rocprim17ROCPRIM_400000_NS6detail17trampoline_kernelINS0_14default_configENS1_35radix_sort_onesweep_config_selectorIiNS0_10empty_typeEEEZZNS1_29radix_sort_onesweep_iterationIS3_Lb1EN6thrust23THRUST_200600_302600_NS6detail15normal_iteratorINS9_10device_ptrIiEEEESE_PS5_SF_jNS0_19identity_decomposerENS1_16block_id_wrapperIjLb0EEEEE10hipError_tT1_PNSt15iterator_traitsISK_E10value_typeET2_T3_PNSL_ISQ_E10value_typeET4_T5_PSV_SW_PNS1_23onesweep_lookback_stateEbbT6_jjT7_P12ihipStream_tbENKUlT_T0_SK_SP_E_clIPiSE_SF_SF_EEDaS13_S14_SK_SP_EUlS13_E_NS1_11comp_targetILNS1_3genE2ELNS1_11target_archE906ELNS1_3gpuE6ELNS1_3repE0EEENS1_47radix_sort_onesweep_sort_config_static_selectorELNS0_4arch9wavefront6targetE0EEEvSK_.num_agpr, 0
	.set _ZN7rocprim17ROCPRIM_400000_NS6detail17trampoline_kernelINS0_14default_configENS1_35radix_sort_onesweep_config_selectorIiNS0_10empty_typeEEEZZNS1_29radix_sort_onesweep_iterationIS3_Lb1EN6thrust23THRUST_200600_302600_NS6detail15normal_iteratorINS9_10device_ptrIiEEEESE_PS5_SF_jNS0_19identity_decomposerENS1_16block_id_wrapperIjLb0EEEEE10hipError_tT1_PNSt15iterator_traitsISK_E10value_typeET2_T3_PNSL_ISQ_E10value_typeET4_T5_PSV_SW_PNS1_23onesweep_lookback_stateEbbT6_jjT7_P12ihipStream_tbENKUlT_T0_SK_SP_E_clIPiSE_SF_SF_EEDaS13_S14_SK_SP_EUlS13_E_NS1_11comp_targetILNS1_3genE2ELNS1_11target_archE906ELNS1_3gpuE6ELNS1_3repE0EEENS1_47radix_sort_onesweep_sort_config_static_selectorELNS0_4arch9wavefront6targetE0EEEvSK_.numbered_sgpr, 0
	.set _ZN7rocprim17ROCPRIM_400000_NS6detail17trampoline_kernelINS0_14default_configENS1_35radix_sort_onesweep_config_selectorIiNS0_10empty_typeEEEZZNS1_29radix_sort_onesweep_iterationIS3_Lb1EN6thrust23THRUST_200600_302600_NS6detail15normal_iteratorINS9_10device_ptrIiEEEESE_PS5_SF_jNS0_19identity_decomposerENS1_16block_id_wrapperIjLb0EEEEE10hipError_tT1_PNSt15iterator_traitsISK_E10value_typeET2_T3_PNSL_ISQ_E10value_typeET4_T5_PSV_SW_PNS1_23onesweep_lookback_stateEbbT6_jjT7_P12ihipStream_tbENKUlT_T0_SK_SP_E_clIPiSE_SF_SF_EEDaS13_S14_SK_SP_EUlS13_E_NS1_11comp_targetILNS1_3genE2ELNS1_11target_archE906ELNS1_3gpuE6ELNS1_3repE0EEENS1_47radix_sort_onesweep_sort_config_static_selectorELNS0_4arch9wavefront6targetE0EEEvSK_.num_named_barrier, 0
	.set _ZN7rocprim17ROCPRIM_400000_NS6detail17trampoline_kernelINS0_14default_configENS1_35radix_sort_onesweep_config_selectorIiNS0_10empty_typeEEEZZNS1_29radix_sort_onesweep_iterationIS3_Lb1EN6thrust23THRUST_200600_302600_NS6detail15normal_iteratorINS9_10device_ptrIiEEEESE_PS5_SF_jNS0_19identity_decomposerENS1_16block_id_wrapperIjLb0EEEEE10hipError_tT1_PNSt15iterator_traitsISK_E10value_typeET2_T3_PNSL_ISQ_E10value_typeET4_T5_PSV_SW_PNS1_23onesweep_lookback_stateEbbT6_jjT7_P12ihipStream_tbENKUlT_T0_SK_SP_E_clIPiSE_SF_SF_EEDaS13_S14_SK_SP_EUlS13_E_NS1_11comp_targetILNS1_3genE2ELNS1_11target_archE906ELNS1_3gpuE6ELNS1_3repE0EEENS1_47radix_sort_onesweep_sort_config_static_selectorELNS0_4arch9wavefront6targetE0EEEvSK_.private_seg_size, 0
	.set _ZN7rocprim17ROCPRIM_400000_NS6detail17trampoline_kernelINS0_14default_configENS1_35radix_sort_onesweep_config_selectorIiNS0_10empty_typeEEEZZNS1_29radix_sort_onesweep_iterationIS3_Lb1EN6thrust23THRUST_200600_302600_NS6detail15normal_iteratorINS9_10device_ptrIiEEEESE_PS5_SF_jNS0_19identity_decomposerENS1_16block_id_wrapperIjLb0EEEEE10hipError_tT1_PNSt15iterator_traitsISK_E10value_typeET2_T3_PNSL_ISQ_E10value_typeET4_T5_PSV_SW_PNS1_23onesweep_lookback_stateEbbT6_jjT7_P12ihipStream_tbENKUlT_T0_SK_SP_E_clIPiSE_SF_SF_EEDaS13_S14_SK_SP_EUlS13_E_NS1_11comp_targetILNS1_3genE2ELNS1_11target_archE906ELNS1_3gpuE6ELNS1_3repE0EEENS1_47radix_sort_onesweep_sort_config_static_selectorELNS0_4arch9wavefront6targetE0EEEvSK_.uses_vcc, 0
	.set _ZN7rocprim17ROCPRIM_400000_NS6detail17trampoline_kernelINS0_14default_configENS1_35radix_sort_onesweep_config_selectorIiNS0_10empty_typeEEEZZNS1_29radix_sort_onesweep_iterationIS3_Lb1EN6thrust23THRUST_200600_302600_NS6detail15normal_iteratorINS9_10device_ptrIiEEEESE_PS5_SF_jNS0_19identity_decomposerENS1_16block_id_wrapperIjLb0EEEEE10hipError_tT1_PNSt15iterator_traitsISK_E10value_typeET2_T3_PNSL_ISQ_E10value_typeET4_T5_PSV_SW_PNS1_23onesweep_lookback_stateEbbT6_jjT7_P12ihipStream_tbENKUlT_T0_SK_SP_E_clIPiSE_SF_SF_EEDaS13_S14_SK_SP_EUlS13_E_NS1_11comp_targetILNS1_3genE2ELNS1_11target_archE906ELNS1_3gpuE6ELNS1_3repE0EEENS1_47radix_sort_onesweep_sort_config_static_selectorELNS0_4arch9wavefront6targetE0EEEvSK_.uses_flat_scratch, 0
	.set _ZN7rocprim17ROCPRIM_400000_NS6detail17trampoline_kernelINS0_14default_configENS1_35radix_sort_onesweep_config_selectorIiNS0_10empty_typeEEEZZNS1_29radix_sort_onesweep_iterationIS3_Lb1EN6thrust23THRUST_200600_302600_NS6detail15normal_iteratorINS9_10device_ptrIiEEEESE_PS5_SF_jNS0_19identity_decomposerENS1_16block_id_wrapperIjLb0EEEEE10hipError_tT1_PNSt15iterator_traitsISK_E10value_typeET2_T3_PNSL_ISQ_E10value_typeET4_T5_PSV_SW_PNS1_23onesweep_lookback_stateEbbT6_jjT7_P12ihipStream_tbENKUlT_T0_SK_SP_E_clIPiSE_SF_SF_EEDaS13_S14_SK_SP_EUlS13_E_NS1_11comp_targetILNS1_3genE2ELNS1_11target_archE906ELNS1_3gpuE6ELNS1_3repE0EEENS1_47radix_sort_onesweep_sort_config_static_selectorELNS0_4arch9wavefront6targetE0EEEvSK_.has_dyn_sized_stack, 0
	.set _ZN7rocprim17ROCPRIM_400000_NS6detail17trampoline_kernelINS0_14default_configENS1_35radix_sort_onesweep_config_selectorIiNS0_10empty_typeEEEZZNS1_29radix_sort_onesweep_iterationIS3_Lb1EN6thrust23THRUST_200600_302600_NS6detail15normal_iteratorINS9_10device_ptrIiEEEESE_PS5_SF_jNS0_19identity_decomposerENS1_16block_id_wrapperIjLb0EEEEE10hipError_tT1_PNSt15iterator_traitsISK_E10value_typeET2_T3_PNSL_ISQ_E10value_typeET4_T5_PSV_SW_PNS1_23onesweep_lookback_stateEbbT6_jjT7_P12ihipStream_tbENKUlT_T0_SK_SP_E_clIPiSE_SF_SF_EEDaS13_S14_SK_SP_EUlS13_E_NS1_11comp_targetILNS1_3genE2ELNS1_11target_archE906ELNS1_3gpuE6ELNS1_3repE0EEENS1_47radix_sort_onesweep_sort_config_static_selectorELNS0_4arch9wavefront6targetE0EEEvSK_.has_recursion, 0
	.set _ZN7rocprim17ROCPRIM_400000_NS6detail17trampoline_kernelINS0_14default_configENS1_35radix_sort_onesweep_config_selectorIiNS0_10empty_typeEEEZZNS1_29radix_sort_onesweep_iterationIS3_Lb1EN6thrust23THRUST_200600_302600_NS6detail15normal_iteratorINS9_10device_ptrIiEEEESE_PS5_SF_jNS0_19identity_decomposerENS1_16block_id_wrapperIjLb0EEEEE10hipError_tT1_PNSt15iterator_traitsISK_E10value_typeET2_T3_PNSL_ISQ_E10value_typeET4_T5_PSV_SW_PNS1_23onesweep_lookback_stateEbbT6_jjT7_P12ihipStream_tbENKUlT_T0_SK_SP_E_clIPiSE_SF_SF_EEDaS13_S14_SK_SP_EUlS13_E_NS1_11comp_targetILNS1_3genE2ELNS1_11target_archE906ELNS1_3gpuE6ELNS1_3repE0EEENS1_47radix_sort_onesweep_sort_config_static_selectorELNS0_4arch9wavefront6targetE0EEEvSK_.has_indirect_call, 0
	.section	.AMDGPU.csdata,"",@progbits
; Kernel info:
; codeLenInByte = 0
; TotalNumSgprs: 0
; NumVgprs: 0
; ScratchSize: 0
; MemoryBound: 0
; FloatMode: 240
; IeeeMode: 1
; LDSByteSize: 0 bytes/workgroup (compile time only)
; SGPRBlocks: 0
; VGPRBlocks: 0
; NumSGPRsForWavesPerEU: 1
; NumVGPRsForWavesPerEU: 1
; Occupancy: 16
; WaveLimiterHint : 0
; COMPUTE_PGM_RSRC2:SCRATCH_EN: 0
; COMPUTE_PGM_RSRC2:USER_SGPR: 6
; COMPUTE_PGM_RSRC2:TRAP_HANDLER: 0
; COMPUTE_PGM_RSRC2:TGID_X_EN: 1
; COMPUTE_PGM_RSRC2:TGID_Y_EN: 0
; COMPUTE_PGM_RSRC2:TGID_Z_EN: 0
; COMPUTE_PGM_RSRC2:TIDIG_COMP_CNT: 0
	.section	.text._ZN7rocprim17ROCPRIM_400000_NS6detail17trampoline_kernelINS0_14default_configENS1_35radix_sort_onesweep_config_selectorIiNS0_10empty_typeEEEZZNS1_29radix_sort_onesweep_iterationIS3_Lb1EN6thrust23THRUST_200600_302600_NS6detail15normal_iteratorINS9_10device_ptrIiEEEESE_PS5_SF_jNS0_19identity_decomposerENS1_16block_id_wrapperIjLb0EEEEE10hipError_tT1_PNSt15iterator_traitsISK_E10value_typeET2_T3_PNSL_ISQ_E10value_typeET4_T5_PSV_SW_PNS1_23onesweep_lookback_stateEbbT6_jjT7_P12ihipStream_tbENKUlT_T0_SK_SP_E_clIPiSE_SF_SF_EEDaS13_S14_SK_SP_EUlS13_E_NS1_11comp_targetILNS1_3genE4ELNS1_11target_archE910ELNS1_3gpuE8ELNS1_3repE0EEENS1_47radix_sort_onesweep_sort_config_static_selectorELNS0_4arch9wavefront6targetE0EEEvSK_,"axG",@progbits,_ZN7rocprim17ROCPRIM_400000_NS6detail17trampoline_kernelINS0_14default_configENS1_35radix_sort_onesweep_config_selectorIiNS0_10empty_typeEEEZZNS1_29radix_sort_onesweep_iterationIS3_Lb1EN6thrust23THRUST_200600_302600_NS6detail15normal_iteratorINS9_10device_ptrIiEEEESE_PS5_SF_jNS0_19identity_decomposerENS1_16block_id_wrapperIjLb0EEEEE10hipError_tT1_PNSt15iterator_traitsISK_E10value_typeET2_T3_PNSL_ISQ_E10value_typeET4_T5_PSV_SW_PNS1_23onesweep_lookback_stateEbbT6_jjT7_P12ihipStream_tbENKUlT_T0_SK_SP_E_clIPiSE_SF_SF_EEDaS13_S14_SK_SP_EUlS13_E_NS1_11comp_targetILNS1_3genE4ELNS1_11target_archE910ELNS1_3gpuE8ELNS1_3repE0EEENS1_47radix_sort_onesweep_sort_config_static_selectorELNS0_4arch9wavefront6targetE0EEEvSK_,comdat
	.protected	_ZN7rocprim17ROCPRIM_400000_NS6detail17trampoline_kernelINS0_14default_configENS1_35radix_sort_onesweep_config_selectorIiNS0_10empty_typeEEEZZNS1_29radix_sort_onesweep_iterationIS3_Lb1EN6thrust23THRUST_200600_302600_NS6detail15normal_iteratorINS9_10device_ptrIiEEEESE_PS5_SF_jNS0_19identity_decomposerENS1_16block_id_wrapperIjLb0EEEEE10hipError_tT1_PNSt15iterator_traitsISK_E10value_typeET2_T3_PNSL_ISQ_E10value_typeET4_T5_PSV_SW_PNS1_23onesweep_lookback_stateEbbT6_jjT7_P12ihipStream_tbENKUlT_T0_SK_SP_E_clIPiSE_SF_SF_EEDaS13_S14_SK_SP_EUlS13_E_NS1_11comp_targetILNS1_3genE4ELNS1_11target_archE910ELNS1_3gpuE8ELNS1_3repE0EEENS1_47radix_sort_onesweep_sort_config_static_selectorELNS0_4arch9wavefront6targetE0EEEvSK_ ; -- Begin function _ZN7rocprim17ROCPRIM_400000_NS6detail17trampoline_kernelINS0_14default_configENS1_35radix_sort_onesweep_config_selectorIiNS0_10empty_typeEEEZZNS1_29radix_sort_onesweep_iterationIS3_Lb1EN6thrust23THRUST_200600_302600_NS6detail15normal_iteratorINS9_10device_ptrIiEEEESE_PS5_SF_jNS0_19identity_decomposerENS1_16block_id_wrapperIjLb0EEEEE10hipError_tT1_PNSt15iterator_traitsISK_E10value_typeET2_T3_PNSL_ISQ_E10value_typeET4_T5_PSV_SW_PNS1_23onesweep_lookback_stateEbbT6_jjT7_P12ihipStream_tbENKUlT_T0_SK_SP_E_clIPiSE_SF_SF_EEDaS13_S14_SK_SP_EUlS13_E_NS1_11comp_targetILNS1_3genE4ELNS1_11target_archE910ELNS1_3gpuE8ELNS1_3repE0EEENS1_47radix_sort_onesweep_sort_config_static_selectorELNS0_4arch9wavefront6targetE0EEEvSK_
	.globl	_ZN7rocprim17ROCPRIM_400000_NS6detail17trampoline_kernelINS0_14default_configENS1_35radix_sort_onesweep_config_selectorIiNS0_10empty_typeEEEZZNS1_29radix_sort_onesweep_iterationIS3_Lb1EN6thrust23THRUST_200600_302600_NS6detail15normal_iteratorINS9_10device_ptrIiEEEESE_PS5_SF_jNS0_19identity_decomposerENS1_16block_id_wrapperIjLb0EEEEE10hipError_tT1_PNSt15iterator_traitsISK_E10value_typeET2_T3_PNSL_ISQ_E10value_typeET4_T5_PSV_SW_PNS1_23onesweep_lookback_stateEbbT6_jjT7_P12ihipStream_tbENKUlT_T0_SK_SP_E_clIPiSE_SF_SF_EEDaS13_S14_SK_SP_EUlS13_E_NS1_11comp_targetILNS1_3genE4ELNS1_11target_archE910ELNS1_3gpuE8ELNS1_3repE0EEENS1_47radix_sort_onesweep_sort_config_static_selectorELNS0_4arch9wavefront6targetE0EEEvSK_
	.p2align	8
	.type	_ZN7rocprim17ROCPRIM_400000_NS6detail17trampoline_kernelINS0_14default_configENS1_35radix_sort_onesweep_config_selectorIiNS0_10empty_typeEEEZZNS1_29radix_sort_onesweep_iterationIS3_Lb1EN6thrust23THRUST_200600_302600_NS6detail15normal_iteratorINS9_10device_ptrIiEEEESE_PS5_SF_jNS0_19identity_decomposerENS1_16block_id_wrapperIjLb0EEEEE10hipError_tT1_PNSt15iterator_traitsISK_E10value_typeET2_T3_PNSL_ISQ_E10value_typeET4_T5_PSV_SW_PNS1_23onesweep_lookback_stateEbbT6_jjT7_P12ihipStream_tbENKUlT_T0_SK_SP_E_clIPiSE_SF_SF_EEDaS13_S14_SK_SP_EUlS13_E_NS1_11comp_targetILNS1_3genE4ELNS1_11target_archE910ELNS1_3gpuE8ELNS1_3repE0EEENS1_47radix_sort_onesweep_sort_config_static_selectorELNS0_4arch9wavefront6targetE0EEEvSK_,@function
_ZN7rocprim17ROCPRIM_400000_NS6detail17trampoline_kernelINS0_14default_configENS1_35radix_sort_onesweep_config_selectorIiNS0_10empty_typeEEEZZNS1_29radix_sort_onesweep_iterationIS3_Lb1EN6thrust23THRUST_200600_302600_NS6detail15normal_iteratorINS9_10device_ptrIiEEEESE_PS5_SF_jNS0_19identity_decomposerENS1_16block_id_wrapperIjLb0EEEEE10hipError_tT1_PNSt15iterator_traitsISK_E10value_typeET2_T3_PNSL_ISQ_E10value_typeET4_T5_PSV_SW_PNS1_23onesweep_lookback_stateEbbT6_jjT7_P12ihipStream_tbENKUlT_T0_SK_SP_E_clIPiSE_SF_SF_EEDaS13_S14_SK_SP_EUlS13_E_NS1_11comp_targetILNS1_3genE4ELNS1_11target_archE910ELNS1_3gpuE8ELNS1_3repE0EEENS1_47radix_sort_onesweep_sort_config_static_selectorELNS0_4arch9wavefront6targetE0EEEvSK_: ; @_ZN7rocprim17ROCPRIM_400000_NS6detail17trampoline_kernelINS0_14default_configENS1_35radix_sort_onesweep_config_selectorIiNS0_10empty_typeEEEZZNS1_29radix_sort_onesweep_iterationIS3_Lb1EN6thrust23THRUST_200600_302600_NS6detail15normal_iteratorINS9_10device_ptrIiEEEESE_PS5_SF_jNS0_19identity_decomposerENS1_16block_id_wrapperIjLb0EEEEE10hipError_tT1_PNSt15iterator_traitsISK_E10value_typeET2_T3_PNSL_ISQ_E10value_typeET4_T5_PSV_SW_PNS1_23onesweep_lookback_stateEbbT6_jjT7_P12ihipStream_tbENKUlT_T0_SK_SP_E_clIPiSE_SF_SF_EEDaS13_S14_SK_SP_EUlS13_E_NS1_11comp_targetILNS1_3genE4ELNS1_11target_archE910ELNS1_3gpuE8ELNS1_3repE0EEENS1_47radix_sort_onesweep_sort_config_static_selectorELNS0_4arch9wavefront6targetE0EEEvSK_
; %bb.0:
	.section	.rodata,"a",@progbits
	.p2align	6, 0x0
	.amdhsa_kernel _ZN7rocprim17ROCPRIM_400000_NS6detail17trampoline_kernelINS0_14default_configENS1_35radix_sort_onesweep_config_selectorIiNS0_10empty_typeEEEZZNS1_29radix_sort_onesweep_iterationIS3_Lb1EN6thrust23THRUST_200600_302600_NS6detail15normal_iteratorINS9_10device_ptrIiEEEESE_PS5_SF_jNS0_19identity_decomposerENS1_16block_id_wrapperIjLb0EEEEE10hipError_tT1_PNSt15iterator_traitsISK_E10value_typeET2_T3_PNSL_ISQ_E10value_typeET4_T5_PSV_SW_PNS1_23onesweep_lookback_stateEbbT6_jjT7_P12ihipStream_tbENKUlT_T0_SK_SP_E_clIPiSE_SF_SF_EEDaS13_S14_SK_SP_EUlS13_E_NS1_11comp_targetILNS1_3genE4ELNS1_11target_archE910ELNS1_3gpuE8ELNS1_3repE0EEENS1_47radix_sort_onesweep_sort_config_static_selectorELNS0_4arch9wavefront6targetE0EEEvSK_
		.amdhsa_group_segment_fixed_size 0
		.amdhsa_private_segment_fixed_size 0
		.amdhsa_kernarg_size 88
		.amdhsa_user_sgpr_count 6
		.amdhsa_user_sgpr_private_segment_buffer 1
		.amdhsa_user_sgpr_dispatch_ptr 0
		.amdhsa_user_sgpr_queue_ptr 0
		.amdhsa_user_sgpr_kernarg_segment_ptr 1
		.amdhsa_user_sgpr_dispatch_id 0
		.amdhsa_user_sgpr_flat_scratch_init 0
		.amdhsa_user_sgpr_private_segment_size 0
		.amdhsa_wavefront_size32 1
		.amdhsa_uses_dynamic_stack 0
		.amdhsa_system_sgpr_private_segment_wavefront_offset 0
		.amdhsa_system_sgpr_workgroup_id_x 1
		.amdhsa_system_sgpr_workgroup_id_y 0
		.amdhsa_system_sgpr_workgroup_id_z 0
		.amdhsa_system_sgpr_workgroup_info 0
		.amdhsa_system_vgpr_workitem_id 0
		.amdhsa_next_free_vgpr 1
		.amdhsa_next_free_sgpr 1
		.amdhsa_reserve_vcc 0
		.amdhsa_reserve_flat_scratch 0
		.amdhsa_float_round_mode_32 0
		.amdhsa_float_round_mode_16_64 0
		.amdhsa_float_denorm_mode_32 3
		.amdhsa_float_denorm_mode_16_64 3
		.amdhsa_dx10_clamp 1
		.amdhsa_ieee_mode 1
		.amdhsa_fp16_overflow 0
		.amdhsa_workgroup_processor_mode 1
		.amdhsa_memory_ordered 1
		.amdhsa_forward_progress 1
		.amdhsa_shared_vgpr_count 0
		.amdhsa_exception_fp_ieee_invalid_op 0
		.amdhsa_exception_fp_denorm_src 0
		.amdhsa_exception_fp_ieee_div_zero 0
		.amdhsa_exception_fp_ieee_overflow 0
		.amdhsa_exception_fp_ieee_underflow 0
		.amdhsa_exception_fp_ieee_inexact 0
		.amdhsa_exception_int_div_zero 0
	.end_amdhsa_kernel
	.section	.text._ZN7rocprim17ROCPRIM_400000_NS6detail17trampoline_kernelINS0_14default_configENS1_35radix_sort_onesweep_config_selectorIiNS0_10empty_typeEEEZZNS1_29radix_sort_onesweep_iterationIS3_Lb1EN6thrust23THRUST_200600_302600_NS6detail15normal_iteratorINS9_10device_ptrIiEEEESE_PS5_SF_jNS0_19identity_decomposerENS1_16block_id_wrapperIjLb0EEEEE10hipError_tT1_PNSt15iterator_traitsISK_E10value_typeET2_T3_PNSL_ISQ_E10value_typeET4_T5_PSV_SW_PNS1_23onesweep_lookback_stateEbbT6_jjT7_P12ihipStream_tbENKUlT_T0_SK_SP_E_clIPiSE_SF_SF_EEDaS13_S14_SK_SP_EUlS13_E_NS1_11comp_targetILNS1_3genE4ELNS1_11target_archE910ELNS1_3gpuE8ELNS1_3repE0EEENS1_47radix_sort_onesweep_sort_config_static_selectorELNS0_4arch9wavefront6targetE0EEEvSK_,"axG",@progbits,_ZN7rocprim17ROCPRIM_400000_NS6detail17trampoline_kernelINS0_14default_configENS1_35radix_sort_onesweep_config_selectorIiNS0_10empty_typeEEEZZNS1_29radix_sort_onesweep_iterationIS3_Lb1EN6thrust23THRUST_200600_302600_NS6detail15normal_iteratorINS9_10device_ptrIiEEEESE_PS5_SF_jNS0_19identity_decomposerENS1_16block_id_wrapperIjLb0EEEEE10hipError_tT1_PNSt15iterator_traitsISK_E10value_typeET2_T3_PNSL_ISQ_E10value_typeET4_T5_PSV_SW_PNS1_23onesweep_lookback_stateEbbT6_jjT7_P12ihipStream_tbENKUlT_T0_SK_SP_E_clIPiSE_SF_SF_EEDaS13_S14_SK_SP_EUlS13_E_NS1_11comp_targetILNS1_3genE4ELNS1_11target_archE910ELNS1_3gpuE8ELNS1_3repE0EEENS1_47radix_sort_onesweep_sort_config_static_selectorELNS0_4arch9wavefront6targetE0EEEvSK_,comdat
.Lfunc_end385:
	.size	_ZN7rocprim17ROCPRIM_400000_NS6detail17trampoline_kernelINS0_14default_configENS1_35radix_sort_onesweep_config_selectorIiNS0_10empty_typeEEEZZNS1_29radix_sort_onesweep_iterationIS3_Lb1EN6thrust23THRUST_200600_302600_NS6detail15normal_iteratorINS9_10device_ptrIiEEEESE_PS5_SF_jNS0_19identity_decomposerENS1_16block_id_wrapperIjLb0EEEEE10hipError_tT1_PNSt15iterator_traitsISK_E10value_typeET2_T3_PNSL_ISQ_E10value_typeET4_T5_PSV_SW_PNS1_23onesweep_lookback_stateEbbT6_jjT7_P12ihipStream_tbENKUlT_T0_SK_SP_E_clIPiSE_SF_SF_EEDaS13_S14_SK_SP_EUlS13_E_NS1_11comp_targetILNS1_3genE4ELNS1_11target_archE910ELNS1_3gpuE8ELNS1_3repE0EEENS1_47radix_sort_onesweep_sort_config_static_selectorELNS0_4arch9wavefront6targetE0EEEvSK_, .Lfunc_end385-_ZN7rocprim17ROCPRIM_400000_NS6detail17trampoline_kernelINS0_14default_configENS1_35radix_sort_onesweep_config_selectorIiNS0_10empty_typeEEEZZNS1_29radix_sort_onesweep_iterationIS3_Lb1EN6thrust23THRUST_200600_302600_NS6detail15normal_iteratorINS9_10device_ptrIiEEEESE_PS5_SF_jNS0_19identity_decomposerENS1_16block_id_wrapperIjLb0EEEEE10hipError_tT1_PNSt15iterator_traitsISK_E10value_typeET2_T3_PNSL_ISQ_E10value_typeET4_T5_PSV_SW_PNS1_23onesweep_lookback_stateEbbT6_jjT7_P12ihipStream_tbENKUlT_T0_SK_SP_E_clIPiSE_SF_SF_EEDaS13_S14_SK_SP_EUlS13_E_NS1_11comp_targetILNS1_3genE4ELNS1_11target_archE910ELNS1_3gpuE8ELNS1_3repE0EEENS1_47radix_sort_onesweep_sort_config_static_selectorELNS0_4arch9wavefront6targetE0EEEvSK_
                                        ; -- End function
	.set _ZN7rocprim17ROCPRIM_400000_NS6detail17trampoline_kernelINS0_14default_configENS1_35radix_sort_onesweep_config_selectorIiNS0_10empty_typeEEEZZNS1_29radix_sort_onesweep_iterationIS3_Lb1EN6thrust23THRUST_200600_302600_NS6detail15normal_iteratorINS9_10device_ptrIiEEEESE_PS5_SF_jNS0_19identity_decomposerENS1_16block_id_wrapperIjLb0EEEEE10hipError_tT1_PNSt15iterator_traitsISK_E10value_typeET2_T3_PNSL_ISQ_E10value_typeET4_T5_PSV_SW_PNS1_23onesweep_lookback_stateEbbT6_jjT7_P12ihipStream_tbENKUlT_T0_SK_SP_E_clIPiSE_SF_SF_EEDaS13_S14_SK_SP_EUlS13_E_NS1_11comp_targetILNS1_3genE4ELNS1_11target_archE910ELNS1_3gpuE8ELNS1_3repE0EEENS1_47radix_sort_onesweep_sort_config_static_selectorELNS0_4arch9wavefront6targetE0EEEvSK_.num_vgpr, 0
	.set _ZN7rocprim17ROCPRIM_400000_NS6detail17trampoline_kernelINS0_14default_configENS1_35radix_sort_onesweep_config_selectorIiNS0_10empty_typeEEEZZNS1_29radix_sort_onesweep_iterationIS3_Lb1EN6thrust23THRUST_200600_302600_NS6detail15normal_iteratorINS9_10device_ptrIiEEEESE_PS5_SF_jNS0_19identity_decomposerENS1_16block_id_wrapperIjLb0EEEEE10hipError_tT1_PNSt15iterator_traitsISK_E10value_typeET2_T3_PNSL_ISQ_E10value_typeET4_T5_PSV_SW_PNS1_23onesweep_lookback_stateEbbT6_jjT7_P12ihipStream_tbENKUlT_T0_SK_SP_E_clIPiSE_SF_SF_EEDaS13_S14_SK_SP_EUlS13_E_NS1_11comp_targetILNS1_3genE4ELNS1_11target_archE910ELNS1_3gpuE8ELNS1_3repE0EEENS1_47radix_sort_onesweep_sort_config_static_selectorELNS0_4arch9wavefront6targetE0EEEvSK_.num_agpr, 0
	.set _ZN7rocprim17ROCPRIM_400000_NS6detail17trampoline_kernelINS0_14default_configENS1_35radix_sort_onesweep_config_selectorIiNS0_10empty_typeEEEZZNS1_29radix_sort_onesweep_iterationIS3_Lb1EN6thrust23THRUST_200600_302600_NS6detail15normal_iteratorINS9_10device_ptrIiEEEESE_PS5_SF_jNS0_19identity_decomposerENS1_16block_id_wrapperIjLb0EEEEE10hipError_tT1_PNSt15iterator_traitsISK_E10value_typeET2_T3_PNSL_ISQ_E10value_typeET4_T5_PSV_SW_PNS1_23onesweep_lookback_stateEbbT6_jjT7_P12ihipStream_tbENKUlT_T0_SK_SP_E_clIPiSE_SF_SF_EEDaS13_S14_SK_SP_EUlS13_E_NS1_11comp_targetILNS1_3genE4ELNS1_11target_archE910ELNS1_3gpuE8ELNS1_3repE0EEENS1_47radix_sort_onesweep_sort_config_static_selectorELNS0_4arch9wavefront6targetE0EEEvSK_.numbered_sgpr, 0
	.set _ZN7rocprim17ROCPRIM_400000_NS6detail17trampoline_kernelINS0_14default_configENS1_35radix_sort_onesweep_config_selectorIiNS0_10empty_typeEEEZZNS1_29radix_sort_onesweep_iterationIS3_Lb1EN6thrust23THRUST_200600_302600_NS6detail15normal_iteratorINS9_10device_ptrIiEEEESE_PS5_SF_jNS0_19identity_decomposerENS1_16block_id_wrapperIjLb0EEEEE10hipError_tT1_PNSt15iterator_traitsISK_E10value_typeET2_T3_PNSL_ISQ_E10value_typeET4_T5_PSV_SW_PNS1_23onesweep_lookback_stateEbbT6_jjT7_P12ihipStream_tbENKUlT_T0_SK_SP_E_clIPiSE_SF_SF_EEDaS13_S14_SK_SP_EUlS13_E_NS1_11comp_targetILNS1_3genE4ELNS1_11target_archE910ELNS1_3gpuE8ELNS1_3repE0EEENS1_47radix_sort_onesweep_sort_config_static_selectorELNS0_4arch9wavefront6targetE0EEEvSK_.num_named_barrier, 0
	.set _ZN7rocprim17ROCPRIM_400000_NS6detail17trampoline_kernelINS0_14default_configENS1_35radix_sort_onesweep_config_selectorIiNS0_10empty_typeEEEZZNS1_29radix_sort_onesweep_iterationIS3_Lb1EN6thrust23THRUST_200600_302600_NS6detail15normal_iteratorINS9_10device_ptrIiEEEESE_PS5_SF_jNS0_19identity_decomposerENS1_16block_id_wrapperIjLb0EEEEE10hipError_tT1_PNSt15iterator_traitsISK_E10value_typeET2_T3_PNSL_ISQ_E10value_typeET4_T5_PSV_SW_PNS1_23onesweep_lookback_stateEbbT6_jjT7_P12ihipStream_tbENKUlT_T0_SK_SP_E_clIPiSE_SF_SF_EEDaS13_S14_SK_SP_EUlS13_E_NS1_11comp_targetILNS1_3genE4ELNS1_11target_archE910ELNS1_3gpuE8ELNS1_3repE0EEENS1_47radix_sort_onesweep_sort_config_static_selectorELNS0_4arch9wavefront6targetE0EEEvSK_.private_seg_size, 0
	.set _ZN7rocprim17ROCPRIM_400000_NS6detail17trampoline_kernelINS0_14default_configENS1_35radix_sort_onesweep_config_selectorIiNS0_10empty_typeEEEZZNS1_29radix_sort_onesweep_iterationIS3_Lb1EN6thrust23THRUST_200600_302600_NS6detail15normal_iteratorINS9_10device_ptrIiEEEESE_PS5_SF_jNS0_19identity_decomposerENS1_16block_id_wrapperIjLb0EEEEE10hipError_tT1_PNSt15iterator_traitsISK_E10value_typeET2_T3_PNSL_ISQ_E10value_typeET4_T5_PSV_SW_PNS1_23onesweep_lookback_stateEbbT6_jjT7_P12ihipStream_tbENKUlT_T0_SK_SP_E_clIPiSE_SF_SF_EEDaS13_S14_SK_SP_EUlS13_E_NS1_11comp_targetILNS1_3genE4ELNS1_11target_archE910ELNS1_3gpuE8ELNS1_3repE0EEENS1_47radix_sort_onesweep_sort_config_static_selectorELNS0_4arch9wavefront6targetE0EEEvSK_.uses_vcc, 0
	.set _ZN7rocprim17ROCPRIM_400000_NS6detail17trampoline_kernelINS0_14default_configENS1_35radix_sort_onesweep_config_selectorIiNS0_10empty_typeEEEZZNS1_29radix_sort_onesweep_iterationIS3_Lb1EN6thrust23THRUST_200600_302600_NS6detail15normal_iteratorINS9_10device_ptrIiEEEESE_PS5_SF_jNS0_19identity_decomposerENS1_16block_id_wrapperIjLb0EEEEE10hipError_tT1_PNSt15iterator_traitsISK_E10value_typeET2_T3_PNSL_ISQ_E10value_typeET4_T5_PSV_SW_PNS1_23onesweep_lookback_stateEbbT6_jjT7_P12ihipStream_tbENKUlT_T0_SK_SP_E_clIPiSE_SF_SF_EEDaS13_S14_SK_SP_EUlS13_E_NS1_11comp_targetILNS1_3genE4ELNS1_11target_archE910ELNS1_3gpuE8ELNS1_3repE0EEENS1_47radix_sort_onesweep_sort_config_static_selectorELNS0_4arch9wavefront6targetE0EEEvSK_.uses_flat_scratch, 0
	.set _ZN7rocprim17ROCPRIM_400000_NS6detail17trampoline_kernelINS0_14default_configENS1_35radix_sort_onesweep_config_selectorIiNS0_10empty_typeEEEZZNS1_29radix_sort_onesweep_iterationIS3_Lb1EN6thrust23THRUST_200600_302600_NS6detail15normal_iteratorINS9_10device_ptrIiEEEESE_PS5_SF_jNS0_19identity_decomposerENS1_16block_id_wrapperIjLb0EEEEE10hipError_tT1_PNSt15iterator_traitsISK_E10value_typeET2_T3_PNSL_ISQ_E10value_typeET4_T5_PSV_SW_PNS1_23onesweep_lookback_stateEbbT6_jjT7_P12ihipStream_tbENKUlT_T0_SK_SP_E_clIPiSE_SF_SF_EEDaS13_S14_SK_SP_EUlS13_E_NS1_11comp_targetILNS1_3genE4ELNS1_11target_archE910ELNS1_3gpuE8ELNS1_3repE0EEENS1_47radix_sort_onesweep_sort_config_static_selectorELNS0_4arch9wavefront6targetE0EEEvSK_.has_dyn_sized_stack, 0
	.set _ZN7rocprim17ROCPRIM_400000_NS6detail17trampoline_kernelINS0_14default_configENS1_35radix_sort_onesweep_config_selectorIiNS0_10empty_typeEEEZZNS1_29radix_sort_onesweep_iterationIS3_Lb1EN6thrust23THRUST_200600_302600_NS6detail15normal_iteratorINS9_10device_ptrIiEEEESE_PS5_SF_jNS0_19identity_decomposerENS1_16block_id_wrapperIjLb0EEEEE10hipError_tT1_PNSt15iterator_traitsISK_E10value_typeET2_T3_PNSL_ISQ_E10value_typeET4_T5_PSV_SW_PNS1_23onesweep_lookback_stateEbbT6_jjT7_P12ihipStream_tbENKUlT_T0_SK_SP_E_clIPiSE_SF_SF_EEDaS13_S14_SK_SP_EUlS13_E_NS1_11comp_targetILNS1_3genE4ELNS1_11target_archE910ELNS1_3gpuE8ELNS1_3repE0EEENS1_47radix_sort_onesweep_sort_config_static_selectorELNS0_4arch9wavefront6targetE0EEEvSK_.has_recursion, 0
	.set _ZN7rocprim17ROCPRIM_400000_NS6detail17trampoline_kernelINS0_14default_configENS1_35radix_sort_onesweep_config_selectorIiNS0_10empty_typeEEEZZNS1_29radix_sort_onesweep_iterationIS3_Lb1EN6thrust23THRUST_200600_302600_NS6detail15normal_iteratorINS9_10device_ptrIiEEEESE_PS5_SF_jNS0_19identity_decomposerENS1_16block_id_wrapperIjLb0EEEEE10hipError_tT1_PNSt15iterator_traitsISK_E10value_typeET2_T3_PNSL_ISQ_E10value_typeET4_T5_PSV_SW_PNS1_23onesweep_lookback_stateEbbT6_jjT7_P12ihipStream_tbENKUlT_T0_SK_SP_E_clIPiSE_SF_SF_EEDaS13_S14_SK_SP_EUlS13_E_NS1_11comp_targetILNS1_3genE4ELNS1_11target_archE910ELNS1_3gpuE8ELNS1_3repE0EEENS1_47radix_sort_onesweep_sort_config_static_selectorELNS0_4arch9wavefront6targetE0EEEvSK_.has_indirect_call, 0
	.section	.AMDGPU.csdata,"",@progbits
; Kernel info:
; codeLenInByte = 0
; TotalNumSgprs: 0
; NumVgprs: 0
; ScratchSize: 0
; MemoryBound: 0
; FloatMode: 240
; IeeeMode: 1
; LDSByteSize: 0 bytes/workgroup (compile time only)
; SGPRBlocks: 0
; VGPRBlocks: 0
; NumSGPRsForWavesPerEU: 1
; NumVGPRsForWavesPerEU: 1
; Occupancy: 16
; WaveLimiterHint : 0
; COMPUTE_PGM_RSRC2:SCRATCH_EN: 0
; COMPUTE_PGM_RSRC2:USER_SGPR: 6
; COMPUTE_PGM_RSRC2:TRAP_HANDLER: 0
; COMPUTE_PGM_RSRC2:TGID_X_EN: 1
; COMPUTE_PGM_RSRC2:TGID_Y_EN: 0
; COMPUTE_PGM_RSRC2:TGID_Z_EN: 0
; COMPUTE_PGM_RSRC2:TIDIG_COMP_CNT: 0
	.section	.text._ZN7rocprim17ROCPRIM_400000_NS6detail17trampoline_kernelINS0_14default_configENS1_35radix_sort_onesweep_config_selectorIiNS0_10empty_typeEEEZZNS1_29radix_sort_onesweep_iterationIS3_Lb1EN6thrust23THRUST_200600_302600_NS6detail15normal_iteratorINS9_10device_ptrIiEEEESE_PS5_SF_jNS0_19identity_decomposerENS1_16block_id_wrapperIjLb0EEEEE10hipError_tT1_PNSt15iterator_traitsISK_E10value_typeET2_T3_PNSL_ISQ_E10value_typeET4_T5_PSV_SW_PNS1_23onesweep_lookback_stateEbbT6_jjT7_P12ihipStream_tbENKUlT_T0_SK_SP_E_clIPiSE_SF_SF_EEDaS13_S14_SK_SP_EUlS13_E_NS1_11comp_targetILNS1_3genE3ELNS1_11target_archE908ELNS1_3gpuE7ELNS1_3repE0EEENS1_47radix_sort_onesweep_sort_config_static_selectorELNS0_4arch9wavefront6targetE0EEEvSK_,"axG",@progbits,_ZN7rocprim17ROCPRIM_400000_NS6detail17trampoline_kernelINS0_14default_configENS1_35radix_sort_onesweep_config_selectorIiNS0_10empty_typeEEEZZNS1_29radix_sort_onesweep_iterationIS3_Lb1EN6thrust23THRUST_200600_302600_NS6detail15normal_iteratorINS9_10device_ptrIiEEEESE_PS5_SF_jNS0_19identity_decomposerENS1_16block_id_wrapperIjLb0EEEEE10hipError_tT1_PNSt15iterator_traitsISK_E10value_typeET2_T3_PNSL_ISQ_E10value_typeET4_T5_PSV_SW_PNS1_23onesweep_lookback_stateEbbT6_jjT7_P12ihipStream_tbENKUlT_T0_SK_SP_E_clIPiSE_SF_SF_EEDaS13_S14_SK_SP_EUlS13_E_NS1_11comp_targetILNS1_3genE3ELNS1_11target_archE908ELNS1_3gpuE7ELNS1_3repE0EEENS1_47radix_sort_onesweep_sort_config_static_selectorELNS0_4arch9wavefront6targetE0EEEvSK_,comdat
	.protected	_ZN7rocprim17ROCPRIM_400000_NS6detail17trampoline_kernelINS0_14default_configENS1_35radix_sort_onesweep_config_selectorIiNS0_10empty_typeEEEZZNS1_29radix_sort_onesweep_iterationIS3_Lb1EN6thrust23THRUST_200600_302600_NS6detail15normal_iteratorINS9_10device_ptrIiEEEESE_PS5_SF_jNS0_19identity_decomposerENS1_16block_id_wrapperIjLb0EEEEE10hipError_tT1_PNSt15iterator_traitsISK_E10value_typeET2_T3_PNSL_ISQ_E10value_typeET4_T5_PSV_SW_PNS1_23onesweep_lookback_stateEbbT6_jjT7_P12ihipStream_tbENKUlT_T0_SK_SP_E_clIPiSE_SF_SF_EEDaS13_S14_SK_SP_EUlS13_E_NS1_11comp_targetILNS1_3genE3ELNS1_11target_archE908ELNS1_3gpuE7ELNS1_3repE0EEENS1_47radix_sort_onesweep_sort_config_static_selectorELNS0_4arch9wavefront6targetE0EEEvSK_ ; -- Begin function _ZN7rocprim17ROCPRIM_400000_NS6detail17trampoline_kernelINS0_14default_configENS1_35radix_sort_onesweep_config_selectorIiNS0_10empty_typeEEEZZNS1_29radix_sort_onesweep_iterationIS3_Lb1EN6thrust23THRUST_200600_302600_NS6detail15normal_iteratorINS9_10device_ptrIiEEEESE_PS5_SF_jNS0_19identity_decomposerENS1_16block_id_wrapperIjLb0EEEEE10hipError_tT1_PNSt15iterator_traitsISK_E10value_typeET2_T3_PNSL_ISQ_E10value_typeET4_T5_PSV_SW_PNS1_23onesweep_lookback_stateEbbT6_jjT7_P12ihipStream_tbENKUlT_T0_SK_SP_E_clIPiSE_SF_SF_EEDaS13_S14_SK_SP_EUlS13_E_NS1_11comp_targetILNS1_3genE3ELNS1_11target_archE908ELNS1_3gpuE7ELNS1_3repE0EEENS1_47radix_sort_onesweep_sort_config_static_selectorELNS0_4arch9wavefront6targetE0EEEvSK_
	.globl	_ZN7rocprim17ROCPRIM_400000_NS6detail17trampoline_kernelINS0_14default_configENS1_35radix_sort_onesweep_config_selectorIiNS0_10empty_typeEEEZZNS1_29radix_sort_onesweep_iterationIS3_Lb1EN6thrust23THRUST_200600_302600_NS6detail15normal_iteratorINS9_10device_ptrIiEEEESE_PS5_SF_jNS0_19identity_decomposerENS1_16block_id_wrapperIjLb0EEEEE10hipError_tT1_PNSt15iterator_traitsISK_E10value_typeET2_T3_PNSL_ISQ_E10value_typeET4_T5_PSV_SW_PNS1_23onesweep_lookback_stateEbbT6_jjT7_P12ihipStream_tbENKUlT_T0_SK_SP_E_clIPiSE_SF_SF_EEDaS13_S14_SK_SP_EUlS13_E_NS1_11comp_targetILNS1_3genE3ELNS1_11target_archE908ELNS1_3gpuE7ELNS1_3repE0EEENS1_47radix_sort_onesweep_sort_config_static_selectorELNS0_4arch9wavefront6targetE0EEEvSK_
	.p2align	8
	.type	_ZN7rocprim17ROCPRIM_400000_NS6detail17trampoline_kernelINS0_14default_configENS1_35radix_sort_onesweep_config_selectorIiNS0_10empty_typeEEEZZNS1_29radix_sort_onesweep_iterationIS3_Lb1EN6thrust23THRUST_200600_302600_NS6detail15normal_iteratorINS9_10device_ptrIiEEEESE_PS5_SF_jNS0_19identity_decomposerENS1_16block_id_wrapperIjLb0EEEEE10hipError_tT1_PNSt15iterator_traitsISK_E10value_typeET2_T3_PNSL_ISQ_E10value_typeET4_T5_PSV_SW_PNS1_23onesweep_lookback_stateEbbT6_jjT7_P12ihipStream_tbENKUlT_T0_SK_SP_E_clIPiSE_SF_SF_EEDaS13_S14_SK_SP_EUlS13_E_NS1_11comp_targetILNS1_3genE3ELNS1_11target_archE908ELNS1_3gpuE7ELNS1_3repE0EEENS1_47radix_sort_onesweep_sort_config_static_selectorELNS0_4arch9wavefront6targetE0EEEvSK_,@function
_ZN7rocprim17ROCPRIM_400000_NS6detail17trampoline_kernelINS0_14default_configENS1_35radix_sort_onesweep_config_selectorIiNS0_10empty_typeEEEZZNS1_29radix_sort_onesweep_iterationIS3_Lb1EN6thrust23THRUST_200600_302600_NS6detail15normal_iteratorINS9_10device_ptrIiEEEESE_PS5_SF_jNS0_19identity_decomposerENS1_16block_id_wrapperIjLb0EEEEE10hipError_tT1_PNSt15iterator_traitsISK_E10value_typeET2_T3_PNSL_ISQ_E10value_typeET4_T5_PSV_SW_PNS1_23onesweep_lookback_stateEbbT6_jjT7_P12ihipStream_tbENKUlT_T0_SK_SP_E_clIPiSE_SF_SF_EEDaS13_S14_SK_SP_EUlS13_E_NS1_11comp_targetILNS1_3genE3ELNS1_11target_archE908ELNS1_3gpuE7ELNS1_3repE0EEENS1_47radix_sort_onesweep_sort_config_static_selectorELNS0_4arch9wavefront6targetE0EEEvSK_: ; @_ZN7rocprim17ROCPRIM_400000_NS6detail17trampoline_kernelINS0_14default_configENS1_35radix_sort_onesweep_config_selectorIiNS0_10empty_typeEEEZZNS1_29radix_sort_onesweep_iterationIS3_Lb1EN6thrust23THRUST_200600_302600_NS6detail15normal_iteratorINS9_10device_ptrIiEEEESE_PS5_SF_jNS0_19identity_decomposerENS1_16block_id_wrapperIjLb0EEEEE10hipError_tT1_PNSt15iterator_traitsISK_E10value_typeET2_T3_PNSL_ISQ_E10value_typeET4_T5_PSV_SW_PNS1_23onesweep_lookback_stateEbbT6_jjT7_P12ihipStream_tbENKUlT_T0_SK_SP_E_clIPiSE_SF_SF_EEDaS13_S14_SK_SP_EUlS13_E_NS1_11comp_targetILNS1_3genE3ELNS1_11target_archE908ELNS1_3gpuE7ELNS1_3repE0EEENS1_47radix_sort_onesweep_sort_config_static_selectorELNS0_4arch9wavefront6targetE0EEEvSK_
; %bb.0:
	.section	.rodata,"a",@progbits
	.p2align	6, 0x0
	.amdhsa_kernel _ZN7rocprim17ROCPRIM_400000_NS6detail17trampoline_kernelINS0_14default_configENS1_35radix_sort_onesweep_config_selectorIiNS0_10empty_typeEEEZZNS1_29radix_sort_onesweep_iterationIS3_Lb1EN6thrust23THRUST_200600_302600_NS6detail15normal_iteratorINS9_10device_ptrIiEEEESE_PS5_SF_jNS0_19identity_decomposerENS1_16block_id_wrapperIjLb0EEEEE10hipError_tT1_PNSt15iterator_traitsISK_E10value_typeET2_T3_PNSL_ISQ_E10value_typeET4_T5_PSV_SW_PNS1_23onesweep_lookback_stateEbbT6_jjT7_P12ihipStream_tbENKUlT_T0_SK_SP_E_clIPiSE_SF_SF_EEDaS13_S14_SK_SP_EUlS13_E_NS1_11comp_targetILNS1_3genE3ELNS1_11target_archE908ELNS1_3gpuE7ELNS1_3repE0EEENS1_47radix_sort_onesweep_sort_config_static_selectorELNS0_4arch9wavefront6targetE0EEEvSK_
		.amdhsa_group_segment_fixed_size 0
		.amdhsa_private_segment_fixed_size 0
		.amdhsa_kernarg_size 88
		.amdhsa_user_sgpr_count 6
		.amdhsa_user_sgpr_private_segment_buffer 1
		.amdhsa_user_sgpr_dispatch_ptr 0
		.amdhsa_user_sgpr_queue_ptr 0
		.amdhsa_user_sgpr_kernarg_segment_ptr 1
		.amdhsa_user_sgpr_dispatch_id 0
		.amdhsa_user_sgpr_flat_scratch_init 0
		.amdhsa_user_sgpr_private_segment_size 0
		.amdhsa_wavefront_size32 1
		.amdhsa_uses_dynamic_stack 0
		.amdhsa_system_sgpr_private_segment_wavefront_offset 0
		.amdhsa_system_sgpr_workgroup_id_x 1
		.amdhsa_system_sgpr_workgroup_id_y 0
		.amdhsa_system_sgpr_workgroup_id_z 0
		.amdhsa_system_sgpr_workgroup_info 0
		.amdhsa_system_vgpr_workitem_id 0
		.amdhsa_next_free_vgpr 1
		.amdhsa_next_free_sgpr 1
		.amdhsa_reserve_vcc 0
		.amdhsa_reserve_flat_scratch 0
		.amdhsa_float_round_mode_32 0
		.amdhsa_float_round_mode_16_64 0
		.amdhsa_float_denorm_mode_32 3
		.amdhsa_float_denorm_mode_16_64 3
		.amdhsa_dx10_clamp 1
		.amdhsa_ieee_mode 1
		.amdhsa_fp16_overflow 0
		.amdhsa_workgroup_processor_mode 1
		.amdhsa_memory_ordered 1
		.amdhsa_forward_progress 1
		.amdhsa_shared_vgpr_count 0
		.amdhsa_exception_fp_ieee_invalid_op 0
		.amdhsa_exception_fp_denorm_src 0
		.amdhsa_exception_fp_ieee_div_zero 0
		.amdhsa_exception_fp_ieee_overflow 0
		.amdhsa_exception_fp_ieee_underflow 0
		.amdhsa_exception_fp_ieee_inexact 0
		.amdhsa_exception_int_div_zero 0
	.end_amdhsa_kernel
	.section	.text._ZN7rocprim17ROCPRIM_400000_NS6detail17trampoline_kernelINS0_14default_configENS1_35radix_sort_onesweep_config_selectorIiNS0_10empty_typeEEEZZNS1_29radix_sort_onesweep_iterationIS3_Lb1EN6thrust23THRUST_200600_302600_NS6detail15normal_iteratorINS9_10device_ptrIiEEEESE_PS5_SF_jNS0_19identity_decomposerENS1_16block_id_wrapperIjLb0EEEEE10hipError_tT1_PNSt15iterator_traitsISK_E10value_typeET2_T3_PNSL_ISQ_E10value_typeET4_T5_PSV_SW_PNS1_23onesweep_lookback_stateEbbT6_jjT7_P12ihipStream_tbENKUlT_T0_SK_SP_E_clIPiSE_SF_SF_EEDaS13_S14_SK_SP_EUlS13_E_NS1_11comp_targetILNS1_3genE3ELNS1_11target_archE908ELNS1_3gpuE7ELNS1_3repE0EEENS1_47radix_sort_onesweep_sort_config_static_selectorELNS0_4arch9wavefront6targetE0EEEvSK_,"axG",@progbits,_ZN7rocprim17ROCPRIM_400000_NS6detail17trampoline_kernelINS0_14default_configENS1_35radix_sort_onesweep_config_selectorIiNS0_10empty_typeEEEZZNS1_29radix_sort_onesweep_iterationIS3_Lb1EN6thrust23THRUST_200600_302600_NS6detail15normal_iteratorINS9_10device_ptrIiEEEESE_PS5_SF_jNS0_19identity_decomposerENS1_16block_id_wrapperIjLb0EEEEE10hipError_tT1_PNSt15iterator_traitsISK_E10value_typeET2_T3_PNSL_ISQ_E10value_typeET4_T5_PSV_SW_PNS1_23onesweep_lookback_stateEbbT6_jjT7_P12ihipStream_tbENKUlT_T0_SK_SP_E_clIPiSE_SF_SF_EEDaS13_S14_SK_SP_EUlS13_E_NS1_11comp_targetILNS1_3genE3ELNS1_11target_archE908ELNS1_3gpuE7ELNS1_3repE0EEENS1_47radix_sort_onesweep_sort_config_static_selectorELNS0_4arch9wavefront6targetE0EEEvSK_,comdat
.Lfunc_end386:
	.size	_ZN7rocprim17ROCPRIM_400000_NS6detail17trampoline_kernelINS0_14default_configENS1_35radix_sort_onesweep_config_selectorIiNS0_10empty_typeEEEZZNS1_29radix_sort_onesweep_iterationIS3_Lb1EN6thrust23THRUST_200600_302600_NS6detail15normal_iteratorINS9_10device_ptrIiEEEESE_PS5_SF_jNS0_19identity_decomposerENS1_16block_id_wrapperIjLb0EEEEE10hipError_tT1_PNSt15iterator_traitsISK_E10value_typeET2_T3_PNSL_ISQ_E10value_typeET4_T5_PSV_SW_PNS1_23onesweep_lookback_stateEbbT6_jjT7_P12ihipStream_tbENKUlT_T0_SK_SP_E_clIPiSE_SF_SF_EEDaS13_S14_SK_SP_EUlS13_E_NS1_11comp_targetILNS1_3genE3ELNS1_11target_archE908ELNS1_3gpuE7ELNS1_3repE0EEENS1_47radix_sort_onesweep_sort_config_static_selectorELNS0_4arch9wavefront6targetE0EEEvSK_, .Lfunc_end386-_ZN7rocprim17ROCPRIM_400000_NS6detail17trampoline_kernelINS0_14default_configENS1_35radix_sort_onesweep_config_selectorIiNS0_10empty_typeEEEZZNS1_29radix_sort_onesweep_iterationIS3_Lb1EN6thrust23THRUST_200600_302600_NS6detail15normal_iteratorINS9_10device_ptrIiEEEESE_PS5_SF_jNS0_19identity_decomposerENS1_16block_id_wrapperIjLb0EEEEE10hipError_tT1_PNSt15iterator_traitsISK_E10value_typeET2_T3_PNSL_ISQ_E10value_typeET4_T5_PSV_SW_PNS1_23onesweep_lookback_stateEbbT6_jjT7_P12ihipStream_tbENKUlT_T0_SK_SP_E_clIPiSE_SF_SF_EEDaS13_S14_SK_SP_EUlS13_E_NS1_11comp_targetILNS1_3genE3ELNS1_11target_archE908ELNS1_3gpuE7ELNS1_3repE0EEENS1_47radix_sort_onesweep_sort_config_static_selectorELNS0_4arch9wavefront6targetE0EEEvSK_
                                        ; -- End function
	.set _ZN7rocprim17ROCPRIM_400000_NS6detail17trampoline_kernelINS0_14default_configENS1_35radix_sort_onesweep_config_selectorIiNS0_10empty_typeEEEZZNS1_29radix_sort_onesweep_iterationIS3_Lb1EN6thrust23THRUST_200600_302600_NS6detail15normal_iteratorINS9_10device_ptrIiEEEESE_PS5_SF_jNS0_19identity_decomposerENS1_16block_id_wrapperIjLb0EEEEE10hipError_tT1_PNSt15iterator_traitsISK_E10value_typeET2_T3_PNSL_ISQ_E10value_typeET4_T5_PSV_SW_PNS1_23onesweep_lookback_stateEbbT6_jjT7_P12ihipStream_tbENKUlT_T0_SK_SP_E_clIPiSE_SF_SF_EEDaS13_S14_SK_SP_EUlS13_E_NS1_11comp_targetILNS1_3genE3ELNS1_11target_archE908ELNS1_3gpuE7ELNS1_3repE0EEENS1_47radix_sort_onesweep_sort_config_static_selectorELNS0_4arch9wavefront6targetE0EEEvSK_.num_vgpr, 0
	.set _ZN7rocprim17ROCPRIM_400000_NS6detail17trampoline_kernelINS0_14default_configENS1_35radix_sort_onesweep_config_selectorIiNS0_10empty_typeEEEZZNS1_29radix_sort_onesweep_iterationIS3_Lb1EN6thrust23THRUST_200600_302600_NS6detail15normal_iteratorINS9_10device_ptrIiEEEESE_PS5_SF_jNS0_19identity_decomposerENS1_16block_id_wrapperIjLb0EEEEE10hipError_tT1_PNSt15iterator_traitsISK_E10value_typeET2_T3_PNSL_ISQ_E10value_typeET4_T5_PSV_SW_PNS1_23onesweep_lookback_stateEbbT6_jjT7_P12ihipStream_tbENKUlT_T0_SK_SP_E_clIPiSE_SF_SF_EEDaS13_S14_SK_SP_EUlS13_E_NS1_11comp_targetILNS1_3genE3ELNS1_11target_archE908ELNS1_3gpuE7ELNS1_3repE0EEENS1_47radix_sort_onesweep_sort_config_static_selectorELNS0_4arch9wavefront6targetE0EEEvSK_.num_agpr, 0
	.set _ZN7rocprim17ROCPRIM_400000_NS6detail17trampoline_kernelINS0_14default_configENS1_35radix_sort_onesweep_config_selectorIiNS0_10empty_typeEEEZZNS1_29radix_sort_onesweep_iterationIS3_Lb1EN6thrust23THRUST_200600_302600_NS6detail15normal_iteratorINS9_10device_ptrIiEEEESE_PS5_SF_jNS0_19identity_decomposerENS1_16block_id_wrapperIjLb0EEEEE10hipError_tT1_PNSt15iterator_traitsISK_E10value_typeET2_T3_PNSL_ISQ_E10value_typeET4_T5_PSV_SW_PNS1_23onesweep_lookback_stateEbbT6_jjT7_P12ihipStream_tbENKUlT_T0_SK_SP_E_clIPiSE_SF_SF_EEDaS13_S14_SK_SP_EUlS13_E_NS1_11comp_targetILNS1_3genE3ELNS1_11target_archE908ELNS1_3gpuE7ELNS1_3repE0EEENS1_47radix_sort_onesweep_sort_config_static_selectorELNS0_4arch9wavefront6targetE0EEEvSK_.numbered_sgpr, 0
	.set _ZN7rocprim17ROCPRIM_400000_NS6detail17trampoline_kernelINS0_14default_configENS1_35radix_sort_onesweep_config_selectorIiNS0_10empty_typeEEEZZNS1_29radix_sort_onesweep_iterationIS3_Lb1EN6thrust23THRUST_200600_302600_NS6detail15normal_iteratorINS9_10device_ptrIiEEEESE_PS5_SF_jNS0_19identity_decomposerENS1_16block_id_wrapperIjLb0EEEEE10hipError_tT1_PNSt15iterator_traitsISK_E10value_typeET2_T3_PNSL_ISQ_E10value_typeET4_T5_PSV_SW_PNS1_23onesweep_lookback_stateEbbT6_jjT7_P12ihipStream_tbENKUlT_T0_SK_SP_E_clIPiSE_SF_SF_EEDaS13_S14_SK_SP_EUlS13_E_NS1_11comp_targetILNS1_3genE3ELNS1_11target_archE908ELNS1_3gpuE7ELNS1_3repE0EEENS1_47radix_sort_onesweep_sort_config_static_selectorELNS0_4arch9wavefront6targetE0EEEvSK_.num_named_barrier, 0
	.set _ZN7rocprim17ROCPRIM_400000_NS6detail17trampoline_kernelINS0_14default_configENS1_35radix_sort_onesweep_config_selectorIiNS0_10empty_typeEEEZZNS1_29radix_sort_onesweep_iterationIS3_Lb1EN6thrust23THRUST_200600_302600_NS6detail15normal_iteratorINS9_10device_ptrIiEEEESE_PS5_SF_jNS0_19identity_decomposerENS1_16block_id_wrapperIjLb0EEEEE10hipError_tT1_PNSt15iterator_traitsISK_E10value_typeET2_T3_PNSL_ISQ_E10value_typeET4_T5_PSV_SW_PNS1_23onesweep_lookback_stateEbbT6_jjT7_P12ihipStream_tbENKUlT_T0_SK_SP_E_clIPiSE_SF_SF_EEDaS13_S14_SK_SP_EUlS13_E_NS1_11comp_targetILNS1_3genE3ELNS1_11target_archE908ELNS1_3gpuE7ELNS1_3repE0EEENS1_47radix_sort_onesweep_sort_config_static_selectorELNS0_4arch9wavefront6targetE0EEEvSK_.private_seg_size, 0
	.set _ZN7rocprim17ROCPRIM_400000_NS6detail17trampoline_kernelINS0_14default_configENS1_35radix_sort_onesweep_config_selectorIiNS0_10empty_typeEEEZZNS1_29radix_sort_onesweep_iterationIS3_Lb1EN6thrust23THRUST_200600_302600_NS6detail15normal_iteratorINS9_10device_ptrIiEEEESE_PS5_SF_jNS0_19identity_decomposerENS1_16block_id_wrapperIjLb0EEEEE10hipError_tT1_PNSt15iterator_traitsISK_E10value_typeET2_T3_PNSL_ISQ_E10value_typeET4_T5_PSV_SW_PNS1_23onesweep_lookback_stateEbbT6_jjT7_P12ihipStream_tbENKUlT_T0_SK_SP_E_clIPiSE_SF_SF_EEDaS13_S14_SK_SP_EUlS13_E_NS1_11comp_targetILNS1_3genE3ELNS1_11target_archE908ELNS1_3gpuE7ELNS1_3repE0EEENS1_47radix_sort_onesweep_sort_config_static_selectorELNS0_4arch9wavefront6targetE0EEEvSK_.uses_vcc, 0
	.set _ZN7rocprim17ROCPRIM_400000_NS6detail17trampoline_kernelINS0_14default_configENS1_35radix_sort_onesweep_config_selectorIiNS0_10empty_typeEEEZZNS1_29radix_sort_onesweep_iterationIS3_Lb1EN6thrust23THRUST_200600_302600_NS6detail15normal_iteratorINS9_10device_ptrIiEEEESE_PS5_SF_jNS0_19identity_decomposerENS1_16block_id_wrapperIjLb0EEEEE10hipError_tT1_PNSt15iterator_traitsISK_E10value_typeET2_T3_PNSL_ISQ_E10value_typeET4_T5_PSV_SW_PNS1_23onesweep_lookback_stateEbbT6_jjT7_P12ihipStream_tbENKUlT_T0_SK_SP_E_clIPiSE_SF_SF_EEDaS13_S14_SK_SP_EUlS13_E_NS1_11comp_targetILNS1_3genE3ELNS1_11target_archE908ELNS1_3gpuE7ELNS1_3repE0EEENS1_47radix_sort_onesweep_sort_config_static_selectorELNS0_4arch9wavefront6targetE0EEEvSK_.uses_flat_scratch, 0
	.set _ZN7rocprim17ROCPRIM_400000_NS6detail17trampoline_kernelINS0_14default_configENS1_35radix_sort_onesweep_config_selectorIiNS0_10empty_typeEEEZZNS1_29radix_sort_onesweep_iterationIS3_Lb1EN6thrust23THRUST_200600_302600_NS6detail15normal_iteratorINS9_10device_ptrIiEEEESE_PS5_SF_jNS0_19identity_decomposerENS1_16block_id_wrapperIjLb0EEEEE10hipError_tT1_PNSt15iterator_traitsISK_E10value_typeET2_T3_PNSL_ISQ_E10value_typeET4_T5_PSV_SW_PNS1_23onesweep_lookback_stateEbbT6_jjT7_P12ihipStream_tbENKUlT_T0_SK_SP_E_clIPiSE_SF_SF_EEDaS13_S14_SK_SP_EUlS13_E_NS1_11comp_targetILNS1_3genE3ELNS1_11target_archE908ELNS1_3gpuE7ELNS1_3repE0EEENS1_47radix_sort_onesweep_sort_config_static_selectorELNS0_4arch9wavefront6targetE0EEEvSK_.has_dyn_sized_stack, 0
	.set _ZN7rocprim17ROCPRIM_400000_NS6detail17trampoline_kernelINS0_14default_configENS1_35radix_sort_onesweep_config_selectorIiNS0_10empty_typeEEEZZNS1_29radix_sort_onesweep_iterationIS3_Lb1EN6thrust23THRUST_200600_302600_NS6detail15normal_iteratorINS9_10device_ptrIiEEEESE_PS5_SF_jNS0_19identity_decomposerENS1_16block_id_wrapperIjLb0EEEEE10hipError_tT1_PNSt15iterator_traitsISK_E10value_typeET2_T3_PNSL_ISQ_E10value_typeET4_T5_PSV_SW_PNS1_23onesweep_lookback_stateEbbT6_jjT7_P12ihipStream_tbENKUlT_T0_SK_SP_E_clIPiSE_SF_SF_EEDaS13_S14_SK_SP_EUlS13_E_NS1_11comp_targetILNS1_3genE3ELNS1_11target_archE908ELNS1_3gpuE7ELNS1_3repE0EEENS1_47radix_sort_onesweep_sort_config_static_selectorELNS0_4arch9wavefront6targetE0EEEvSK_.has_recursion, 0
	.set _ZN7rocprim17ROCPRIM_400000_NS6detail17trampoline_kernelINS0_14default_configENS1_35radix_sort_onesweep_config_selectorIiNS0_10empty_typeEEEZZNS1_29radix_sort_onesweep_iterationIS3_Lb1EN6thrust23THRUST_200600_302600_NS6detail15normal_iteratorINS9_10device_ptrIiEEEESE_PS5_SF_jNS0_19identity_decomposerENS1_16block_id_wrapperIjLb0EEEEE10hipError_tT1_PNSt15iterator_traitsISK_E10value_typeET2_T3_PNSL_ISQ_E10value_typeET4_T5_PSV_SW_PNS1_23onesweep_lookback_stateEbbT6_jjT7_P12ihipStream_tbENKUlT_T0_SK_SP_E_clIPiSE_SF_SF_EEDaS13_S14_SK_SP_EUlS13_E_NS1_11comp_targetILNS1_3genE3ELNS1_11target_archE908ELNS1_3gpuE7ELNS1_3repE0EEENS1_47radix_sort_onesweep_sort_config_static_selectorELNS0_4arch9wavefront6targetE0EEEvSK_.has_indirect_call, 0
	.section	.AMDGPU.csdata,"",@progbits
; Kernel info:
; codeLenInByte = 0
; TotalNumSgprs: 0
; NumVgprs: 0
; ScratchSize: 0
; MemoryBound: 0
; FloatMode: 240
; IeeeMode: 1
; LDSByteSize: 0 bytes/workgroup (compile time only)
; SGPRBlocks: 0
; VGPRBlocks: 0
; NumSGPRsForWavesPerEU: 1
; NumVGPRsForWavesPerEU: 1
; Occupancy: 16
; WaveLimiterHint : 0
; COMPUTE_PGM_RSRC2:SCRATCH_EN: 0
; COMPUTE_PGM_RSRC2:USER_SGPR: 6
; COMPUTE_PGM_RSRC2:TRAP_HANDLER: 0
; COMPUTE_PGM_RSRC2:TGID_X_EN: 1
; COMPUTE_PGM_RSRC2:TGID_Y_EN: 0
; COMPUTE_PGM_RSRC2:TGID_Z_EN: 0
; COMPUTE_PGM_RSRC2:TIDIG_COMP_CNT: 0
	.section	.text._ZN7rocprim17ROCPRIM_400000_NS6detail17trampoline_kernelINS0_14default_configENS1_35radix_sort_onesweep_config_selectorIiNS0_10empty_typeEEEZZNS1_29radix_sort_onesweep_iterationIS3_Lb1EN6thrust23THRUST_200600_302600_NS6detail15normal_iteratorINS9_10device_ptrIiEEEESE_PS5_SF_jNS0_19identity_decomposerENS1_16block_id_wrapperIjLb0EEEEE10hipError_tT1_PNSt15iterator_traitsISK_E10value_typeET2_T3_PNSL_ISQ_E10value_typeET4_T5_PSV_SW_PNS1_23onesweep_lookback_stateEbbT6_jjT7_P12ihipStream_tbENKUlT_T0_SK_SP_E_clIPiSE_SF_SF_EEDaS13_S14_SK_SP_EUlS13_E_NS1_11comp_targetILNS1_3genE10ELNS1_11target_archE1201ELNS1_3gpuE5ELNS1_3repE0EEENS1_47radix_sort_onesweep_sort_config_static_selectorELNS0_4arch9wavefront6targetE0EEEvSK_,"axG",@progbits,_ZN7rocprim17ROCPRIM_400000_NS6detail17trampoline_kernelINS0_14default_configENS1_35radix_sort_onesweep_config_selectorIiNS0_10empty_typeEEEZZNS1_29radix_sort_onesweep_iterationIS3_Lb1EN6thrust23THRUST_200600_302600_NS6detail15normal_iteratorINS9_10device_ptrIiEEEESE_PS5_SF_jNS0_19identity_decomposerENS1_16block_id_wrapperIjLb0EEEEE10hipError_tT1_PNSt15iterator_traitsISK_E10value_typeET2_T3_PNSL_ISQ_E10value_typeET4_T5_PSV_SW_PNS1_23onesweep_lookback_stateEbbT6_jjT7_P12ihipStream_tbENKUlT_T0_SK_SP_E_clIPiSE_SF_SF_EEDaS13_S14_SK_SP_EUlS13_E_NS1_11comp_targetILNS1_3genE10ELNS1_11target_archE1201ELNS1_3gpuE5ELNS1_3repE0EEENS1_47radix_sort_onesweep_sort_config_static_selectorELNS0_4arch9wavefront6targetE0EEEvSK_,comdat
	.protected	_ZN7rocprim17ROCPRIM_400000_NS6detail17trampoline_kernelINS0_14default_configENS1_35radix_sort_onesweep_config_selectorIiNS0_10empty_typeEEEZZNS1_29radix_sort_onesweep_iterationIS3_Lb1EN6thrust23THRUST_200600_302600_NS6detail15normal_iteratorINS9_10device_ptrIiEEEESE_PS5_SF_jNS0_19identity_decomposerENS1_16block_id_wrapperIjLb0EEEEE10hipError_tT1_PNSt15iterator_traitsISK_E10value_typeET2_T3_PNSL_ISQ_E10value_typeET4_T5_PSV_SW_PNS1_23onesweep_lookback_stateEbbT6_jjT7_P12ihipStream_tbENKUlT_T0_SK_SP_E_clIPiSE_SF_SF_EEDaS13_S14_SK_SP_EUlS13_E_NS1_11comp_targetILNS1_3genE10ELNS1_11target_archE1201ELNS1_3gpuE5ELNS1_3repE0EEENS1_47radix_sort_onesweep_sort_config_static_selectorELNS0_4arch9wavefront6targetE0EEEvSK_ ; -- Begin function _ZN7rocprim17ROCPRIM_400000_NS6detail17trampoline_kernelINS0_14default_configENS1_35radix_sort_onesweep_config_selectorIiNS0_10empty_typeEEEZZNS1_29radix_sort_onesweep_iterationIS3_Lb1EN6thrust23THRUST_200600_302600_NS6detail15normal_iteratorINS9_10device_ptrIiEEEESE_PS5_SF_jNS0_19identity_decomposerENS1_16block_id_wrapperIjLb0EEEEE10hipError_tT1_PNSt15iterator_traitsISK_E10value_typeET2_T3_PNSL_ISQ_E10value_typeET4_T5_PSV_SW_PNS1_23onesweep_lookback_stateEbbT6_jjT7_P12ihipStream_tbENKUlT_T0_SK_SP_E_clIPiSE_SF_SF_EEDaS13_S14_SK_SP_EUlS13_E_NS1_11comp_targetILNS1_3genE10ELNS1_11target_archE1201ELNS1_3gpuE5ELNS1_3repE0EEENS1_47radix_sort_onesweep_sort_config_static_selectorELNS0_4arch9wavefront6targetE0EEEvSK_
	.globl	_ZN7rocprim17ROCPRIM_400000_NS6detail17trampoline_kernelINS0_14default_configENS1_35radix_sort_onesweep_config_selectorIiNS0_10empty_typeEEEZZNS1_29radix_sort_onesweep_iterationIS3_Lb1EN6thrust23THRUST_200600_302600_NS6detail15normal_iteratorINS9_10device_ptrIiEEEESE_PS5_SF_jNS0_19identity_decomposerENS1_16block_id_wrapperIjLb0EEEEE10hipError_tT1_PNSt15iterator_traitsISK_E10value_typeET2_T3_PNSL_ISQ_E10value_typeET4_T5_PSV_SW_PNS1_23onesweep_lookback_stateEbbT6_jjT7_P12ihipStream_tbENKUlT_T0_SK_SP_E_clIPiSE_SF_SF_EEDaS13_S14_SK_SP_EUlS13_E_NS1_11comp_targetILNS1_3genE10ELNS1_11target_archE1201ELNS1_3gpuE5ELNS1_3repE0EEENS1_47radix_sort_onesweep_sort_config_static_selectorELNS0_4arch9wavefront6targetE0EEEvSK_
	.p2align	8
	.type	_ZN7rocprim17ROCPRIM_400000_NS6detail17trampoline_kernelINS0_14default_configENS1_35radix_sort_onesweep_config_selectorIiNS0_10empty_typeEEEZZNS1_29radix_sort_onesweep_iterationIS3_Lb1EN6thrust23THRUST_200600_302600_NS6detail15normal_iteratorINS9_10device_ptrIiEEEESE_PS5_SF_jNS0_19identity_decomposerENS1_16block_id_wrapperIjLb0EEEEE10hipError_tT1_PNSt15iterator_traitsISK_E10value_typeET2_T3_PNSL_ISQ_E10value_typeET4_T5_PSV_SW_PNS1_23onesweep_lookback_stateEbbT6_jjT7_P12ihipStream_tbENKUlT_T0_SK_SP_E_clIPiSE_SF_SF_EEDaS13_S14_SK_SP_EUlS13_E_NS1_11comp_targetILNS1_3genE10ELNS1_11target_archE1201ELNS1_3gpuE5ELNS1_3repE0EEENS1_47radix_sort_onesweep_sort_config_static_selectorELNS0_4arch9wavefront6targetE0EEEvSK_,@function
_ZN7rocprim17ROCPRIM_400000_NS6detail17trampoline_kernelINS0_14default_configENS1_35radix_sort_onesweep_config_selectorIiNS0_10empty_typeEEEZZNS1_29radix_sort_onesweep_iterationIS3_Lb1EN6thrust23THRUST_200600_302600_NS6detail15normal_iteratorINS9_10device_ptrIiEEEESE_PS5_SF_jNS0_19identity_decomposerENS1_16block_id_wrapperIjLb0EEEEE10hipError_tT1_PNSt15iterator_traitsISK_E10value_typeET2_T3_PNSL_ISQ_E10value_typeET4_T5_PSV_SW_PNS1_23onesweep_lookback_stateEbbT6_jjT7_P12ihipStream_tbENKUlT_T0_SK_SP_E_clIPiSE_SF_SF_EEDaS13_S14_SK_SP_EUlS13_E_NS1_11comp_targetILNS1_3genE10ELNS1_11target_archE1201ELNS1_3gpuE5ELNS1_3repE0EEENS1_47radix_sort_onesweep_sort_config_static_selectorELNS0_4arch9wavefront6targetE0EEEvSK_: ; @_ZN7rocprim17ROCPRIM_400000_NS6detail17trampoline_kernelINS0_14default_configENS1_35radix_sort_onesweep_config_selectorIiNS0_10empty_typeEEEZZNS1_29radix_sort_onesweep_iterationIS3_Lb1EN6thrust23THRUST_200600_302600_NS6detail15normal_iteratorINS9_10device_ptrIiEEEESE_PS5_SF_jNS0_19identity_decomposerENS1_16block_id_wrapperIjLb0EEEEE10hipError_tT1_PNSt15iterator_traitsISK_E10value_typeET2_T3_PNSL_ISQ_E10value_typeET4_T5_PSV_SW_PNS1_23onesweep_lookback_stateEbbT6_jjT7_P12ihipStream_tbENKUlT_T0_SK_SP_E_clIPiSE_SF_SF_EEDaS13_S14_SK_SP_EUlS13_E_NS1_11comp_targetILNS1_3genE10ELNS1_11target_archE1201ELNS1_3gpuE5ELNS1_3repE0EEENS1_47radix_sort_onesweep_sort_config_static_selectorELNS0_4arch9wavefront6targetE0EEEvSK_
; %bb.0:
	.section	.rodata,"a",@progbits
	.p2align	6, 0x0
	.amdhsa_kernel _ZN7rocprim17ROCPRIM_400000_NS6detail17trampoline_kernelINS0_14default_configENS1_35radix_sort_onesweep_config_selectorIiNS0_10empty_typeEEEZZNS1_29radix_sort_onesweep_iterationIS3_Lb1EN6thrust23THRUST_200600_302600_NS6detail15normal_iteratorINS9_10device_ptrIiEEEESE_PS5_SF_jNS0_19identity_decomposerENS1_16block_id_wrapperIjLb0EEEEE10hipError_tT1_PNSt15iterator_traitsISK_E10value_typeET2_T3_PNSL_ISQ_E10value_typeET4_T5_PSV_SW_PNS1_23onesweep_lookback_stateEbbT6_jjT7_P12ihipStream_tbENKUlT_T0_SK_SP_E_clIPiSE_SF_SF_EEDaS13_S14_SK_SP_EUlS13_E_NS1_11comp_targetILNS1_3genE10ELNS1_11target_archE1201ELNS1_3gpuE5ELNS1_3repE0EEENS1_47radix_sort_onesweep_sort_config_static_selectorELNS0_4arch9wavefront6targetE0EEEvSK_
		.amdhsa_group_segment_fixed_size 0
		.amdhsa_private_segment_fixed_size 0
		.amdhsa_kernarg_size 88
		.amdhsa_user_sgpr_count 6
		.amdhsa_user_sgpr_private_segment_buffer 1
		.amdhsa_user_sgpr_dispatch_ptr 0
		.amdhsa_user_sgpr_queue_ptr 0
		.amdhsa_user_sgpr_kernarg_segment_ptr 1
		.amdhsa_user_sgpr_dispatch_id 0
		.amdhsa_user_sgpr_flat_scratch_init 0
		.amdhsa_user_sgpr_private_segment_size 0
		.amdhsa_wavefront_size32 1
		.amdhsa_uses_dynamic_stack 0
		.amdhsa_system_sgpr_private_segment_wavefront_offset 0
		.amdhsa_system_sgpr_workgroup_id_x 1
		.amdhsa_system_sgpr_workgroup_id_y 0
		.amdhsa_system_sgpr_workgroup_id_z 0
		.amdhsa_system_sgpr_workgroup_info 0
		.amdhsa_system_vgpr_workitem_id 0
		.amdhsa_next_free_vgpr 1
		.amdhsa_next_free_sgpr 1
		.amdhsa_reserve_vcc 0
		.amdhsa_reserve_flat_scratch 0
		.amdhsa_float_round_mode_32 0
		.amdhsa_float_round_mode_16_64 0
		.amdhsa_float_denorm_mode_32 3
		.amdhsa_float_denorm_mode_16_64 3
		.amdhsa_dx10_clamp 1
		.amdhsa_ieee_mode 1
		.amdhsa_fp16_overflow 0
		.amdhsa_workgroup_processor_mode 1
		.amdhsa_memory_ordered 1
		.amdhsa_forward_progress 1
		.amdhsa_shared_vgpr_count 0
		.amdhsa_exception_fp_ieee_invalid_op 0
		.amdhsa_exception_fp_denorm_src 0
		.amdhsa_exception_fp_ieee_div_zero 0
		.amdhsa_exception_fp_ieee_overflow 0
		.amdhsa_exception_fp_ieee_underflow 0
		.amdhsa_exception_fp_ieee_inexact 0
		.amdhsa_exception_int_div_zero 0
	.end_amdhsa_kernel
	.section	.text._ZN7rocprim17ROCPRIM_400000_NS6detail17trampoline_kernelINS0_14default_configENS1_35radix_sort_onesweep_config_selectorIiNS0_10empty_typeEEEZZNS1_29radix_sort_onesweep_iterationIS3_Lb1EN6thrust23THRUST_200600_302600_NS6detail15normal_iteratorINS9_10device_ptrIiEEEESE_PS5_SF_jNS0_19identity_decomposerENS1_16block_id_wrapperIjLb0EEEEE10hipError_tT1_PNSt15iterator_traitsISK_E10value_typeET2_T3_PNSL_ISQ_E10value_typeET4_T5_PSV_SW_PNS1_23onesweep_lookback_stateEbbT6_jjT7_P12ihipStream_tbENKUlT_T0_SK_SP_E_clIPiSE_SF_SF_EEDaS13_S14_SK_SP_EUlS13_E_NS1_11comp_targetILNS1_3genE10ELNS1_11target_archE1201ELNS1_3gpuE5ELNS1_3repE0EEENS1_47radix_sort_onesweep_sort_config_static_selectorELNS0_4arch9wavefront6targetE0EEEvSK_,"axG",@progbits,_ZN7rocprim17ROCPRIM_400000_NS6detail17trampoline_kernelINS0_14default_configENS1_35radix_sort_onesweep_config_selectorIiNS0_10empty_typeEEEZZNS1_29radix_sort_onesweep_iterationIS3_Lb1EN6thrust23THRUST_200600_302600_NS6detail15normal_iteratorINS9_10device_ptrIiEEEESE_PS5_SF_jNS0_19identity_decomposerENS1_16block_id_wrapperIjLb0EEEEE10hipError_tT1_PNSt15iterator_traitsISK_E10value_typeET2_T3_PNSL_ISQ_E10value_typeET4_T5_PSV_SW_PNS1_23onesweep_lookback_stateEbbT6_jjT7_P12ihipStream_tbENKUlT_T0_SK_SP_E_clIPiSE_SF_SF_EEDaS13_S14_SK_SP_EUlS13_E_NS1_11comp_targetILNS1_3genE10ELNS1_11target_archE1201ELNS1_3gpuE5ELNS1_3repE0EEENS1_47radix_sort_onesweep_sort_config_static_selectorELNS0_4arch9wavefront6targetE0EEEvSK_,comdat
.Lfunc_end387:
	.size	_ZN7rocprim17ROCPRIM_400000_NS6detail17trampoline_kernelINS0_14default_configENS1_35radix_sort_onesweep_config_selectorIiNS0_10empty_typeEEEZZNS1_29radix_sort_onesweep_iterationIS3_Lb1EN6thrust23THRUST_200600_302600_NS6detail15normal_iteratorINS9_10device_ptrIiEEEESE_PS5_SF_jNS0_19identity_decomposerENS1_16block_id_wrapperIjLb0EEEEE10hipError_tT1_PNSt15iterator_traitsISK_E10value_typeET2_T3_PNSL_ISQ_E10value_typeET4_T5_PSV_SW_PNS1_23onesweep_lookback_stateEbbT6_jjT7_P12ihipStream_tbENKUlT_T0_SK_SP_E_clIPiSE_SF_SF_EEDaS13_S14_SK_SP_EUlS13_E_NS1_11comp_targetILNS1_3genE10ELNS1_11target_archE1201ELNS1_3gpuE5ELNS1_3repE0EEENS1_47radix_sort_onesweep_sort_config_static_selectorELNS0_4arch9wavefront6targetE0EEEvSK_, .Lfunc_end387-_ZN7rocprim17ROCPRIM_400000_NS6detail17trampoline_kernelINS0_14default_configENS1_35radix_sort_onesweep_config_selectorIiNS0_10empty_typeEEEZZNS1_29radix_sort_onesweep_iterationIS3_Lb1EN6thrust23THRUST_200600_302600_NS6detail15normal_iteratorINS9_10device_ptrIiEEEESE_PS5_SF_jNS0_19identity_decomposerENS1_16block_id_wrapperIjLb0EEEEE10hipError_tT1_PNSt15iterator_traitsISK_E10value_typeET2_T3_PNSL_ISQ_E10value_typeET4_T5_PSV_SW_PNS1_23onesweep_lookback_stateEbbT6_jjT7_P12ihipStream_tbENKUlT_T0_SK_SP_E_clIPiSE_SF_SF_EEDaS13_S14_SK_SP_EUlS13_E_NS1_11comp_targetILNS1_3genE10ELNS1_11target_archE1201ELNS1_3gpuE5ELNS1_3repE0EEENS1_47radix_sort_onesweep_sort_config_static_selectorELNS0_4arch9wavefront6targetE0EEEvSK_
                                        ; -- End function
	.set _ZN7rocprim17ROCPRIM_400000_NS6detail17trampoline_kernelINS0_14default_configENS1_35radix_sort_onesweep_config_selectorIiNS0_10empty_typeEEEZZNS1_29radix_sort_onesweep_iterationIS3_Lb1EN6thrust23THRUST_200600_302600_NS6detail15normal_iteratorINS9_10device_ptrIiEEEESE_PS5_SF_jNS0_19identity_decomposerENS1_16block_id_wrapperIjLb0EEEEE10hipError_tT1_PNSt15iterator_traitsISK_E10value_typeET2_T3_PNSL_ISQ_E10value_typeET4_T5_PSV_SW_PNS1_23onesweep_lookback_stateEbbT6_jjT7_P12ihipStream_tbENKUlT_T0_SK_SP_E_clIPiSE_SF_SF_EEDaS13_S14_SK_SP_EUlS13_E_NS1_11comp_targetILNS1_3genE10ELNS1_11target_archE1201ELNS1_3gpuE5ELNS1_3repE0EEENS1_47radix_sort_onesweep_sort_config_static_selectorELNS0_4arch9wavefront6targetE0EEEvSK_.num_vgpr, 0
	.set _ZN7rocprim17ROCPRIM_400000_NS6detail17trampoline_kernelINS0_14default_configENS1_35radix_sort_onesweep_config_selectorIiNS0_10empty_typeEEEZZNS1_29radix_sort_onesweep_iterationIS3_Lb1EN6thrust23THRUST_200600_302600_NS6detail15normal_iteratorINS9_10device_ptrIiEEEESE_PS5_SF_jNS0_19identity_decomposerENS1_16block_id_wrapperIjLb0EEEEE10hipError_tT1_PNSt15iterator_traitsISK_E10value_typeET2_T3_PNSL_ISQ_E10value_typeET4_T5_PSV_SW_PNS1_23onesweep_lookback_stateEbbT6_jjT7_P12ihipStream_tbENKUlT_T0_SK_SP_E_clIPiSE_SF_SF_EEDaS13_S14_SK_SP_EUlS13_E_NS1_11comp_targetILNS1_3genE10ELNS1_11target_archE1201ELNS1_3gpuE5ELNS1_3repE0EEENS1_47radix_sort_onesweep_sort_config_static_selectorELNS0_4arch9wavefront6targetE0EEEvSK_.num_agpr, 0
	.set _ZN7rocprim17ROCPRIM_400000_NS6detail17trampoline_kernelINS0_14default_configENS1_35radix_sort_onesweep_config_selectorIiNS0_10empty_typeEEEZZNS1_29radix_sort_onesweep_iterationIS3_Lb1EN6thrust23THRUST_200600_302600_NS6detail15normal_iteratorINS9_10device_ptrIiEEEESE_PS5_SF_jNS0_19identity_decomposerENS1_16block_id_wrapperIjLb0EEEEE10hipError_tT1_PNSt15iterator_traitsISK_E10value_typeET2_T3_PNSL_ISQ_E10value_typeET4_T5_PSV_SW_PNS1_23onesweep_lookback_stateEbbT6_jjT7_P12ihipStream_tbENKUlT_T0_SK_SP_E_clIPiSE_SF_SF_EEDaS13_S14_SK_SP_EUlS13_E_NS1_11comp_targetILNS1_3genE10ELNS1_11target_archE1201ELNS1_3gpuE5ELNS1_3repE0EEENS1_47radix_sort_onesweep_sort_config_static_selectorELNS0_4arch9wavefront6targetE0EEEvSK_.numbered_sgpr, 0
	.set _ZN7rocprim17ROCPRIM_400000_NS6detail17trampoline_kernelINS0_14default_configENS1_35radix_sort_onesweep_config_selectorIiNS0_10empty_typeEEEZZNS1_29radix_sort_onesweep_iterationIS3_Lb1EN6thrust23THRUST_200600_302600_NS6detail15normal_iteratorINS9_10device_ptrIiEEEESE_PS5_SF_jNS0_19identity_decomposerENS1_16block_id_wrapperIjLb0EEEEE10hipError_tT1_PNSt15iterator_traitsISK_E10value_typeET2_T3_PNSL_ISQ_E10value_typeET4_T5_PSV_SW_PNS1_23onesweep_lookback_stateEbbT6_jjT7_P12ihipStream_tbENKUlT_T0_SK_SP_E_clIPiSE_SF_SF_EEDaS13_S14_SK_SP_EUlS13_E_NS1_11comp_targetILNS1_3genE10ELNS1_11target_archE1201ELNS1_3gpuE5ELNS1_3repE0EEENS1_47radix_sort_onesweep_sort_config_static_selectorELNS0_4arch9wavefront6targetE0EEEvSK_.num_named_barrier, 0
	.set _ZN7rocprim17ROCPRIM_400000_NS6detail17trampoline_kernelINS0_14default_configENS1_35radix_sort_onesweep_config_selectorIiNS0_10empty_typeEEEZZNS1_29radix_sort_onesweep_iterationIS3_Lb1EN6thrust23THRUST_200600_302600_NS6detail15normal_iteratorINS9_10device_ptrIiEEEESE_PS5_SF_jNS0_19identity_decomposerENS1_16block_id_wrapperIjLb0EEEEE10hipError_tT1_PNSt15iterator_traitsISK_E10value_typeET2_T3_PNSL_ISQ_E10value_typeET4_T5_PSV_SW_PNS1_23onesweep_lookback_stateEbbT6_jjT7_P12ihipStream_tbENKUlT_T0_SK_SP_E_clIPiSE_SF_SF_EEDaS13_S14_SK_SP_EUlS13_E_NS1_11comp_targetILNS1_3genE10ELNS1_11target_archE1201ELNS1_3gpuE5ELNS1_3repE0EEENS1_47radix_sort_onesweep_sort_config_static_selectorELNS0_4arch9wavefront6targetE0EEEvSK_.private_seg_size, 0
	.set _ZN7rocprim17ROCPRIM_400000_NS6detail17trampoline_kernelINS0_14default_configENS1_35radix_sort_onesweep_config_selectorIiNS0_10empty_typeEEEZZNS1_29radix_sort_onesweep_iterationIS3_Lb1EN6thrust23THRUST_200600_302600_NS6detail15normal_iteratorINS9_10device_ptrIiEEEESE_PS5_SF_jNS0_19identity_decomposerENS1_16block_id_wrapperIjLb0EEEEE10hipError_tT1_PNSt15iterator_traitsISK_E10value_typeET2_T3_PNSL_ISQ_E10value_typeET4_T5_PSV_SW_PNS1_23onesweep_lookback_stateEbbT6_jjT7_P12ihipStream_tbENKUlT_T0_SK_SP_E_clIPiSE_SF_SF_EEDaS13_S14_SK_SP_EUlS13_E_NS1_11comp_targetILNS1_3genE10ELNS1_11target_archE1201ELNS1_3gpuE5ELNS1_3repE0EEENS1_47radix_sort_onesweep_sort_config_static_selectorELNS0_4arch9wavefront6targetE0EEEvSK_.uses_vcc, 0
	.set _ZN7rocprim17ROCPRIM_400000_NS6detail17trampoline_kernelINS0_14default_configENS1_35radix_sort_onesweep_config_selectorIiNS0_10empty_typeEEEZZNS1_29radix_sort_onesweep_iterationIS3_Lb1EN6thrust23THRUST_200600_302600_NS6detail15normal_iteratorINS9_10device_ptrIiEEEESE_PS5_SF_jNS0_19identity_decomposerENS1_16block_id_wrapperIjLb0EEEEE10hipError_tT1_PNSt15iterator_traitsISK_E10value_typeET2_T3_PNSL_ISQ_E10value_typeET4_T5_PSV_SW_PNS1_23onesweep_lookback_stateEbbT6_jjT7_P12ihipStream_tbENKUlT_T0_SK_SP_E_clIPiSE_SF_SF_EEDaS13_S14_SK_SP_EUlS13_E_NS1_11comp_targetILNS1_3genE10ELNS1_11target_archE1201ELNS1_3gpuE5ELNS1_3repE0EEENS1_47radix_sort_onesweep_sort_config_static_selectorELNS0_4arch9wavefront6targetE0EEEvSK_.uses_flat_scratch, 0
	.set _ZN7rocprim17ROCPRIM_400000_NS6detail17trampoline_kernelINS0_14default_configENS1_35radix_sort_onesweep_config_selectorIiNS0_10empty_typeEEEZZNS1_29radix_sort_onesweep_iterationIS3_Lb1EN6thrust23THRUST_200600_302600_NS6detail15normal_iteratorINS9_10device_ptrIiEEEESE_PS5_SF_jNS0_19identity_decomposerENS1_16block_id_wrapperIjLb0EEEEE10hipError_tT1_PNSt15iterator_traitsISK_E10value_typeET2_T3_PNSL_ISQ_E10value_typeET4_T5_PSV_SW_PNS1_23onesweep_lookback_stateEbbT6_jjT7_P12ihipStream_tbENKUlT_T0_SK_SP_E_clIPiSE_SF_SF_EEDaS13_S14_SK_SP_EUlS13_E_NS1_11comp_targetILNS1_3genE10ELNS1_11target_archE1201ELNS1_3gpuE5ELNS1_3repE0EEENS1_47radix_sort_onesweep_sort_config_static_selectorELNS0_4arch9wavefront6targetE0EEEvSK_.has_dyn_sized_stack, 0
	.set _ZN7rocprim17ROCPRIM_400000_NS6detail17trampoline_kernelINS0_14default_configENS1_35radix_sort_onesweep_config_selectorIiNS0_10empty_typeEEEZZNS1_29radix_sort_onesweep_iterationIS3_Lb1EN6thrust23THRUST_200600_302600_NS6detail15normal_iteratorINS9_10device_ptrIiEEEESE_PS5_SF_jNS0_19identity_decomposerENS1_16block_id_wrapperIjLb0EEEEE10hipError_tT1_PNSt15iterator_traitsISK_E10value_typeET2_T3_PNSL_ISQ_E10value_typeET4_T5_PSV_SW_PNS1_23onesweep_lookback_stateEbbT6_jjT7_P12ihipStream_tbENKUlT_T0_SK_SP_E_clIPiSE_SF_SF_EEDaS13_S14_SK_SP_EUlS13_E_NS1_11comp_targetILNS1_3genE10ELNS1_11target_archE1201ELNS1_3gpuE5ELNS1_3repE0EEENS1_47radix_sort_onesweep_sort_config_static_selectorELNS0_4arch9wavefront6targetE0EEEvSK_.has_recursion, 0
	.set _ZN7rocprim17ROCPRIM_400000_NS6detail17trampoline_kernelINS0_14default_configENS1_35radix_sort_onesweep_config_selectorIiNS0_10empty_typeEEEZZNS1_29radix_sort_onesweep_iterationIS3_Lb1EN6thrust23THRUST_200600_302600_NS6detail15normal_iteratorINS9_10device_ptrIiEEEESE_PS5_SF_jNS0_19identity_decomposerENS1_16block_id_wrapperIjLb0EEEEE10hipError_tT1_PNSt15iterator_traitsISK_E10value_typeET2_T3_PNSL_ISQ_E10value_typeET4_T5_PSV_SW_PNS1_23onesweep_lookback_stateEbbT6_jjT7_P12ihipStream_tbENKUlT_T0_SK_SP_E_clIPiSE_SF_SF_EEDaS13_S14_SK_SP_EUlS13_E_NS1_11comp_targetILNS1_3genE10ELNS1_11target_archE1201ELNS1_3gpuE5ELNS1_3repE0EEENS1_47radix_sort_onesweep_sort_config_static_selectorELNS0_4arch9wavefront6targetE0EEEvSK_.has_indirect_call, 0
	.section	.AMDGPU.csdata,"",@progbits
; Kernel info:
; codeLenInByte = 0
; TotalNumSgprs: 0
; NumVgprs: 0
; ScratchSize: 0
; MemoryBound: 0
; FloatMode: 240
; IeeeMode: 1
; LDSByteSize: 0 bytes/workgroup (compile time only)
; SGPRBlocks: 0
; VGPRBlocks: 0
; NumSGPRsForWavesPerEU: 1
; NumVGPRsForWavesPerEU: 1
; Occupancy: 16
; WaveLimiterHint : 0
; COMPUTE_PGM_RSRC2:SCRATCH_EN: 0
; COMPUTE_PGM_RSRC2:USER_SGPR: 6
; COMPUTE_PGM_RSRC2:TRAP_HANDLER: 0
; COMPUTE_PGM_RSRC2:TGID_X_EN: 1
; COMPUTE_PGM_RSRC2:TGID_Y_EN: 0
; COMPUTE_PGM_RSRC2:TGID_Z_EN: 0
; COMPUTE_PGM_RSRC2:TIDIG_COMP_CNT: 0
	.section	.text._ZN7rocprim17ROCPRIM_400000_NS6detail17trampoline_kernelINS0_14default_configENS1_35radix_sort_onesweep_config_selectorIiNS0_10empty_typeEEEZZNS1_29radix_sort_onesweep_iterationIS3_Lb1EN6thrust23THRUST_200600_302600_NS6detail15normal_iteratorINS9_10device_ptrIiEEEESE_PS5_SF_jNS0_19identity_decomposerENS1_16block_id_wrapperIjLb0EEEEE10hipError_tT1_PNSt15iterator_traitsISK_E10value_typeET2_T3_PNSL_ISQ_E10value_typeET4_T5_PSV_SW_PNS1_23onesweep_lookback_stateEbbT6_jjT7_P12ihipStream_tbENKUlT_T0_SK_SP_E_clIPiSE_SF_SF_EEDaS13_S14_SK_SP_EUlS13_E_NS1_11comp_targetILNS1_3genE9ELNS1_11target_archE1100ELNS1_3gpuE3ELNS1_3repE0EEENS1_47radix_sort_onesweep_sort_config_static_selectorELNS0_4arch9wavefront6targetE0EEEvSK_,"axG",@progbits,_ZN7rocprim17ROCPRIM_400000_NS6detail17trampoline_kernelINS0_14default_configENS1_35radix_sort_onesweep_config_selectorIiNS0_10empty_typeEEEZZNS1_29radix_sort_onesweep_iterationIS3_Lb1EN6thrust23THRUST_200600_302600_NS6detail15normal_iteratorINS9_10device_ptrIiEEEESE_PS5_SF_jNS0_19identity_decomposerENS1_16block_id_wrapperIjLb0EEEEE10hipError_tT1_PNSt15iterator_traitsISK_E10value_typeET2_T3_PNSL_ISQ_E10value_typeET4_T5_PSV_SW_PNS1_23onesweep_lookback_stateEbbT6_jjT7_P12ihipStream_tbENKUlT_T0_SK_SP_E_clIPiSE_SF_SF_EEDaS13_S14_SK_SP_EUlS13_E_NS1_11comp_targetILNS1_3genE9ELNS1_11target_archE1100ELNS1_3gpuE3ELNS1_3repE0EEENS1_47radix_sort_onesweep_sort_config_static_selectorELNS0_4arch9wavefront6targetE0EEEvSK_,comdat
	.protected	_ZN7rocprim17ROCPRIM_400000_NS6detail17trampoline_kernelINS0_14default_configENS1_35radix_sort_onesweep_config_selectorIiNS0_10empty_typeEEEZZNS1_29radix_sort_onesweep_iterationIS3_Lb1EN6thrust23THRUST_200600_302600_NS6detail15normal_iteratorINS9_10device_ptrIiEEEESE_PS5_SF_jNS0_19identity_decomposerENS1_16block_id_wrapperIjLb0EEEEE10hipError_tT1_PNSt15iterator_traitsISK_E10value_typeET2_T3_PNSL_ISQ_E10value_typeET4_T5_PSV_SW_PNS1_23onesweep_lookback_stateEbbT6_jjT7_P12ihipStream_tbENKUlT_T0_SK_SP_E_clIPiSE_SF_SF_EEDaS13_S14_SK_SP_EUlS13_E_NS1_11comp_targetILNS1_3genE9ELNS1_11target_archE1100ELNS1_3gpuE3ELNS1_3repE0EEENS1_47radix_sort_onesweep_sort_config_static_selectorELNS0_4arch9wavefront6targetE0EEEvSK_ ; -- Begin function _ZN7rocprim17ROCPRIM_400000_NS6detail17trampoline_kernelINS0_14default_configENS1_35radix_sort_onesweep_config_selectorIiNS0_10empty_typeEEEZZNS1_29radix_sort_onesweep_iterationIS3_Lb1EN6thrust23THRUST_200600_302600_NS6detail15normal_iteratorINS9_10device_ptrIiEEEESE_PS5_SF_jNS0_19identity_decomposerENS1_16block_id_wrapperIjLb0EEEEE10hipError_tT1_PNSt15iterator_traitsISK_E10value_typeET2_T3_PNSL_ISQ_E10value_typeET4_T5_PSV_SW_PNS1_23onesweep_lookback_stateEbbT6_jjT7_P12ihipStream_tbENKUlT_T0_SK_SP_E_clIPiSE_SF_SF_EEDaS13_S14_SK_SP_EUlS13_E_NS1_11comp_targetILNS1_3genE9ELNS1_11target_archE1100ELNS1_3gpuE3ELNS1_3repE0EEENS1_47radix_sort_onesweep_sort_config_static_selectorELNS0_4arch9wavefront6targetE0EEEvSK_
	.globl	_ZN7rocprim17ROCPRIM_400000_NS6detail17trampoline_kernelINS0_14default_configENS1_35radix_sort_onesweep_config_selectorIiNS0_10empty_typeEEEZZNS1_29radix_sort_onesweep_iterationIS3_Lb1EN6thrust23THRUST_200600_302600_NS6detail15normal_iteratorINS9_10device_ptrIiEEEESE_PS5_SF_jNS0_19identity_decomposerENS1_16block_id_wrapperIjLb0EEEEE10hipError_tT1_PNSt15iterator_traitsISK_E10value_typeET2_T3_PNSL_ISQ_E10value_typeET4_T5_PSV_SW_PNS1_23onesweep_lookback_stateEbbT6_jjT7_P12ihipStream_tbENKUlT_T0_SK_SP_E_clIPiSE_SF_SF_EEDaS13_S14_SK_SP_EUlS13_E_NS1_11comp_targetILNS1_3genE9ELNS1_11target_archE1100ELNS1_3gpuE3ELNS1_3repE0EEENS1_47radix_sort_onesweep_sort_config_static_selectorELNS0_4arch9wavefront6targetE0EEEvSK_
	.p2align	8
	.type	_ZN7rocprim17ROCPRIM_400000_NS6detail17trampoline_kernelINS0_14default_configENS1_35radix_sort_onesweep_config_selectorIiNS0_10empty_typeEEEZZNS1_29radix_sort_onesweep_iterationIS3_Lb1EN6thrust23THRUST_200600_302600_NS6detail15normal_iteratorINS9_10device_ptrIiEEEESE_PS5_SF_jNS0_19identity_decomposerENS1_16block_id_wrapperIjLb0EEEEE10hipError_tT1_PNSt15iterator_traitsISK_E10value_typeET2_T3_PNSL_ISQ_E10value_typeET4_T5_PSV_SW_PNS1_23onesweep_lookback_stateEbbT6_jjT7_P12ihipStream_tbENKUlT_T0_SK_SP_E_clIPiSE_SF_SF_EEDaS13_S14_SK_SP_EUlS13_E_NS1_11comp_targetILNS1_3genE9ELNS1_11target_archE1100ELNS1_3gpuE3ELNS1_3repE0EEENS1_47radix_sort_onesweep_sort_config_static_selectorELNS0_4arch9wavefront6targetE0EEEvSK_,@function
_ZN7rocprim17ROCPRIM_400000_NS6detail17trampoline_kernelINS0_14default_configENS1_35radix_sort_onesweep_config_selectorIiNS0_10empty_typeEEEZZNS1_29radix_sort_onesweep_iterationIS3_Lb1EN6thrust23THRUST_200600_302600_NS6detail15normal_iteratorINS9_10device_ptrIiEEEESE_PS5_SF_jNS0_19identity_decomposerENS1_16block_id_wrapperIjLb0EEEEE10hipError_tT1_PNSt15iterator_traitsISK_E10value_typeET2_T3_PNSL_ISQ_E10value_typeET4_T5_PSV_SW_PNS1_23onesweep_lookback_stateEbbT6_jjT7_P12ihipStream_tbENKUlT_T0_SK_SP_E_clIPiSE_SF_SF_EEDaS13_S14_SK_SP_EUlS13_E_NS1_11comp_targetILNS1_3genE9ELNS1_11target_archE1100ELNS1_3gpuE3ELNS1_3repE0EEENS1_47radix_sort_onesweep_sort_config_static_selectorELNS0_4arch9wavefront6targetE0EEEvSK_: ; @_ZN7rocprim17ROCPRIM_400000_NS6detail17trampoline_kernelINS0_14default_configENS1_35radix_sort_onesweep_config_selectorIiNS0_10empty_typeEEEZZNS1_29radix_sort_onesweep_iterationIS3_Lb1EN6thrust23THRUST_200600_302600_NS6detail15normal_iteratorINS9_10device_ptrIiEEEESE_PS5_SF_jNS0_19identity_decomposerENS1_16block_id_wrapperIjLb0EEEEE10hipError_tT1_PNSt15iterator_traitsISK_E10value_typeET2_T3_PNSL_ISQ_E10value_typeET4_T5_PSV_SW_PNS1_23onesweep_lookback_stateEbbT6_jjT7_P12ihipStream_tbENKUlT_T0_SK_SP_E_clIPiSE_SF_SF_EEDaS13_S14_SK_SP_EUlS13_E_NS1_11comp_targetILNS1_3genE9ELNS1_11target_archE1100ELNS1_3gpuE3ELNS1_3repE0EEENS1_47radix_sort_onesweep_sort_config_static_selectorELNS0_4arch9wavefront6targetE0EEEvSK_
; %bb.0:
	.section	.rodata,"a",@progbits
	.p2align	6, 0x0
	.amdhsa_kernel _ZN7rocprim17ROCPRIM_400000_NS6detail17trampoline_kernelINS0_14default_configENS1_35radix_sort_onesweep_config_selectorIiNS0_10empty_typeEEEZZNS1_29radix_sort_onesweep_iterationIS3_Lb1EN6thrust23THRUST_200600_302600_NS6detail15normal_iteratorINS9_10device_ptrIiEEEESE_PS5_SF_jNS0_19identity_decomposerENS1_16block_id_wrapperIjLb0EEEEE10hipError_tT1_PNSt15iterator_traitsISK_E10value_typeET2_T3_PNSL_ISQ_E10value_typeET4_T5_PSV_SW_PNS1_23onesweep_lookback_stateEbbT6_jjT7_P12ihipStream_tbENKUlT_T0_SK_SP_E_clIPiSE_SF_SF_EEDaS13_S14_SK_SP_EUlS13_E_NS1_11comp_targetILNS1_3genE9ELNS1_11target_archE1100ELNS1_3gpuE3ELNS1_3repE0EEENS1_47radix_sort_onesweep_sort_config_static_selectorELNS0_4arch9wavefront6targetE0EEEvSK_
		.amdhsa_group_segment_fixed_size 0
		.amdhsa_private_segment_fixed_size 0
		.amdhsa_kernarg_size 88
		.amdhsa_user_sgpr_count 6
		.amdhsa_user_sgpr_private_segment_buffer 1
		.amdhsa_user_sgpr_dispatch_ptr 0
		.amdhsa_user_sgpr_queue_ptr 0
		.amdhsa_user_sgpr_kernarg_segment_ptr 1
		.amdhsa_user_sgpr_dispatch_id 0
		.amdhsa_user_sgpr_flat_scratch_init 0
		.amdhsa_user_sgpr_private_segment_size 0
		.amdhsa_wavefront_size32 1
		.amdhsa_uses_dynamic_stack 0
		.amdhsa_system_sgpr_private_segment_wavefront_offset 0
		.amdhsa_system_sgpr_workgroup_id_x 1
		.amdhsa_system_sgpr_workgroup_id_y 0
		.amdhsa_system_sgpr_workgroup_id_z 0
		.amdhsa_system_sgpr_workgroup_info 0
		.amdhsa_system_vgpr_workitem_id 0
		.amdhsa_next_free_vgpr 1
		.amdhsa_next_free_sgpr 1
		.amdhsa_reserve_vcc 0
		.amdhsa_reserve_flat_scratch 0
		.amdhsa_float_round_mode_32 0
		.amdhsa_float_round_mode_16_64 0
		.amdhsa_float_denorm_mode_32 3
		.amdhsa_float_denorm_mode_16_64 3
		.amdhsa_dx10_clamp 1
		.amdhsa_ieee_mode 1
		.amdhsa_fp16_overflow 0
		.amdhsa_workgroup_processor_mode 1
		.amdhsa_memory_ordered 1
		.amdhsa_forward_progress 1
		.amdhsa_shared_vgpr_count 0
		.amdhsa_exception_fp_ieee_invalid_op 0
		.amdhsa_exception_fp_denorm_src 0
		.amdhsa_exception_fp_ieee_div_zero 0
		.amdhsa_exception_fp_ieee_overflow 0
		.amdhsa_exception_fp_ieee_underflow 0
		.amdhsa_exception_fp_ieee_inexact 0
		.amdhsa_exception_int_div_zero 0
	.end_amdhsa_kernel
	.section	.text._ZN7rocprim17ROCPRIM_400000_NS6detail17trampoline_kernelINS0_14default_configENS1_35radix_sort_onesweep_config_selectorIiNS0_10empty_typeEEEZZNS1_29radix_sort_onesweep_iterationIS3_Lb1EN6thrust23THRUST_200600_302600_NS6detail15normal_iteratorINS9_10device_ptrIiEEEESE_PS5_SF_jNS0_19identity_decomposerENS1_16block_id_wrapperIjLb0EEEEE10hipError_tT1_PNSt15iterator_traitsISK_E10value_typeET2_T3_PNSL_ISQ_E10value_typeET4_T5_PSV_SW_PNS1_23onesweep_lookback_stateEbbT6_jjT7_P12ihipStream_tbENKUlT_T0_SK_SP_E_clIPiSE_SF_SF_EEDaS13_S14_SK_SP_EUlS13_E_NS1_11comp_targetILNS1_3genE9ELNS1_11target_archE1100ELNS1_3gpuE3ELNS1_3repE0EEENS1_47radix_sort_onesweep_sort_config_static_selectorELNS0_4arch9wavefront6targetE0EEEvSK_,"axG",@progbits,_ZN7rocprim17ROCPRIM_400000_NS6detail17trampoline_kernelINS0_14default_configENS1_35radix_sort_onesweep_config_selectorIiNS0_10empty_typeEEEZZNS1_29radix_sort_onesweep_iterationIS3_Lb1EN6thrust23THRUST_200600_302600_NS6detail15normal_iteratorINS9_10device_ptrIiEEEESE_PS5_SF_jNS0_19identity_decomposerENS1_16block_id_wrapperIjLb0EEEEE10hipError_tT1_PNSt15iterator_traitsISK_E10value_typeET2_T3_PNSL_ISQ_E10value_typeET4_T5_PSV_SW_PNS1_23onesweep_lookback_stateEbbT6_jjT7_P12ihipStream_tbENKUlT_T0_SK_SP_E_clIPiSE_SF_SF_EEDaS13_S14_SK_SP_EUlS13_E_NS1_11comp_targetILNS1_3genE9ELNS1_11target_archE1100ELNS1_3gpuE3ELNS1_3repE0EEENS1_47radix_sort_onesweep_sort_config_static_selectorELNS0_4arch9wavefront6targetE0EEEvSK_,comdat
.Lfunc_end388:
	.size	_ZN7rocprim17ROCPRIM_400000_NS6detail17trampoline_kernelINS0_14default_configENS1_35radix_sort_onesweep_config_selectorIiNS0_10empty_typeEEEZZNS1_29radix_sort_onesweep_iterationIS3_Lb1EN6thrust23THRUST_200600_302600_NS6detail15normal_iteratorINS9_10device_ptrIiEEEESE_PS5_SF_jNS0_19identity_decomposerENS1_16block_id_wrapperIjLb0EEEEE10hipError_tT1_PNSt15iterator_traitsISK_E10value_typeET2_T3_PNSL_ISQ_E10value_typeET4_T5_PSV_SW_PNS1_23onesweep_lookback_stateEbbT6_jjT7_P12ihipStream_tbENKUlT_T0_SK_SP_E_clIPiSE_SF_SF_EEDaS13_S14_SK_SP_EUlS13_E_NS1_11comp_targetILNS1_3genE9ELNS1_11target_archE1100ELNS1_3gpuE3ELNS1_3repE0EEENS1_47radix_sort_onesweep_sort_config_static_selectorELNS0_4arch9wavefront6targetE0EEEvSK_, .Lfunc_end388-_ZN7rocprim17ROCPRIM_400000_NS6detail17trampoline_kernelINS0_14default_configENS1_35radix_sort_onesweep_config_selectorIiNS0_10empty_typeEEEZZNS1_29radix_sort_onesweep_iterationIS3_Lb1EN6thrust23THRUST_200600_302600_NS6detail15normal_iteratorINS9_10device_ptrIiEEEESE_PS5_SF_jNS0_19identity_decomposerENS1_16block_id_wrapperIjLb0EEEEE10hipError_tT1_PNSt15iterator_traitsISK_E10value_typeET2_T3_PNSL_ISQ_E10value_typeET4_T5_PSV_SW_PNS1_23onesweep_lookback_stateEbbT6_jjT7_P12ihipStream_tbENKUlT_T0_SK_SP_E_clIPiSE_SF_SF_EEDaS13_S14_SK_SP_EUlS13_E_NS1_11comp_targetILNS1_3genE9ELNS1_11target_archE1100ELNS1_3gpuE3ELNS1_3repE0EEENS1_47radix_sort_onesweep_sort_config_static_selectorELNS0_4arch9wavefront6targetE0EEEvSK_
                                        ; -- End function
	.set _ZN7rocprim17ROCPRIM_400000_NS6detail17trampoline_kernelINS0_14default_configENS1_35radix_sort_onesweep_config_selectorIiNS0_10empty_typeEEEZZNS1_29radix_sort_onesweep_iterationIS3_Lb1EN6thrust23THRUST_200600_302600_NS6detail15normal_iteratorINS9_10device_ptrIiEEEESE_PS5_SF_jNS0_19identity_decomposerENS1_16block_id_wrapperIjLb0EEEEE10hipError_tT1_PNSt15iterator_traitsISK_E10value_typeET2_T3_PNSL_ISQ_E10value_typeET4_T5_PSV_SW_PNS1_23onesweep_lookback_stateEbbT6_jjT7_P12ihipStream_tbENKUlT_T0_SK_SP_E_clIPiSE_SF_SF_EEDaS13_S14_SK_SP_EUlS13_E_NS1_11comp_targetILNS1_3genE9ELNS1_11target_archE1100ELNS1_3gpuE3ELNS1_3repE0EEENS1_47radix_sort_onesweep_sort_config_static_selectorELNS0_4arch9wavefront6targetE0EEEvSK_.num_vgpr, 0
	.set _ZN7rocprim17ROCPRIM_400000_NS6detail17trampoline_kernelINS0_14default_configENS1_35radix_sort_onesweep_config_selectorIiNS0_10empty_typeEEEZZNS1_29radix_sort_onesweep_iterationIS3_Lb1EN6thrust23THRUST_200600_302600_NS6detail15normal_iteratorINS9_10device_ptrIiEEEESE_PS5_SF_jNS0_19identity_decomposerENS1_16block_id_wrapperIjLb0EEEEE10hipError_tT1_PNSt15iterator_traitsISK_E10value_typeET2_T3_PNSL_ISQ_E10value_typeET4_T5_PSV_SW_PNS1_23onesweep_lookback_stateEbbT6_jjT7_P12ihipStream_tbENKUlT_T0_SK_SP_E_clIPiSE_SF_SF_EEDaS13_S14_SK_SP_EUlS13_E_NS1_11comp_targetILNS1_3genE9ELNS1_11target_archE1100ELNS1_3gpuE3ELNS1_3repE0EEENS1_47radix_sort_onesweep_sort_config_static_selectorELNS0_4arch9wavefront6targetE0EEEvSK_.num_agpr, 0
	.set _ZN7rocprim17ROCPRIM_400000_NS6detail17trampoline_kernelINS0_14default_configENS1_35radix_sort_onesweep_config_selectorIiNS0_10empty_typeEEEZZNS1_29radix_sort_onesweep_iterationIS3_Lb1EN6thrust23THRUST_200600_302600_NS6detail15normal_iteratorINS9_10device_ptrIiEEEESE_PS5_SF_jNS0_19identity_decomposerENS1_16block_id_wrapperIjLb0EEEEE10hipError_tT1_PNSt15iterator_traitsISK_E10value_typeET2_T3_PNSL_ISQ_E10value_typeET4_T5_PSV_SW_PNS1_23onesweep_lookback_stateEbbT6_jjT7_P12ihipStream_tbENKUlT_T0_SK_SP_E_clIPiSE_SF_SF_EEDaS13_S14_SK_SP_EUlS13_E_NS1_11comp_targetILNS1_3genE9ELNS1_11target_archE1100ELNS1_3gpuE3ELNS1_3repE0EEENS1_47radix_sort_onesweep_sort_config_static_selectorELNS0_4arch9wavefront6targetE0EEEvSK_.numbered_sgpr, 0
	.set _ZN7rocprim17ROCPRIM_400000_NS6detail17trampoline_kernelINS0_14default_configENS1_35radix_sort_onesweep_config_selectorIiNS0_10empty_typeEEEZZNS1_29radix_sort_onesweep_iterationIS3_Lb1EN6thrust23THRUST_200600_302600_NS6detail15normal_iteratorINS9_10device_ptrIiEEEESE_PS5_SF_jNS0_19identity_decomposerENS1_16block_id_wrapperIjLb0EEEEE10hipError_tT1_PNSt15iterator_traitsISK_E10value_typeET2_T3_PNSL_ISQ_E10value_typeET4_T5_PSV_SW_PNS1_23onesweep_lookback_stateEbbT6_jjT7_P12ihipStream_tbENKUlT_T0_SK_SP_E_clIPiSE_SF_SF_EEDaS13_S14_SK_SP_EUlS13_E_NS1_11comp_targetILNS1_3genE9ELNS1_11target_archE1100ELNS1_3gpuE3ELNS1_3repE0EEENS1_47radix_sort_onesweep_sort_config_static_selectorELNS0_4arch9wavefront6targetE0EEEvSK_.num_named_barrier, 0
	.set _ZN7rocprim17ROCPRIM_400000_NS6detail17trampoline_kernelINS0_14default_configENS1_35radix_sort_onesweep_config_selectorIiNS0_10empty_typeEEEZZNS1_29radix_sort_onesweep_iterationIS3_Lb1EN6thrust23THRUST_200600_302600_NS6detail15normal_iteratorINS9_10device_ptrIiEEEESE_PS5_SF_jNS0_19identity_decomposerENS1_16block_id_wrapperIjLb0EEEEE10hipError_tT1_PNSt15iterator_traitsISK_E10value_typeET2_T3_PNSL_ISQ_E10value_typeET4_T5_PSV_SW_PNS1_23onesweep_lookback_stateEbbT6_jjT7_P12ihipStream_tbENKUlT_T0_SK_SP_E_clIPiSE_SF_SF_EEDaS13_S14_SK_SP_EUlS13_E_NS1_11comp_targetILNS1_3genE9ELNS1_11target_archE1100ELNS1_3gpuE3ELNS1_3repE0EEENS1_47radix_sort_onesweep_sort_config_static_selectorELNS0_4arch9wavefront6targetE0EEEvSK_.private_seg_size, 0
	.set _ZN7rocprim17ROCPRIM_400000_NS6detail17trampoline_kernelINS0_14default_configENS1_35radix_sort_onesweep_config_selectorIiNS0_10empty_typeEEEZZNS1_29radix_sort_onesweep_iterationIS3_Lb1EN6thrust23THRUST_200600_302600_NS6detail15normal_iteratorINS9_10device_ptrIiEEEESE_PS5_SF_jNS0_19identity_decomposerENS1_16block_id_wrapperIjLb0EEEEE10hipError_tT1_PNSt15iterator_traitsISK_E10value_typeET2_T3_PNSL_ISQ_E10value_typeET4_T5_PSV_SW_PNS1_23onesweep_lookback_stateEbbT6_jjT7_P12ihipStream_tbENKUlT_T0_SK_SP_E_clIPiSE_SF_SF_EEDaS13_S14_SK_SP_EUlS13_E_NS1_11comp_targetILNS1_3genE9ELNS1_11target_archE1100ELNS1_3gpuE3ELNS1_3repE0EEENS1_47radix_sort_onesweep_sort_config_static_selectorELNS0_4arch9wavefront6targetE0EEEvSK_.uses_vcc, 0
	.set _ZN7rocprim17ROCPRIM_400000_NS6detail17trampoline_kernelINS0_14default_configENS1_35radix_sort_onesweep_config_selectorIiNS0_10empty_typeEEEZZNS1_29radix_sort_onesweep_iterationIS3_Lb1EN6thrust23THRUST_200600_302600_NS6detail15normal_iteratorINS9_10device_ptrIiEEEESE_PS5_SF_jNS0_19identity_decomposerENS1_16block_id_wrapperIjLb0EEEEE10hipError_tT1_PNSt15iterator_traitsISK_E10value_typeET2_T3_PNSL_ISQ_E10value_typeET4_T5_PSV_SW_PNS1_23onesweep_lookback_stateEbbT6_jjT7_P12ihipStream_tbENKUlT_T0_SK_SP_E_clIPiSE_SF_SF_EEDaS13_S14_SK_SP_EUlS13_E_NS1_11comp_targetILNS1_3genE9ELNS1_11target_archE1100ELNS1_3gpuE3ELNS1_3repE0EEENS1_47radix_sort_onesweep_sort_config_static_selectorELNS0_4arch9wavefront6targetE0EEEvSK_.uses_flat_scratch, 0
	.set _ZN7rocprim17ROCPRIM_400000_NS6detail17trampoline_kernelINS0_14default_configENS1_35radix_sort_onesweep_config_selectorIiNS0_10empty_typeEEEZZNS1_29radix_sort_onesweep_iterationIS3_Lb1EN6thrust23THRUST_200600_302600_NS6detail15normal_iteratorINS9_10device_ptrIiEEEESE_PS5_SF_jNS0_19identity_decomposerENS1_16block_id_wrapperIjLb0EEEEE10hipError_tT1_PNSt15iterator_traitsISK_E10value_typeET2_T3_PNSL_ISQ_E10value_typeET4_T5_PSV_SW_PNS1_23onesweep_lookback_stateEbbT6_jjT7_P12ihipStream_tbENKUlT_T0_SK_SP_E_clIPiSE_SF_SF_EEDaS13_S14_SK_SP_EUlS13_E_NS1_11comp_targetILNS1_3genE9ELNS1_11target_archE1100ELNS1_3gpuE3ELNS1_3repE0EEENS1_47radix_sort_onesweep_sort_config_static_selectorELNS0_4arch9wavefront6targetE0EEEvSK_.has_dyn_sized_stack, 0
	.set _ZN7rocprim17ROCPRIM_400000_NS6detail17trampoline_kernelINS0_14default_configENS1_35radix_sort_onesweep_config_selectorIiNS0_10empty_typeEEEZZNS1_29radix_sort_onesweep_iterationIS3_Lb1EN6thrust23THRUST_200600_302600_NS6detail15normal_iteratorINS9_10device_ptrIiEEEESE_PS5_SF_jNS0_19identity_decomposerENS1_16block_id_wrapperIjLb0EEEEE10hipError_tT1_PNSt15iterator_traitsISK_E10value_typeET2_T3_PNSL_ISQ_E10value_typeET4_T5_PSV_SW_PNS1_23onesweep_lookback_stateEbbT6_jjT7_P12ihipStream_tbENKUlT_T0_SK_SP_E_clIPiSE_SF_SF_EEDaS13_S14_SK_SP_EUlS13_E_NS1_11comp_targetILNS1_3genE9ELNS1_11target_archE1100ELNS1_3gpuE3ELNS1_3repE0EEENS1_47radix_sort_onesweep_sort_config_static_selectorELNS0_4arch9wavefront6targetE0EEEvSK_.has_recursion, 0
	.set _ZN7rocprim17ROCPRIM_400000_NS6detail17trampoline_kernelINS0_14default_configENS1_35radix_sort_onesweep_config_selectorIiNS0_10empty_typeEEEZZNS1_29radix_sort_onesweep_iterationIS3_Lb1EN6thrust23THRUST_200600_302600_NS6detail15normal_iteratorINS9_10device_ptrIiEEEESE_PS5_SF_jNS0_19identity_decomposerENS1_16block_id_wrapperIjLb0EEEEE10hipError_tT1_PNSt15iterator_traitsISK_E10value_typeET2_T3_PNSL_ISQ_E10value_typeET4_T5_PSV_SW_PNS1_23onesweep_lookback_stateEbbT6_jjT7_P12ihipStream_tbENKUlT_T0_SK_SP_E_clIPiSE_SF_SF_EEDaS13_S14_SK_SP_EUlS13_E_NS1_11comp_targetILNS1_3genE9ELNS1_11target_archE1100ELNS1_3gpuE3ELNS1_3repE0EEENS1_47radix_sort_onesweep_sort_config_static_selectorELNS0_4arch9wavefront6targetE0EEEvSK_.has_indirect_call, 0
	.section	.AMDGPU.csdata,"",@progbits
; Kernel info:
; codeLenInByte = 0
; TotalNumSgprs: 0
; NumVgprs: 0
; ScratchSize: 0
; MemoryBound: 0
; FloatMode: 240
; IeeeMode: 1
; LDSByteSize: 0 bytes/workgroup (compile time only)
; SGPRBlocks: 0
; VGPRBlocks: 0
; NumSGPRsForWavesPerEU: 1
; NumVGPRsForWavesPerEU: 1
; Occupancy: 16
; WaveLimiterHint : 0
; COMPUTE_PGM_RSRC2:SCRATCH_EN: 0
; COMPUTE_PGM_RSRC2:USER_SGPR: 6
; COMPUTE_PGM_RSRC2:TRAP_HANDLER: 0
; COMPUTE_PGM_RSRC2:TGID_X_EN: 1
; COMPUTE_PGM_RSRC2:TGID_Y_EN: 0
; COMPUTE_PGM_RSRC2:TGID_Z_EN: 0
; COMPUTE_PGM_RSRC2:TIDIG_COMP_CNT: 0
	.section	.text._ZN7rocprim17ROCPRIM_400000_NS6detail17trampoline_kernelINS0_14default_configENS1_35radix_sort_onesweep_config_selectorIiNS0_10empty_typeEEEZZNS1_29radix_sort_onesweep_iterationIS3_Lb1EN6thrust23THRUST_200600_302600_NS6detail15normal_iteratorINS9_10device_ptrIiEEEESE_PS5_SF_jNS0_19identity_decomposerENS1_16block_id_wrapperIjLb0EEEEE10hipError_tT1_PNSt15iterator_traitsISK_E10value_typeET2_T3_PNSL_ISQ_E10value_typeET4_T5_PSV_SW_PNS1_23onesweep_lookback_stateEbbT6_jjT7_P12ihipStream_tbENKUlT_T0_SK_SP_E_clIPiSE_SF_SF_EEDaS13_S14_SK_SP_EUlS13_E_NS1_11comp_targetILNS1_3genE8ELNS1_11target_archE1030ELNS1_3gpuE2ELNS1_3repE0EEENS1_47radix_sort_onesweep_sort_config_static_selectorELNS0_4arch9wavefront6targetE0EEEvSK_,"axG",@progbits,_ZN7rocprim17ROCPRIM_400000_NS6detail17trampoline_kernelINS0_14default_configENS1_35radix_sort_onesweep_config_selectorIiNS0_10empty_typeEEEZZNS1_29radix_sort_onesweep_iterationIS3_Lb1EN6thrust23THRUST_200600_302600_NS6detail15normal_iteratorINS9_10device_ptrIiEEEESE_PS5_SF_jNS0_19identity_decomposerENS1_16block_id_wrapperIjLb0EEEEE10hipError_tT1_PNSt15iterator_traitsISK_E10value_typeET2_T3_PNSL_ISQ_E10value_typeET4_T5_PSV_SW_PNS1_23onesweep_lookback_stateEbbT6_jjT7_P12ihipStream_tbENKUlT_T0_SK_SP_E_clIPiSE_SF_SF_EEDaS13_S14_SK_SP_EUlS13_E_NS1_11comp_targetILNS1_3genE8ELNS1_11target_archE1030ELNS1_3gpuE2ELNS1_3repE0EEENS1_47radix_sort_onesweep_sort_config_static_selectorELNS0_4arch9wavefront6targetE0EEEvSK_,comdat
	.protected	_ZN7rocprim17ROCPRIM_400000_NS6detail17trampoline_kernelINS0_14default_configENS1_35radix_sort_onesweep_config_selectorIiNS0_10empty_typeEEEZZNS1_29radix_sort_onesweep_iterationIS3_Lb1EN6thrust23THRUST_200600_302600_NS6detail15normal_iteratorINS9_10device_ptrIiEEEESE_PS5_SF_jNS0_19identity_decomposerENS1_16block_id_wrapperIjLb0EEEEE10hipError_tT1_PNSt15iterator_traitsISK_E10value_typeET2_T3_PNSL_ISQ_E10value_typeET4_T5_PSV_SW_PNS1_23onesweep_lookback_stateEbbT6_jjT7_P12ihipStream_tbENKUlT_T0_SK_SP_E_clIPiSE_SF_SF_EEDaS13_S14_SK_SP_EUlS13_E_NS1_11comp_targetILNS1_3genE8ELNS1_11target_archE1030ELNS1_3gpuE2ELNS1_3repE0EEENS1_47radix_sort_onesweep_sort_config_static_selectorELNS0_4arch9wavefront6targetE0EEEvSK_ ; -- Begin function _ZN7rocprim17ROCPRIM_400000_NS6detail17trampoline_kernelINS0_14default_configENS1_35radix_sort_onesweep_config_selectorIiNS0_10empty_typeEEEZZNS1_29radix_sort_onesweep_iterationIS3_Lb1EN6thrust23THRUST_200600_302600_NS6detail15normal_iteratorINS9_10device_ptrIiEEEESE_PS5_SF_jNS0_19identity_decomposerENS1_16block_id_wrapperIjLb0EEEEE10hipError_tT1_PNSt15iterator_traitsISK_E10value_typeET2_T3_PNSL_ISQ_E10value_typeET4_T5_PSV_SW_PNS1_23onesweep_lookback_stateEbbT6_jjT7_P12ihipStream_tbENKUlT_T0_SK_SP_E_clIPiSE_SF_SF_EEDaS13_S14_SK_SP_EUlS13_E_NS1_11comp_targetILNS1_3genE8ELNS1_11target_archE1030ELNS1_3gpuE2ELNS1_3repE0EEENS1_47radix_sort_onesweep_sort_config_static_selectorELNS0_4arch9wavefront6targetE0EEEvSK_
	.globl	_ZN7rocprim17ROCPRIM_400000_NS6detail17trampoline_kernelINS0_14default_configENS1_35radix_sort_onesweep_config_selectorIiNS0_10empty_typeEEEZZNS1_29radix_sort_onesweep_iterationIS3_Lb1EN6thrust23THRUST_200600_302600_NS6detail15normal_iteratorINS9_10device_ptrIiEEEESE_PS5_SF_jNS0_19identity_decomposerENS1_16block_id_wrapperIjLb0EEEEE10hipError_tT1_PNSt15iterator_traitsISK_E10value_typeET2_T3_PNSL_ISQ_E10value_typeET4_T5_PSV_SW_PNS1_23onesweep_lookback_stateEbbT6_jjT7_P12ihipStream_tbENKUlT_T0_SK_SP_E_clIPiSE_SF_SF_EEDaS13_S14_SK_SP_EUlS13_E_NS1_11comp_targetILNS1_3genE8ELNS1_11target_archE1030ELNS1_3gpuE2ELNS1_3repE0EEENS1_47radix_sort_onesweep_sort_config_static_selectorELNS0_4arch9wavefront6targetE0EEEvSK_
	.p2align	8
	.type	_ZN7rocprim17ROCPRIM_400000_NS6detail17trampoline_kernelINS0_14default_configENS1_35radix_sort_onesweep_config_selectorIiNS0_10empty_typeEEEZZNS1_29radix_sort_onesweep_iterationIS3_Lb1EN6thrust23THRUST_200600_302600_NS6detail15normal_iteratorINS9_10device_ptrIiEEEESE_PS5_SF_jNS0_19identity_decomposerENS1_16block_id_wrapperIjLb0EEEEE10hipError_tT1_PNSt15iterator_traitsISK_E10value_typeET2_T3_PNSL_ISQ_E10value_typeET4_T5_PSV_SW_PNS1_23onesweep_lookback_stateEbbT6_jjT7_P12ihipStream_tbENKUlT_T0_SK_SP_E_clIPiSE_SF_SF_EEDaS13_S14_SK_SP_EUlS13_E_NS1_11comp_targetILNS1_3genE8ELNS1_11target_archE1030ELNS1_3gpuE2ELNS1_3repE0EEENS1_47radix_sort_onesweep_sort_config_static_selectorELNS0_4arch9wavefront6targetE0EEEvSK_,@function
_ZN7rocprim17ROCPRIM_400000_NS6detail17trampoline_kernelINS0_14default_configENS1_35radix_sort_onesweep_config_selectorIiNS0_10empty_typeEEEZZNS1_29radix_sort_onesweep_iterationIS3_Lb1EN6thrust23THRUST_200600_302600_NS6detail15normal_iteratorINS9_10device_ptrIiEEEESE_PS5_SF_jNS0_19identity_decomposerENS1_16block_id_wrapperIjLb0EEEEE10hipError_tT1_PNSt15iterator_traitsISK_E10value_typeET2_T3_PNSL_ISQ_E10value_typeET4_T5_PSV_SW_PNS1_23onesweep_lookback_stateEbbT6_jjT7_P12ihipStream_tbENKUlT_T0_SK_SP_E_clIPiSE_SF_SF_EEDaS13_S14_SK_SP_EUlS13_E_NS1_11comp_targetILNS1_3genE8ELNS1_11target_archE1030ELNS1_3gpuE2ELNS1_3repE0EEENS1_47radix_sort_onesweep_sort_config_static_selectorELNS0_4arch9wavefront6targetE0EEEvSK_: ; @_ZN7rocprim17ROCPRIM_400000_NS6detail17trampoline_kernelINS0_14default_configENS1_35radix_sort_onesweep_config_selectorIiNS0_10empty_typeEEEZZNS1_29radix_sort_onesweep_iterationIS3_Lb1EN6thrust23THRUST_200600_302600_NS6detail15normal_iteratorINS9_10device_ptrIiEEEESE_PS5_SF_jNS0_19identity_decomposerENS1_16block_id_wrapperIjLb0EEEEE10hipError_tT1_PNSt15iterator_traitsISK_E10value_typeET2_T3_PNSL_ISQ_E10value_typeET4_T5_PSV_SW_PNS1_23onesweep_lookback_stateEbbT6_jjT7_P12ihipStream_tbENKUlT_T0_SK_SP_E_clIPiSE_SF_SF_EEDaS13_S14_SK_SP_EUlS13_E_NS1_11comp_targetILNS1_3genE8ELNS1_11target_archE1030ELNS1_3gpuE2ELNS1_3repE0EEENS1_47radix_sort_onesweep_sort_config_static_selectorELNS0_4arch9wavefront6targetE0EEEvSK_
; %bb.0:
	s_clause 0x3
	s_load_dwordx4 s[20:23], s[4:5], 0x44
	s_load_dwordx2 s[10:11], s[4:5], 0x38
	s_load_dwordx4 s[16:19], s[4:5], 0x0
	s_load_dwordx4 s[12:15], s[4:5], 0x28
	v_mbcnt_lo_u32_b32 v12, -1, 0
	v_lshlrev_b32_e32 v11, 2, v0
	s_mov_b32 s0, -1
	s_waitcnt lgkmcnt(0)
	s_cmp_ge_u32 s6, s22
	s_cbranch_scc0 .LBB389_48
; %bb.1:
	s_load_dword s2, s[4:5], 0x20
	s_lshl_b32 s0, s6, 12
	s_mov_b32 s1, 0
	s_lshl_b32 s3, s22, 12
	v_and_b32_e32 v4, 0xf80, v11
	v_lshlrev_b32_e32 v6, 2, v12
	s_lshl_b64 s[0:1], s[0:1], 2
	v_bfrev_b32_e32 v3, 1
	v_lshlrev_b32_e32 v7, 2, v4
	v_or_b32_e32 v9, v12, v4
	v_mov_b32_e32 v4, v3
	v_mov_b32_e32 v5, v3
	s_waitcnt lgkmcnt(0)
	s_sub_i32 s9, s2, s3
	s_add_u32 s0, s16, s0
	s_addc_u32 s1, s17, s1
	v_add_co_u32 v6, s0, s0, v6
	v_add_co_ci_u32_e64 v8, null, s1, 0, s0
	v_add_co_u32 v7, s0, v6, v7
	v_add_co_ci_u32_e64 v8, null, 0, v8, s0
	v_mov_b32_e32 v6, v3
	s_mov_b32 s0, exec_lo
	v_cmpx_gt_u32_e64 s9, v9
	s_cbranch_execz .LBB389_3
; %bb.2:
	global_load_dword v13, v[7:8], off
	v_mov_b32_e32 v14, v3
	v_mov_b32_e32 v15, v3
	;; [unrolled: 1-line block ×3, first 2 shown]
	s_waitcnt vmcnt(0)
	v_mov_b32_e32 v3, v13
	v_mov_b32_e32 v4, v14
	;; [unrolled: 1-line block ×4, first 2 shown]
.LBB389_3:
	s_or_b32 exec_lo, exec_lo, s0
	v_or_b32_e32 v10, 32, v9
	s_mov_b32 s0, exec_lo
	v_cmpx_gt_u32_e64 s9, v10
	s_cbranch_execz .LBB389_5
; %bb.4:
	global_load_dword v4, v[7:8], off offset:128
.LBB389_5:
	s_or_b32 exec_lo, exec_lo, s0
	v_or_b32_e32 v10, 64, v9
	s_mov_b32 s0, exec_lo
	v_cmpx_gt_u32_e64 s9, v10
	s_cbranch_execz .LBB389_7
; %bb.6:
	global_load_dword v5, v[7:8], off offset:256
.LBB389_7:
	;; [unrolled: 8-line block ×3, first 2 shown]
	s_or_b32 exec_lo, exec_lo, s0
	s_clause 0x1
	s_load_dword s0, s[4:5], 0x64
	s_load_dword s22, s[4:5], 0x58
	s_add_u32 s1, s4, 0x58
	s_addc_u32 s2, s5, 0
	v_mov_b32_e32 v10, 0
	v_xor_b32_e32 v13, 0x7fffffff, v3
	v_lshrrev_b32_e32 v3, s20, v13
	s_waitcnt lgkmcnt(0)
	s_lshr_b32 s3, s0, 16
	s_cmp_lt_u32 s6, s22
	s_cselect_b32 s0, 12, 18
	s_add_u32 s0, s1, s0
	s_addc_u32 s1, s2, 0
	global_load_ushort v7, v10, s[0:1]
	s_lshl_b32 s0, -1, s21
	s_not_b32 s23, s0
	v_and_b32_e32 v3, s23, v3
	v_and_b32_e32 v8, 1, v3
	v_lshlrev_b32_e32 v9, 30, v3
	v_lshlrev_b32_e32 v14, 29, v3
	;; [unrolled: 1-line block ×4, first 2 shown]
	v_add_co_u32 v8, s0, v8, -1
	v_cndmask_b32_e64 v15, 0, 1, s0
	v_not_b32_e32 v19, v9
	v_cmp_gt_i32_e64 s0, 0, v9
	v_not_b32_e32 v9, v14
	v_lshlrev_b32_e32 v18, 26, v3
	v_cmp_ne_u32_e32 vcc_lo, 0, v15
	v_ashrrev_i32_e32 v19, 31, v19
	v_lshlrev_b32_e32 v15, 25, v3
	v_ashrrev_i32_e32 v9, 31, v9
	v_xor_b32_e32 v8, vcc_lo, v8
	v_cmp_gt_i32_e32 vcc_lo, 0, v14
	v_not_b32_e32 v14, v16
	v_xor_b32_e32 v19, s0, v19
	v_cmp_gt_i32_e64 s0, 0, v16
	v_and_b32_e32 v8, exec_lo, v8
	v_not_b32_e32 v16, v17
	v_ashrrev_i32_e32 v14, 31, v14
	v_xor_b32_e32 v9, vcc_lo, v9
	v_cmp_gt_i32_e32 vcc_lo, 0, v17
	v_and_b32_e32 v8, v8, v19
	v_not_b32_e32 v17, v18
	v_ashrrev_i32_e32 v16, 31, v16
	v_xor_b32_e32 v14, s0, v14
	v_cmp_gt_i32_e64 s0, 0, v18
	v_and_b32_e32 v8, v8, v9
	v_not_b32_e32 v9, v15
	v_ashrrev_i32_e32 v17, 31, v17
	v_xor_b32_e32 v16, vcc_lo, v16
	v_cmp_gt_i32_e32 vcc_lo, 0, v15
	v_and_b32_e32 v8, v8, v14
	v_lshlrev_b32_e32 v14, 24, v3
	v_ashrrev_i32_e32 v9, 31, v9
	v_xor_b32_e32 v15, s0, v17
	v_and_b32_e32 v8, v8, v16
	v_not_b32_e32 v16, v14
	v_xor_b32_e32 v9, vcc_lo, v9
	v_cmp_gt_i32_e32 vcc_lo, 0, v14
	v_and_b32_e32 v8, v8, v15
	v_mad_u32_u24 v15, v2, s3, v1
	v_ashrrev_i32_e32 v14, 31, v16
	v_mul_u32_u24_e32 v16, 36, v0
	v_and_b32_e32 v17, v8, v9
	ds_write2_b32 v16, v10, v10 offset0:32 offset1:33
	ds_write2_b32 v16, v10, v10 offset0:34 offset1:35
	;; [unrolled: 1-line block ×4, first 2 shown]
	ds_write_b32 v16, v10 offset:160
	s_waitcnt vmcnt(0) lgkmcnt(0)
	s_barrier
	buffer_gl0_inv
	; wave barrier
	v_mad_u64_u32 v[8:9], null, v15, v7, v[0:1]
	v_xor_b32_e32 v7, vcc_lo, v14
	v_mul_lo_u32 v9, 0x84, v3
	v_and_b32_e32 v7, v17, v7
	v_lshrrev_b32_e32 v8, 3, v8
	v_mbcnt_lo_u32_b32 v14, v7, 0
	v_and_b32_e32 v3, 0x1ffffffc, v8
	v_cmp_ne_u32_e64 s0, 0, v7
	v_cmp_eq_u32_e32 vcc_lo, 0, v14
	v_add_nc_u32_e32 v17, v3, v9
	s_and_b32 s1, s0, vcc_lo
	s_and_saveexec_b32 s0, s1
; %bb.10:
	v_bcnt_u32_b32 v7, v7, 0
	ds_write_b32 v17, v7 offset:128
; %bb.11:
	s_or_b32 exec_lo, exec_lo, s0
	v_xor_b32_e32 v15, 0x7fffffff, v4
	; wave barrier
	v_lshrrev_b32_e32 v4, s20, v15
	v_and_b32_e32 v4, s23, v4
	v_and_b32_e32 v8, 1, v4
	v_lshlrev_b32_e32 v9, 30, v4
	v_lshlrev_b32_e32 v10, 29, v4
	;; [unrolled: 1-line block ×4, first 2 shown]
	v_add_co_u32 v8, s0, v8, -1
	v_cndmask_b32_e64 v19, 0, 1, s0
	v_not_b32_e32 v23, v9
	v_cmp_gt_i32_e64 s0, 0, v9
	v_not_b32_e32 v9, v10
	v_lshlrev_b32_e32 v21, 26, v4
	v_cmp_ne_u32_e32 vcc_lo, 0, v19
	v_ashrrev_i32_e32 v19, 31, v23
	v_lshlrev_b32_e32 v22, 25, v4
	v_ashrrev_i32_e32 v9, 31, v9
	v_mul_lo_u32 v7, 0x84, v4
	v_xor_b32_e32 v8, vcc_lo, v8
	v_cmp_gt_i32_e32 vcc_lo, 0, v10
	v_not_b32_e32 v10, v18
	v_xor_b32_e32 v19, s0, v19
	v_cmp_gt_i32_e64 s0, 0, v18
	v_and_b32_e32 v8, exec_lo, v8
	v_not_b32_e32 v18, v20
	v_ashrrev_i32_e32 v10, 31, v10
	v_xor_b32_e32 v9, vcc_lo, v9
	v_cmp_gt_i32_e32 vcc_lo, 0, v20
	v_and_b32_e32 v8, v8, v19
	v_not_b32_e32 v19, v21
	v_ashrrev_i32_e32 v18, 31, v18
	v_xor_b32_e32 v10, s0, v10
	v_lshlrev_b32_e32 v4, 24, v4
	v_and_b32_e32 v8, v8, v9
	v_cmp_gt_i32_e64 s0, 0, v21
	v_not_b32_e32 v9, v22
	v_ashrrev_i32_e32 v19, 31, v19
	v_xor_b32_e32 v18, vcc_lo, v18
	v_and_b32_e32 v8, v8, v10
	v_cmp_gt_i32_e32 vcc_lo, 0, v22
	v_not_b32_e32 v10, v4
	v_ashrrev_i32_e32 v9, 31, v9
	v_xor_b32_e32 v19, s0, v19
	v_and_b32_e32 v8, v8, v18
	v_cmp_gt_i32_e64 s0, 0, v4
	v_ashrrev_i32_e32 v4, 31, v10
	v_xor_b32_e32 v9, vcc_lo, v9
	v_add_nc_u32_e32 v21, v3, v7
	v_and_b32_e32 v8, v8, v19
	v_xor_b32_e32 v4, s0, v4
	ds_read_b32 v18, v21 offset:128
	v_and_b32_e32 v7, v8, v9
	; wave barrier
	v_and_b32_e32 v4, v7, v4
	v_mbcnt_lo_u32_b32 v20, v4, 0
	v_cmp_ne_u32_e64 s0, 0, v4
	v_cmp_eq_u32_e32 vcc_lo, 0, v20
	s_and_b32 s1, s0, vcc_lo
	s_and_saveexec_b32 s0, s1
	s_cbranch_execz .LBB389_13
; %bb.12:
	s_waitcnt lgkmcnt(0)
	v_bcnt_u32_b32 v4, v4, v18
	ds_write_b32 v21, v4 offset:128
.LBB389_13:
	s_or_b32 exec_lo, exec_lo, s0
	v_xor_b32_e32 v19, 0x7fffffff, v5
	; wave barrier
	v_lshrrev_b32_e32 v4, s20, v19
	v_and_b32_e32 v4, s23, v4
	v_and_b32_e32 v7, 1, v4
	v_lshlrev_b32_e32 v8, 30, v4
	v_lshlrev_b32_e32 v9, 29, v4
	;; [unrolled: 1-line block ×4, first 2 shown]
	v_add_co_u32 v7, s0, v7, -1
	v_cndmask_b32_e64 v22, 0, 1, s0
	v_not_b32_e32 v26, v8
	v_cmp_gt_i32_e64 s0, 0, v8
	v_not_b32_e32 v8, v9
	v_lshlrev_b32_e32 v24, 26, v4
	v_cmp_ne_u32_e32 vcc_lo, 0, v22
	v_ashrrev_i32_e32 v22, 31, v26
	v_lshlrev_b32_e32 v25, 25, v4
	v_ashrrev_i32_e32 v8, 31, v8
	v_mul_lo_u32 v5, 0x84, v4
	v_xor_b32_e32 v7, vcc_lo, v7
	v_cmp_gt_i32_e32 vcc_lo, 0, v9
	v_not_b32_e32 v9, v10
	v_xor_b32_e32 v22, s0, v22
	v_cmp_gt_i32_e64 s0, 0, v10
	v_and_b32_e32 v7, exec_lo, v7
	v_not_b32_e32 v10, v23
	v_ashrrev_i32_e32 v9, 31, v9
	v_xor_b32_e32 v8, vcc_lo, v8
	v_cmp_gt_i32_e32 vcc_lo, 0, v23
	v_and_b32_e32 v7, v7, v22
	v_not_b32_e32 v22, v24
	v_ashrrev_i32_e32 v10, 31, v10
	v_xor_b32_e32 v9, s0, v9
	v_lshlrev_b32_e32 v4, 24, v4
	v_and_b32_e32 v7, v7, v8
	v_cmp_gt_i32_e64 s0, 0, v24
	v_not_b32_e32 v8, v25
	v_ashrrev_i32_e32 v22, 31, v22
	v_xor_b32_e32 v10, vcc_lo, v10
	v_and_b32_e32 v7, v7, v9
	v_cmp_gt_i32_e32 vcc_lo, 0, v25
	v_not_b32_e32 v9, v4
	v_ashrrev_i32_e32 v8, 31, v8
	v_xor_b32_e32 v22, s0, v22
	v_and_b32_e32 v7, v7, v10
	v_cmp_gt_i32_e64 s0, 0, v4
	v_ashrrev_i32_e32 v4, 31, v9
	v_xor_b32_e32 v8, vcc_lo, v8
	v_add_nc_u32_e32 v25, v3, v5
	v_and_b32_e32 v7, v7, v22
	v_xor_b32_e32 v4, s0, v4
	ds_read_b32 v22, v25 offset:128
	v_and_b32_e32 v5, v7, v8
	; wave barrier
	v_and_b32_e32 v4, v5, v4
	v_mbcnt_lo_u32_b32 v24, v4, 0
	v_cmp_ne_u32_e64 s0, 0, v4
	v_cmp_eq_u32_e32 vcc_lo, 0, v24
	s_and_b32 s1, s0, vcc_lo
	s_and_saveexec_b32 s0, s1
	s_cbranch_execz .LBB389_15
; %bb.14:
	s_waitcnt lgkmcnt(0)
	v_bcnt_u32_b32 v4, v4, v22
	ds_write_b32 v25, v4 offset:128
.LBB389_15:
	s_or_b32 exec_lo, exec_lo, s0
	v_xor_b32_e32 v23, 0x7fffffff, v6
	; wave barrier
	v_lshrrev_b32_e32 v4, s20, v23
	v_and_b32_e32 v4, s23, v4
	v_and_b32_e32 v6, 1, v4
	v_lshlrev_b32_e32 v7, 30, v4
	v_lshlrev_b32_e32 v8, 29, v4
	;; [unrolled: 1-line block ×4, first 2 shown]
	v_add_co_u32 v6, s0, v6, -1
	v_cndmask_b32_e64 v10, 0, 1, s0
	v_not_b32_e32 v29, v7
	v_cmp_gt_i32_e64 s0, 0, v7
	v_not_b32_e32 v7, v8
	v_lshlrev_b32_e32 v27, 26, v4
	v_cmp_ne_u32_e32 vcc_lo, 0, v10
	v_ashrrev_i32_e32 v10, 31, v29
	v_lshlrev_b32_e32 v28, 25, v4
	v_ashrrev_i32_e32 v7, 31, v7
	v_mul_lo_u32 v5, 0x84, v4
	v_xor_b32_e32 v6, vcc_lo, v6
	v_cmp_gt_i32_e32 vcc_lo, 0, v8
	v_not_b32_e32 v8, v9
	v_xor_b32_e32 v10, s0, v10
	v_cmp_gt_i32_e64 s0, 0, v9
	v_and_b32_e32 v6, exec_lo, v6
	v_not_b32_e32 v9, v26
	v_ashrrev_i32_e32 v8, 31, v8
	v_xor_b32_e32 v7, vcc_lo, v7
	v_cmp_gt_i32_e32 vcc_lo, 0, v26
	v_and_b32_e32 v6, v6, v10
	v_not_b32_e32 v10, v27
	v_ashrrev_i32_e32 v9, 31, v9
	v_xor_b32_e32 v8, s0, v8
	v_lshlrev_b32_e32 v4, 24, v4
	v_and_b32_e32 v6, v6, v7
	v_cmp_gt_i32_e64 s0, 0, v27
	v_not_b32_e32 v7, v28
	v_ashrrev_i32_e32 v10, 31, v10
	v_xor_b32_e32 v9, vcc_lo, v9
	v_and_b32_e32 v6, v6, v8
	v_cmp_gt_i32_e32 vcc_lo, 0, v28
	v_not_b32_e32 v8, v4
	v_ashrrev_i32_e32 v7, 31, v7
	v_xor_b32_e32 v10, s0, v10
	v_and_b32_e32 v6, v6, v9
	v_cmp_gt_i32_e64 s0, 0, v4
	v_ashrrev_i32_e32 v4, 31, v8
	v_xor_b32_e32 v7, vcc_lo, v7
	v_add_nc_u32_e32 v28, v3, v5
	v_and_b32_e32 v6, v6, v10
	v_xor_b32_e32 v3, s0, v4
	ds_read_b32 v26, v28 offset:128
	v_and_b32_e32 v4, v6, v7
	; wave barrier
	v_and_b32_e32 v3, v4, v3
	v_mbcnt_lo_u32_b32 v27, v3, 0
	v_cmp_ne_u32_e64 s0, 0, v3
	v_cmp_eq_u32_e32 vcc_lo, 0, v27
	s_and_b32 s1, s0, vcc_lo
	s_and_saveexec_b32 s0, s1
	s_cbranch_execz .LBB389_17
; %bb.16:
	s_waitcnt lgkmcnt(0)
	v_bcnt_u32_b32 v3, v3, v26
	ds_write_b32 v28, v3 offset:128
.LBB389_17:
	s_or_b32 exec_lo, exec_lo, s0
	; wave barrier
	s_waitcnt lgkmcnt(0)
	s_barrier
	buffer_gl0_inv
	ds_read2_b32 v[9:10], v16 offset0:32 offset1:33
	ds_read2_b32 v[7:8], v16 offset0:34 offset1:35
	;; [unrolled: 1-line block ×4, first 2 shown]
	ds_read_b32 v29, v16 offset:160
	v_and_b32_e32 v32, 16, v12
	v_and_b32_e32 v33, 31, v0
	s_mov_b32 s8, exec_lo
	v_cmp_eq_u32_e64 s3, 0, v32
	s_waitcnt lgkmcnt(3)
	v_add3_u32 v30, v10, v9, v7
	s_waitcnt lgkmcnt(2)
	v_add3_u32 v30, v30, v8, v5
	;; [unrolled: 2-line block ×4, first 2 shown]
	v_and_b32_e32 v30, 15, v12
	v_mov_b32_dpp v31, v29 row_shr:1 row_mask:0xf bank_mask:0xf
	v_cmp_eq_u32_e32 vcc_lo, 0, v30
	v_cmp_lt_u32_e64 s0, 1, v30
	v_cmp_lt_u32_e64 s1, 3, v30
	;; [unrolled: 1-line block ×3, first 2 shown]
	v_cndmask_b32_e64 v31, v31, 0, vcc_lo
	v_add_nc_u32_e32 v29, v31, v29
	v_mov_b32_dpp v31, v29 row_shr:2 row_mask:0xf bank_mask:0xf
	v_cndmask_b32_e64 v31, 0, v31, s0
	v_add_nc_u32_e32 v29, v29, v31
	v_mov_b32_dpp v31, v29 row_shr:4 row_mask:0xf bank_mask:0xf
	v_cndmask_b32_e64 v31, 0, v31, s1
	;; [unrolled: 3-line block ×3, first 2 shown]
	v_bfe_i32 v31, v12, 4, 1
	v_add_nc_u32_e32 v29, v29, v30
	ds_swizzle_b32 v30, v29 offset:swizzle(BROADCAST,32,15)
	s_waitcnt lgkmcnt(0)
	v_and_b32_e32 v31, v31, v30
	v_lshrrev_b32_e32 v30, 5, v0
	v_add_nc_u32_e32 v29, v29, v31
	v_cmpx_eq_u32_e32 31, v33
; %bb.18:
	v_lshlrev_b32_e32 v31, 2, v30
	ds_write_b32 v31, v29
; %bb.19:
	s_or_b32 exec_lo, exec_lo, s8
	v_cmp_lt_u32_e64 s7, 31, v0
	s_mov_b32 s24, exec_lo
	s_waitcnt lgkmcnt(0)
	s_barrier
	buffer_gl0_inv
	v_cmpx_gt_u32_e32 32, v0
	s_cbranch_execz .LBB389_21
; %bb.20:
	ds_read_b32 v31, v11
	s_waitcnt lgkmcnt(0)
	v_mov_b32_dpp v32, v31 row_shr:1 row_mask:0xf bank_mask:0xf
	v_cndmask_b32_e64 v32, v32, 0, vcc_lo
	v_add_nc_u32_e32 v31, v32, v31
	v_mov_b32_dpp v32, v31 row_shr:2 row_mask:0xf bank_mask:0xf
	v_cndmask_b32_e64 v32, 0, v32, s0
	v_add_nc_u32_e32 v31, v31, v32
	v_mov_b32_dpp v32, v31 row_shr:4 row_mask:0xf bank_mask:0xf
	v_cndmask_b32_e64 v32, 0, v32, s1
	;; [unrolled: 3-line block ×3, first 2 shown]
	v_add_nc_u32_e32 v31, v31, v32
	ds_swizzle_b32 v32, v31 offset:swizzle(BROADCAST,32,15)
	s_waitcnt lgkmcnt(0)
	v_cndmask_b32_e64 v32, v32, 0, s3
	v_add_nc_u32_e32 v31, v31, v32
	ds_write_b32 v11, v31
.LBB389_21:
	s_or_b32 exec_lo, exec_lo, s24
	v_mov_b32_e32 v31, 0
	s_waitcnt lgkmcnt(0)
	s_barrier
	buffer_gl0_inv
	s_and_saveexec_b32 s0, s7
; %bb.22:
	v_lshl_add_u32 v30, v30, 2, -4
	ds_read_b32 v31, v30
; %bb.23:
	s_or_b32 exec_lo, exec_lo, s0
	v_sub_co_u32 v30, vcc_lo, v12, 1
	s_waitcnt lgkmcnt(0)
	v_add_nc_u32_e32 v29, v31, v29
	v_cmp_gt_i32_e64 s0, 0, v30
	v_cndmask_b32_e64 v30, v30, v12, s0
	v_cmp_gt_u32_e64 s0, 0x100, v0
	v_lshlrev_b32_e32 v30, 2, v30
	ds_bpermute_b32 v29, v30, v29
	s_waitcnt lgkmcnt(0)
	v_cndmask_b32_e32 v29, v29, v31, vcc_lo
	v_cmp_ne_u32_e32 vcc_lo, 0, v0
	v_cndmask_b32_e32 v29, 0, v29, vcc_lo
	v_cmp_lt_u32_e32 vcc_lo, 0xff, v0
	v_add_nc_u32_e32 v9, v29, v9
	v_add_nc_u32_e32 v10, v9, v10
	;; [unrolled: 1-line block ×8, first 2 shown]
	ds_write2_b32 v16, v29, v9 offset0:32 offset1:33
	ds_write2_b32 v16, v10, v7 offset0:34 offset1:35
	;; [unrolled: 1-line block ×4, first 2 shown]
	ds_write_b32 v16, v4 offset:160
	s_waitcnt lgkmcnt(0)
	s_barrier
	buffer_gl0_inv
	ds_read_b32 v3, v17 offset:128
	ds_read_b32 v6, v21 offset:128
	;; [unrolled: 1-line block ×4, first 2 shown]
                                        ; implicit-def: $vgpr9
                                        ; implicit-def: $vgpr10
	s_and_saveexec_b32 s2, s0
	s_cbranch_execz .LBB389_27
; %bb.24:
	v_mul_u32_u24_e32 v7, 0x84, v0
	v_add_nc_u32_e32 v8, 1, v0
	s_mov_b32 s3, exec_lo
	ds_read_b32 v9, v7 offset:128
	v_mov_b32_e32 v7, 0x1000
	v_cmpx_ne_u32_e32 0x100, v8
; %bb.25:
	v_mul_u32_u24_e32 v7, 0x84, v8
	ds_read_b32 v7, v7 offset:128
; %bb.26:
	s_or_b32 exec_lo, exec_lo, s3
	s_waitcnt lgkmcnt(0)
	v_sub_nc_u32_e32 v10, v7, v9
.LBB389_27:
	s_or_b32 exec_lo, exec_lo, s2
	v_lshlrev_b32_e32 v7, 2, v14
	v_lshlrev_b32_e32 v8, 2, v20
	;; [unrolled: 1-line block ×5, first 2 shown]
	s_waitcnt lgkmcnt(0)
	v_lshlrev_b32_e32 v4, 2, v4
	v_lshlrev_b32_e32 v6, 2, v6
	;; [unrolled: 1-line block ×5, first 2 shown]
	v_lshl_add_u32 v3, v3, 2, v7
	v_add3_u32 v7, v18, v20, v4
	v_mov_b32_e32 v4, 0
	v_add3_u32 v6, v8, v14, v6
	v_add3_u32 v5, v16, v17, v5
	s_barrier
	buffer_gl0_inv
	ds_write_b32 v3, v13 offset:1024
	ds_write_b32 v6, v15 offset:1024
	;; [unrolled: 1-line block ×4, first 2 shown]
	s_and_saveexec_b32 s1, s0
	s_cbranch_execz .LBB389_37
; %bb.28:
	v_lshl_add_u32 v3, s6, 8, v0
	v_mov_b32_e32 v13, 0
	s_mov_b32 s2, 0
	s_mov_b32 s3, s6
	v_lshlrev_b64 v[5:6], 2, v[3:4]
	v_or_b32_e32 v3, 2.0, v10
	v_add_co_u32 v5, s0, s10, v5
	v_add_co_ci_u32_e64 v6, null, s11, v6, s0
                                        ; implicit-def: $sgpr0
	global_store_dword v[5:6], v3, off
	s_branch .LBB389_31
	.p2align	6
.LBB389_29:                             ;   in Loop: Header=BB389_31 Depth=1
	s_or_b32 exec_lo, exec_lo, s8
.LBB389_30:                             ;   in Loop: Header=BB389_31 Depth=1
	s_or_b32 exec_lo, exec_lo, s7
	v_and_b32_e32 v7, 0x3fffffff, v3
	v_cmp_gt_i32_e64 s0, -2.0, v3
	v_add_nc_u32_e32 v13, v7, v13
	s_and_b32 s7, exec_lo, s0
	s_or_b32 s2, s7, s2
	s_andn2_b32 exec_lo, exec_lo, s2
	s_cbranch_execz .LBB389_36
.LBB389_31:                             ; =>This Loop Header: Depth=1
                                        ;     Child Loop BB389_34 Depth 2
	s_or_b32 s0, s0, exec_lo
	s_cmp_eq_u32 s3, 0
	s_cbranch_scc1 .LBB389_35
; %bb.32:                               ;   in Loop: Header=BB389_31 Depth=1
	s_add_i32 s3, s3, -1
	s_mov_b32 s7, exec_lo
	v_lshl_or_b32 v3, s3, 8, v0
	v_lshlrev_b64 v[7:8], 2, v[3:4]
	v_add_co_u32 v7, s0, s10, v7
	v_add_co_ci_u32_e64 v8, null, s11, v8, s0
	global_load_dword v3, v[7:8], off glc dlc
	s_waitcnt vmcnt(0)
	v_cmpx_gt_u32_e32 2.0, v3
	s_cbranch_execz .LBB389_30
; %bb.33:                               ;   in Loop: Header=BB389_31 Depth=1
	s_mov_b32 s8, 0
.LBB389_34:                             ;   Parent Loop BB389_31 Depth=1
                                        ; =>  This Inner Loop Header: Depth=2
	global_load_dword v3, v[7:8], off glc dlc
	s_waitcnt vmcnt(0)
	v_cmp_lt_u32_e64 s0, 0x3fffffff, v3
	s_or_b32 s8, s0, s8
	s_andn2_b32 exec_lo, exec_lo, s8
	s_cbranch_execnz .LBB389_34
	s_branch .LBB389_29
.LBB389_35:                             ;   in Loop: Header=BB389_31 Depth=1
                                        ; implicit-def: $sgpr3
	s_and_b32 s7, exec_lo, s0
	s_or_b32 s2, s7, s2
	s_andn2_b32 exec_lo, exec_lo, s2
	s_cbranch_execnz .LBB389_31
.LBB389_36:
	s_or_b32 exec_lo, exec_lo, s2
	v_add_nc_u32_e32 v3, v13, v10
	v_sub_nc_u32_e32 v4, v13, v9
	v_or_b32_e32 v3, 0x80000000, v3
	global_store_dword v[5:6], v3, off
	global_load_dword v3, v11, s[12:13]
	s_waitcnt vmcnt(0)
	v_add_nc_u32_e32 v3, v4, v3
	ds_write_b32 v11, v3
.LBB389_37:
	s_or_b32 exec_lo, exec_lo, s1
	s_mov_b32 s1, exec_lo
	s_waitcnt lgkmcnt(0)
	s_waitcnt_vscnt null, 0x0
	s_barrier
	buffer_gl0_inv
	v_cmpx_gt_u32_e64 s9, v0
	s_cbranch_execz .LBB389_39
; %bb.38:
	ds_read_b32 v5, v11 offset:1024
	v_mov_b32_e32 v4, 0
	s_waitcnt lgkmcnt(0)
	v_lshrrev_b32_e32 v3, s20, v5
	v_xor_b32_e32 v5, 0x7fffffff, v5
	v_and_b32_e32 v3, s23, v3
	v_lshlrev_b32_e32 v3, 2, v3
	ds_read_b32 v3, v3
	s_waitcnt lgkmcnt(0)
	v_add_nc_u32_e32 v3, v3, v0
	v_lshlrev_b64 v[3:4], 2, v[3:4]
	v_add_co_u32 v3, s0, s18, v3
	v_add_co_ci_u32_e64 v4, null, s19, v4, s0
	global_store_dword v[3:4], v5, off
.LBB389_39:
	s_or_b32 exec_lo, exec_lo, s1
	v_or_b32_e32 v3, 0x400, v0
	s_mov_b32 s1, exec_lo
	v_cmpx_gt_u32_e64 s9, v3
	s_cbranch_execz .LBB389_41
; %bb.40:
	ds_read_b32 v5, v11 offset:5120
	s_waitcnt lgkmcnt(0)
	v_lshrrev_b32_e32 v4, s20, v5
	v_xor_b32_e32 v5, 0x7fffffff, v5
	v_and_b32_e32 v4, s23, v4
	v_lshlrev_b32_e32 v4, 2, v4
	ds_read_b32 v6, v4
	v_mov_b32_e32 v4, 0
	s_waitcnt lgkmcnt(0)
	v_add_nc_u32_e32 v3, v6, v3
	v_lshlrev_b64 v[3:4], 2, v[3:4]
	v_add_co_u32 v3, s0, s18, v3
	v_add_co_ci_u32_e64 v4, null, s19, v4, s0
	global_store_dword v[3:4], v5, off
.LBB389_41:
	s_or_b32 exec_lo, exec_lo, s1
	v_or_b32_e32 v3, 0x800, v0
	s_mov_b32 s1, exec_lo
	v_cmpx_gt_u32_e64 s9, v3
	s_cbranch_execz .LBB389_43
; %bb.42:
	ds_read_b32 v5, v11 offset:9216
	s_waitcnt lgkmcnt(0)
	v_lshrrev_b32_e32 v4, s20, v5
	v_xor_b32_e32 v5, 0x7fffffff, v5
	v_and_b32_e32 v4, s23, v4
	v_lshlrev_b32_e32 v4, 2, v4
	ds_read_b32 v6, v4
	v_mov_b32_e32 v4, 0
	s_waitcnt lgkmcnt(0)
	v_add_nc_u32_e32 v3, v6, v3
	v_lshlrev_b64 v[3:4], 2, v[3:4]
	v_add_co_u32 v3, s0, s18, v3
	v_add_co_ci_u32_e64 v4, null, s19, v4, s0
	global_store_dword v[3:4], v5, off
.LBB389_43:
	;; [unrolled: 21-line block ×3, first 2 shown]
	s_or_b32 exec_lo, exec_lo, s1
	s_add_i32 s22, s22, -1
	s_cmp_eq_u32 s6, s22
	s_cselect_b32 s0, -1, 0
	s_xor_b32 s1, vcc_lo, -1
	s_and_b32 s1, s1, s0
	s_and_saveexec_b32 s0, s1
	s_cbranch_execz .LBB389_47
; %bb.46:
	ds_read_b32 v3, v11
	s_waitcnt lgkmcnt(0)
	v_add3_u32 v3, v9, v10, v3
	global_store_dword v11, v3, s[14:15]
.LBB389_47:
	s_or_b32 exec_lo, exec_lo, s0
	s_mov_b32 s0, 0
.LBB389_48:
	s_and_b32 vcc_lo, exec_lo, s0
	s_cbranch_vccz .LBB389_79
; %bb.49:
	s_lshl_b32 s0, s6, 12
	s_mov_b32 s1, 0
	v_lshlrev_b32_e32 v3, 4, v0
	v_lshlrev_b32_e32 v4, 2, v12
	s_lshl_b64 s[0:1], s[0:1], 2
	v_mov_b32_e32 v13, 0
	s_add_u32 s0, s16, s0
	s_addc_u32 s1, s17, s1
	v_and_b32_e32 v3, 0x3e00, v3
	v_add_co_u32 v4, s0, s0, v4
	v_add_co_ci_u32_e64 v5, null, s1, 0, s0
	s_add_u32 s1, s4, 0x58
	v_add_co_u32 v6, vcc_lo, v4, v3
	v_add_co_ci_u32_e64 v7, null, 0, v5, vcc_lo
	s_addc_u32 s2, s5, 0
	global_load_dword v8, v[6:7], off
	s_clause 0x1
	s_load_dword s0, s[4:5], 0x64
	s_load_dword s7, s[4:5], 0x58
	s_waitcnt lgkmcnt(0)
	s_lshr_b32 s3, s0, 16
	s_cmp_lt_u32 s6, s7
	v_mad_u32_u24 v1, v2, s3, v1
	s_cselect_b32 s0, 12, 18
	s_add_u32 s0, s1, s0
	s_addc_u32 s1, s2, 0
	global_load_ushort v10, v13, s[0:1]
	s_clause 0x2
	global_load_dword v5, v[6:7], off offset:128
	global_load_dword v4, v[6:7], off offset:256
	;; [unrolled: 1-line block ×3, first 2 shown]
	s_lshl_b32 s0, -1, s21
	s_not_b32 s8, s0
	s_waitcnt vmcnt(4)
	v_xor_b32_e32 v9, 0x7fffffff, v8
	v_lshrrev_b32_e32 v6, s20, v9
	v_and_b32_e32 v6, s8, v6
	v_and_b32_e32 v7, 1, v6
	v_lshlrev_b32_e32 v8, 30, v6
	v_lshlrev_b32_e32 v14, 29, v6
	;; [unrolled: 1-line block ×4, first 2 shown]
	v_add_co_u32 v7, s0, v7, -1
	v_cndmask_b32_e64 v16, 0, 1, s0
	v_not_b32_e32 v20, v8
	v_cmp_gt_i32_e64 s0, 0, v8
	v_not_b32_e32 v8, v14
	v_lshlrev_b32_e32 v18, 26, v6
	v_cmp_ne_u32_e32 vcc_lo, 0, v16
	v_ashrrev_i32_e32 v20, 31, v20
	v_lshlrev_b32_e32 v19, 25, v6
	v_ashrrev_i32_e32 v8, 31, v8
	v_lshlrev_b32_e32 v16, 24, v6
	v_xor_b32_e32 v7, vcc_lo, v7
	v_cmp_gt_i32_e32 vcc_lo, 0, v14
	v_not_b32_e32 v14, v15
	v_xor_b32_e32 v20, s0, v20
	v_cmp_gt_i32_e64 s0, 0, v15
	v_and_b32_e32 v7, exec_lo, v7
	v_not_b32_e32 v15, v17
	v_ashrrev_i32_e32 v14, 31, v14
	v_xor_b32_e32 v8, vcc_lo, v8
	v_cmp_gt_i32_e32 vcc_lo, 0, v17
	v_and_b32_e32 v7, v7, v20
	v_not_b32_e32 v17, v18
	v_ashrrev_i32_e32 v15, 31, v15
	v_xor_b32_e32 v14, s0, v14
	v_cmp_gt_i32_e64 s0, 0, v18
	v_and_b32_e32 v7, v7, v8
	v_not_b32_e32 v8, v19
	v_ashrrev_i32_e32 v17, 31, v17
	v_xor_b32_e32 v15, vcc_lo, v15
	v_cmp_gt_i32_e32 vcc_lo, 0, v19
	v_and_b32_e32 v7, v7, v14
	v_not_b32_e32 v14, v16
	v_ashrrev_i32_e32 v8, 31, v8
	v_xor_b32_e32 v17, s0, v17
	v_cmp_gt_i32_e64 s0, 0, v16
	v_and_b32_e32 v7, v7, v15
	v_ashrrev_i32_e32 v15, 31, v14
	v_xor_b32_e32 v8, vcc_lo, v8
	s_waitcnt vmcnt(3)
	v_mad_u64_u32 v[1:2], null, v1, v10, v[0:1]
	v_and_b32_e32 v7, v7, v17
	v_xor_b32_e32 v2, s0, v15
	v_mul_lo_u32 v6, 0x84, v6
	v_mul_u32_u24_e32 v14, 36, v0
	v_and_b32_e32 v7, v7, v8
	v_lshrrev_b32_e32 v1, 3, v1
	ds_write2_b32 v14, v13, v13 offset0:32 offset1:33
	ds_write2_b32 v14, v13, v13 offset0:34 offset1:35
	;; [unrolled: 1-line block ×3, first 2 shown]
	v_and_b32_e32 v2, v7, v2
	v_and_b32_e32 v1, 0x1ffffffc, v1
	ds_write2_b32 v14, v13, v13 offset0:38 offset1:39
	ds_write_b32 v14, v13 offset:160
	s_waitcnt vmcnt(0) lgkmcnt(0)
	s_waitcnt_vscnt null, 0x0
	s_barrier
	v_mbcnt_lo_u32_b32 v10, v2, 0
	v_cmp_ne_u32_e64 s0, 0, v2
	v_add_nc_u32_e32 v15, v1, v6
	buffer_gl0_inv
	v_cmp_eq_u32_e32 vcc_lo, 0, v10
	; wave barrier
	s_and_b32 s1, s0, vcc_lo
	s_and_saveexec_b32 s0, s1
; %bb.50:
	v_bcnt_u32_b32 v2, v2, 0
	ds_write_b32 v15, v2 offset:128
; %bb.51:
	s_or_b32 exec_lo, exec_lo, s0
	v_xor_b32_e32 v13, 0x7fffffff, v5
	; wave barrier
	v_lshrrev_b32_e32 v2, s20, v13
	v_and_b32_e32 v2, s8, v2
	v_and_b32_e32 v6, 1, v2
	v_lshlrev_b32_e32 v7, 30, v2
	v_lshlrev_b32_e32 v8, 29, v2
	;; [unrolled: 1-line block ×4, first 2 shown]
	v_add_co_u32 v6, s0, v6, -1
	v_cndmask_b32_e64 v17, 0, 1, s0
	v_not_b32_e32 v21, v7
	v_cmp_gt_i32_e64 s0, 0, v7
	v_not_b32_e32 v7, v8
	v_lshlrev_b32_e32 v19, 26, v2
	v_cmp_ne_u32_e32 vcc_lo, 0, v17
	v_ashrrev_i32_e32 v17, 31, v21
	v_lshlrev_b32_e32 v20, 25, v2
	v_ashrrev_i32_e32 v7, 31, v7
	v_mul_lo_u32 v5, 0x84, v2
	v_xor_b32_e32 v6, vcc_lo, v6
	v_cmp_gt_i32_e32 vcc_lo, 0, v8
	v_not_b32_e32 v8, v16
	v_xor_b32_e32 v17, s0, v17
	v_cmp_gt_i32_e64 s0, 0, v16
	v_and_b32_e32 v6, exec_lo, v6
	v_not_b32_e32 v16, v18
	v_ashrrev_i32_e32 v8, 31, v8
	v_xor_b32_e32 v7, vcc_lo, v7
	v_cmp_gt_i32_e32 vcc_lo, 0, v18
	v_and_b32_e32 v6, v6, v17
	v_not_b32_e32 v17, v19
	v_ashrrev_i32_e32 v16, 31, v16
	v_xor_b32_e32 v8, s0, v8
	v_lshlrev_b32_e32 v2, 24, v2
	v_and_b32_e32 v6, v6, v7
	v_cmp_gt_i32_e64 s0, 0, v19
	v_not_b32_e32 v7, v20
	v_ashrrev_i32_e32 v17, 31, v17
	v_xor_b32_e32 v16, vcc_lo, v16
	v_and_b32_e32 v6, v6, v8
	v_cmp_gt_i32_e32 vcc_lo, 0, v20
	v_not_b32_e32 v8, v2
	v_ashrrev_i32_e32 v7, 31, v7
	v_xor_b32_e32 v17, s0, v17
	v_and_b32_e32 v6, v6, v16
	v_cmp_gt_i32_e64 s0, 0, v2
	v_ashrrev_i32_e32 v2, 31, v8
	v_xor_b32_e32 v7, vcc_lo, v7
	v_add_nc_u32_e32 v19, v1, v5
	v_and_b32_e32 v6, v6, v17
	v_xor_b32_e32 v2, s0, v2
	ds_read_b32 v16, v19 offset:128
	v_and_b32_e32 v5, v6, v7
	; wave barrier
	v_and_b32_e32 v2, v5, v2
	v_mbcnt_lo_u32_b32 v18, v2, 0
	v_cmp_ne_u32_e64 s0, 0, v2
	v_cmp_eq_u32_e32 vcc_lo, 0, v18
	s_and_b32 s1, s0, vcc_lo
	s_and_saveexec_b32 s0, s1
	s_cbranch_execz .LBB389_53
; %bb.52:
	s_waitcnt lgkmcnt(0)
	v_bcnt_u32_b32 v2, v2, v16
	ds_write_b32 v19, v2 offset:128
.LBB389_53:
	s_or_b32 exec_lo, exec_lo, s0
	v_xor_b32_e32 v17, 0x7fffffff, v4
	; wave barrier
	v_lshrrev_b32_e32 v2, s20, v17
	v_and_b32_e32 v2, s8, v2
	v_and_b32_e32 v5, 1, v2
	v_lshlrev_b32_e32 v6, 30, v2
	v_lshlrev_b32_e32 v7, 29, v2
	;; [unrolled: 1-line block ×4, first 2 shown]
	v_add_co_u32 v5, s0, v5, -1
	v_cndmask_b32_e64 v20, 0, 1, s0
	v_not_b32_e32 v24, v6
	v_cmp_gt_i32_e64 s0, 0, v6
	v_not_b32_e32 v6, v7
	v_lshlrev_b32_e32 v22, 26, v2
	v_cmp_ne_u32_e32 vcc_lo, 0, v20
	v_ashrrev_i32_e32 v20, 31, v24
	v_lshlrev_b32_e32 v23, 25, v2
	v_ashrrev_i32_e32 v6, 31, v6
	v_mul_lo_u32 v4, 0x84, v2
	v_xor_b32_e32 v5, vcc_lo, v5
	v_cmp_gt_i32_e32 vcc_lo, 0, v7
	v_not_b32_e32 v7, v8
	v_xor_b32_e32 v20, s0, v20
	v_cmp_gt_i32_e64 s0, 0, v8
	v_and_b32_e32 v5, exec_lo, v5
	v_not_b32_e32 v8, v21
	v_ashrrev_i32_e32 v7, 31, v7
	v_xor_b32_e32 v6, vcc_lo, v6
	v_cmp_gt_i32_e32 vcc_lo, 0, v21
	v_and_b32_e32 v5, v5, v20
	v_not_b32_e32 v20, v22
	v_ashrrev_i32_e32 v8, 31, v8
	v_xor_b32_e32 v7, s0, v7
	v_lshlrev_b32_e32 v2, 24, v2
	v_and_b32_e32 v5, v5, v6
	v_cmp_gt_i32_e64 s0, 0, v22
	v_not_b32_e32 v6, v23
	v_ashrrev_i32_e32 v20, 31, v20
	v_xor_b32_e32 v8, vcc_lo, v8
	v_and_b32_e32 v5, v5, v7
	v_cmp_gt_i32_e32 vcc_lo, 0, v23
	v_not_b32_e32 v7, v2
	v_ashrrev_i32_e32 v6, 31, v6
	v_xor_b32_e32 v20, s0, v20
	v_and_b32_e32 v5, v5, v8
	v_cmp_gt_i32_e64 s0, 0, v2
	v_ashrrev_i32_e32 v2, 31, v7
	v_xor_b32_e32 v6, vcc_lo, v6
	v_add_nc_u32_e32 v23, v1, v4
	v_and_b32_e32 v5, v5, v20
	v_xor_b32_e32 v2, s0, v2
	ds_read_b32 v20, v23 offset:128
	v_and_b32_e32 v4, v5, v6
	; wave barrier
	v_and_b32_e32 v2, v4, v2
	v_mbcnt_lo_u32_b32 v22, v2, 0
	v_cmp_ne_u32_e64 s0, 0, v2
	v_cmp_eq_u32_e32 vcc_lo, 0, v22
	s_and_b32 s1, s0, vcc_lo
	s_and_saveexec_b32 s0, s1
	s_cbranch_execz .LBB389_55
; %bb.54:
	s_waitcnt lgkmcnt(0)
	v_bcnt_u32_b32 v2, v2, v20
	ds_write_b32 v23, v2 offset:128
.LBB389_55:
	s_or_b32 exec_lo, exec_lo, s0
	v_xor_b32_e32 v21, 0x7fffffff, v3
	; wave barrier
	v_lshrrev_b32_e32 v2, s20, v21
	v_and_b32_e32 v2, s8, v2
	v_and_b32_e32 v4, 1, v2
	v_lshlrev_b32_e32 v5, 30, v2
	v_lshlrev_b32_e32 v6, 29, v2
	v_lshlrev_b32_e32 v7, 28, v2
	v_lshlrev_b32_e32 v24, 27, v2
	v_add_co_u32 v4, s0, v4, -1
	v_cndmask_b32_e64 v8, 0, 1, s0
	v_not_b32_e32 v27, v5
	v_cmp_gt_i32_e64 s0, 0, v5
	v_not_b32_e32 v5, v6
	v_lshlrev_b32_e32 v25, 26, v2
	v_cmp_ne_u32_e32 vcc_lo, 0, v8
	v_ashrrev_i32_e32 v8, 31, v27
	v_lshlrev_b32_e32 v26, 25, v2
	v_ashrrev_i32_e32 v5, 31, v5
	v_mul_lo_u32 v3, 0x84, v2
	v_xor_b32_e32 v4, vcc_lo, v4
	v_cmp_gt_i32_e32 vcc_lo, 0, v6
	v_not_b32_e32 v6, v7
	v_xor_b32_e32 v8, s0, v8
	v_cmp_gt_i32_e64 s0, 0, v7
	v_and_b32_e32 v4, exec_lo, v4
	v_not_b32_e32 v7, v24
	v_ashrrev_i32_e32 v6, 31, v6
	v_xor_b32_e32 v5, vcc_lo, v5
	v_cmp_gt_i32_e32 vcc_lo, 0, v24
	v_and_b32_e32 v4, v4, v8
	v_not_b32_e32 v8, v25
	v_ashrrev_i32_e32 v7, 31, v7
	v_xor_b32_e32 v6, s0, v6
	v_lshlrev_b32_e32 v2, 24, v2
	v_and_b32_e32 v4, v4, v5
	v_cmp_gt_i32_e64 s0, 0, v25
	v_not_b32_e32 v5, v26
	v_ashrrev_i32_e32 v8, 31, v8
	v_xor_b32_e32 v7, vcc_lo, v7
	v_and_b32_e32 v4, v4, v6
	v_cmp_gt_i32_e32 vcc_lo, 0, v26
	v_not_b32_e32 v6, v2
	v_ashrrev_i32_e32 v5, 31, v5
	v_xor_b32_e32 v8, s0, v8
	v_and_b32_e32 v4, v4, v7
	v_cmp_gt_i32_e64 s0, 0, v2
	v_ashrrev_i32_e32 v2, 31, v6
	v_xor_b32_e32 v5, vcc_lo, v5
	v_add_nc_u32_e32 v26, v1, v3
	v_and_b32_e32 v4, v4, v8
	v_xor_b32_e32 v1, s0, v2
	ds_read_b32 v24, v26 offset:128
	v_and_b32_e32 v2, v4, v5
	; wave barrier
	v_and_b32_e32 v1, v2, v1
	v_mbcnt_lo_u32_b32 v25, v1, 0
	v_cmp_ne_u32_e64 s0, 0, v1
	v_cmp_eq_u32_e32 vcc_lo, 0, v25
	s_and_b32 s1, s0, vcc_lo
	s_and_saveexec_b32 s0, s1
	s_cbranch_execz .LBB389_57
; %bb.56:
	s_waitcnt lgkmcnt(0)
	v_bcnt_u32_b32 v1, v1, v24
	ds_write_b32 v26, v1 offset:128
.LBB389_57:
	s_or_b32 exec_lo, exec_lo, s0
	; wave barrier
	s_waitcnt lgkmcnt(0)
	s_barrier
	buffer_gl0_inv
	ds_read2_b32 v[7:8], v14 offset0:32 offset1:33
	ds_read2_b32 v[5:6], v14 offset0:34 offset1:35
	ds_read2_b32 v[3:4], v14 offset0:36 offset1:37
	ds_read2_b32 v[1:2], v14 offset0:38 offset1:39
	ds_read_b32 v27, v14 offset:160
	v_and_b32_e32 v30, 16, v12
	v_and_b32_e32 v31, 31, v0
	s_mov_b32 s5, exec_lo
	v_cmp_eq_u32_e64 s3, 0, v30
	s_waitcnt lgkmcnt(3)
	v_add3_u32 v28, v8, v7, v5
	s_waitcnt lgkmcnt(2)
	v_add3_u32 v28, v28, v6, v3
	;; [unrolled: 2-line block ×4, first 2 shown]
	v_and_b32_e32 v28, 15, v12
	v_mov_b32_dpp v29, v27 row_shr:1 row_mask:0xf bank_mask:0xf
	v_cmp_eq_u32_e32 vcc_lo, 0, v28
	v_cmp_lt_u32_e64 s0, 1, v28
	v_cmp_lt_u32_e64 s1, 3, v28
	;; [unrolled: 1-line block ×3, first 2 shown]
	v_cndmask_b32_e64 v29, v29, 0, vcc_lo
	v_add_nc_u32_e32 v27, v29, v27
	v_mov_b32_dpp v29, v27 row_shr:2 row_mask:0xf bank_mask:0xf
	v_cndmask_b32_e64 v29, 0, v29, s0
	v_add_nc_u32_e32 v27, v27, v29
	v_mov_b32_dpp v29, v27 row_shr:4 row_mask:0xf bank_mask:0xf
	v_cndmask_b32_e64 v29, 0, v29, s1
	v_add_nc_u32_e32 v27, v27, v29
	v_mov_b32_dpp v29, v27 row_shr:8 row_mask:0xf bank_mask:0xf
	v_cndmask_b32_e64 v28, 0, v29, s2
	v_bfe_i32 v29, v12, 4, 1
	v_add_nc_u32_e32 v27, v27, v28
	ds_swizzle_b32 v28, v27 offset:swizzle(BROADCAST,32,15)
	s_waitcnt lgkmcnt(0)
	v_and_b32_e32 v29, v29, v28
	v_lshrrev_b32_e32 v28, 5, v0
	v_add_nc_u32_e32 v27, v27, v29
	v_cmpx_eq_u32_e32 31, v31
; %bb.58:
	v_lshlrev_b32_e32 v29, 2, v28
	ds_write_b32 v29, v27
; %bb.59:
	s_or_b32 exec_lo, exec_lo, s5
	v_cmp_lt_u32_e64 s4, 31, v0
	s_mov_b32 s9, exec_lo
	s_waitcnt lgkmcnt(0)
	s_barrier
	buffer_gl0_inv
	v_cmpx_gt_u32_e32 32, v0
	s_cbranch_execz .LBB389_61
; %bb.60:
	ds_read_b32 v29, v11
	s_waitcnt lgkmcnt(0)
	v_mov_b32_dpp v30, v29 row_shr:1 row_mask:0xf bank_mask:0xf
	v_cndmask_b32_e64 v30, v30, 0, vcc_lo
	v_add_nc_u32_e32 v29, v30, v29
	v_mov_b32_dpp v30, v29 row_shr:2 row_mask:0xf bank_mask:0xf
	v_cndmask_b32_e64 v30, 0, v30, s0
	v_add_nc_u32_e32 v29, v29, v30
	v_mov_b32_dpp v30, v29 row_shr:4 row_mask:0xf bank_mask:0xf
	v_cndmask_b32_e64 v30, 0, v30, s1
	;; [unrolled: 3-line block ×3, first 2 shown]
	v_add_nc_u32_e32 v29, v29, v30
	ds_swizzle_b32 v30, v29 offset:swizzle(BROADCAST,32,15)
	s_waitcnt lgkmcnt(0)
	v_cndmask_b32_e64 v30, v30, 0, s3
	v_add_nc_u32_e32 v29, v29, v30
	ds_write_b32 v11, v29
.LBB389_61:
	s_or_b32 exec_lo, exec_lo, s9
	v_mov_b32_e32 v29, 0
	s_waitcnt lgkmcnt(0)
	s_barrier
	buffer_gl0_inv
	s_and_saveexec_b32 s0, s4
; %bb.62:
	v_lshl_add_u32 v28, v28, 2, -4
	ds_read_b32 v29, v28
; %bb.63:
	s_or_b32 exec_lo, exec_lo, s0
	v_sub_co_u32 v28, vcc_lo, v12, 1
	s_waitcnt lgkmcnt(0)
	v_add_nc_u32_e32 v27, v29, v27
	v_cmp_gt_i32_e64 s0, 0, v28
	v_cndmask_b32_e64 v12, v28, v12, s0
	v_cmp_gt_u32_e64 s0, 0x100, v0
	v_lshlrev_b32_e32 v12, 2, v12
	ds_bpermute_b32 v12, v12, v27
	s_waitcnt lgkmcnt(0)
	v_cndmask_b32_e32 v12, v12, v29, vcc_lo
	v_cmp_ne_u32_e32 vcc_lo, 0, v0
	v_cndmask_b32_e32 v12, 0, v12, vcc_lo
	v_cmp_lt_u32_e32 vcc_lo, 0xff, v0
	v_add_nc_u32_e32 v7, v12, v7
	v_add_nc_u32_e32 v8, v7, v8
	;; [unrolled: 1-line block ×8, first 2 shown]
	ds_write2_b32 v14, v12, v7 offset0:32 offset1:33
	ds_write2_b32 v14, v8, v5 offset0:34 offset1:35
	;; [unrolled: 1-line block ×4, first 2 shown]
	ds_write_b32 v14, v2 offset:160
	s_waitcnt lgkmcnt(0)
	s_barrier
	buffer_gl0_inv
	ds_read_b32 v1, v15 offset:128
	ds_read_b32 v4, v19 offset:128
	;; [unrolled: 1-line block ×4, first 2 shown]
                                        ; implicit-def: $vgpr7
                                        ; implicit-def: $vgpr8
	s_and_saveexec_b32 s2, s0
	s_cbranch_execz .LBB389_67
; %bb.64:
	v_mul_u32_u24_e32 v5, 0x84, v0
	v_add_nc_u32_e32 v6, 1, v0
	s_mov_b32 s3, exec_lo
	ds_read_b32 v7, v5 offset:128
	v_mov_b32_e32 v5, 0x1000
	v_cmpx_ne_u32_e32 0x100, v6
; %bb.65:
	v_mul_u32_u24_e32 v5, 0x84, v6
	ds_read_b32 v5, v5 offset:128
; %bb.66:
	s_or_b32 exec_lo, exec_lo, s3
	s_waitcnt lgkmcnt(0)
	v_sub_nc_u32_e32 v8, v5, v7
.LBB389_67:
	s_or_b32 exec_lo, exec_lo, s2
	v_lshlrev_b32_e32 v5, 2, v10
	v_lshlrev_b32_e32 v10, 2, v16
	;; [unrolled: 1-line block ×4, first 2 shown]
	s_waitcnt lgkmcnt(0)
	v_lshlrev_b32_e32 v2, 2, v2
	v_lshlrev_b32_e32 v6, 2, v18
	;; [unrolled: 1-line block ×6, first 2 shown]
	v_lshl_add_u32 v1, v1, 2, v5
	v_add3_u32 v5, v15, v16, v2
	v_mov_b32_e32 v2, 0
	v_add3_u32 v4, v6, v10, v4
	v_add3_u32 v3, v12, v14, v3
	s_barrier
	buffer_gl0_inv
	ds_write_b32 v1, v9 offset:1024
	ds_write_b32 v4, v13 offset:1024
	;; [unrolled: 1-line block ×4, first 2 shown]
	s_and_saveexec_b32 s1, s0
	s_cbranch_execz .LBB389_77
; %bb.68:
	v_lshl_add_u32 v1, s6, 8, v0
	v_mov_b32_e32 v9, 0
	s_mov_b32 s2, 0
	s_mov_b32 s3, s6
	v_lshlrev_b64 v[3:4], 2, v[1:2]
	v_or_b32_e32 v1, 2.0, v8
	v_add_co_u32 v3, s0, s10, v3
	v_add_co_ci_u32_e64 v4, null, s11, v4, s0
                                        ; implicit-def: $sgpr0
	global_store_dword v[3:4], v1, off
	s_branch .LBB389_71
	.p2align	6
.LBB389_69:                             ;   in Loop: Header=BB389_71 Depth=1
	s_or_b32 exec_lo, exec_lo, s5
.LBB389_70:                             ;   in Loop: Header=BB389_71 Depth=1
	s_or_b32 exec_lo, exec_lo, s4
	v_and_b32_e32 v5, 0x3fffffff, v1
	v_cmp_gt_i32_e64 s0, -2.0, v1
	v_add_nc_u32_e32 v9, v5, v9
	s_and_b32 s4, exec_lo, s0
	s_or_b32 s2, s4, s2
	s_andn2_b32 exec_lo, exec_lo, s2
	s_cbranch_execz .LBB389_76
.LBB389_71:                             ; =>This Loop Header: Depth=1
                                        ;     Child Loop BB389_74 Depth 2
	s_or_b32 s0, s0, exec_lo
	s_cmp_eq_u32 s3, 0
	s_cbranch_scc1 .LBB389_75
; %bb.72:                               ;   in Loop: Header=BB389_71 Depth=1
	s_add_i32 s3, s3, -1
	s_mov_b32 s4, exec_lo
	v_lshl_or_b32 v1, s3, 8, v0
	v_lshlrev_b64 v[5:6], 2, v[1:2]
	v_add_co_u32 v5, s0, s10, v5
	v_add_co_ci_u32_e64 v6, null, s11, v6, s0
	global_load_dword v1, v[5:6], off glc dlc
	s_waitcnt vmcnt(0)
	v_cmpx_gt_u32_e32 2.0, v1
	s_cbranch_execz .LBB389_70
; %bb.73:                               ;   in Loop: Header=BB389_71 Depth=1
	s_mov_b32 s5, 0
.LBB389_74:                             ;   Parent Loop BB389_71 Depth=1
                                        ; =>  This Inner Loop Header: Depth=2
	global_load_dword v1, v[5:6], off glc dlc
	s_waitcnt vmcnt(0)
	v_cmp_lt_u32_e64 s0, 0x3fffffff, v1
	s_or_b32 s5, s0, s5
	s_andn2_b32 exec_lo, exec_lo, s5
	s_cbranch_execnz .LBB389_74
	s_branch .LBB389_69
.LBB389_75:                             ;   in Loop: Header=BB389_71 Depth=1
                                        ; implicit-def: $sgpr3
	s_and_b32 s4, exec_lo, s0
	s_or_b32 s2, s4, s2
	s_andn2_b32 exec_lo, exec_lo, s2
	s_cbranch_execnz .LBB389_71
.LBB389_76:
	s_or_b32 exec_lo, exec_lo, s2
	v_add_nc_u32_e32 v1, v9, v8
	v_sub_nc_u32_e32 v2, v9, v7
	v_or_b32_e32 v1, 0x80000000, v1
	global_store_dword v[3:4], v1, off
	global_load_dword v1, v11, s[12:13]
	s_waitcnt vmcnt(0)
	v_add_nc_u32_e32 v1, v2, v1
	ds_write_b32 v11, v1
.LBB389_77:
	s_or_b32 exec_lo, exec_lo, s1
	s_waitcnt lgkmcnt(0)
	s_waitcnt_vscnt null, 0x0
	s_barrier
	buffer_gl0_inv
	ds_read2st64_b32 v[1:2], v11 offset0:4 offset1:20
	ds_read2st64_b32 v[3:4], v11 offset0:36 offset1:52
	s_add_i32 s7, s7, -1
	s_cmp_eq_u32 s6, s7
	s_waitcnt lgkmcnt(1)
	v_lshrrev_b32_e32 v5, s20, v1
	v_lshrrev_b32_e32 v6, s20, v2
	s_waitcnt lgkmcnt(0)
	v_lshrrev_b32_e32 v9, s20, v3
	v_lshrrev_b32_e32 v10, s20, v4
	v_xor_b32_e32 v15, 0x7fffffff, v1
	v_and_b32_e32 v5, s8, v5
	v_and_b32_e32 v6, s8, v6
	;; [unrolled: 1-line block ×3, first 2 shown]
	v_xor_b32_e32 v16, 0x7fffffff, v2
	v_xor_b32_e32 v4, 0x7fffffff, v4
	v_lshlrev_b32_e32 v5, 2, v5
	v_lshlrev_b32_e32 v6, 2, v6
	ds_read_b32 v5, v5
	ds_read_b32 v12, v6
	v_lshlrev_b32_e32 v6, 2, v9
	v_and_b32_e32 v9, s8, v10
	ds_read_b32 v13, v6
	v_lshlrev_b32_e32 v6, 2, v9
	ds_read_b32 v14, v6
	v_mov_b32_e32 v6, 0
	s_waitcnt lgkmcnt(3)
	v_add_nc_u32_e32 v5, v5, v0
	v_lshlrev_b64 v[9:10], 2, v[5:6]
	s_waitcnt lgkmcnt(2)
	v_add3_u32 v5, v12, v0, 0x400
	v_lshlrev_b64 v[1:2], 2, v[5:6]
	s_waitcnt lgkmcnt(1)
	v_add3_u32 v5, v13, v0, 0x800
	v_add_co_u32 v9, s0, s18, v9
	v_add_co_ci_u32_e64 v10, null, s19, v10, s0
	v_lshlrev_b64 v[12:13], 2, v[5:6]
	s_waitcnt lgkmcnt(0)
	v_add3_u32 v5, v14, v0, 0xc00
	v_add_co_u32 v0, s0, s18, v1
	v_add_co_ci_u32_e64 v1, null, s19, v2, s0
	v_xor_b32_e32 v14, 0x7fffffff, v3
	v_lshlrev_b64 v[2:3], 2, v[5:6]
	global_store_dword v[9:10], v15, off
	global_store_dword v[0:1], v16, off
	v_add_co_u32 v0, s0, s18, v12
	v_add_co_ci_u32_e64 v1, null, s19, v13, s0
	v_add_co_u32 v2, s0, s18, v2
	v_add_co_ci_u32_e64 v3, null, s19, v3, s0
	s_cselect_b32 s0, -1, 0
	s_xor_b32 s1, vcc_lo, -1
	global_store_dword v[0:1], v14, off
	s_and_b32 s0, s1, s0
	global_store_dword v[2:3], v4, off
	s_and_saveexec_b32 s1, s0
	s_cbranch_execz .LBB389_79
; %bb.78:
	ds_read_b32 v0, v11
	s_waitcnt lgkmcnt(0)
	v_add3_u32 v0, v7, v8, v0
	global_store_dword v11, v0, s[14:15]
.LBB389_79:
	s_endpgm
	.section	.rodata,"a",@progbits
	.p2align	6, 0x0
	.amdhsa_kernel _ZN7rocprim17ROCPRIM_400000_NS6detail17trampoline_kernelINS0_14default_configENS1_35radix_sort_onesweep_config_selectorIiNS0_10empty_typeEEEZZNS1_29radix_sort_onesweep_iterationIS3_Lb1EN6thrust23THRUST_200600_302600_NS6detail15normal_iteratorINS9_10device_ptrIiEEEESE_PS5_SF_jNS0_19identity_decomposerENS1_16block_id_wrapperIjLb0EEEEE10hipError_tT1_PNSt15iterator_traitsISK_E10value_typeET2_T3_PNSL_ISQ_E10value_typeET4_T5_PSV_SW_PNS1_23onesweep_lookback_stateEbbT6_jjT7_P12ihipStream_tbENKUlT_T0_SK_SP_E_clIPiSE_SF_SF_EEDaS13_S14_SK_SP_EUlS13_E_NS1_11comp_targetILNS1_3genE8ELNS1_11target_archE1030ELNS1_3gpuE2ELNS1_3repE0EEENS1_47radix_sort_onesweep_sort_config_static_selectorELNS0_4arch9wavefront6targetE0EEEvSK_
		.amdhsa_group_segment_fixed_size 37000
		.amdhsa_private_segment_fixed_size 0
		.amdhsa_kernarg_size 344
		.amdhsa_user_sgpr_count 6
		.amdhsa_user_sgpr_private_segment_buffer 1
		.amdhsa_user_sgpr_dispatch_ptr 0
		.amdhsa_user_sgpr_queue_ptr 0
		.amdhsa_user_sgpr_kernarg_segment_ptr 1
		.amdhsa_user_sgpr_dispatch_id 0
		.amdhsa_user_sgpr_flat_scratch_init 0
		.amdhsa_user_sgpr_private_segment_size 0
		.amdhsa_wavefront_size32 1
		.amdhsa_uses_dynamic_stack 0
		.amdhsa_system_sgpr_private_segment_wavefront_offset 0
		.amdhsa_system_sgpr_workgroup_id_x 1
		.amdhsa_system_sgpr_workgroup_id_y 0
		.amdhsa_system_sgpr_workgroup_id_z 0
		.amdhsa_system_sgpr_workgroup_info 0
		.amdhsa_system_vgpr_workitem_id 2
		.amdhsa_next_free_vgpr 34
		.amdhsa_next_free_sgpr 25
		.amdhsa_reserve_vcc 1
		.amdhsa_reserve_flat_scratch 0
		.amdhsa_float_round_mode_32 0
		.amdhsa_float_round_mode_16_64 0
		.amdhsa_float_denorm_mode_32 3
		.amdhsa_float_denorm_mode_16_64 3
		.amdhsa_dx10_clamp 1
		.amdhsa_ieee_mode 1
		.amdhsa_fp16_overflow 0
		.amdhsa_workgroup_processor_mode 1
		.amdhsa_memory_ordered 1
		.amdhsa_forward_progress 1
		.amdhsa_shared_vgpr_count 0
		.amdhsa_exception_fp_ieee_invalid_op 0
		.amdhsa_exception_fp_denorm_src 0
		.amdhsa_exception_fp_ieee_div_zero 0
		.amdhsa_exception_fp_ieee_overflow 0
		.amdhsa_exception_fp_ieee_underflow 0
		.amdhsa_exception_fp_ieee_inexact 0
		.amdhsa_exception_int_div_zero 0
	.end_amdhsa_kernel
	.section	.text._ZN7rocprim17ROCPRIM_400000_NS6detail17trampoline_kernelINS0_14default_configENS1_35radix_sort_onesweep_config_selectorIiNS0_10empty_typeEEEZZNS1_29radix_sort_onesweep_iterationIS3_Lb1EN6thrust23THRUST_200600_302600_NS6detail15normal_iteratorINS9_10device_ptrIiEEEESE_PS5_SF_jNS0_19identity_decomposerENS1_16block_id_wrapperIjLb0EEEEE10hipError_tT1_PNSt15iterator_traitsISK_E10value_typeET2_T3_PNSL_ISQ_E10value_typeET4_T5_PSV_SW_PNS1_23onesweep_lookback_stateEbbT6_jjT7_P12ihipStream_tbENKUlT_T0_SK_SP_E_clIPiSE_SF_SF_EEDaS13_S14_SK_SP_EUlS13_E_NS1_11comp_targetILNS1_3genE8ELNS1_11target_archE1030ELNS1_3gpuE2ELNS1_3repE0EEENS1_47radix_sort_onesweep_sort_config_static_selectorELNS0_4arch9wavefront6targetE0EEEvSK_,"axG",@progbits,_ZN7rocprim17ROCPRIM_400000_NS6detail17trampoline_kernelINS0_14default_configENS1_35radix_sort_onesweep_config_selectorIiNS0_10empty_typeEEEZZNS1_29radix_sort_onesweep_iterationIS3_Lb1EN6thrust23THRUST_200600_302600_NS6detail15normal_iteratorINS9_10device_ptrIiEEEESE_PS5_SF_jNS0_19identity_decomposerENS1_16block_id_wrapperIjLb0EEEEE10hipError_tT1_PNSt15iterator_traitsISK_E10value_typeET2_T3_PNSL_ISQ_E10value_typeET4_T5_PSV_SW_PNS1_23onesweep_lookback_stateEbbT6_jjT7_P12ihipStream_tbENKUlT_T0_SK_SP_E_clIPiSE_SF_SF_EEDaS13_S14_SK_SP_EUlS13_E_NS1_11comp_targetILNS1_3genE8ELNS1_11target_archE1030ELNS1_3gpuE2ELNS1_3repE0EEENS1_47radix_sort_onesweep_sort_config_static_selectorELNS0_4arch9wavefront6targetE0EEEvSK_,comdat
.Lfunc_end389:
	.size	_ZN7rocprim17ROCPRIM_400000_NS6detail17trampoline_kernelINS0_14default_configENS1_35radix_sort_onesweep_config_selectorIiNS0_10empty_typeEEEZZNS1_29radix_sort_onesweep_iterationIS3_Lb1EN6thrust23THRUST_200600_302600_NS6detail15normal_iteratorINS9_10device_ptrIiEEEESE_PS5_SF_jNS0_19identity_decomposerENS1_16block_id_wrapperIjLb0EEEEE10hipError_tT1_PNSt15iterator_traitsISK_E10value_typeET2_T3_PNSL_ISQ_E10value_typeET4_T5_PSV_SW_PNS1_23onesweep_lookback_stateEbbT6_jjT7_P12ihipStream_tbENKUlT_T0_SK_SP_E_clIPiSE_SF_SF_EEDaS13_S14_SK_SP_EUlS13_E_NS1_11comp_targetILNS1_3genE8ELNS1_11target_archE1030ELNS1_3gpuE2ELNS1_3repE0EEENS1_47radix_sort_onesweep_sort_config_static_selectorELNS0_4arch9wavefront6targetE0EEEvSK_, .Lfunc_end389-_ZN7rocprim17ROCPRIM_400000_NS6detail17trampoline_kernelINS0_14default_configENS1_35radix_sort_onesweep_config_selectorIiNS0_10empty_typeEEEZZNS1_29radix_sort_onesweep_iterationIS3_Lb1EN6thrust23THRUST_200600_302600_NS6detail15normal_iteratorINS9_10device_ptrIiEEEESE_PS5_SF_jNS0_19identity_decomposerENS1_16block_id_wrapperIjLb0EEEEE10hipError_tT1_PNSt15iterator_traitsISK_E10value_typeET2_T3_PNSL_ISQ_E10value_typeET4_T5_PSV_SW_PNS1_23onesweep_lookback_stateEbbT6_jjT7_P12ihipStream_tbENKUlT_T0_SK_SP_E_clIPiSE_SF_SF_EEDaS13_S14_SK_SP_EUlS13_E_NS1_11comp_targetILNS1_3genE8ELNS1_11target_archE1030ELNS1_3gpuE2ELNS1_3repE0EEENS1_47radix_sort_onesweep_sort_config_static_selectorELNS0_4arch9wavefront6targetE0EEEvSK_
                                        ; -- End function
	.set _ZN7rocprim17ROCPRIM_400000_NS6detail17trampoline_kernelINS0_14default_configENS1_35radix_sort_onesweep_config_selectorIiNS0_10empty_typeEEEZZNS1_29radix_sort_onesweep_iterationIS3_Lb1EN6thrust23THRUST_200600_302600_NS6detail15normal_iteratorINS9_10device_ptrIiEEEESE_PS5_SF_jNS0_19identity_decomposerENS1_16block_id_wrapperIjLb0EEEEE10hipError_tT1_PNSt15iterator_traitsISK_E10value_typeET2_T3_PNSL_ISQ_E10value_typeET4_T5_PSV_SW_PNS1_23onesweep_lookback_stateEbbT6_jjT7_P12ihipStream_tbENKUlT_T0_SK_SP_E_clIPiSE_SF_SF_EEDaS13_S14_SK_SP_EUlS13_E_NS1_11comp_targetILNS1_3genE8ELNS1_11target_archE1030ELNS1_3gpuE2ELNS1_3repE0EEENS1_47radix_sort_onesweep_sort_config_static_selectorELNS0_4arch9wavefront6targetE0EEEvSK_.num_vgpr, 34
	.set _ZN7rocprim17ROCPRIM_400000_NS6detail17trampoline_kernelINS0_14default_configENS1_35radix_sort_onesweep_config_selectorIiNS0_10empty_typeEEEZZNS1_29radix_sort_onesweep_iterationIS3_Lb1EN6thrust23THRUST_200600_302600_NS6detail15normal_iteratorINS9_10device_ptrIiEEEESE_PS5_SF_jNS0_19identity_decomposerENS1_16block_id_wrapperIjLb0EEEEE10hipError_tT1_PNSt15iterator_traitsISK_E10value_typeET2_T3_PNSL_ISQ_E10value_typeET4_T5_PSV_SW_PNS1_23onesweep_lookback_stateEbbT6_jjT7_P12ihipStream_tbENKUlT_T0_SK_SP_E_clIPiSE_SF_SF_EEDaS13_S14_SK_SP_EUlS13_E_NS1_11comp_targetILNS1_3genE8ELNS1_11target_archE1030ELNS1_3gpuE2ELNS1_3repE0EEENS1_47radix_sort_onesweep_sort_config_static_selectorELNS0_4arch9wavefront6targetE0EEEvSK_.num_agpr, 0
	.set _ZN7rocprim17ROCPRIM_400000_NS6detail17trampoline_kernelINS0_14default_configENS1_35radix_sort_onesweep_config_selectorIiNS0_10empty_typeEEEZZNS1_29radix_sort_onesweep_iterationIS3_Lb1EN6thrust23THRUST_200600_302600_NS6detail15normal_iteratorINS9_10device_ptrIiEEEESE_PS5_SF_jNS0_19identity_decomposerENS1_16block_id_wrapperIjLb0EEEEE10hipError_tT1_PNSt15iterator_traitsISK_E10value_typeET2_T3_PNSL_ISQ_E10value_typeET4_T5_PSV_SW_PNS1_23onesweep_lookback_stateEbbT6_jjT7_P12ihipStream_tbENKUlT_T0_SK_SP_E_clIPiSE_SF_SF_EEDaS13_S14_SK_SP_EUlS13_E_NS1_11comp_targetILNS1_3genE8ELNS1_11target_archE1030ELNS1_3gpuE2ELNS1_3repE0EEENS1_47radix_sort_onesweep_sort_config_static_selectorELNS0_4arch9wavefront6targetE0EEEvSK_.numbered_sgpr, 25
	.set _ZN7rocprim17ROCPRIM_400000_NS6detail17trampoline_kernelINS0_14default_configENS1_35radix_sort_onesweep_config_selectorIiNS0_10empty_typeEEEZZNS1_29radix_sort_onesweep_iterationIS3_Lb1EN6thrust23THRUST_200600_302600_NS6detail15normal_iteratorINS9_10device_ptrIiEEEESE_PS5_SF_jNS0_19identity_decomposerENS1_16block_id_wrapperIjLb0EEEEE10hipError_tT1_PNSt15iterator_traitsISK_E10value_typeET2_T3_PNSL_ISQ_E10value_typeET4_T5_PSV_SW_PNS1_23onesweep_lookback_stateEbbT6_jjT7_P12ihipStream_tbENKUlT_T0_SK_SP_E_clIPiSE_SF_SF_EEDaS13_S14_SK_SP_EUlS13_E_NS1_11comp_targetILNS1_3genE8ELNS1_11target_archE1030ELNS1_3gpuE2ELNS1_3repE0EEENS1_47radix_sort_onesweep_sort_config_static_selectorELNS0_4arch9wavefront6targetE0EEEvSK_.num_named_barrier, 0
	.set _ZN7rocprim17ROCPRIM_400000_NS6detail17trampoline_kernelINS0_14default_configENS1_35radix_sort_onesweep_config_selectorIiNS0_10empty_typeEEEZZNS1_29radix_sort_onesweep_iterationIS3_Lb1EN6thrust23THRUST_200600_302600_NS6detail15normal_iteratorINS9_10device_ptrIiEEEESE_PS5_SF_jNS0_19identity_decomposerENS1_16block_id_wrapperIjLb0EEEEE10hipError_tT1_PNSt15iterator_traitsISK_E10value_typeET2_T3_PNSL_ISQ_E10value_typeET4_T5_PSV_SW_PNS1_23onesweep_lookback_stateEbbT6_jjT7_P12ihipStream_tbENKUlT_T0_SK_SP_E_clIPiSE_SF_SF_EEDaS13_S14_SK_SP_EUlS13_E_NS1_11comp_targetILNS1_3genE8ELNS1_11target_archE1030ELNS1_3gpuE2ELNS1_3repE0EEENS1_47radix_sort_onesweep_sort_config_static_selectorELNS0_4arch9wavefront6targetE0EEEvSK_.private_seg_size, 0
	.set _ZN7rocprim17ROCPRIM_400000_NS6detail17trampoline_kernelINS0_14default_configENS1_35radix_sort_onesweep_config_selectorIiNS0_10empty_typeEEEZZNS1_29radix_sort_onesweep_iterationIS3_Lb1EN6thrust23THRUST_200600_302600_NS6detail15normal_iteratorINS9_10device_ptrIiEEEESE_PS5_SF_jNS0_19identity_decomposerENS1_16block_id_wrapperIjLb0EEEEE10hipError_tT1_PNSt15iterator_traitsISK_E10value_typeET2_T3_PNSL_ISQ_E10value_typeET4_T5_PSV_SW_PNS1_23onesweep_lookback_stateEbbT6_jjT7_P12ihipStream_tbENKUlT_T0_SK_SP_E_clIPiSE_SF_SF_EEDaS13_S14_SK_SP_EUlS13_E_NS1_11comp_targetILNS1_3genE8ELNS1_11target_archE1030ELNS1_3gpuE2ELNS1_3repE0EEENS1_47radix_sort_onesweep_sort_config_static_selectorELNS0_4arch9wavefront6targetE0EEEvSK_.uses_vcc, 1
	.set _ZN7rocprim17ROCPRIM_400000_NS6detail17trampoline_kernelINS0_14default_configENS1_35radix_sort_onesweep_config_selectorIiNS0_10empty_typeEEEZZNS1_29radix_sort_onesweep_iterationIS3_Lb1EN6thrust23THRUST_200600_302600_NS6detail15normal_iteratorINS9_10device_ptrIiEEEESE_PS5_SF_jNS0_19identity_decomposerENS1_16block_id_wrapperIjLb0EEEEE10hipError_tT1_PNSt15iterator_traitsISK_E10value_typeET2_T3_PNSL_ISQ_E10value_typeET4_T5_PSV_SW_PNS1_23onesweep_lookback_stateEbbT6_jjT7_P12ihipStream_tbENKUlT_T0_SK_SP_E_clIPiSE_SF_SF_EEDaS13_S14_SK_SP_EUlS13_E_NS1_11comp_targetILNS1_3genE8ELNS1_11target_archE1030ELNS1_3gpuE2ELNS1_3repE0EEENS1_47radix_sort_onesweep_sort_config_static_selectorELNS0_4arch9wavefront6targetE0EEEvSK_.uses_flat_scratch, 0
	.set _ZN7rocprim17ROCPRIM_400000_NS6detail17trampoline_kernelINS0_14default_configENS1_35radix_sort_onesweep_config_selectorIiNS0_10empty_typeEEEZZNS1_29radix_sort_onesweep_iterationIS3_Lb1EN6thrust23THRUST_200600_302600_NS6detail15normal_iteratorINS9_10device_ptrIiEEEESE_PS5_SF_jNS0_19identity_decomposerENS1_16block_id_wrapperIjLb0EEEEE10hipError_tT1_PNSt15iterator_traitsISK_E10value_typeET2_T3_PNSL_ISQ_E10value_typeET4_T5_PSV_SW_PNS1_23onesweep_lookback_stateEbbT6_jjT7_P12ihipStream_tbENKUlT_T0_SK_SP_E_clIPiSE_SF_SF_EEDaS13_S14_SK_SP_EUlS13_E_NS1_11comp_targetILNS1_3genE8ELNS1_11target_archE1030ELNS1_3gpuE2ELNS1_3repE0EEENS1_47radix_sort_onesweep_sort_config_static_selectorELNS0_4arch9wavefront6targetE0EEEvSK_.has_dyn_sized_stack, 0
	.set _ZN7rocprim17ROCPRIM_400000_NS6detail17trampoline_kernelINS0_14default_configENS1_35radix_sort_onesweep_config_selectorIiNS0_10empty_typeEEEZZNS1_29radix_sort_onesweep_iterationIS3_Lb1EN6thrust23THRUST_200600_302600_NS6detail15normal_iteratorINS9_10device_ptrIiEEEESE_PS5_SF_jNS0_19identity_decomposerENS1_16block_id_wrapperIjLb0EEEEE10hipError_tT1_PNSt15iterator_traitsISK_E10value_typeET2_T3_PNSL_ISQ_E10value_typeET4_T5_PSV_SW_PNS1_23onesweep_lookback_stateEbbT6_jjT7_P12ihipStream_tbENKUlT_T0_SK_SP_E_clIPiSE_SF_SF_EEDaS13_S14_SK_SP_EUlS13_E_NS1_11comp_targetILNS1_3genE8ELNS1_11target_archE1030ELNS1_3gpuE2ELNS1_3repE0EEENS1_47radix_sort_onesweep_sort_config_static_selectorELNS0_4arch9wavefront6targetE0EEEvSK_.has_recursion, 0
	.set _ZN7rocprim17ROCPRIM_400000_NS6detail17trampoline_kernelINS0_14default_configENS1_35radix_sort_onesweep_config_selectorIiNS0_10empty_typeEEEZZNS1_29radix_sort_onesweep_iterationIS3_Lb1EN6thrust23THRUST_200600_302600_NS6detail15normal_iteratorINS9_10device_ptrIiEEEESE_PS5_SF_jNS0_19identity_decomposerENS1_16block_id_wrapperIjLb0EEEEE10hipError_tT1_PNSt15iterator_traitsISK_E10value_typeET2_T3_PNSL_ISQ_E10value_typeET4_T5_PSV_SW_PNS1_23onesweep_lookback_stateEbbT6_jjT7_P12ihipStream_tbENKUlT_T0_SK_SP_E_clIPiSE_SF_SF_EEDaS13_S14_SK_SP_EUlS13_E_NS1_11comp_targetILNS1_3genE8ELNS1_11target_archE1030ELNS1_3gpuE2ELNS1_3repE0EEENS1_47radix_sort_onesweep_sort_config_static_selectorELNS0_4arch9wavefront6targetE0EEEvSK_.has_indirect_call, 0
	.section	.AMDGPU.csdata,"",@progbits
; Kernel info:
; codeLenInByte = 6652
; TotalNumSgprs: 27
; NumVgprs: 34
; ScratchSize: 0
; MemoryBound: 0
; FloatMode: 240
; IeeeMode: 1
; LDSByteSize: 37000 bytes/workgroup (compile time only)
; SGPRBlocks: 0
; VGPRBlocks: 4
; NumSGPRsForWavesPerEU: 27
; NumVGPRsForWavesPerEU: 34
; Occupancy: 16
; WaveLimiterHint : 1
; COMPUTE_PGM_RSRC2:SCRATCH_EN: 0
; COMPUTE_PGM_RSRC2:USER_SGPR: 6
; COMPUTE_PGM_RSRC2:TRAP_HANDLER: 0
; COMPUTE_PGM_RSRC2:TGID_X_EN: 1
; COMPUTE_PGM_RSRC2:TGID_Y_EN: 0
; COMPUTE_PGM_RSRC2:TGID_Z_EN: 0
; COMPUTE_PGM_RSRC2:TIDIG_COMP_CNT: 2
	.section	.text._ZN7rocprim17ROCPRIM_400000_NS6detail44device_merge_sort_compile_time_verifier_archINS1_11comp_targetILNS1_3genE0ELNS1_11target_archE4294967295ELNS1_3gpuE0ELNS1_3repE0EEES8_NS0_14default_configES9_NS1_37merge_sort_block_sort_config_selectorIiNS0_10empty_typeEEENS1_38merge_sort_block_merge_config_selectorIiSB_EEEEvv,"axG",@progbits,_ZN7rocprim17ROCPRIM_400000_NS6detail44device_merge_sort_compile_time_verifier_archINS1_11comp_targetILNS1_3genE0ELNS1_11target_archE4294967295ELNS1_3gpuE0ELNS1_3repE0EEES8_NS0_14default_configES9_NS1_37merge_sort_block_sort_config_selectorIiNS0_10empty_typeEEENS1_38merge_sort_block_merge_config_selectorIiSB_EEEEvv,comdat
	.protected	_ZN7rocprim17ROCPRIM_400000_NS6detail44device_merge_sort_compile_time_verifier_archINS1_11comp_targetILNS1_3genE0ELNS1_11target_archE4294967295ELNS1_3gpuE0ELNS1_3repE0EEES8_NS0_14default_configES9_NS1_37merge_sort_block_sort_config_selectorIiNS0_10empty_typeEEENS1_38merge_sort_block_merge_config_selectorIiSB_EEEEvv ; -- Begin function _ZN7rocprim17ROCPRIM_400000_NS6detail44device_merge_sort_compile_time_verifier_archINS1_11comp_targetILNS1_3genE0ELNS1_11target_archE4294967295ELNS1_3gpuE0ELNS1_3repE0EEES8_NS0_14default_configES9_NS1_37merge_sort_block_sort_config_selectorIiNS0_10empty_typeEEENS1_38merge_sort_block_merge_config_selectorIiSB_EEEEvv
	.globl	_ZN7rocprim17ROCPRIM_400000_NS6detail44device_merge_sort_compile_time_verifier_archINS1_11comp_targetILNS1_3genE0ELNS1_11target_archE4294967295ELNS1_3gpuE0ELNS1_3repE0EEES8_NS0_14default_configES9_NS1_37merge_sort_block_sort_config_selectorIiNS0_10empty_typeEEENS1_38merge_sort_block_merge_config_selectorIiSB_EEEEvv
	.p2align	8
	.type	_ZN7rocprim17ROCPRIM_400000_NS6detail44device_merge_sort_compile_time_verifier_archINS1_11comp_targetILNS1_3genE0ELNS1_11target_archE4294967295ELNS1_3gpuE0ELNS1_3repE0EEES8_NS0_14default_configES9_NS1_37merge_sort_block_sort_config_selectorIiNS0_10empty_typeEEENS1_38merge_sort_block_merge_config_selectorIiSB_EEEEvv,@function
_ZN7rocprim17ROCPRIM_400000_NS6detail44device_merge_sort_compile_time_verifier_archINS1_11comp_targetILNS1_3genE0ELNS1_11target_archE4294967295ELNS1_3gpuE0ELNS1_3repE0EEES8_NS0_14default_configES9_NS1_37merge_sort_block_sort_config_selectorIiNS0_10empty_typeEEENS1_38merge_sort_block_merge_config_selectorIiSB_EEEEvv: ; @_ZN7rocprim17ROCPRIM_400000_NS6detail44device_merge_sort_compile_time_verifier_archINS1_11comp_targetILNS1_3genE0ELNS1_11target_archE4294967295ELNS1_3gpuE0ELNS1_3repE0EEES8_NS0_14default_configES9_NS1_37merge_sort_block_sort_config_selectorIiNS0_10empty_typeEEENS1_38merge_sort_block_merge_config_selectorIiSB_EEEEvv
; %bb.0:
	s_endpgm
	.section	.rodata,"a",@progbits
	.p2align	6, 0x0
	.amdhsa_kernel _ZN7rocprim17ROCPRIM_400000_NS6detail44device_merge_sort_compile_time_verifier_archINS1_11comp_targetILNS1_3genE0ELNS1_11target_archE4294967295ELNS1_3gpuE0ELNS1_3repE0EEES8_NS0_14default_configES9_NS1_37merge_sort_block_sort_config_selectorIiNS0_10empty_typeEEENS1_38merge_sort_block_merge_config_selectorIiSB_EEEEvv
		.amdhsa_group_segment_fixed_size 0
		.amdhsa_private_segment_fixed_size 0
		.amdhsa_kernarg_size 0
		.amdhsa_user_sgpr_count 4
		.amdhsa_user_sgpr_private_segment_buffer 1
		.amdhsa_user_sgpr_dispatch_ptr 0
		.amdhsa_user_sgpr_queue_ptr 0
		.amdhsa_user_sgpr_kernarg_segment_ptr 0
		.amdhsa_user_sgpr_dispatch_id 0
		.amdhsa_user_sgpr_flat_scratch_init 0
		.amdhsa_user_sgpr_private_segment_size 0
		.amdhsa_wavefront_size32 1
		.amdhsa_uses_dynamic_stack 0
		.amdhsa_system_sgpr_private_segment_wavefront_offset 0
		.amdhsa_system_sgpr_workgroup_id_x 1
		.amdhsa_system_sgpr_workgroup_id_y 0
		.amdhsa_system_sgpr_workgroup_id_z 0
		.amdhsa_system_sgpr_workgroup_info 0
		.amdhsa_system_vgpr_workitem_id 0
		.amdhsa_next_free_vgpr 1
		.amdhsa_next_free_sgpr 1
		.amdhsa_reserve_vcc 0
		.amdhsa_reserve_flat_scratch 0
		.amdhsa_float_round_mode_32 0
		.amdhsa_float_round_mode_16_64 0
		.amdhsa_float_denorm_mode_32 3
		.amdhsa_float_denorm_mode_16_64 3
		.amdhsa_dx10_clamp 1
		.amdhsa_ieee_mode 1
		.amdhsa_fp16_overflow 0
		.amdhsa_workgroup_processor_mode 1
		.amdhsa_memory_ordered 1
		.amdhsa_forward_progress 1
		.amdhsa_shared_vgpr_count 0
		.amdhsa_exception_fp_ieee_invalid_op 0
		.amdhsa_exception_fp_denorm_src 0
		.amdhsa_exception_fp_ieee_div_zero 0
		.amdhsa_exception_fp_ieee_overflow 0
		.amdhsa_exception_fp_ieee_underflow 0
		.amdhsa_exception_fp_ieee_inexact 0
		.amdhsa_exception_int_div_zero 0
	.end_amdhsa_kernel
	.section	.text._ZN7rocprim17ROCPRIM_400000_NS6detail44device_merge_sort_compile_time_verifier_archINS1_11comp_targetILNS1_3genE0ELNS1_11target_archE4294967295ELNS1_3gpuE0ELNS1_3repE0EEES8_NS0_14default_configES9_NS1_37merge_sort_block_sort_config_selectorIiNS0_10empty_typeEEENS1_38merge_sort_block_merge_config_selectorIiSB_EEEEvv,"axG",@progbits,_ZN7rocprim17ROCPRIM_400000_NS6detail44device_merge_sort_compile_time_verifier_archINS1_11comp_targetILNS1_3genE0ELNS1_11target_archE4294967295ELNS1_3gpuE0ELNS1_3repE0EEES8_NS0_14default_configES9_NS1_37merge_sort_block_sort_config_selectorIiNS0_10empty_typeEEENS1_38merge_sort_block_merge_config_selectorIiSB_EEEEvv,comdat
.Lfunc_end390:
	.size	_ZN7rocprim17ROCPRIM_400000_NS6detail44device_merge_sort_compile_time_verifier_archINS1_11comp_targetILNS1_3genE0ELNS1_11target_archE4294967295ELNS1_3gpuE0ELNS1_3repE0EEES8_NS0_14default_configES9_NS1_37merge_sort_block_sort_config_selectorIiNS0_10empty_typeEEENS1_38merge_sort_block_merge_config_selectorIiSB_EEEEvv, .Lfunc_end390-_ZN7rocprim17ROCPRIM_400000_NS6detail44device_merge_sort_compile_time_verifier_archINS1_11comp_targetILNS1_3genE0ELNS1_11target_archE4294967295ELNS1_3gpuE0ELNS1_3repE0EEES8_NS0_14default_configES9_NS1_37merge_sort_block_sort_config_selectorIiNS0_10empty_typeEEENS1_38merge_sort_block_merge_config_selectorIiSB_EEEEvv
                                        ; -- End function
	.set _ZN7rocprim17ROCPRIM_400000_NS6detail44device_merge_sort_compile_time_verifier_archINS1_11comp_targetILNS1_3genE0ELNS1_11target_archE4294967295ELNS1_3gpuE0ELNS1_3repE0EEES8_NS0_14default_configES9_NS1_37merge_sort_block_sort_config_selectorIiNS0_10empty_typeEEENS1_38merge_sort_block_merge_config_selectorIiSB_EEEEvv.num_vgpr, 0
	.set _ZN7rocprim17ROCPRIM_400000_NS6detail44device_merge_sort_compile_time_verifier_archINS1_11comp_targetILNS1_3genE0ELNS1_11target_archE4294967295ELNS1_3gpuE0ELNS1_3repE0EEES8_NS0_14default_configES9_NS1_37merge_sort_block_sort_config_selectorIiNS0_10empty_typeEEENS1_38merge_sort_block_merge_config_selectorIiSB_EEEEvv.num_agpr, 0
	.set _ZN7rocprim17ROCPRIM_400000_NS6detail44device_merge_sort_compile_time_verifier_archINS1_11comp_targetILNS1_3genE0ELNS1_11target_archE4294967295ELNS1_3gpuE0ELNS1_3repE0EEES8_NS0_14default_configES9_NS1_37merge_sort_block_sort_config_selectorIiNS0_10empty_typeEEENS1_38merge_sort_block_merge_config_selectorIiSB_EEEEvv.numbered_sgpr, 0
	.set _ZN7rocprim17ROCPRIM_400000_NS6detail44device_merge_sort_compile_time_verifier_archINS1_11comp_targetILNS1_3genE0ELNS1_11target_archE4294967295ELNS1_3gpuE0ELNS1_3repE0EEES8_NS0_14default_configES9_NS1_37merge_sort_block_sort_config_selectorIiNS0_10empty_typeEEENS1_38merge_sort_block_merge_config_selectorIiSB_EEEEvv.num_named_barrier, 0
	.set _ZN7rocprim17ROCPRIM_400000_NS6detail44device_merge_sort_compile_time_verifier_archINS1_11comp_targetILNS1_3genE0ELNS1_11target_archE4294967295ELNS1_3gpuE0ELNS1_3repE0EEES8_NS0_14default_configES9_NS1_37merge_sort_block_sort_config_selectorIiNS0_10empty_typeEEENS1_38merge_sort_block_merge_config_selectorIiSB_EEEEvv.private_seg_size, 0
	.set _ZN7rocprim17ROCPRIM_400000_NS6detail44device_merge_sort_compile_time_verifier_archINS1_11comp_targetILNS1_3genE0ELNS1_11target_archE4294967295ELNS1_3gpuE0ELNS1_3repE0EEES8_NS0_14default_configES9_NS1_37merge_sort_block_sort_config_selectorIiNS0_10empty_typeEEENS1_38merge_sort_block_merge_config_selectorIiSB_EEEEvv.uses_vcc, 0
	.set _ZN7rocprim17ROCPRIM_400000_NS6detail44device_merge_sort_compile_time_verifier_archINS1_11comp_targetILNS1_3genE0ELNS1_11target_archE4294967295ELNS1_3gpuE0ELNS1_3repE0EEES8_NS0_14default_configES9_NS1_37merge_sort_block_sort_config_selectorIiNS0_10empty_typeEEENS1_38merge_sort_block_merge_config_selectorIiSB_EEEEvv.uses_flat_scratch, 0
	.set _ZN7rocprim17ROCPRIM_400000_NS6detail44device_merge_sort_compile_time_verifier_archINS1_11comp_targetILNS1_3genE0ELNS1_11target_archE4294967295ELNS1_3gpuE0ELNS1_3repE0EEES8_NS0_14default_configES9_NS1_37merge_sort_block_sort_config_selectorIiNS0_10empty_typeEEENS1_38merge_sort_block_merge_config_selectorIiSB_EEEEvv.has_dyn_sized_stack, 0
	.set _ZN7rocprim17ROCPRIM_400000_NS6detail44device_merge_sort_compile_time_verifier_archINS1_11comp_targetILNS1_3genE0ELNS1_11target_archE4294967295ELNS1_3gpuE0ELNS1_3repE0EEES8_NS0_14default_configES9_NS1_37merge_sort_block_sort_config_selectorIiNS0_10empty_typeEEENS1_38merge_sort_block_merge_config_selectorIiSB_EEEEvv.has_recursion, 0
	.set _ZN7rocprim17ROCPRIM_400000_NS6detail44device_merge_sort_compile_time_verifier_archINS1_11comp_targetILNS1_3genE0ELNS1_11target_archE4294967295ELNS1_3gpuE0ELNS1_3repE0EEES8_NS0_14default_configES9_NS1_37merge_sort_block_sort_config_selectorIiNS0_10empty_typeEEENS1_38merge_sort_block_merge_config_selectorIiSB_EEEEvv.has_indirect_call, 0
	.section	.AMDGPU.csdata,"",@progbits
; Kernel info:
; codeLenInByte = 4
; TotalNumSgprs: 0
; NumVgprs: 0
; ScratchSize: 0
; MemoryBound: 0
; FloatMode: 240
; IeeeMode: 1
; LDSByteSize: 0 bytes/workgroup (compile time only)
; SGPRBlocks: 0
; VGPRBlocks: 0
; NumSGPRsForWavesPerEU: 1
; NumVGPRsForWavesPerEU: 1
; Occupancy: 16
; WaveLimiterHint : 0
; COMPUTE_PGM_RSRC2:SCRATCH_EN: 0
; COMPUTE_PGM_RSRC2:USER_SGPR: 4
; COMPUTE_PGM_RSRC2:TRAP_HANDLER: 0
; COMPUTE_PGM_RSRC2:TGID_X_EN: 1
; COMPUTE_PGM_RSRC2:TGID_Y_EN: 0
; COMPUTE_PGM_RSRC2:TGID_Z_EN: 0
; COMPUTE_PGM_RSRC2:TIDIG_COMP_CNT: 0
	.section	.text._ZN7rocprim17ROCPRIM_400000_NS6detail44device_merge_sort_compile_time_verifier_archINS1_11comp_targetILNS1_3genE5ELNS1_11target_archE942ELNS1_3gpuE9ELNS1_3repE0EEES8_NS0_14default_configES9_NS1_37merge_sort_block_sort_config_selectorIiNS0_10empty_typeEEENS1_38merge_sort_block_merge_config_selectorIiSB_EEEEvv,"axG",@progbits,_ZN7rocprim17ROCPRIM_400000_NS6detail44device_merge_sort_compile_time_verifier_archINS1_11comp_targetILNS1_3genE5ELNS1_11target_archE942ELNS1_3gpuE9ELNS1_3repE0EEES8_NS0_14default_configES9_NS1_37merge_sort_block_sort_config_selectorIiNS0_10empty_typeEEENS1_38merge_sort_block_merge_config_selectorIiSB_EEEEvv,comdat
	.protected	_ZN7rocprim17ROCPRIM_400000_NS6detail44device_merge_sort_compile_time_verifier_archINS1_11comp_targetILNS1_3genE5ELNS1_11target_archE942ELNS1_3gpuE9ELNS1_3repE0EEES8_NS0_14default_configES9_NS1_37merge_sort_block_sort_config_selectorIiNS0_10empty_typeEEENS1_38merge_sort_block_merge_config_selectorIiSB_EEEEvv ; -- Begin function _ZN7rocprim17ROCPRIM_400000_NS6detail44device_merge_sort_compile_time_verifier_archINS1_11comp_targetILNS1_3genE5ELNS1_11target_archE942ELNS1_3gpuE9ELNS1_3repE0EEES8_NS0_14default_configES9_NS1_37merge_sort_block_sort_config_selectorIiNS0_10empty_typeEEENS1_38merge_sort_block_merge_config_selectorIiSB_EEEEvv
	.globl	_ZN7rocprim17ROCPRIM_400000_NS6detail44device_merge_sort_compile_time_verifier_archINS1_11comp_targetILNS1_3genE5ELNS1_11target_archE942ELNS1_3gpuE9ELNS1_3repE0EEES8_NS0_14default_configES9_NS1_37merge_sort_block_sort_config_selectorIiNS0_10empty_typeEEENS1_38merge_sort_block_merge_config_selectorIiSB_EEEEvv
	.p2align	8
	.type	_ZN7rocprim17ROCPRIM_400000_NS6detail44device_merge_sort_compile_time_verifier_archINS1_11comp_targetILNS1_3genE5ELNS1_11target_archE942ELNS1_3gpuE9ELNS1_3repE0EEES8_NS0_14default_configES9_NS1_37merge_sort_block_sort_config_selectorIiNS0_10empty_typeEEENS1_38merge_sort_block_merge_config_selectorIiSB_EEEEvv,@function
_ZN7rocprim17ROCPRIM_400000_NS6detail44device_merge_sort_compile_time_verifier_archINS1_11comp_targetILNS1_3genE5ELNS1_11target_archE942ELNS1_3gpuE9ELNS1_3repE0EEES8_NS0_14default_configES9_NS1_37merge_sort_block_sort_config_selectorIiNS0_10empty_typeEEENS1_38merge_sort_block_merge_config_selectorIiSB_EEEEvv: ; @_ZN7rocprim17ROCPRIM_400000_NS6detail44device_merge_sort_compile_time_verifier_archINS1_11comp_targetILNS1_3genE5ELNS1_11target_archE942ELNS1_3gpuE9ELNS1_3repE0EEES8_NS0_14default_configES9_NS1_37merge_sort_block_sort_config_selectorIiNS0_10empty_typeEEENS1_38merge_sort_block_merge_config_selectorIiSB_EEEEvv
; %bb.0:
	s_endpgm
	.section	.rodata,"a",@progbits
	.p2align	6, 0x0
	.amdhsa_kernel _ZN7rocprim17ROCPRIM_400000_NS6detail44device_merge_sort_compile_time_verifier_archINS1_11comp_targetILNS1_3genE5ELNS1_11target_archE942ELNS1_3gpuE9ELNS1_3repE0EEES8_NS0_14default_configES9_NS1_37merge_sort_block_sort_config_selectorIiNS0_10empty_typeEEENS1_38merge_sort_block_merge_config_selectorIiSB_EEEEvv
		.amdhsa_group_segment_fixed_size 0
		.amdhsa_private_segment_fixed_size 0
		.amdhsa_kernarg_size 0
		.amdhsa_user_sgpr_count 4
		.amdhsa_user_sgpr_private_segment_buffer 1
		.amdhsa_user_sgpr_dispatch_ptr 0
		.amdhsa_user_sgpr_queue_ptr 0
		.amdhsa_user_sgpr_kernarg_segment_ptr 0
		.amdhsa_user_sgpr_dispatch_id 0
		.amdhsa_user_sgpr_flat_scratch_init 0
		.amdhsa_user_sgpr_private_segment_size 0
		.amdhsa_wavefront_size32 1
		.amdhsa_uses_dynamic_stack 0
		.amdhsa_system_sgpr_private_segment_wavefront_offset 0
		.amdhsa_system_sgpr_workgroup_id_x 1
		.amdhsa_system_sgpr_workgroup_id_y 0
		.amdhsa_system_sgpr_workgroup_id_z 0
		.amdhsa_system_sgpr_workgroup_info 0
		.amdhsa_system_vgpr_workitem_id 0
		.amdhsa_next_free_vgpr 1
		.amdhsa_next_free_sgpr 1
		.amdhsa_reserve_vcc 0
		.amdhsa_reserve_flat_scratch 0
		.amdhsa_float_round_mode_32 0
		.amdhsa_float_round_mode_16_64 0
		.amdhsa_float_denorm_mode_32 3
		.amdhsa_float_denorm_mode_16_64 3
		.amdhsa_dx10_clamp 1
		.amdhsa_ieee_mode 1
		.amdhsa_fp16_overflow 0
		.amdhsa_workgroup_processor_mode 1
		.amdhsa_memory_ordered 1
		.amdhsa_forward_progress 1
		.amdhsa_shared_vgpr_count 0
		.amdhsa_exception_fp_ieee_invalid_op 0
		.amdhsa_exception_fp_denorm_src 0
		.amdhsa_exception_fp_ieee_div_zero 0
		.amdhsa_exception_fp_ieee_overflow 0
		.amdhsa_exception_fp_ieee_underflow 0
		.amdhsa_exception_fp_ieee_inexact 0
		.amdhsa_exception_int_div_zero 0
	.end_amdhsa_kernel
	.section	.text._ZN7rocprim17ROCPRIM_400000_NS6detail44device_merge_sort_compile_time_verifier_archINS1_11comp_targetILNS1_3genE5ELNS1_11target_archE942ELNS1_3gpuE9ELNS1_3repE0EEES8_NS0_14default_configES9_NS1_37merge_sort_block_sort_config_selectorIiNS0_10empty_typeEEENS1_38merge_sort_block_merge_config_selectorIiSB_EEEEvv,"axG",@progbits,_ZN7rocprim17ROCPRIM_400000_NS6detail44device_merge_sort_compile_time_verifier_archINS1_11comp_targetILNS1_3genE5ELNS1_11target_archE942ELNS1_3gpuE9ELNS1_3repE0EEES8_NS0_14default_configES9_NS1_37merge_sort_block_sort_config_selectorIiNS0_10empty_typeEEENS1_38merge_sort_block_merge_config_selectorIiSB_EEEEvv,comdat
.Lfunc_end391:
	.size	_ZN7rocprim17ROCPRIM_400000_NS6detail44device_merge_sort_compile_time_verifier_archINS1_11comp_targetILNS1_3genE5ELNS1_11target_archE942ELNS1_3gpuE9ELNS1_3repE0EEES8_NS0_14default_configES9_NS1_37merge_sort_block_sort_config_selectorIiNS0_10empty_typeEEENS1_38merge_sort_block_merge_config_selectorIiSB_EEEEvv, .Lfunc_end391-_ZN7rocprim17ROCPRIM_400000_NS6detail44device_merge_sort_compile_time_verifier_archINS1_11comp_targetILNS1_3genE5ELNS1_11target_archE942ELNS1_3gpuE9ELNS1_3repE0EEES8_NS0_14default_configES9_NS1_37merge_sort_block_sort_config_selectorIiNS0_10empty_typeEEENS1_38merge_sort_block_merge_config_selectorIiSB_EEEEvv
                                        ; -- End function
	.set _ZN7rocprim17ROCPRIM_400000_NS6detail44device_merge_sort_compile_time_verifier_archINS1_11comp_targetILNS1_3genE5ELNS1_11target_archE942ELNS1_3gpuE9ELNS1_3repE0EEES8_NS0_14default_configES9_NS1_37merge_sort_block_sort_config_selectorIiNS0_10empty_typeEEENS1_38merge_sort_block_merge_config_selectorIiSB_EEEEvv.num_vgpr, 0
	.set _ZN7rocprim17ROCPRIM_400000_NS6detail44device_merge_sort_compile_time_verifier_archINS1_11comp_targetILNS1_3genE5ELNS1_11target_archE942ELNS1_3gpuE9ELNS1_3repE0EEES8_NS0_14default_configES9_NS1_37merge_sort_block_sort_config_selectorIiNS0_10empty_typeEEENS1_38merge_sort_block_merge_config_selectorIiSB_EEEEvv.num_agpr, 0
	.set _ZN7rocprim17ROCPRIM_400000_NS6detail44device_merge_sort_compile_time_verifier_archINS1_11comp_targetILNS1_3genE5ELNS1_11target_archE942ELNS1_3gpuE9ELNS1_3repE0EEES8_NS0_14default_configES9_NS1_37merge_sort_block_sort_config_selectorIiNS0_10empty_typeEEENS1_38merge_sort_block_merge_config_selectorIiSB_EEEEvv.numbered_sgpr, 0
	.set _ZN7rocprim17ROCPRIM_400000_NS6detail44device_merge_sort_compile_time_verifier_archINS1_11comp_targetILNS1_3genE5ELNS1_11target_archE942ELNS1_3gpuE9ELNS1_3repE0EEES8_NS0_14default_configES9_NS1_37merge_sort_block_sort_config_selectorIiNS0_10empty_typeEEENS1_38merge_sort_block_merge_config_selectorIiSB_EEEEvv.num_named_barrier, 0
	.set _ZN7rocprim17ROCPRIM_400000_NS6detail44device_merge_sort_compile_time_verifier_archINS1_11comp_targetILNS1_3genE5ELNS1_11target_archE942ELNS1_3gpuE9ELNS1_3repE0EEES8_NS0_14default_configES9_NS1_37merge_sort_block_sort_config_selectorIiNS0_10empty_typeEEENS1_38merge_sort_block_merge_config_selectorIiSB_EEEEvv.private_seg_size, 0
	.set _ZN7rocprim17ROCPRIM_400000_NS6detail44device_merge_sort_compile_time_verifier_archINS1_11comp_targetILNS1_3genE5ELNS1_11target_archE942ELNS1_3gpuE9ELNS1_3repE0EEES8_NS0_14default_configES9_NS1_37merge_sort_block_sort_config_selectorIiNS0_10empty_typeEEENS1_38merge_sort_block_merge_config_selectorIiSB_EEEEvv.uses_vcc, 0
	.set _ZN7rocprim17ROCPRIM_400000_NS6detail44device_merge_sort_compile_time_verifier_archINS1_11comp_targetILNS1_3genE5ELNS1_11target_archE942ELNS1_3gpuE9ELNS1_3repE0EEES8_NS0_14default_configES9_NS1_37merge_sort_block_sort_config_selectorIiNS0_10empty_typeEEENS1_38merge_sort_block_merge_config_selectorIiSB_EEEEvv.uses_flat_scratch, 0
	.set _ZN7rocprim17ROCPRIM_400000_NS6detail44device_merge_sort_compile_time_verifier_archINS1_11comp_targetILNS1_3genE5ELNS1_11target_archE942ELNS1_3gpuE9ELNS1_3repE0EEES8_NS0_14default_configES9_NS1_37merge_sort_block_sort_config_selectorIiNS0_10empty_typeEEENS1_38merge_sort_block_merge_config_selectorIiSB_EEEEvv.has_dyn_sized_stack, 0
	.set _ZN7rocprim17ROCPRIM_400000_NS6detail44device_merge_sort_compile_time_verifier_archINS1_11comp_targetILNS1_3genE5ELNS1_11target_archE942ELNS1_3gpuE9ELNS1_3repE0EEES8_NS0_14default_configES9_NS1_37merge_sort_block_sort_config_selectorIiNS0_10empty_typeEEENS1_38merge_sort_block_merge_config_selectorIiSB_EEEEvv.has_recursion, 0
	.set _ZN7rocprim17ROCPRIM_400000_NS6detail44device_merge_sort_compile_time_verifier_archINS1_11comp_targetILNS1_3genE5ELNS1_11target_archE942ELNS1_3gpuE9ELNS1_3repE0EEES8_NS0_14default_configES9_NS1_37merge_sort_block_sort_config_selectorIiNS0_10empty_typeEEENS1_38merge_sort_block_merge_config_selectorIiSB_EEEEvv.has_indirect_call, 0
	.section	.AMDGPU.csdata,"",@progbits
; Kernel info:
; codeLenInByte = 4
; TotalNumSgprs: 0
; NumVgprs: 0
; ScratchSize: 0
; MemoryBound: 0
; FloatMode: 240
; IeeeMode: 1
; LDSByteSize: 0 bytes/workgroup (compile time only)
; SGPRBlocks: 0
; VGPRBlocks: 0
; NumSGPRsForWavesPerEU: 1
; NumVGPRsForWavesPerEU: 1
; Occupancy: 16
; WaveLimiterHint : 0
; COMPUTE_PGM_RSRC2:SCRATCH_EN: 0
; COMPUTE_PGM_RSRC2:USER_SGPR: 4
; COMPUTE_PGM_RSRC2:TRAP_HANDLER: 0
; COMPUTE_PGM_RSRC2:TGID_X_EN: 1
; COMPUTE_PGM_RSRC2:TGID_Y_EN: 0
; COMPUTE_PGM_RSRC2:TGID_Z_EN: 0
; COMPUTE_PGM_RSRC2:TIDIG_COMP_CNT: 0
	.section	.text._ZN7rocprim17ROCPRIM_400000_NS6detail44device_merge_sort_compile_time_verifier_archINS1_11comp_targetILNS1_3genE4ELNS1_11target_archE910ELNS1_3gpuE8ELNS1_3repE0EEES8_NS0_14default_configES9_NS1_37merge_sort_block_sort_config_selectorIiNS0_10empty_typeEEENS1_38merge_sort_block_merge_config_selectorIiSB_EEEEvv,"axG",@progbits,_ZN7rocprim17ROCPRIM_400000_NS6detail44device_merge_sort_compile_time_verifier_archINS1_11comp_targetILNS1_3genE4ELNS1_11target_archE910ELNS1_3gpuE8ELNS1_3repE0EEES8_NS0_14default_configES9_NS1_37merge_sort_block_sort_config_selectorIiNS0_10empty_typeEEENS1_38merge_sort_block_merge_config_selectorIiSB_EEEEvv,comdat
	.protected	_ZN7rocprim17ROCPRIM_400000_NS6detail44device_merge_sort_compile_time_verifier_archINS1_11comp_targetILNS1_3genE4ELNS1_11target_archE910ELNS1_3gpuE8ELNS1_3repE0EEES8_NS0_14default_configES9_NS1_37merge_sort_block_sort_config_selectorIiNS0_10empty_typeEEENS1_38merge_sort_block_merge_config_selectorIiSB_EEEEvv ; -- Begin function _ZN7rocprim17ROCPRIM_400000_NS6detail44device_merge_sort_compile_time_verifier_archINS1_11comp_targetILNS1_3genE4ELNS1_11target_archE910ELNS1_3gpuE8ELNS1_3repE0EEES8_NS0_14default_configES9_NS1_37merge_sort_block_sort_config_selectorIiNS0_10empty_typeEEENS1_38merge_sort_block_merge_config_selectorIiSB_EEEEvv
	.globl	_ZN7rocprim17ROCPRIM_400000_NS6detail44device_merge_sort_compile_time_verifier_archINS1_11comp_targetILNS1_3genE4ELNS1_11target_archE910ELNS1_3gpuE8ELNS1_3repE0EEES8_NS0_14default_configES9_NS1_37merge_sort_block_sort_config_selectorIiNS0_10empty_typeEEENS1_38merge_sort_block_merge_config_selectorIiSB_EEEEvv
	.p2align	8
	.type	_ZN7rocprim17ROCPRIM_400000_NS6detail44device_merge_sort_compile_time_verifier_archINS1_11comp_targetILNS1_3genE4ELNS1_11target_archE910ELNS1_3gpuE8ELNS1_3repE0EEES8_NS0_14default_configES9_NS1_37merge_sort_block_sort_config_selectorIiNS0_10empty_typeEEENS1_38merge_sort_block_merge_config_selectorIiSB_EEEEvv,@function
_ZN7rocprim17ROCPRIM_400000_NS6detail44device_merge_sort_compile_time_verifier_archINS1_11comp_targetILNS1_3genE4ELNS1_11target_archE910ELNS1_3gpuE8ELNS1_3repE0EEES8_NS0_14default_configES9_NS1_37merge_sort_block_sort_config_selectorIiNS0_10empty_typeEEENS1_38merge_sort_block_merge_config_selectorIiSB_EEEEvv: ; @_ZN7rocprim17ROCPRIM_400000_NS6detail44device_merge_sort_compile_time_verifier_archINS1_11comp_targetILNS1_3genE4ELNS1_11target_archE910ELNS1_3gpuE8ELNS1_3repE0EEES8_NS0_14default_configES9_NS1_37merge_sort_block_sort_config_selectorIiNS0_10empty_typeEEENS1_38merge_sort_block_merge_config_selectorIiSB_EEEEvv
; %bb.0:
	s_endpgm
	.section	.rodata,"a",@progbits
	.p2align	6, 0x0
	.amdhsa_kernel _ZN7rocprim17ROCPRIM_400000_NS6detail44device_merge_sort_compile_time_verifier_archINS1_11comp_targetILNS1_3genE4ELNS1_11target_archE910ELNS1_3gpuE8ELNS1_3repE0EEES8_NS0_14default_configES9_NS1_37merge_sort_block_sort_config_selectorIiNS0_10empty_typeEEENS1_38merge_sort_block_merge_config_selectorIiSB_EEEEvv
		.amdhsa_group_segment_fixed_size 0
		.amdhsa_private_segment_fixed_size 0
		.amdhsa_kernarg_size 0
		.amdhsa_user_sgpr_count 4
		.amdhsa_user_sgpr_private_segment_buffer 1
		.amdhsa_user_sgpr_dispatch_ptr 0
		.amdhsa_user_sgpr_queue_ptr 0
		.amdhsa_user_sgpr_kernarg_segment_ptr 0
		.amdhsa_user_sgpr_dispatch_id 0
		.amdhsa_user_sgpr_flat_scratch_init 0
		.amdhsa_user_sgpr_private_segment_size 0
		.amdhsa_wavefront_size32 1
		.amdhsa_uses_dynamic_stack 0
		.amdhsa_system_sgpr_private_segment_wavefront_offset 0
		.amdhsa_system_sgpr_workgroup_id_x 1
		.amdhsa_system_sgpr_workgroup_id_y 0
		.amdhsa_system_sgpr_workgroup_id_z 0
		.amdhsa_system_sgpr_workgroup_info 0
		.amdhsa_system_vgpr_workitem_id 0
		.amdhsa_next_free_vgpr 1
		.amdhsa_next_free_sgpr 1
		.amdhsa_reserve_vcc 0
		.amdhsa_reserve_flat_scratch 0
		.amdhsa_float_round_mode_32 0
		.amdhsa_float_round_mode_16_64 0
		.amdhsa_float_denorm_mode_32 3
		.amdhsa_float_denorm_mode_16_64 3
		.amdhsa_dx10_clamp 1
		.amdhsa_ieee_mode 1
		.amdhsa_fp16_overflow 0
		.amdhsa_workgroup_processor_mode 1
		.amdhsa_memory_ordered 1
		.amdhsa_forward_progress 1
		.amdhsa_shared_vgpr_count 0
		.amdhsa_exception_fp_ieee_invalid_op 0
		.amdhsa_exception_fp_denorm_src 0
		.amdhsa_exception_fp_ieee_div_zero 0
		.amdhsa_exception_fp_ieee_overflow 0
		.amdhsa_exception_fp_ieee_underflow 0
		.amdhsa_exception_fp_ieee_inexact 0
		.amdhsa_exception_int_div_zero 0
	.end_amdhsa_kernel
	.section	.text._ZN7rocprim17ROCPRIM_400000_NS6detail44device_merge_sort_compile_time_verifier_archINS1_11comp_targetILNS1_3genE4ELNS1_11target_archE910ELNS1_3gpuE8ELNS1_3repE0EEES8_NS0_14default_configES9_NS1_37merge_sort_block_sort_config_selectorIiNS0_10empty_typeEEENS1_38merge_sort_block_merge_config_selectorIiSB_EEEEvv,"axG",@progbits,_ZN7rocprim17ROCPRIM_400000_NS6detail44device_merge_sort_compile_time_verifier_archINS1_11comp_targetILNS1_3genE4ELNS1_11target_archE910ELNS1_3gpuE8ELNS1_3repE0EEES8_NS0_14default_configES9_NS1_37merge_sort_block_sort_config_selectorIiNS0_10empty_typeEEENS1_38merge_sort_block_merge_config_selectorIiSB_EEEEvv,comdat
.Lfunc_end392:
	.size	_ZN7rocprim17ROCPRIM_400000_NS6detail44device_merge_sort_compile_time_verifier_archINS1_11comp_targetILNS1_3genE4ELNS1_11target_archE910ELNS1_3gpuE8ELNS1_3repE0EEES8_NS0_14default_configES9_NS1_37merge_sort_block_sort_config_selectorIiNS0_10empty_typeEEENS1_38merge_sort_block_merge_config_selectorIiSB_EEEEvv, .Lfunc_end392-_ZN7rocprim17ROCPRIM_400000_NS6detail44device_merge_sort_compile_time_verifier_archINS1_11comp_targetILNS1_3genE4ELNS1_11target_archE910ELNS1_3gpuE8ELNS1_3repE0EEES8_NS0_14default_configES9_NS1_37merge_sort_block_sort_config_selectorIiNS0_10empty_typeEEENS1_38merge_sort_block_merge_config_selectorIiSB_EEEEvv
                                        ; -- End function
	.set _ZN7rocprim17ROCPRIM_400000_NS6detail44device_merge_sort_compile_time_verifier_archINS1_11comp_targetILNS1_3genE4ELNS1_11target_archE910ELNS1_3gpuE8ELNS1_3repE0EEES8_NS0_14default_configES9_NS1_37merge_sort_block_sort_config_selectorIiNS0_10empty_typeEEENS1_38merge_sort_block_merge_config_selectorIiSB_EEEEvv.num_vgpr, 0
	.set _ZN7rocprim17ROCPRIM_400000_NS6detail44device_merge_sort_compile_time_verifier_archINS1_11comp_targetILNS1_3genE4ELNS1_11target_archE910ELNS1_3gpuE8ELNS1_3repE0EEES8_NS0_14default_configES9_NS1_37merge_sort_block_sort_config_selectorIiNS0_10empty_typeEEENS1_38merge_sort_block_merge_config_selectorIiSB_EEEEvv.num_agpr, 0
	.set _ZN7rocprim17ROCPRIM_400000_NS6detail44device_merge_sort_compile_time_verifier_archINS1_11comp_targetILNS1_3genE4ELNS1_11target_archE910ELNS1_3gpuE8ELNS1_3repE0EEES8_NS0_14default_configES9_NS1_37merge_sort_block_sort_config_selectorIiNS0_10empty_typeEEENS1_38merge_sort_block_merge_config_selectorIiSB_EEEEvv.numbered_sgpr, 0
	.set _ZN7rocprim17ROCPRIM_400000_NS6detail44device_merge_sort_compile_time_verifier_archINS1_11comp_targetILNS1_3genE4ELNS1_11target_archE910ELNS1_3gpuE8ELNS1_3repE0EEES8_NS0_14default_configES9_NS1_37merge_sort_block_sort_config_selectorIiNS0_10empty_typeEEENS1_38merge_sort_block_merge_config_selectorIiSB_EEEEvv.num_named_barrier, 0
	.set _ZN7rocprim17ROCPRIM_400000_NS6detail44device_merge_sort_compile_time_verifier_archINS1_11comp_targetILNS1_3genE4ELNS1_11target_archE910ELNS1_3gpuE8ELNS1_3repE0EEES8_NS0_14default_configES9_NS1_37merge_sort_block_sort_config_selectorIiNS0_10empty_typeEEENS1_38merge_sort_block_merge_config_selectorIiSB_EEEEvv.private_seg_size, 0
	.set _ZN7rocprim17ROCPRIM_400000_NS6detail44device_merge_sort_compile_time_verifier_archINS1_11comp_targetILNS1_3genE4ELNS1_11target_archE910ELNS1_3gpuE8ELNS1_3repE0EEES8_NS0_14default_configES9_NS1_37merge_sort_block_sort_config_selectorIiNS0_10empty_typeEEENS1_38merge_sort_block_merge_config_selectorIiSB_EEEEvv.uses_vcc, 0
	.set _ZN7rocprim17ROCPRIM_400000_NS6detail44device_merge_sort_compile_time_verifier_archINS1_11comp_targetILNS1_3genE4ELNS1_11target_archE910ELNS1_3gpuE8ELNS1_3repE0EEES8_NS0_14default_configES9_NS1_37merge_sort_block_sort_config_selectorIiNS0_10empty_typeEEENS1_38merge_sort_block_merge_config_selectorIiSB_EEEEvv.uses_flat_scratch, 0
	.set _ZN7rocprim17ROCPRIM_400000_NS6detail44device_merge_sort_compile_time_verifier_archINS1_11comp_targetILNS1_3genE4ELNS1_11target_archE910ELNS1_3gpuE8ELNS1_3repE0EEES8_NS0_14default_configES9_NS1_37merge_sort_block_sort_config_selectorIiNS0_10empty_typeEEENS1_38merge_sort_block_merge_config_selectorIiSB_EEEEvv.has_dyn_sized_stack, 0
	.set _ZN7rocprim17ROCPRIM_400000_NS6detail44device_merge_sort_compile_time_verifier_archINS1_11comp_targetILNS1_3genE4ELNS1_11target_archE910ELNS1_3gpuE8ELNS1_3repE0EEES8_NS0_14default_configES9_NS1_37merge_sort_block_sort_config_selectorIiNS0_10empty_typeEEENS1_38merge_sort_block_merge_config_selectorIiSB_EEEEvv.has_recursion, 0
	.set _ZN7rocprim17ROCPRIM_400000_NS6detail44device_merge_sort_compile_time_verifier_archINS1_11comp_targetILNS1_3genE4ELNS1_11target_archE910ELNS1_3gpuE8ELNS1_3repE0EEES8_NS0_14default_configES9_NS1_37merge_sort_block_sort_config_selectorIiNS0_10empty_typeEEENS1_38merge_sort_block_merge_config_selectorIiSB_EEEEvv.has_indirect_call, 0
	.section	.AMDGPU.csdata,"",@progbits
; Kernel info:
; codeLenInByte = 4
; TotalNumSgprs: 0
; NumVgprs: 0
; ScratchSize: 0
; MemoryBound: 0
; FloatMode: 240
; IeeeMode: 1
; LDSByteSize: 0 bytes/workgroup (compile time only)
; SGPRBlocks: 0
; VGPRBlocks: 0
; NumSGPRsForWavesPerEU: 1
; NumVGPRsForWavesPerEU: 1
; Occupancy: 16
; WaveLimiterHint : 0
; COMPUTE_PGM_RSRC2:SCRATCH_EN: 0
; COMPUTE_PGM_RSRC2:USER_SGPR: 4
; COMPUTE_PGM_RSRC2:TRAP_HANDLER: 0
; COMPUTE_PGM_RSRC2:TGID_X_EN: 1
; COMPUTE_PGM_RSRC2:TGID_Y_EN: 0
; COMPUTE_PGM_RSRC2:TGID_Z_EN: 0
; COMPUTE_PGM_RSRC2:TIDIG_COMP_CNT: 0
	.section	.text._ZN7rocprim17ROCPRIM_400000_NS6detail44device_merge_sort_compile_time_verifier_archINS1_11comp_targetILNS1_3genE3ELNS1_11target_archE908ELNS1_3gpuE7ELNS1_3repE0EEES8_NS0_14default_configES9_NS1_37merge_sort_block_sort_config_selectorIiNS0_10empty_typeEEENS1_38merge_sort_block_merge_config_selectorIiSB_EEEEvv,"axG",@progbits,_ZN7rocprim17ROCPRIM_400000_NS6detail44device_merge_sort_compile_time_verifier_archINS1_11comp_targetILNS1_3genE3ELNS1_11target_archE908ELNS1_3gpuE7ELNS1_3repE0EEES8_NS0_14default_configES9_NS1_37merge_sort_block_sort_config_selectorIiNS0_10empty_typeEEENS1_38merge_sort_block_merge_config_selectorIiSB_EEEEvv,comdat
	.protected	_ZN7rocprim17ROCPRIM_400000_NS6detail44device_merge_sort_compile_time_verifier_archINS1_11comp_targetILNS1_3genE3ELNS1_11target_archE908ELNS1_3gpuE7ELNS1_3repE0EEES8_NS0_14default_configES9_NS1_37merge_sort_block_sort_config_selectorIiNS0_10empty_typeEEENS1_38merge_sort_block_merge_config_selectorIiSB_EEEEvv ; -- Begin function _ZN7rocprim17ROCPRIM_400000_NS6detail44device_merge_sort_compile_time_verifier_archINS1_11comp_targetILNS1_3genE3ELNS1_11target_archE908ELNS1_3gpuE7ELNS1_3repE0EEES8_NS0_14default_configES9_NS1_37merge_sort_block_sort_config_selectorIiNS0_10empty_typeEEENS1_38merge_sort_block_merge_config_selectorIiSB_EEEEvv
	.globl	_ZN7rocprim17ROCPRIM_400000_NS6detail44device_merge_sort_compile_time_verifier_archINS1_11comp_targetILNS1_3genE3ELNS1_11target_archE908ELNS1_3gpuE7ELNS1_3repE0EEES8_NS0_14default_configES9_NS1_37merge_sort_block_sort_config_selectorIiNS0_10empty_typeEEENS1_38merge_sort_block_merge_config_selectorIiSB_EEEEvv
	.p2align	8
	.type	_ZN7rocprim17ROCPRIM_400000_NS6detail44device_merge_sort_compile_time_verifier_archINS1_11comp_targetILNS1_3genE3ELNS1_11target_archE908ELNS1_3gpuE7ELNS1_3repE0EEES8_NS0_14default_configES9_NS1_37merge_sort_block_sort_config_selectorIiNS0_10empty_typeEEENS1_38merge_sort_block_merge_config_selectorIiSB_EEEEvv,@function
_ZN7rocprim17ROCPRIM_400000_NS6detail44device_merge_sort_compile_time_verifier_archINS1_11comp_targetILNS1_3genE3ELNS1_11target_archE908ELNS1_3gpuE7ELNS1_3repE0EEES8_NS0_14default_configES9_NS1_37merge_sort_block_sort_config_selectorIiNS0_10empty_typeEEENS1_38merge_sort_block_merge_config_selectorIiSB_EEEEvv: ; @_ZN7rocprim17ROCPRIM_400000_NS6detail44device_merge_sort_compile_time_verifier_archINS1_11comp_targetILNS1_3genE3ELNS1_11target_archE908ELNS1_3gpuE7ELNS1_3repE0EEES8_NS0_14default_configES9_NS1_37merge_sort_block_sort_config_selectorIiNS0_10empty_typeEEENS1_38merge_sort_block_merge_config_selectorIiSB_EEEEvv
; %bb.0:
	s_endpgm
	.section	.rodata,"a",@progbits
	.p2align	6, 0x0
	.amdhsa_kernel _ZN7rocprim17ROCPRIM_400000_NS6detail44device_merge_sort_compile_time_verifier_archINS1_11comp_targetILNS1_3genE3ELNS1_11target_archE908ELNS1_3gpuE7ELNS1_3repE0EEES8_NS0_14default_configES9_NS1_37merge_sort_block_sort_config_selectorIiNS0_10empty_typeEEENS1_38merge_sort_block_merge_config_selectorIiSB_EEEEvv
		.amdhsa_group_segment_fixed_size 0
		.amdhsa_private_segment_fixed_size 0
		.amdhsa_kernarg_size 0
		.amdhsa_user_sgpr_count 4
		.amdhsa_user_sgpr_private_segment_buffer 1
		.amdhsa_user_sgpr_dispatch_ptr 0
		.amdhsa_user_sgpr_queue_ptr 0
		.amdhsa_user_sgpr_kernarg_segment_ptr 0
		.amdhsa_user_sgpr_dispatch_id 0
		.amdhsa_user_sgpr_flat_scratch_init 0
		.amdhsa_user_sgpr_private_segment_size 0
		.amdhsa_wavefront_size32 1
		.amdhsa_uses_dynamic_stack 0
		.amdhsa_system_sgpr_private_segment_wavefront_offset 0
		.amdhsa_system_sgpr_workgroup_id_x 1
		.amdhsa_system_sgpr_workgroup_id_y 0
		.amdhsa_system_sgpr_workgroup_id_z 0
		.amdhsa_system_sgpr_workgroup_info 0
		.amdhsa_system_vgpr_workitem_id 0
		.amdhsa_next_free_vgpr 1
		.amdhsa_next_free_sgpr 1
		.amdhsa_reserve_vcc 0
		.amdhsa_reserve_flat_scratch 0
		.amdhsa_float_round_mode_32 0
		.amdhsa_float_round_mode_16_64 0
		.amdhsa_float_denorm_mode_32 3
		.amdhsa_float_denorm_mode_16_64 3
		.amdhsa_dx10_clamp 1
		.amdhsa_ieee_mode 1
		.amdhsa_fp16_overflow 0
		.amdhsa_workgroup_processor_mode 1
		.amdhsa_memory_ordered 1
		.amdhsa_forward_progress 1
		.amdhsa_shared_vgpr_count 0
		.amdhsa_exception_fp_ieee_invalid_op 0
		.amdhsa_exception_fp_denorm_src 0
		.amdhsa_exception_fp_ieee_div_zero 0
		.amdhsa_exception_fp_ieee_overflow 0
		.amdhsa_exception_fp_ieee_underflow 0
		.amdhsa_exception_fp_ieee_inexact 0
		.amdhsa_exception_int_div_zero 0
	.end_amdhsa_kernel
	.section	.text._ZN7rocprim17ROCPRIM_400000_NS6detail44device_merge_sort_compile_time_verifier_archINS1_11comp_targetILNS1_3genE3ELNS1_11target_archE908ELNS1_3gpuE7ELNS1_3repE0EEES8_NS0_14default_configES9_NS1_37merge_sort_block_sort_config_selectorIiNS0_10empty_typeEEENS1_38merge_sort_block_merge_config_selectorIiSB_EEEEvv,"axG",@progbits,_ZN7rocprim17ROCPRIM_400000_NS6detail44device_merge_sort_compile_time_verifier_archINS1_11comp_targetILNS1_3genE3ELNS1_11target_archE908ELNS1_3gpuE7ELNS1_3repE0EEES8_NS0_14default_configES9_NS1_37merge_sort_block_sort_config_selectorIiNS0_10empty_typeEEENS1_38merge_sort_block_merge_config_selectorIiSB_EEEEvv,comdat
.Lfunc_end393:
	.size	_ZN7rocprim17ROCPRIM_400000_NS6detail44device_merge_sort_compile_time_verifier_archINS1_11comp_targetILNS1_3genE3ELNS1_11target_archE908ELNS1_3gpuE7ELNS1_3repE0EEES8_NS0_14default_configES9_NS1_37merge_sort_block_sort_config_selectorIiNS0_10empty_typeEEENS1_38merge_sort_block_merge_config_selectorIiSB_EEEEvv, .Lfunc_end393-_ZN7rocprim17ROCPRIM_400000_NS6detail44device_merge_sort_compile_time_verifier_archINS1_11comp_targetILNS1_3genE3ELNS1_11target_archE908ELNS1_3gpuE7ELNS1_3repE0EEES8_NS0_14default_configES9_NS1_37merge_sort_block_sort_config_selectorIiNS0_10empty_typeEEENS1_38merge_sort_block_merge_config_selectorIiSB_EEEEvv
                                        ; -- End function
	.set _ZN7rocprim17ROCPRIM_400000_NS6detail44device_merge_sort_compile_time_verifier_archINS1_11comp_targetILNS1_3genE3ELNS1_11target_archE908ELNS1_3gpuE7ELNS1_3repE0EEES8_NS0_14default_configES9_NS1_37merge_sort_block_sort_config_selectorIiNS0_10empty_typeEEENS1_38merge_sort_block_merge_config_selectorIiSB_EEEEvv.num_vgpr, 0
	.set _ZN7rocprim17ROCPRIM_400000_NS6detail44device_merge_sort_compile_time_verifier_archINS1_11comp_targetILNS1_3genE3ELNS1_11target_archE908ELNS1_3gpuE7ELNS1_3repE0EEES8_NS0_14default_configES9_NS1_37merge_sort_block_sort_config_selectorIiNS0_10empty_typeEEENS1_38merge_sort_block_merge_config_selectorIiSB_EEEEvv.num_agpr, 0
	.set _ZN7rocprim17ROCPRIM_400000_NS6detail44device_merge_sort_compile_time_verifier_archINS1_11comp_targetILNS1_3genE3ELNS1_11target_archE908ELNS1_3gpuE7ELNS1_3repE0EEES8_NS0_14default_configES9_NS1_37merge_sort_block_sort_config_selectorIiNS0_10empty_typeEEENS1_38merge_sort_block_merge_config_selectorIiSB_EEEEvv.numbered_sgpr, 0
	.set _ZN7rocprim17ROCPRIM_400000_NS6detail44device_merge_sort_compile_time_verifier_archINS1_11comp_targetILNS1_3genE3ELNS1_11target_archE908ELNS1_3gpuE7ELNS1_3repE0EEES8_NS0_14default_configES9_NS1_37merge_sort_block_sort_config_selectorIiNS0_10empty_typeEEENS1_38merge_sort_block_merge_config_selectorIiSB_EEEEvv.num_named_barrier, 0
	.set _ZN7rocprim17ROCPRIM_400000_NS6detail44device_merge_sort_compile_time_verifier_archINS1_11comp_targetILNS1_3genE3ELNS1_11target_archE908ELNS1_3gpuE7ELNS1_3repE0EEES8_NS0_14default_configES9_NS1_37merge_sort_block_sort_config_selectorIiNS0_10empty_typeEEENS1_38merge_sort_block_merge_config_selectorIiSB_EEEEvv.private_seg_size, 0
	.set _ZN7rocprim17ROCPRIM_400000_NS6detail44device_merge_sort_compile_time_verifier_archINS1_11comp_targetILNS1_3genE3ELNS1_11target_archE908ELNS1_3gpuE7ELNS1_3repE0EEES8_NS0_14default_configES9_NS1_37merge_sort_block_sort_config_selectorIiNS0_10empty_typeEEENS1_38merge_sort_block_merge_config_selectorIiSB_EEEEvv.uses_vcc, 0
	.set _ZN7rocprim17ROCPRIM_400000_NS6detail44device_merge_sort_compile_time_verifier_archINS1_11comp_targetILNS1_3genE3ELNS1_11target_archE908ELNS1_3gpuE7ELNS1_3repE0EEES8_NS0_14default_configES9_NS1_37merge_sort_block_sort_config_selectorIiNS0_10empty_typeEEENS1_38merge_sort_block_merge_config_selectorIiSB_EEEEvv.uses_flat_scratch, 0
	.set _ZN7rocprim17ROCPRIM_400000_NS6detail44device_merge_sort_compile_time_verifier_archINS1_11comp_targetILNS1_3genE3ELNS1_11target_archE908ELNS1_3gpuE7ELNS1_3repE0EEES8_NS0_14default_configES9_NS1_37merge_sort_block_sort_config_selectorIiNS0_10empty_typeEEENS1_38merge_sort_block_merge_config_selectorIiSB_EEEEvv.has_dyn_sized_stack, 0
	.set _ZN7rocprim17ROCPRIM_400000_NS6detail44device_merge_sort_compile_time_verifier_archINS1_11comp_targetILNS1_3genE3ELNS1_11target_archE908ELNS1_3gpuE7ELNS1_3repE0EEES8_NS0_14default_configES9_NS1_37merge_sort_block_sort_config_selectorIiNS0_10empty_typeEEENS1_38merge_sort_block_merge_config_selectorIiSB_EEEEvv.has_recursion, 0
	.set _ZN7rocprim17ROCPRIM_400000_NS6detail44device_merge_sort_compile_time_verifier_archINS1_11comp_targetILNS1_3genE3ELNS1_11target_archE908ELNS1_3gpuE7ELNS1_3repE0EEES8_NS0_14default_configES9_NS1_37merge_sort_block_sort_config_selectorIiNS0_10empty_typeEEENS1_38merge_sort_block_merge_config_selectorIiSB_EEEEvv.has_indirect_call, 0
	.section	.AMDGPU.csdata,"",@progbits
; Kernel info:
; codeLenInByte = 4
; TotalNumSgprs: 0
; NumVgprs: 0
; ScratchSize: 0
; MemoryBound: 0
; FloatMode: 240
; IeeeMode: 1
; LDSByteSize: 0 bytes/workgroup (compile time only)
; SGPRBlocks: 0
; VGPRBlocks: 0
; NumSGPRsForWavesPerEU: 1
; NumVGPRsForWavesPerEU: 1
; Occupancy: 16
; WaveLimiterHint : 0
; COMPUTE_PGM_RSRC2:SCRATCH_EN: 0
; COMPUTE_PGM_RSRC2:USER_SGPR: 4
; COMPUTE_PGM_RSRC2:TRAP_HANDLER: 0
; COMPUTE_PGM_RSRC2:TGID_X_EN: 1
; COMPUTE_PGM_RSRC2:TGID_Y_EN: 0
; COMPUTE_PGM_RSRC2:TGID_Z_EN: 0
; COMPUTE_PGM_RSRC2:TIDIG_COMP_CNT: 0
	.section	.text._ZN7rocprim17ROCPRIM_400000_NS6detail44device_merge_sort_compile_time_verifier_archINS1_11comp_targetILNS1_3genE2ELNS1_11target_archE906ELNS1_3gpuE6ELNS1_3repE0EEES8_NS0_14default_configES9_NS1_37merge_sort_block_sort_config_selectorIiNS0_10empty_typeEEENS1_38merge_sort_block_merge_config_selectorIiSB_EEEEvv,"axG",@progbits,_ZN7rocprim17ROCPRIM_400000_NS6detail44device_merge_sort_compile_time_verifier_archINS1_11comp_targetILNS1_3genE2ELNS1_11target_archE906ELNS1_3gpuE6ELNS1_3repE0EEES8_NS0_14default_configES9_NS1_37merge_sort_block_sort_config_selectorIiNS0_10empty_typeEEENS1_38merge_sort_block_merge_config_selectorIiSB_EEEEvv,comdat
	.protected	_ZN7rocprim17ROCPRIM_400000_NS6detail44device_merge_sort_compile_time_verifier_archINS1_11comp_targetILNS1_3genE2ELNS1_11target_archE906ELNS1_3gpuE6ELNS1_3repE0EEES8_NS0_14default_configES9_NS1_37merge_sort_block_sort_config_selectorIiNS0_10empty_typeEEENS1_38merge_sort_block_merge_config_selectorIiSB_EEEEvv ; -- Begin function _ZN7rocprim17ROCPRIM_400000_NS6detail44device_merge_sort_compile_time_verifier_archINS1_11comp_targetILNS1_3genE2ELNS1_11target_archE906ELNS1_3gpuE6ELNS1_3repE0EEES8_NS0_14default_configES9_NS1_37merge_sort_block_sort_config_selectorIiNS0_10empty_typeEEENS1_38merge_sort_block_merge_config_selectorIiSB_EEEEvv
	.globl	_ZN7rocprim17ROCPRIM_400000_NS6detail44device_merge_sort_compile_time_verifier_archINS1_11comp_targetILNS1_3genE2ELNS1_11target_archE906ELNS1_3gpuE6ELNS1_3repE0EEES8_NS0_14default_configES9_NS1_37merge_sort_block_sort_config_selectorIiNS0_10empty_typeEEENS1_38merge_sort_block_merge_config_selectorIiSB_EEEEvv
	.p2align	8
	.type	_ZN7rocprim17ROCPRIM_400000_NS6detail44device_merge_sort_compile_time_verifier_archINS1_11comp_targetILNS1_3genE2ELNS1_11target_archE906ELNS1_3gpuE6ELNS1_3repE0EEES8_NS0_14default_configES9_NS1_37merge_sort_block_sort_config_selectorIiNS0_10empty_typeEEENS1_38merge_sort_block_merge_config_selectorIiSB_EEEEvv,@function
_ZN7rocprim17ROCPRIM_400000_NS6detail44device_merge_sort_compile_time_verifier_archINS1_11comp_targetILNS1_3genE2ELNS1_11target_archE906ELNS1_3gpuE6ELNS1_3repE0EEES8_NS0_14default_configES9_NS1_37merge_sort_block_sort_config_selectorIiNS0_10empty_typeEEENS1_38merge_sort_block_merge_config_selectorIiSB_EEEEvv: ; @_ZN7rocprim17ROCPRIM_400000_NS6detail44device_merge_sort_compile_time_verifier_archINS1_11comp_targetILNS1_3genE2ELNS1_11target_archE906ELNS1_3gpuE6ELNS1_3repE0EEES8_NS0_14default_configES9_NS1_37merge_sort_block_sort_config_selectorIiNS0_10empty_typeEEENS1_38merge_sort_block_merge_config_selectorIiSB_EEEEvv
; %bb.0:
	s_endpgm
	.section	.rodata,"a",@progbits
	.p2align	6, 0x0
	.amdhsa_kernel _ZN7rocprim17ROCPRIM_400000_NS6detail44device_merge_sort_compile_time_verifier_archINS1_11comp_targetILNS1_3genE2ELNS1_11target_archE906ELNS1_3gpuE6ELNS1_3repE0EEES8_NS0_14default_configES9_NS1_37merge_sort_block_sort_config_selectorIiNS0_10empty_typeEEENS1_38merge_sort_block_merge_config_selectorIiSB_EEEEvv
		.amdhsa_group_segment_fixed_size 0
		.amdhsa_private_segment_fixed_size 0
		.amdhsa_kernarg_size 0
		.amdhsa_user_sgpr_count 4
		.amdhsa_user_sgpr_private_segment_buffer 1
		.amdhsa_user_sgpr_dispatch_ptr 0
		.amdhsa_user_sgpr_queue_ptr 0
		.amdhsa_user_sgpr_kernarg_segment_ptr 0
		.amdhsa_user_sgpr_dispatch_id 0
		.amdhsa_user_sgpr_flat_scratch_init 0
		.amdhsa_user_sgpr_private_segment_size 0
		.amdhsa_wavefront_size32 1
		.amdhsa_uses_dynamic_stack 0
		.amdhsa_system_sgpr_private_segment_wavefront_offset 0
		.amdhsa_system_sgpr_workgroup_id_x 1
		.amdhsa_system_sgpr_workgroup_id_y 0
		.amdhsa_system_sgpr_workgroup_id_z 0
		.amdhsa_system_sgpr_workgroup_info 0
		.amdhsa_system_vgpr_workitem_id 0
		.amdhsa_next_free_vgpr 1
		.amdhsa_next_free_sgpr 1
		.amdhsa_reserve_vcc 0
		.amdhsa_reserve_flat_scratch 0
		.amdhsa_float_round_mode_32 0
		.amdhsa_float_round_mode_16_64 0
		.amdhsa_float_denorm_mode_32 3
		.amdhsa_float_denorm_mode_16_64 3
		.amdhsa_dx10_clamp 1
		.amdhsa_ieee_mode 1
		.amdhsa_fp16_overflow 0
		.amdhsa_workgroup_processor_mode 1
		.amdhsa_memory_ordered 1
		.amdhsa_forward_progress 1
		.amdhsa_shared_vgpr_count 0
		.amdhsa_exception_fp_ieee_invalid_op 0
		.amdhsa_exception_fp_denorm_src 0
		.amdhsa_exception_fp_ieee_div_zero 0
		.amdhsa_exception_fp_ieee_overflow 0
		.amdhsa_exception_fp_ieee_underflow 0
		.amdhsa_exception_fp_ieee_inexact 0
		.amdhsa_exception_int_div_zero 0
	.end_amdhsa_kernel
	.section	.text._ZN7rocprim17ROCPRIM_400000_NS6detail44device_merge_sort_compile_time_verifier_archINS1_11comp_targetILNS1_3genE2ELNS1_11target_archE906ELNS1_3gpuE6ELNS1_3repE0EEES8_NS0_14default_configES9_NS1_37merge_sort_block_sort_config_selectorIiNS0_10empty_typeEEENS1_38merge_sort_block_merge_config_selectorIiSB_EEEEvv,"axG",@progbits,_ZN7rocprim17ROCPRIM_400000_NS6detail44device_merge_sort_compile_time_verifier_archINS1_11comp_targetILNS1_3genE2ELNS1_11target_archE906ELNS1_3gpuE6ELNS1_3repE0EEES8_NS0_14default_configES9_NS1_37merge_sort_block_sort_config_selectorIiNS0_10empty_typeEEENS1_38merge_sort_block_merge_config_selectorIiSB_EEEEvv,comdat
.Lfunc_end394:
	.size	_ZN7rocprim17ROCPRIM_400000_NS6detail44device_merge_sort_compile_time_verifier_archINS1_11comp_targetILNS1_3genE2ELNS1_11target_archE906ELNS1_3gpuE6ELNS1_3repE0EEES8_NS0_14default_configES9_NS1_37merge_sort_block_sort_config_selectorIiNS0_10empty_typeEEENS1_38merge_sort_block_merge_config_selectorIiSB_EEEEvv, .Lfunc_end394-_ZN7rocprim17ROCPRIM_400000_NS6detail44device_merge_sort_compile_time_verifier_archINS1_11comp_targetILNS1_3genE2ELNS1_11target_archE906ELNS1_3gpuE6ELNS1_3repE0EEES8_NS0_14default_configES9_NS1_37merge_sort_block_sort_config_selectorIiNS0_10empty_typeEEENS1_38merge_sort_block_merge_config_selectorIiSB_EEEEvv
                                        ; -- End function
	.set _ZN7rocprim17ROCPRIM_400000_NS6detail44device_merge_sort_compile_time_verifier_archINS1_11comp_targetILNS1_3genE2ELNS1_11target_archE906ELNS1_3gpuE6ELNS1_3repE0EEES8_NS0_14default_configES9_NS1_37merge_sort_block_sort_config_selectorIiNS0_10empty_typeEEENS1_38merge_sort_block_merge_config_selectorIiSB_EEEEvv.num_vgpr, 0
	.set _ZN7rocprim17ROCPRIM_400000_NS6detail44device_merge_sort_compile_time_verifier_archINS1_11comp_targetILNS1_3genE2ELNS1_11target_archE906ELNS1_3gpuE6ELNS1_3repE0EEES8_NS0_14default_configES9_NS1_37merge_sort_block_sort_config_selectorIiNS0_10empty_typeEEENS1_38merge_sort_block_merge_config_selectorIiSB_EEEEvv.num_agpr, 0
	.set _ZN7rocprim17ROCPRIM_400000_NS6detail44device_merge_sort_compile_time_verifier_archINS1_11comp_targetILNS1_3genE2ELNS1_11target_archE906ELNS1_3gpuE6ELNS1_3repE0EEES8_NS0_14default_configES9_NS1_37merge_sort_block_sort_config_selectorIiNS0_10empty_typeEEENS1_38merge_sort_block_merge_config_selectorIiSB_EEEEvv.numbered_sgpr, 0
	.set _ZN7rocprim17ROCPRIM_400000_NS6detail44device_merge_sort_compile_time_verifier_archINS1_11comp_targetILNS1_3genE2ELNS1_11target_archE906ELNS1_3gpuE6ELNS1_3repE0EEES8_NS0_14default_configES9_NS1_37merge_sort_block_sort_config_selectorIiNS0_10empty_typeEEENS1_38merge_sort_block_merge_config_selectorIiSB_EEEEvv.num_named_barrier, 0
	.set _ZN7rocprim17ROCPRIM_400000_NS6detail44device_merge_sort_compile_time_verifier_archINS1_11comp_targetILNS1_3genE2ELNS1_11target_archE906ELNS1_3gpuE6ELNS1_3repE0EEES8_NS0_14default_configES9_NS1_37merge_sort_block_sort_config_selectorIiNS0_10empty_typeEEENS1_38merge_sort_block_merge_config_selectorIiSB_EEEEvv.private_seg_size, 0
	.set _ZN7rocprim17ROCPRIM_400000_NS6detail44device_merge_sort_compile_time_verifier_archINS1_11comp_targetILNS1_3genE2ELNS1_11target_archE906ELNS1_3gpuE6ELNS1_3repE0EEES8_NS0_14default_configES9_NS1_37merge_sort_block_sort_config_selectorIiNS0_10empty_typeEEENS1_38merge_sort_block_merge_config_selectorIiSB_EEEEvv.uses_vcc, 0
	.set _ZN7rocprim17ROCPRIM_400000_NS6detail44device_merge_sort_compile_time_verifier_archINS1_11comp_targetILNS1_3genE2ELNS1_11target_archE906ELNS1_3gpuE6ELNS1_3repE0EEES8_NS0_14default_configES9_NS1_37merge_sort_block_sort_config_selectorIiNS0_10empty_typeEEENS1_38merge_sort_block_merge_config_selectorIiSB_EEEEvv.uses_flat_scratch, 0
	.set _ZN7rocprim17ROCPRIM_400000_NS6detail44device_merge_sort_compile_time_verifier_archINS1_11comp_targetILNS1_3genE2ELNS1_11target_archE906ELNS1_3gpuE6ELNS1_3repE0EEES8_NS0_14default_configES9_NS1_37merge_sort_block_sort_config_selectorIiNS0_10empty_typeEEENS1_38merge_sort_block_merge_config_selectorIiSB_EEEEvv.has_dyn_sized_stack, 0
	.set _ZN7rocprim17ROCPRIM_400000_NS6detail44device_merge_sort_compile_time_verifier_archINS1_11comp_targetILNS1_3genE2ELNS1_11target_archE906ELNS1_3gpuE6ELNS1_3repE0EEES8_NS0_14default_configES9_NS1_37merge_sort_block_sort_config_selectorIiNS0_10empty_typeEEENS1_38merge_sort_block_merge_config_selectorIiSB_EEEEvv.has_recursion, 0
	.set _ZN7rocprim17ROCPRIM_400000_NS6detail44device_merge_sort_compile_time_verifier_archINS1_11comp_targetILNS1_3genE2ELNS1_11target_archE906ELNS1_3gpuE6ELNS1_3repE0EEES8_NS0_14default_configES9_NS1_37merge_sort_block_sort_config_selectorIiNS0_10empty_typeEEENS1_38merge_sort_block_merge_config_selectorIiSB_EEEEvv.has_indirect_call, 0
	.section	.AMDGPU.csdata,"",@progbits
; Kernel info:
; codeLenInByte = 4
; TotalNumSgprs: 0
; NumVgprs: 0
; ScratchSize: 0
; MemoryBound: 0
; FloatMode: 240
; IeeeMode: 1
; LDSByteSize: 0 bytes/workgroup (compile time only)
; SGPRBlocks: 0
; VGPRBlocks: 0
; NumSGPRsForWavesPerEU: 1
; NumVGPRsForWavesPerEU: 1
; Occupancy: 16
; WaveLimiterHint : 0
; COMPUTE_PGM_RSRC2:SCRATCH_EN: 0
; COMPUTE_PGM_RSRC2:USER_SGPR: 4
; COMPUTE_PGM_RSRC2:TRAP_HANDLER: 0
; COMPUTE_PGM_RSRC2:TGID_X_EN: 1
; COMPUTE_PGM_RSRC2:TGID_Y_EN: 0
; COMPUTE_PGM_RSRC2:TGID_Z_EN: 0
; COMPUTE_PGM_RSRC2:TIDIG_COMP_CNT: 0
	.section	.text._ZN7rocprim17ROCPRIM_400000_NS6detail44device_merge_sort_compile_time_verifier_archINS1_11comp_targetILNS1_3genE10ELNS1_11target_archE1201ELNS1_3gpuE5ELNS1_3repE0EEES8_NS0_14default_configES9_NS1_37merge_sort_block_sort_config_selectorIiNS0_10empty_typeEEENS1_38merge_sort_block_merge_config_selectorIiSB_EEEEvv,"axG",@progbits,_ZN7rocprim17ROCPRIM_400000_NS6detail44device_merge_sort_compile_time_verifier_archINS1_11comp_targetILNS1_3genE10ELNS1_11target_archE1201ELNS1_3gpuE5ELNS1_3repE0EEES8_NS0_14default_configES9_NS1_37merge_sort_block_sort_config_selectorIiNS0_10empty_typeEEENS1_38merge_sort_block_merge_config_selectorIiSB_EEEEvv,comdat
	.protected	_ZN7rocprim17ROCPRIM_400000_NS6detail44device_merge_sort_compile_time_verifier_archINS1_11comp_targetILNS1_3genE10ELNS1_11target_archE1201ELNS1_3gpuE5ELNS1_3repE0EEES8_NS0_14default_configES9_NS1_37merge_sort_block_sort_config_selectorIiNS0_10empty_typeEEENS1_38merge_sort_block_merge_config_selectorIiSB_EEEEvv ; -- Begin function _ZN7rocprim17ROCPRIM_400000_NS6detail44device_merge_sort_compile_time_verifier_archINS1_11comp_targetILNS1_3genE10ELNS1_11target_archE1201ELNS1_3gpuE5ELNS1_3repE0EEES8_NS0_14default_configES9_NS1_37merge_sort_block_sort_config_selectorIiNS0_10empty_typeEEENS1_38merge_sort_block_merge_config_selectorIiSB_EEEEvv
	.globl	_ZN7rocprim17ROCPRIM_400000_NS6detail44device_merge_sort_compile_time_verifier_archINS1_11comp_targetILNS1_3genE10ELNS1_11target_archE1201ELNS1_3gpuE5ELNS1_3repE0EEES8_NS0_14default_configES9_NS1_37merge_sort_block_sort_config_selectorIiNS0_10empty_typeEEENS1_38merge_sort_block_merge_config_selectorIiSB_EEEEvv
	.p2align	8
	.type	_ZN7rocprim17ROCPRIM_400000_NS6detail44device_merge_sort_compile_time_verifier_archINS1_11comp_targetILNS1_3genE10ELNS1_11target_archE1201ELNS1_3gpuE5ELNS1_3repE0EEES8_NS0_14default_configES9_NS1_37merge_sort_block_sort_config_selectorIiNS0_10empty_typeEEENS1_38merge_sort_block_merge_config_selectorIiSB_EEEEvv,@function
_ZN7rocprim17ROCPRIM_400000_NS6detail44device_merge_sort_compile_time_verifier_archINS1_11comp_targetILNS1_3genE10ELNS1_11target_archE1201ELNS1_3gpuE5ELNS1_3repE0EEES8_NS0_14default_configES9_NS1_37merge_sort_block_sort_config_selectorIiNS0_10empty_typeEEENS1_38merge_sort_block_merge_config_selectorIiSB_EEEEvv: ; @_ZN7rocprim17ROCPRIM_400000_NS6detail44device_merge_sort_compile_time_verifier_archINS1_11comp_targetILNS1_3genE10ELNS1_11target_archE1201ELNS1_3gpuE5ELNS1_3repE0EEES8_NS0_14default_configES9_NS1_37merge_sort_block_sort_config_selectorIiNS0_10empty_typeEEENS1_38merge_sort_block_merge_config_selectorIiSB_EEEEvv
; %bb.0:
	s_endpgm
	.section	.rodata,"a",@progbits
	.p2align	6, 0x0
	.amdhsa_kernel _ZN7rocprim17ROCPRIM_400000_NS6detail44device_merge_sort_compile_time_verifier_archINS1_11comp_targetILNS1_3genE10ELNS1_11target_archE1201ELNS1_3gpuE5ELNS1_3repE0EEES8_NS0_14default_configES9_NS1_37merge_sort_block_sort_config_selectorIiNS0_10empty_typeEEENS1_38merge_sort_block_merge_config_selectorIiSB_EEEEvv
		.amdhsa_group_segment_fixed_size 0
		.amdhsa_private_segment_fixed_size 0
		.amdhsa_kernarg_size 0
		.amdhsa_user_sgpr_count 4
		.amdhsa_user_sgpr_private_segment_buffer 1
		.amdhsa_user_sgpr_dispatch_ptr 0
		.amdhsa_user_sgpr_queue_ptr 0
		.amdhsa_user_sgpr_kernarg_segment_ptr 0
		.amdhsa_user_sgpr_dispatch_id 0
		.amdhsa_user_sgpr_flat_scratch_init 0
		.amdhsa_user_sgpr_private_segment_size 0
		.amdhsa_wavefront_size32 1
		.amdhsa_uses_dynamic_stack 0
		.amdhsa_system_sgpr_private_segment_wavefront_offset 0
		.amdhsa_system_sgpr_workgroup_id_x 1
		.amdhsa_system_sgpr_workgroup_id_y 0
		.amdhsa_system_sgpr_workgroup_id_z 0
		.amdhsa_system_sgpr_workgroup_info 0
		.amdhsa_system_vgpr_workitem_id 0
		.amdhsa_next_free_vgpr 1
		.amdhsa_next_free_sgpr 1
		.amdhsa_reserve_vcc 0
		.amdhsa_reserve_flat_scratch 0
		.amdhsa_float_round_mode_32 0
		.amdhsa_float_round_mode_16_64 0
		.amdhsa_float_denorm_mode_32 3
		.amdhsa_float_denorm_mode_16_64 3
		.amdhsa_dx10_clamp 1
		.amdhsa_ieee_mode 1
		.amdhsa_fp16_overflow 0
		.amdhsa_workgroup_processor_mode 1
		.amdhsa_memory_ordered 1
		.amdhsa_forward_progress 1
		.amdhsa_shared_vgpr_count 0
		.amdhsa_exception_fp_ieee_invalid_op 0
		.amdhsa_exception_fp_denorm_src 0
		.amdhsa_exception_fp_ieee_div_zero 0
		.amdhsa_exception_fp_ieee_overflow 0
		.amdhsa_exception_fp_ieee_underflow 0
		.amdhsa_exception_fp_ieee_inexact 0
		.amdhsa_exception_int_div_zero 0
	.end_amdhsa_kernel
	.section	.text._ZN7rocprim17ROCPRIM_400000_NS6detail44device_merge_sort_compile_time_verifier_archINS1_11comp_targetILNS1_3genE10ELNS1_11target_archE1201ELNS1_3gpuE5ELNS1_3repE0EEES8_NS0_14default_configES9_NS1_37merge_sort_block_sort_config_selectorIiNS0_10empty_typeEEENS1_38merge_sort_block_merge_config_selectorIiSB_EEEEvv,"axG",@progbits,_ZN7rocprim17ROCPRIM_400000_NS6detail44device_merge_sort_compile_time_verifier_archINS1_11comp_targetILNS1_3genE10ELNS1_11target_archE1201ELNS1_3gpuE5ELNS1_3repE0EEES8_NS0_14default_configES9_NS1_37merge_sort_block_sort_config_selectorIiNS0_10empty_typeEEENS1_38merge_sort_block_merge_config_selectorIiSB_EEEEvv,comdat
.Lfunc_end395:
	.size	_ZN7rocprim17ROCPRIM_400000_NS6detail44device_merge_sort_compile_time_verifier_archINS1_11comp_targetILNS1_3genE10ELNS1_11target_archE1201ELNS1_3gpuE5ELNS1_3repE0EEES8_NS0_14default_configES9_NS1_37merge_sort_block_sort_config_selectorIiNS0_10empty_typeEEENS1_38merge_sort_block_merge_config_selectorIiSB_EEEEvv, .Lfunc_end395-_ZN7rocprim17ROCPRIM_400000_NS6detail44device_merge_sort_compile_time_verifier_archINS1_11comp_targetILNS1_3genE10ELNS1_11target_archE1201ELNS1_3gpuE5ELNS1_3repE0EEES8_NS0_14default_configES9_NS1_37merge_sort_block_sort_config_selectorIiNS0_10empty_typeEEENS1_38merge_sort_block_merge_config_selectorIiSB_EEEEvv
                                        ; -- End function
	.set _ZN7rocprim17ROCPRIM_400000_NS6detail44device_merge_sort_compile_time_verifier_archINS1_11comp_targetILNS1_3genE10ELNS1_11target_archE1201ELNS1_3gpuE5ELNS1_3repE0EEES8_NS0_14default_configES9_NS1_37merge_sort_block_sort_config_selectorIiNS0_10empty_typeEEENS1_38merge_sort_block_merge_config_selectorIiSB_EEEEvv.num_vgpr, 0
	.set _ZN7rocprim17ROCPRIM_400000_NS6detail44device_merge_sort_compile_time_verifier_archINS1_11comp_targetILNS1_3genE10ELNS1_11target_archE1201ELNS1_3gpuE5ELNS1_3repE0EEES8_NS0_14default_configES9_NS1_37merge_sort_block_sort_config_selectorIiNS0_10empty_typeEEENS1_38merge_sort_block_merge_config_selectorIiSB_EEEEvv.num_agpr, 0
	.set _ZN7rocprim17ROCPRIM_400000_NS6detail44device_merge_sort_compile_time_verifier_archINS1_11comp_targetILNS1_3genE10ELNS1_11target_archE1201ELNS1_3gpuE5ELNS1_3repE0EEES8_NS0_14default_configES9_NS1_37merge_sort_block_sort_config_selectorIiNS0_10empty_typeEEENS1_38merge_sort_block_merge_config_selectorIiSB_EEEEvv.numbered_sgpr, 0
	.set _ZN7rocprim17ROCPRIM_400000_NS6detail44device_merge_sort_compile_time_verifier_archINS1_11comp_targetILNS1_3genE10ELNS1_11target_archE1201ELNS1_3gpuE5ELNS1_3repE0EEES8_NS0_14default_configES9_NS1_37merge_sort_block_sort_config_selectorIiNS0_10empty_typeEEENS1_38merge_sort_block_merge_config_selectorIiSB_EEEEvv.num_named_barrier, 0
	.set _ZN7rocprim17ROCPRIM_400000_NS6detail44device_merge_sort_compile_time_verifier_archINS1_11comp_targetILNS1_3genE10ELNS1_11target_archE1201ELNS1_3gpuE5ELNS1_3repE0EEES8_NS0_14default_configES9_NS1_37merge_sort_block_sort_config_selectorIiNS0_10empty_typeEEENS1_38merge_sort_block_merge_config_selectorIiSB_EEEEvv.private_seg_size, 0
	.set _ZN7rocprim17ROCPRIM_400000_NS6detail44device_merge_sort_compile_time_verifier_archINS1_11comp_targetILNS1_3genE10ELNS1_11target_archE1201ELNS1_3gpuE5ELNS1_3repE0EEES8_NS0_14default_configES9_NS1_37merge_sort_block_sort_config_selectorIiNS0_10empty_typeEEENS1_38merge_sort_block_merge_config_selectorIiSB_EEEEvv.uses_vcc, 0
	.set _ZN7rocprim17ROCPRIM_400000_NS6detail44device_merge_sort_compile_time_verifier_archINS1_11comp_targetILNS1_3genE10ELNS1_11target_archE1201ELNS1_3gpuE5ELNS1_3repE0EEES8_NS0_14default_configES9_NS1_37merge_sort_block_sort_config_selectorIiNS0_10empty_typeEEENS1_38merge_sort_block_merge_config_selectorIiSB_EEEEvv.uses_flat_scratch, 0
	.set _ZN7rocprim17ROCPRIM_400000_NS6detail44device_merge_sort_compile_time_verifier_archINS1_11comp_targetILNS1_3genE10ELNS1_11target_archE1201ELNS1_3gpuE5ELNS1_3repE0EEES8_NS0_14default_configES9_NS1_37merge_sort_block_sort_config_selectorIiNS0_10empty_typeEEENS1_38merge_sort_block_merge_config_selectorIiSB_EEEEvv.has_dyn_sized_stack, 0
	.set _ZN7rocprim17ROCPRIM_400000_NS6detail44device_merge_sort_compile_time_verifier_archINS1_11comp_targetILNS1_3genE10ELNS1_11target_archE1201ELNS1_3gpuE5ELNS1_3repE0EEES8_NS0_14default_configES9_NS1_37merge_sort_block_sort_config_selectorIiNS0_10empty_typeEEENS1_38merge_sort_block_merge_config_selectorIiSB_EEEEvv.has_recursion, 0
	.set _ZN7rocprim17ROCPRIM_400000_NS6detail44device_merge_sort_compile_time_verifier_archINS1_11comp_targetILNS1_3genE10ELNS1_11target_archE1201ELNS1_3gpuE5ELNS1_3repE0EEES8_NS0_14default_configES9_NS1_37merge_sort_block_sort_config_selectorIiNS0_10empty_typeEEENS1_38merge_sort_block_merge_config_selectorIiSB_EEEEvv.has_indirect_call, 0
	.section	.AMDGPU.csdata,"",@progbits
; Kernel info:
; codeLenInByte = 4
; TotalNumSgprs: 0
; NumVgprs: 0
; ScratchSize: 0
; MemoryBound: 0
; FloatMode: 240
; IeeeMode: 1
; LDSByteSize: 0 bytes/workgroup (compile time only)
; SGPRBlocks: 0
; VGPRBlocks: 0
; NumSGPRsForWavesPerEU: 1
; NumVGPRsForWavesPerEU: 1
; Occupancy: 16
; WaveLimiterHint : 0
; COMPUTE_PGM_RSRC2:SCRATCH_EN: 0
; COMPUTE_PGM_RSRC2:USER_SGPR: 4
; COMPUTE_PGM_RSRC2:TRAP_HANDLER: 0
; COMPUTE_PGM_RSRC2:TGID_X_EN: 1
; COMPUTE_PGM_RSRC2:TGID_Y_EN: 0
; COMPUTE_PGM_RSRC2:TGID_Z_EN: 0
; COMPUTE_PGM_RSRC2:TIDIG_COMP_CNT: 0
	.section	.text._ZN7rocprim17ROCPRIM_400000_NS6detail44device_merge_sort_compile_time_verifier_archINS1_11comp_targetILNS1_3genE10ELNS1_11target_archE1200ELNS1_3gpuE4ELNS1_3repE0EEENS3_ILS4_10ELS5_1201ELS6_5ELS7_0EEENS0_14default_configESA_NS1_37merge_sort_block_sort_config_selectorIiNS0_10empty_typeEEENS1_38merge_sort_block_merge_config_selectorIiSC_EEEEvv,"axG",@progbits,_ZN7rocprim17ROCPRIM_400000_NS6detail44device_merge_sort_compile_time_verifier_archINS1_11comp_targetILNS1_3genE10ELNS1_11target_archE1200ELNS1_3gpuE4ELNS1_3repE0EEENS3_ILS4_10ELS5_1201ELS6_5ELS7_0EEENS0_14default_configESA_NS1_37merge_sort_block_sort_config_selectorIiNS0_10empty_typeEEENS1_38merge_sort_block_merge_config_selectorIiSC_EEEEvv,comdat
	.protected	_ZN7rocprim17ROCPRIM_400000_NS6detail44device_merge_sort_compile_time_verifier_archINS1_11comp_targetILNS1_3genE10ELNS1_11target_archE1200ELNS1_3gpuE4ELNS1_3repE0EEENS3_ILS4_10ELS5_1201ELS6_5ELS7_0EEENS0_14default_configESA_NS1_37merge_sort_block_sort_config_selectorIiNS0_10empty_typeEEENS1_38merge_sort_block_merge_config_selectorIiSC_EEEEvv ; -- Begin function _ZN7rocprim17ROCPRIM_400000_NS6detail44device_merge_sort_compile_time_verifier_archINS1_11comp_targetILNS1_3genE10ELNS1_11target_archE1200ELNS1_3gpuE4ELNS1_3repE0EEENS3_ILS4_10ELS5_1201ELS6_5ELS7_0EEENS0_14default_configESA_NS1_37merge_sort_block_sort_config_selectorIiNS0_10empty_typeEEENS1_38merge_sort_block_merge_config_selectorIiSC_EEEEvv
	.globl	_ZN7rocprim17ROCPRIM_400000_NS6detail44device_merge_sort_compile_time_verifier_archINS1_11comp_targetILNS1_3genE10ELNS1_11target_archE1200ELNS1_3gpuE4ELNS1_3repE0EEENS3_ILS4_10ELS5_1201ELS6_5ELS7_0EEENS0_14default_configESA_NS1_37merge_sort_block_sort_config_selectorIiNS0_10empty_typeEEENS1_38merge_sort_block_merge_config_selectorIiSC_EEEEvv
	.p2align	8
	.type	_ZN7rocprim17ROCPRIM_400000_NS6detail44device_merge_sort_compile_time_verifier_archINS1_11comp_targetILNS1_3genE10ELNS1_11target_archE1200ELNS1_3gpuE4ELNS1_3repE0EEENS3_ILS4_10ELS5_1201ELS6_5ELS7_0EEENS0_14default_configESA_NS1_37merge_sort_block_sort_config_selectorIiNS0_10empty_typeEEENS1_38merge_sort_block_merge_config_selectorIiSC_EEEEvv,@function
_ZN7rocprim17ROCPRIM_400000_NS6detail44device_merge_sort_compile_time_verifier_archINS1_11comp_targetILNS1_3genE10ELNS1_11target_archE1200ELNS1_3gpuE4ELNS1_3repE0EEENS3_ILS4_10ELS5_1201ELS6_5ELS7_0EEENS0_14default_configESA_NS1_37merge_sort_block_sort_config_selectorIiNS0_10empty_typeEEENS1_38merge_sort_block_merge_config_selectorIiSC_EEEEvv: ; @_ZN7rocprim17ROCPRIM_400000_NS6detail44device_merge_sort_compile_time_verifier_archINS1_11comp_targetILNS1_3genE10ELNS1_11target_archE1200ELNS1_3gpuE4ELNS1_3repE0EEENS3_ILS4_10ELS5_1201ELS6_5ELS7_0EEENS0_14default_configESA_NS1_37merge_sort_block_sort_config_selectorIiNS0_10empty_typeEEENS1_38merge_sort_block_merge_config_selectorIiSC_EEEEvv
; %bb.0:
	s_endpgm
	.section	.rodata,"a",@progbits
	.p2align	6, 0x0
	.amdhsa_kernel _ZN7rocprim17ROCPRIM_400000_NS6detail44device_merge_sort_compile_time_verifier_archINS1_11comp_targetILNS1_3genE10ELNS1_11target_archE1200ELNS1_3gpuE4ELNS1_3repE0EEENS3_ILS4_10ELS5_1201ELS6_5ELS7_0EEENS0_14default_configESA_NS1_37merge_sort_block_sort_config_selectorIiNS0_10empty_typeEEENS1_38merge_sort_block_merge_config_selectorIiSC_EEEEvv
		.amdhsa_group_segment_fixed_size 0
		.amdhsa_private_segment_fixed_size 0
		.amdhsa_kernarg_size 0
		.amdhsa_user_sgpr_count 4
		.amdhsa_user_sgpr_private_segment_buffer 1
		.amdhsa_user_sgpr_dispatch_ptr 0
		.amdhsa_user_sgpr_queue_ptr 0
		.amdhsa_user_sgpr_kernarg_segment_ptr 0
		.amdhsa_user_sgpr_dispatch_id 0
		.amdhsa_user_sgpr_flat_scratch_init 0
		.amdhsa_user_sgpr_private_segment_size 0
		.amdhsa_wavefront_size32 1
		.amdhsa_uses_dynamic_stack 0
		.amdhsa_system_sgpr_private_segment_wavefront_offset 0
		.amdhsa_system_sgpr_workgroup_id_x 1
		.amdhsa_system_sgpr_workgroup_id_y 0
		.amdhsa_system_sgpr_workgroup_id_z 0
		.amdhsa_system_sgpr_workgroup_info 0
		.amdhsa_system_vgpr_workitem_id 0
		.amdhsa_next_free_vgpr 1
		.amdhsa_next_free_sgpr 1
		.amdhsa_reserve_vcc 0
		.amdhsa_reserve_flat_scratch 0
		.amdhsa_float_round_mode_32 0
		.amdhsa_float_round_mode_16_64 0
		.amdhsa_float_denorm_mode_32 3
		.amdhsa_float_denorm_mode_16_64 3
		.amdhsa_dx10_clamp 1
		.amdhsa_ieee_mode 1
		.amdhsa_fp16_overflow 0
		.amdhsa_workgroup_processor_mode 1
		.amdhsa_memory_ordered 1
		.amdhsa_forward_progress 1
		.amdhsa_shared_vgpr_count 0
		.amdhsa_exception_fp_ieee_invalid_op 0
		.amdhsa_exception_fp_denorm_src 0
		.amdhsa_exception_fp_ieee_div_zero 0
		.amdhsa_exception_fp_ieee_overflow 0
		.amdhsa_exception_fp_ieee_underflow 0
		.amdhsa_exception_fp_ieee_inexact 0
		.amdhsa_exception_int_div_zero 0
	.end_amdhsa_kernel
	.section	.text._ZN7rocprim17ROCPRIM_400000_NS6detail44device_merge_sort_compile_time_verifier_archINS1_11comp_targetILNS1_3genE10ELNS1_11target_archE1200ELNS1_3gpuE4ELNS1_3repE0EEENS3_ILS4_10ELS5_1201ELS6_5ELS7_0EEENS0_14default_configESA_NS1_37merge_sort_block_sort_config_selectorIiNS0_10empty_typeEEENS1_38merge_sort_block_merge_config_selectorIiSC_EEEEvv,"axG",@progbits,_ZN7rocprim17ROCPRIM_400000_NS6detail44device_merge_sort_compile_time_verifier_archINS1_11comp_targetILNS1_3genE10ELNS1_11target_archE1200ELNS1_3gpuE4ELNS1_3repE0EEENS3_ILS4_10ELS5_1201ELS6_5ELS7_0EEENS0_14default_configESA_NS1_37merge_sort_block_sort_config_selectorIiNS0_10empty_typeEEENS1_38merge_sort_block_merge_config_selectorIiSC_EEEEvv,comdat
.Lfunc_end396:
	.size	_ZN7rocprim17ROCPRIM_400000_NS6detail44device_merge_sort_compile_time_verifier_archINS1_11comp_targetILNS1_3genE10ELNS1_11target_archE1200ELNS1_3gpuE4ELNS1_3repE0EEENS3_ILS4_10ELS5_1201ELS6_5ELS7_0EEENS0_14default_configESA_NS1_37merge_sort_block_sort_config_selectorIiNS0_10empty_typeEEENS1_38merge_sort_block_merge_config_selectorIiSC_EEEEvv, .Lfunc_end396-_ZN7rocprim17ROCPRIM_400000_NS6detail44device_merge_sort_compile_time_verifier_archINS1_11comp_targetILNS1_3genE10ELNS1_11target_archE1200ELNS1_3gpuE4ELNS1_3repE0EEENS3_ILS4_10ELS5_1201ELS6_5ELS7_0EEENS0_14default_configESA_NS1_37merge_sort_block_sort_config_selectorIiNS0_10empty_typeEEENS1_38merge_sort_block_merge_config_selectorIiSC_EEEEvv
                                        ; -- End function
	.set _ZN7rocprim17ROCPRIM_400000_NS6detail44device_merge_sort_compile_time_verifier_archINS1_11comp_targetILNS1_3genE10ELNS1_11target_archE1200ELNS1_3gpuE4ELNS1_3repE0EEENS3_ILS4_10ELS5_1201ELS6_5ELS7_0EEENS0_14default_configESA_NS1_37merge_sort_block_sort_config_selectorIiNS0_10empty_typeEEENS1_38merge_sort_block_merge_config_selectorIiSC_EEEEvv.num_vgpr, 0
	.set _ZN7rocprim17ROCPRIM_400000_NS6detail44device_merge_sort_compile_time_verifier_archINS1_11comp_targetILNS1_3genE10ELNS1_11target_archE1200ELNS1_3gpuE4ELNS1_3repE0EEENS3_ILS4_10ELS5_1201ELS6_5ELS7_0EEENS0_14default_configESA_NS1_37merge_sort_block_sort_config_selectorIiNS0_10empty_typeEEENS1_38merge_sort_block_merge_config_selectorIiSC_EEEEvv.num_agpr, 0
	.set _ZN7rocprim17ROCPRIM_400000_NS6detail44device_merge_sort_compile_time_verifier_archINS1_11comp_targetILNS1_3genE10ELNS1_11target_archE1200ELNS1_3gpuE4ELNS1_3repE0EEENS3_ILS4_10ELS5_1201ELS6_5ELS7_0EEENS0_14default_configESA_NS1_37merge_sort_block_sort_config_selectorIiNS0_10empty_typeEEENS1_38merge_sort_block_merge_config_selectorIiSC_EEEEvv.numbered_sgpr, 0
	.set _ZN7rocprim17ROCPRIM_400000_NS6detail44device_merge_sort_compile_time_verifier_archINS1_11comp_targetILNS1_3genE10ELNS1_11target_archE1200ELNS1_3gpuE4ELNS1_3repE0EEENS3_ILS4_10ELS5_1201ELS6_5ELS7_0EEENS0_14default_configESA_NS1_37merge_sort_block_sort_config_selectorIiNS0_10empty_typeEEENS1_38merge_sort_block_merge_config_selectorIiSC_EEEEvv.num_named_barrier, 0
	.set _ZN7rocprim17ROCPRIM_400000_NS6detail44device_merge_sort_compile_time_verifier_archINS1_11comp_targetILNS1_3genE10ELNS1_11target_archE1200ELNS1_3gpuE4ELNS1_3repE0EEENS3_ILS4_10ELS5_1201ELS6_5ELS7_0EEENS0_14default_configESA_NS1_37merge_sort_block_sort_config_selectorIiNS0_10empty_typeEEENS1_38merge_sort_block_merge_config_selectorIiSC_EEEEvv.private_seg_size, 0
	.set _ZN7rocprim17ROCPRIM_400000_NS6detail44device_merge_sort_compile_time_verifier_archINS1_11comp_targetILNS1_3genE10ELNS1_11target_archE1200ELNS1_3gpuE4ELNS1_3repE0EEENS3_ILS4_10ELS5_1201ELS6_5ELS7_0EEENS0_14default_configESA_NS1_37merge_sort_block_sort_config_selectorIiNS0_10empty_typeEEENS1_38merge_sort_block_merge_config_selectorIiSC_EEEEvv.uses_vcc, 0
	.set _ZN7rocprim17ROCPRIM_400000_NS6detail44device_merge_sort_compile_time_verifier_archINS1_11comp_targetILNS1_3genE10ELNS1_11target_archE1200ELNS1_3gpuE4ELNS1_3repE0EEENS3_ILS4_10ELS5_1201ELS6_5ELS7_0EEENS0_14default_configESA_NS1_37merge_sort_block_sort_config_selectorIiNS0_10empty_typeEEENS1_38merge_sort_block_merge_config_selectorIiSC_EEEEvv.uses_flat_scratch, 0
	.set _ZN7rocprim17ROCPRIM_400000_NS6detail44device_merge_sort_compile_time_verifier_archINS1_11comp_targetILNS1_3genE10ELNS1_11target_archE1200ELNS1_3gpuE4ELNS1_3repE0EEENS3_ILS4_10ELS5_1201ELS6_5ELS7_0EEENS0_14default_configESA_NS1_37merge_sort_block_sort_config_selectorIiNS0_10empty_typeEEENS1_38merge_sort_block_merge_config_selectorIiSC_EEEEvv.has_dyn_sized_stack, 0
	.set _ZN7rocprim17ROCPRIM_400000_NS6detail44device_merge_sort_compile_time_verifier_archINS1_11comp_targetILNS1_3genE10ELNS1_11target_archE1200ELNS1_3gpuE4ELNS1_3repE0EEENS3_ILS4_10ELS5_1201ELS6_5ELS7_0EEENS0_14default_configESA_NS1_37merge_sort_block_sort_config_selectorIiNS0_10empty_typeEEENS1_38merge_sort_block_merge_config_selectorIiSC_EEEEvv.has_recursion, 0
	.set _ZN7rocprim17ROCPRIM_400000_NS6detail44device_merge_sort_compile_time_verifier_archINS1_11comp_targetILNS1_3genE10ELNS1_11target_archE1200ELNS1_3gpuE4ELNS1_3repE0EEENS3_ILS4_10ELS5_1201ELS6_5ELS7_0EEENS0_14default_configESA_NS1_37merge_sort_block_sort_config_selectorIiNS0_10empty_typeEEENS1_38merge_sort_block_merge_config_selectorIiSC_EEEEvv.has_indirect_call, 0
	.section	.AMDGPU.csdata,"",@progbits
; Kernel info:
; codeLenInByte = 4
; TotalNumSgprs: 0
; NumVgprs: 0
; ScratchSize: 0
; MemoryBound: 0
; FloatMode: 240
; IeeeMode: 1
; LDSByteSize: 0 bytes/workgroup (compile time only)
; SGPRBlocks: 0
; VGPRBlocks: 0
; NumSGPRsForWavesPerEU: 1
; NumVGPRsForWavesPerEU: 1
; Occupancy: 16
; WaveLimiterHint : 0
; COMPUTE_PGM_RSRC2:SCRATCH_EN: 0
; COMPUTE_PGM_RSRC2:USER_SGPR: 4
; COMPUTE_PGM_RSRC2:TRAP_HANDLER: 0
; COMPUTE_PGM_RSRC2:TGID_X_EN: 1
; COMPUTE_PGM_RSRC2:TGID_Y_EN: 0
; COMPUTE_PGM_RSRC2:TGID_Z_EN: 0
; COMPUTE_PGM_RSRC2:TIDIG_COMP_CNT: 0
	.section	.text._ZN7rocprim17ROCPRIM_400000_NS6detail44device_merge_sort_compile_time_verifier_archINS1_11comp_targetILNS1_3genE9ELNS1_11target_archE1100ELNS1_3gpuE3ELNS1_3repE0EEES8_NS0_14default_configES9_NS1_37merge_sort_block_sort_config_selectorIiNS0_10empty_typeEEENS1_38merge_sort_block_merge_config_selectorIiSB_EEEEvv,"axG",@progbits,_ZN7rocprim17ROCPRIM_400000_NS6detail44device_merge_sort_compile_time_verifier_archINS1_11comp_targetILNS1_3genE9ELNS1_11target_archE1100ELNS1_3gpuE3ELNS1_3repE0EEES8_NS0_14default_configES9_NS1_37merge_sort_block_sort_config_selectorIiNS0_10empty_typeEEENS1_38merge_sort_block_merge_config_selectorIiSB_EEEEvv,comdat
	.protected	_ZN7rocprim17ROCPRIM_400000_NS6detail44device_merge_sort_compile_time_verifier_archINS1_11comp_targetILNS1_3genE9ELNS1_11target_archE1100ELNS1_3gpuE3ELNS1_3repE0EEES8_NS0_14default_configES9_NS1_37merge_sort_block_sort_config_selectorIiNS0_10empty_typeEEENS1_38merge_sort_block_merge_config_selectorIiSB_EEEEvv ; -- Begin function _ZN7rocprim17ROCPRIM_400000_NS6detail44device_merge_sort_compile_time_verifier_archINS1_11comp_targetILNS1_3genE9ELNS1_11target_archE1100ELNS1_3gpuE3ELNS1_3repE0EEES8_NS0_14default_configES9_NS1_37merge_sort_block_sort_config_selectorIiNS0_10empty_typeEEENS1_38merge_sort_block_merge_config_selectorIiSB_EEEEvv
	.globl	_ZN7rocprim17ROCPRIM_400000_NS6detail44device_merge_sort_compile_time_verifier_archINS1_11comp_targetILNS1_3genE9ELNS1_11target_archE1100ELNS1_3gpuE3ELNS1_3repE0EEES8_NS0_14default_configES9_NS1_37merge_sort_block_sort_config_selectorIiNS0_10empty_typeEEENS1_38merge_sort_block_merge_config_selectorIiSB_EEEEvv
	.p2align	8
	.type	_ZN7rocprim17ROCPRIM_400000_NS6detail44device_merge_sort_compile_time_verifier_archINS1_11comp_targetILNS1_3genE9ELNS1_11target_archE1100ELNS1_3gpuE3ELNS1_3repE0EEES8_NS0_14default_configES9_NS1_37merge_sort_block_sort_config_selectorIiNS0_10empty_typeEEENS1_38merge_sort_block_merge_config_selectorIiSB_EEEEvv,@function
_ZN7rocprim17ROCPRIM_400000_NS6detail44device_merge_sort_compile_time_verifier_archINS1_11comp_targetILNS1_3genE9ELNS1_11target_archE1100ELNS1_3gpuE3ELNS1_3repE0EEES8_NS0_14default_configES9_NS1_37merge_sort_block_sort_config_selectorIiNS0_10empty_typeEEENS1_38merge_sort_block_merge_config_selectorIiSB_EEEEvv: ; @_ZN7rocprim17ROCPRIM_400000_NS6detail44device_merge_sort_compile_time_verifier_archINS1_11comp_targetILNS1_3genE9ELNS1_11target_archE1100ELNS1_3gpuE3ELNS1_3repE0EEES8_NS0_14default_configES9_NS1_37merge_sort_block_sort_config_selectorIiNS0_10empty_typeEEENS1_38merge_sort_block_merge_config_selectorIiSB_EEEEvv
; %bb.0:
	s_endpgm
	.section	.rodata,"a",@progbits
	.p2align	6, 0x0
	.amdhsa_kernel _ZN7rocprim17ROCPRIM_400000_NS6detail44device_merge_sort_compile_time_verifier_archINS1_11comp_targetILNS1_3genE9ELNS1_11target_archE1100ELNS1_3gpuE3ELNS1_3repE0EEES8_NS0_14default_configES9_NS1_37merge_sort_block_sort_config_selectorIiNS0_10empty_typeEEENS1_38merge_sort_block_merge_config_selectorIiSB_EEEEvv
		.amdhsa_group_segment_fixed_size 0
		.amdhsa_private_segment_fixed_size 0
		.amdhsa_kernarg_size 0
		.amdhsa_user_sgpr_count 4
		.amdhsa_user_sgpr_private_segment_buffer 1
		.amdhsa_user_sgpr_dispatch_ptr 0
		.amdhsa_user_sgpr_queue_ptr 0
		.amdhsa_user_sgpr_kernarg_segment_ptr 0
		.amdhsa_user_sgpr_dispatch_id 0
		.amdhsa_user_sgpr_flat_scratch_init 0
		.amdhsa_user_sgpr_private_segment_size 0
		.amdhsa_wavefront_size32 1
		.amdhsa_uses_dynamic_stack 0
		.amdhsa_system_sgpr_private_segment_wavefront_offset 0
		.amdhsa_system_sgpr_workgroup_id_x 1
		.amdhsa_system_sgpr_workgroup_id_y 0
		.amdhsa_system_sgpr_workgroup_id_z 0
		.amdhsa_system_sgpr_workgroup_info 0
		.amdhsa_system_vgpr_workitem_id 0
		.amdhsa_next_free_vgpr 1
		.amdhsa_next_free_sgpr 1
		.amdhsa_reserve_vcc 0
		.amdhsa_reserve_flat_scratch 0
		.amdhsa_float_round_mode_32 0
		.amdhsa_float_round_mode_16_64 0
		.amdhsa_float_denorm_mode_32 3
		.amdhsa_float_denorm_mode_16_64 3
		.amdhsa_dx10_clamp 1
		.amdhsa_ieee_mode 1
		.amdhsa_fp16_overflow 0
		.amdhsa_workgroup_processor_mode 1
		.amdhsa_memory_ordered 1
		.amdhsa_forward_progress 1
		.amdhsa_shared_vgpr_count 0
		.amdhsa_exception_fp_ieee_invalid_op 0
		.amdhsa_exception_fp_denorm_src 0
		.amdhsa_exception_fp_ieee_div_zero 0
		.amdhsa_exception_fp_ieee_overflow 0
		.amdhsa_exception_fp_ieee_underflow 0
		.amdhsa_exception_fp_ieee_inexact 0
		.amdhsa_exception_int_div_zero 0
	.end_amdhsa_kernel
	.section	.text._ZN7rocprim17ROCPRIM_400000_NS6detail44device_merge_sort_compile_time_verifier_archINS1_11comp_targetILNS1_3genE9ELNS1_11target_archE1100ELNS1_3gpuE3ELNS1_3repE0EEES8_NS0_14default_configES9_NS1_37merge_sort_block_sort_config_selectorIiNS0_10empty_typeEEENS1_38merge_sort_block_merge_config_selectorIiSB_EEEEvv,"axG",@progbits,_ZN7rocprim17ROCPRIM_400000_NS6detail44device_merge_sort_compile_time_verifier_archINS1_11comp_targetILNS1_3genE9ELNS1_11target_archE1100ELNS1_3gpuE3ELNS1_3repE0EEES8_NS0_14default_configES9_NS1_37merge_sort_block_sort_config_selectorIiNS0_10empty_typeEEENS1_38merge_sort_block_merge_config_selectorIiSB_EEEEvv,comdat
.Lfunc_end397:
	.size	_ZN7rocprim17ROCPRIM_400000_NS6detail44device_merge_sort_compile_time_verifier_archINS1_11comp_targetILNS1_3genE9ELNS1_11target_archE1100ELNS1_3gpuE3ELNS1_3repE0EEES8_NS0_14default_configES9_NS1_37merge_sort_block_sort_config_selectorIiNS0_10empty_typeEEENS1_38merge_sort_block_merge_config_selectorIiSB_EEEEvv, .Lfunc_end397-_ZN7rocprim17ROCPRIM_400000_NS6detail44device_merge_sort_compile_time_verifier_archINS1_11comp_targetILNS1_3genE9ELNS1_11target_archE1100ELNS1_3gpuE3ELNS1_3repE0EEES8_NS0_14default_configES9_NS1_37merge_sort_block_sort_config_selectorIiNS0_10empty_typeEEENS1_38merge_sort_block_merge_config_selectorIiSB_EEEEvv
                                        ; -- End function
	.set _ZN7rocprim17ROCPRIM_400000_NS6detail44device_merge_sort_compile_time_verifier_archINS1_11comp_targetILNS1_3genE9ELNS1_11target_archE1100ELNS1_3gpuE3ELNS1_3repE0EEES8_NS0_14default_configES9_NS1_37merge_sort_block_sort_config_selectorIiNS0_10empty_typeEEENS1_38merge_sort_block_merge_config_selectorIiSB_EEEEvv.num_vgpr, 0
	.set _ZN7rocprim17ROCPRIM_400000_NS6detail44device_merge_sort_compile_time_verifier_archINS1_11comp_targetILNS1_3genE9ELNS1_11target_archE1100ELNS1_3gpuE3ELNS1_3repE0EEES8_NS0_14default_configES9_NS1_37merge_sort_block_sort_config_selectorIiNS0_10empty_typeEEENS1_38merge_sort_block_merge_config_selectorIiSB_EEEEvv.num_agpr, 0
	.set _ZN7rocprim17ROCPRIM_400000_NS6detail44device_merge_sort_compile_time_verifier_archINS1_11comp_targetILNS1_3genE9ELNS1_11target_archE1100ELNS1_3gpuE3ELNS1_3repE0EEES8_NS0_14default_configES9_NS1_37merge_sort_block_sort_config_selectorIiNS0_10empty_typeEEENS1_38merge_sort_block_merge_config_selectorIiSB_EEEEvv.numbered_sgpr, 0
	.set _ZN7rocprim17ROCPRIM_400000_NS6detail44device_merge_sort_compile_time_verifier_archINS1_11comp_targetILNS1_3genE9ELNS1_11target_archE1100ELNS1_3gpuE3ELNS1_3repE0EEES8_NS0_14default_configES9_NS1_37merge_sort_block_sort_config_selectorIiNS0_10empty_typeEEENS1_38merge_sort_block_merge_config_selectorIiSB_EEEEvv.num_named_barrier, 0
	.set _ZN7rocprim17ROCPRIM_400000_NS6detail44device_merge_sort_compile_time_verifier_archINS1_11comp_targetILNS1_3genE9ELNS1_11target_archE1100ELNS1_3gpuE3ELNS1_3repE0EEES8_NS0_14default_configES9_NS1_37merge_sort_block_sort_config_selectorIiNS0_10empty_typeEEENS1_38merge_sort_block_merge_config_selectorIiSB_EEEEvv.private_seg_size, 0
	.set _ZN7rocprim17ROCPRIM_400000_NS6detail44device_merge_sort_compile_time_verifier_archINS1_11comp_targetILNS1_3genE9ELNS1_11target_archE1100ELNS1_3gpuE3ELNS1_3repE0EEES8_NS0_14default_configES9_NS1_37merge_sort_block_sort_config_selectorIiNS0_10empty_typeEEENS1_38merge_sort_block_merge_config_selectorIiSB_EEEEvv.uses_vcc, 0
	.set _ZN7rocprim17ROCPRIM_400000_NS6detail44device_merge_sort_compile_time_verifier_archINS1_11comp_targetILNS1_3genE9ELNS1_11target_archE1100ELNS1_3gpuE3ELNS1_3repE0EEES8_NS0_14default_configES9_NS1_37merge_sort_block_sort_config_selectorIiNS0_10empty_typeEEENS1_38merge_sort_block_merge_config_selectorIiSB_EEEEvv.uses_flat_scratch, 0
	.set _ZN7rocprim17ROCPRIM_400000_NS6detail44device_merge_sort_compile_time_verifier_archINS1_11comp_targetILNS1_3genE9ELNS1_11target_archE1100ELNS1_3gpuE3ELNS1_3repE0EEES8_NS0_14default_configES9_NS1_37merge_sort_block_sort_config_selectorIiNS0_10empty_typeEEENS1_38merge_sort_block_merge_config_selectorIiSB_EEEEvv.has_dyn_sized_stack, 0
	.set _ZN7rocprim17ROCPRIM_400000_NS6detail44device_merge_sort_compile_time_verifier_archINS1_11comp_targetILNS1_3genE9ELNS1_11target_archE1100ELNS1_3gpuE3ELNS1_3repE0EEES8_NS0_14default_configES9_NS1_37merge_sort_block_sort_config_selectorIiNS0_10empty_typeEEENS1_38merge_sort_block_merge_config_selectorIiSB_EEEEvv.has_recursion, 0
	.set _ZN7rocprim17ROCPRIM_400000_NS6detail44device_merge_sort_compile_time_verifier_archINS1_11comp_targetILNS1_3genE9ELNS1_11target_archE1100ELNS1_3gpuE3ELNS1_3repE0EEES8_NS0_14default_configES9_NS1_37merge_sort_block_sort_config_selectorIiNS0_10empty_typeEEENS1_38merge_sort_block_merge_config_selectorIiSB_EEEEvv.has_indirect_call, 0
	.section	.AMDGPU.csdata,"",@progbits
; Kernel info:
; codeLenInByte = 4
; TotalNumSgprs: 0
; NumVgprs: 0
; ScratchSize: 0
; MemoryBound: 0
; FloatMode: 240
; IeeeMode: 1
; LDSByteSize: 0 bytes/workgroup (compile time only)
; SGPRBlocks: 0
; VGPRBlocks: 0
; NumSGPRsForWavesPerEU: 1
; NumVGPRsForWavesPerEU: 1
; Occupancy: 16
; WaveLimiterHint : 0
; COMPUTE_PGM_RSRC2:SCRATCH_EN: 0
; COMPUTE_PGM_RSRC2:USER_SGPR: 4
; COMPUTE_PGM_RSRC2:TRAP_HANDLER: 0
; COMPUTE_PGM_RSRC2:TGID_X_EN: 1
; COMPUTE_PGM_RSRC2:TGID_Y_EN: 0
; COMPUTE_PGM_RSRC2:TGID_Z_EN: 0
; COMPUTE_PGM_RSRC2:TIDIG_COMP_CNT: 0
	.section	.text._ZN7rocprim17ROCPRIM_400000_NS6detail44device_merge_sort_compile_time_verifier_archINS1_11comp_targetILNS1_3genE8ELNS1_11target_archE1030ELNS1_3gpuE2ELNS1_3repE0EEES8_NS0_14default_configES9_NS1_37merge_sort_block_sort_config_selectorIiNS0_10empty_typeEEENS1_38merge_sort_block_merge_config_selectorIiSB_EEEEvv,"axG",@progbits,_ZN7rocprim17ROCPRIM_400000_NS6detail44device_merge_sort_compile_time_verifier_archINS1_11comp_targetILNS1_3genE8ELNS1_11target_archE1030ELNS1_3gpuE2ELNS1_3repE0EEES8_NS0_14default_configES9_NS1_37merge_sort_block_sort_config_selectorIiNS0_10empty_typeEEENS1_38merge_sort_block_merge_config_selectorIiSB_EEEEvv,comdat
	.protected	_ZN7rocprim17ROCPRIM_400000_NS6detail44device_merge_sort_compile_time_verifier_archINS1_11comp_targetILNS1_3genE8ELNS1_11target_archE1030ELNS1_3gpuE2ELNS1_3repE0EEES8_NS0_14default_configES9_NS1_37merge_sort_block_sort_config_selectorIiNS0_10empty_typeEEENS1_38merge_sort_block_merge_config_selectorIiSB_EEEEvv ; -- Begin function _ZN7rocprim17ROCPRIM_400000_NS6detail44device_merge_sort_compile_time_verifier_archINS1_11comp_targetILNS1_3genE8ELNS1_11target_archE1030ELNS1_3gpuE2ELNS1_3repE0EEES8_NS0_14default_configES9_NS1_37merge_sort_block_sort_config_selectorIiNS0_10empty_typeEEENS1_38merge_sort_block_merge_config_selectorIiSB_EEEEvv
	.globl	_ZN7rocprim17ROCPRIM_400000_NS6detail44device_merge_sort_compile_time_verifier_archINS1_11comp_targetILNS1_3genE8ELNS1_11target_archE1030ELNS1_3gpuE2ELNS1_3repE0EEES8_NS0_14default_configES9_NS1_37merge_sort_block_sort_config_selectorIiNS0_10empty_typeEEENS1_38merge_sort_block_merge_config_selectorIiSB_EEEEvv
	.p2align	8
	.type	_ZN7rocprim17ROCPRIM_400000_NS6detail44device_merge_sort_compile_time_verifier_archINS1_11comp_targetILNS1_3genE8ELNS1_11target_archE1030ELNS1_3gpuE2ELNS1_3repE0EEES8_NS0_14default_configES9_NS1_37merge_sort_block_sort_config_selectorIiNS0_10empty_typeEEENS1_38merge_sort_block_merge_config_selectorIiSB_EEEEvv,@function
_ZN7rocprim17ROCPRIM_400000_NS6detail44device_merge_sort_compile_time_verifier_archINS1_11comp_targetILNS1_3genE8ELNS1_11target_archE1030ELNS1_3gpuE2ELNS1_3repE0EEES8_NS0_14default_configES9_NS1_37merge_sort_block_sort_config_selectorIiNS0_10empty_typeEEENS1_38merge_sort_block_merge_config_selectorIiSB_EEEEvv: ; @_ZN7rocprim17ROCPRIM_400000_NS6detail44device_merge_sort_compile_time_verifier_archINS1_11comp_targetILNS1_3genE8ELNS1_11target_archE1030ELNS1_3gpuE2ELNS1_3repE0EEES8_NS0_14default_configES9_NS1_37merge_sort_block_sort_config_selectorIiNS0_10empty_typeEEENS1_38merge_sort_block_merge_config_selectorIiSB_EEEEvv
; %bb.0:
	s_endpgm
	.section	.rodata,"a",@progbits
	.p2align	6, 0x0
	.amdhsa_kernel _ZN7rocprim17ROCPRIM_400000_NS6detail44device_merge_sort_compile_time_verifier_archINS1_11comp_targetILNS1_3genE8ELNS1_11target_archE1030ELNS1_3gpuE2ELNS1_3repE0EEES8_NS0_14default_configES9_NS1_37merge_sort_block_sort_config_selectorIiNS0_10empty_typeEEENS1_38merge_sort_block_merge_config_selectorIiSB_EEEEvv
		.amdhsa_group_segment_fixed_size 0
		.amdhsa_private_segment_fixed_size 0
		.amdhsa_kernarg_size 0
		.amdhsa_user_sgpr_count 4
		.amdhsa_user_sgpr_private_segment_buffer 1
		.amdhsa_user_sgpr_dispatch_ptr 0
		.amdhsa_user_sgpr_queue_ptr 0
		.amdhsa_user_sgpr_kernarg_segment_ptr 0
		.amdhsa_user_sgpr_dispatch_id 0
		.amdhsa_user_sgpr_flat_scratch_init 0
		.amdhsa_user_sgpr_private_segment_size 0
		.amdhsa_wavefront_size32 1
		.amdhsa_uses_dynamic_stack 0
		.amdhsa_system_sgpr_private_segment_wavefront_offset 0
		.amdhsa_system_sgpr_workgroup_id_x 1
		.amdhsa_system_sgpr_workgroup_id_y 0
		.amdhsa_system_sgpr_workgroup_id_z 0
		.amdhsa_system_sgpr_workgroup_info 0
		.amdhsa_system_vgpr_workitem_id 0
		.amdhsa_next_free_vgpr 1
		.amdhsa_next_free_sgpr 1
		.amdhsa_reserve_vcc 0
		.amdhsa_reserve_flat_scratch 0
		.amdhsa_float_round_mode_32 0
		.amdhsa_float_round_mode_16_64 0
		.amdhsa_float_denorm_mode_32 3
		.amdhsa_float_denorm_mode_16_64 3
		.amdhsa_dx10_clamp 1
		.amdhsa_ieee_mode 1
		.amdhsa_fp16_overflow 0
		.amdhsa_workgroup_processor_mode 1
		.amdhsa_memory_ordered 1
		.amdhsa_forward_progress 1
		.amdhsa_shared_vgpr_count 0
		.amdhsa_exception_fp_ieee_invalid_op 0
		.amdhsa_exception_fp_denorm_src 0
		.amdhsa_exception_fp_ieee_div_zero 0
		.amdhsa_exception_fp_ieee_overflow 0
		.amdhsa_exception_fp_ieee_underflow 0
		.amdhsa_exception_fp_ieee_inexact 0
		.amdhsa_exception_int_div_zero 0
	.end_amdhsa_kernel
	.section	.text._ZN7rocprim17ROCPRIM_400000_NS6detail44device_merge_sort_compile_time_verifier_archINS1_11comp_targetILNS1_3genE8ELNS1_11target_archE1030ELNS1_3gpuE2ELNS1_3repE0EEES8_NS0_14default_configES9_NS1_37merge_sort_block_sort_config_selectorIiNS0_10empty_typeEEENS1_38merge_sort_block_merge_config_selectorIiSB_EEEEvv,"axG",@progbits,_ZN7rocprim17ROCPRIM_400000_NS6detail44device_merge_sort_compile_time_verifier_archINS1_11comp_targetILNS1_3genE8ELNS1_11target_archE1030ELNS1_3gpuE2ELNS1_3repE0EEES8_NS0_14default_configES9_NS1_37merge_sort_block_sort_config_selectorIiNS0_10empty_typeEEENS1_38merge_sort_block_merge_config_selectorIiSB_EEEEvv,comdat
.Lfunc_end398:
	.size	_ZN7rocprim17ROCPRIM_400000_NS6detail44device_merge_sort_compile_time_verifier_archINS1_11comp_targetILNS1_3genE8ELNS1_11target_archE1030ELNS1_3gpuE2ELNS1_3repE0EEES8_NS0_14default_configES9_NS1_37merge_sort_block_sort_config_selectorIiNS0_10empty_typeEEENS1_38merge_sort_block_merge_config_selectorIiSB_EEEEvv, .Lfunc_end398-_ZN7rocprim17ROCPRIM_400000_NS6detail44device_merge_sort_compile_time_verifier_archINS1_11comp_targetILNS1_3genE8ELNS1_11target_archE1030ELNS1_3gpuE2ELNS1_3repE0EEES8_NS0_14default_configES9_NS1_37merge_sort_block_sort_config_selectorIiNS0_10empty_typeEEENS1_38merge_sort_block_merge_config_selectorIiSB_EEEEvv
                                        ; -- End function
	.set _ZN7rocprim17ROCPRIM_400000_NS6detail44device_merge_sort_compile_time_verifier_archINS1_11comp_targetILNS1_3genE8ELNS1_11target_archE1030ELNS1_3gpuE2ELNS1_3repE0EEES8_NS0_14default_configES9_NS1_37merge_sort_block_sort_config_selectorIiNS0_10empty_typeEEENS1_38merge_sort_block_merge_config_selectorIiSB_EEEEvv.num_vgpr, 0
	.set _ZN7rocprim17ROCPRIM_400000_NS6detail44device_merge_sort_compile_time_verifier_archINS1_11comp_targetILNS1_3genE8ELNS1_11target_archE1030ELNS1_3gpuE2ELNS1_3repE0EEES8_NS0_14default_configES9_NS1_37merge_sort_block_sort_config_selectorIiNS0_10empty_typeEEENS1_38merge_sort_block_merge_config_selectorIiSB_EEEEvv.num_agpr, 0
	.set _ZN7rocprim17ROCPRIM_400000_NS6detail44device_merge_sort_compile_time_verifier_archINS1_11comp_targetILNS1_3genE8ELNS1_11target_archE1030ELNS1_3gpuE2ELNS1_3repE0EEES8_NS0_14default_configES9_NS1_37merge_sort_block_sort_config_selectorIiNS0_10empty_typeEEENS1_38merge_sort_block_merge_config_selectorIiSB_EEEEvv.numbered_sgpr, 0
	.set _ZN7rocprim17ROCPRIM_400000_NS6detail44device_merge_sort_compile_time_verifier_archINS1_11comp_targetILNS1_3genE8ELNS1_11target_archE1030ELNS1_3gpuE2ELNS1_3repE0EEES8_NS0_14default_configES9_NS1_37merge_sort_block_sort_config_selectorIiNS0_10empty_typeEEENS1_38merge_sort_block_merge_config_selectorIiSB_EEEEvv.num_named_barrier, 0
	.set _ZN7rocprim17ROCPRIM_400000_NS6detail44device_merge_sort_compile_time_verifier_archINS1_11comp_targetILNS1_3genE8ELNS1_11target_archE1030ELNS1_3gpuE2ELNS1_3repE0EEES8_NS0_14default_configES9_NS1_37merge_sort_block_sort_config_selectorIiNS0_10empty_typeEEENS1_38merge_sort_block_merge_config_selectorIiSB_EEEEvv.private_seg_size, 0
	.set _ZN7rocprim17ROCPRIM_400000_NS6detail44device_merge_sort_compile_time_verifier_archINS1_11comp_targetILNS1_3genE8ELNS1_11target_archE1030ELNS1_3gpuE2ELNS1_3repE0EEES8_NS0_14default_configES9_NS1_37merge_sort_block_sort_config_selectorIiNS0_10empty_typeEEENS1_38merge_sort_block_merge_config_selectorIiSB_EEEEvv.uses_vcc, 0
	.set _ZN7rocprim17ROCPRIM_400000_NS6detail44device_merge_sort_compile_time_verifier_archINS1_11comp_targetILNS1_3genE8ELNS1_11target_archE1030ELNS1_3gpuE2ELNS1_3repE0EEES8_NS0_14default_configES9_NS1_37merge_sort_block_sort_config_selectorIiNS0_10empty_typeEEENS1_38merge_sort_block_merge_config_selectorIiSB_EEEEvv.uses_flat_scratch, 0
	.set _ZN7rocprim17ROCPRIM_400000_NS6detail44device_merge_sort_compile_time_verifier_archINS1_11comp_targetILNS1_3genE8ELNS1_11target_archE1030ELNS1_3gpuE2ELNS1_3repE0EEES8_NS0_14default_configES9_NS1_37merge_sort_block_sort_config_selectorIiNS0_10empty_typeEEENS1_38merge_sort_block_merge_config_selectorIiSB_EEEEvv.has_dyn_sized_stack, 0
	.set _ZN7rocprim17ROCPRIM_400000_NS6detail44device_merge_sort_compile_time_verifier_archINS1_11comp_targetILNS1_3genE8ELNS1_11target_archE1030ELNS1_3gpuE2ELNS1_3repE0EEES8_NS0_14default_configES9_NS1_37merge_sort_block_sort_config_selectorIiNS0_10empty_typeEEENS1_38merge_sort_block_merge_config_selectorIiSB_EEEEvv.has_recursion, 0
	.set _ZN7rocprim17ROCPRIM_400000_NS6detail44device_merge_sort_compile_time_verifier_archINS1_11comp_targetILNS1_3genE8ELNS1_11target_archE1030ELNS1_3gpuE2ELNS1_3repE0EEES8_NS0_14default_configES9_NS1_37merge_sort_block_sort_config_selectorIiNS0_10empty_typeEEENS1_38merge_sort_block_merge_config_selectorIiSB_EEEEvv.has_indirect_call, 0
	.section	.AMDGPU.csdata,"",@progbits
; Kernel info:
; codeLenInByte = 4
; TotalNumSgprs: 0
; NumVgprs: 0
; ScratchSize: 0
; MemoryBound: 0
; FloatMode: 240
; IeeeMode: 1
; LDSByteSize: 0 bytes/workgroup (compile time only)
; SGPRBlocks: 0
; VGPRBlocks: 0
; NumSGPRsForWavesPerEU: 1
; NumVGPRsForWavesPerEU: 1
; Occupancy: 16
; WaveLimiterHint : 0
; COMPUTE_PGM_RSRC2:SCRATCH_EN: 0
; COMPUTE_PGM_RSRC2:USER_SGPR: 4
; COMPUTE_PGM_RSRC2:TRAP_HANDLER: 0
; COMPUTE_PGM_RSRC2:TGID_X_EN: 1
; COMPUTE_PGM_RSRC2:TGID_Y_EN: 0
; COMPUTE_PGM_RSRC2:TGID_Z_EN: 0
; COMPUTE_PGM_RSRC2:TIDIG_COMP_CNT: 0
	.section	.text._ZN7rocprim17ROCPRIM_400000_NS6detail17trampoline_kernelINS0_14default_configENS1_37merge_sort_block_sort_config_selectorIiNS0_10empty_typeEEEZNS1_21merge_sort_block_sortIS3_N6thrust23THRUST_200600_302600_NS6detail15normal_iteratorINS9_10device_ptrIiEEEESE_PS5_SF_17evens_before_oddsEE10hipError_tT0_T1_T2_T3_mRjT4_P12ihipStream_tbNS1_7vsmem_tEEUlT_E_NS1_11comp_targetILNS1_3genE0ELNS1_11target_archE4294967295ELNS1_3gpuE0ELNS1_3repE0EEENS1_30default_config_static_selectorELNS0_4arch9wavefront6targetE0EEEvSJ_,"axG",@progbits,_ZN7rocprim17ROCPRIM_400000_NS6detail17trampoline_kernelINS0_14default_configENS1_37merge_sort_block_sort_config_selectorIiNS0_10empty_typeEEEZNS1_21merge_sort_block_sortIS3_N6thrust23THRUST_200600_302600_NS6detail15normal_iteratorINS9_10device_ptrIiEEEESE_PS5_SF_17evens_before_oddsEE10hipError_tT0_T1_T2_T3_mRjT4_P12ihipStream_tbNS1_7vsmem_tEEUlT_E_NS1_11comp_targetILNS1_3genE0ELNS1_11target_archE4294967295ELNS1_3gpuE0ELNS1_3repE0EEENS1_30default_config_static_selectorELNS0_4arch9wavefront6targetE0EEEvSJ_,comdat
	.protected	_ZN7rocprim17ROCPRIM_400000_NS6detail17trampoline_kernelINS0_14default_configENS1_37merge_sort_block_sort_config_selectorIiNS0_10empty_typeEEEZNS1_21merge_sort_block_sortIS3_N6thrust23THRUST_200600_302600_NS6detail15normal_iteratorINS9_10device_ptrIiEEEESE_PS5_SF_17evens_before_oddsEE10hipError_tT0_T1_T2_T3_mRjT4_P12ihipStream_tbNS1_7vsmem_tEEUlT_E_NS1_11comp_targetILNS1_3genE0ELNS1_11target_archE4294967295ELNS1_3gpuE0ELNS1_3repE0EEENS1_30default_config_static_selectorELNS0_4arch9wavefront6targetE0EEEvSJ_ ; -- Begin function _ZN7rocprim17ROCPRIM_400000_NS6detail17trampoline_kernelINS0_14default_configENS1_37merge_sort_block_sort_config_selectorIiNS0_10empty_typeEEEZNS1_21merge_sort_block_sortIS3_N6thrust23THRUST_200600_302600_NS6detail15normal_iteratorINS9_10device_ptrIiEEEESE_PS5_SF_17evens_before_oddsEE10hipError_tT0_T1_T2_T3_mRjT4_P12ihipStream_tbNS1_7vsmem_tEEUlT_E_NS1_11comp_targetILNS1_3genE0ELNS1_11target_archE4294967295ELNS1_3gpuE0ELNS1_3repE0EEENS1_30default_config_static_selectorELNS0_4arch9wavefront6targetE0EEEvSJ_
	.globl	_ZN7rocprim17ROCPRIM_400000_NS6detail17trampoline_kernelINS0_14default_configENS1_37merge_sort_block_sort_config_selectorIiNS0_10empty_typeEEEZNS1_21merge_sort_block_sortIS3_N6thrust23THRUST_200600_302600_NS6detail15normal_iteratorINS9_10device_ptrIiEEEESE_PS5_SF_17evens_before_oddsEE10hipError_tT0_T1_T2_T3_mRjT4_P12ihipStream_tbNS1_7vsmem_tEEUlT_E_NS1_11comp_targetILNS1_3genE0ELNS1_11target_archE4294967295ELNS1_3gpuE0ELNS1_3repE0EEENS1_30default_config_static_selectorELNS0_4arch9wavefront6targetE0EEEvSJ_
	.p2align	8
	.type	_ZN7rocprim17ROCPRIM_400000_NS6detail17trampoline_kernelINS0_14default_configENS1_37merge_sort_block_sort_config_selectorIiNS0_10empty_typeEEEZNS1_21merge_sort_block_sortIS3_N6thrust23THRUST_200600_302600_NS6detail15normal_iteratorINS9_10device_ptrIiEEEESE_PS5_SF_17evens_before_oddsEE10hipError_tT0_T1_T2_T3_mRjT4_P12ihipStream_tbNS1_7vsmem_tEEUlT_E_NS1_11comp_targetILNS1_3genE0ELNS1_11target_archE4294967295ELNS1_3gpuE0ELNS1_3repE0EEENS1_30default_config_static_selectorELNS0_4arch9wavefront6targetE0EEEvSJ_,@function
_ZN7rocprim17ROCPRIM_400000_NS6detail17trampoline_kernelINS0_14default_configENS1_37merge_sort_block_sort_config_selectorIiNS0_10empty_typeEEEZNS1_21merge_sort_block_sortIS3_N6thrust23THRUST_200600_302600_NS6detail15normal_iteratorINS9_10device_ptrIiEEEESE_PS5_SF_17evens_before_oddsEE10hipError_tT0_T1_T2_T3_mRjT4_P12ihipStream_tbNS1_7vsmem_tEEUlT_E_NS1_11comp_targetILNS1_3genE0ELNS1_11target_archE4294967295ELNS1_3gpuE0ELNS1_3repE0EEENS1_30default_config_static_selectorELNS0_4arch9wavefront6targetE0EEEvSJ_: ; @_ZN7rocprim17ROCPRIM_400000_NS6detail17trampoline_kernelINS0_14default_configENS1_37merge_sort_block_sort_config_selectorIiNS0_10empty_typeEEEZNS1_21merge_sort_block_sortIS3_N6thrust23THRUST_200600_302600_NS6detail15normal_iteratorINS9_10device_ptrIiEEEESE_PS5_SF_17evens_before_oddsEE10hipError_tT0_T1_T2_T3_mRjT4_P12ihipStream_tbNS1_7vsmem_tEEUlT_E_NS1_11comp_targetILNS1_3genE0ELNS1_11target_archE4294967295ELNS1_3gpuE0ELNS1_3repE0EEENS1_30default_config_static_selectorELNS0_4arch9wavefront6targetE0EEEvSJ_
; %bb.0:
	.section	.rodata,"a",@progbits
	.p2align	6, 0x0
	.amdhsa_kernel _ZN7rocprim17ROCPRIM_400000_NS6detail17trampoline_kernelINS0_14default_configENS1_37merge_sort_block_sort_config_selectorIiNS0_10empty_typeEEEZNS1_21merge_sort_block_sortIS3_N6thrust23THRUST_200600_302600_NS6detail15normal_iteratorINS9_10device_ptrIiEEEESE_PS5_SF_17evens_before_oddsEE10hipError_tT0_T1_T2_T3_mRjT4_P12ihipStream_tbNS1_7vsmem_tEEUlT_E_NS1_11comp_targetILNS1_3genE0ELNS1_11target_archE4294967295ELNS1_3gpuE0ELNS1_3repE0EEENS1_30default_config_static_selectorELNS0_4arch9wavefront6targetE0EEEvSJ_
		.amdhsa_group_segment_fixed_size 0
		.amdhsa_private_segment_fixed_size 0
		.amdhsa_kernarg_size 64
		.amdhsa_user_sgpr_count 6
		.amdhsa_user_sgpr_private_segment_buffer 1
		.amdhsa_user_sgpr_dispatch_ptr 0
		.amdhsa_user_sgpr_queue_ptr 0
		.amdhsa_user_sgpr_kernarg_segment_ptr 1
		.amdhsa_user_sgpr_dispatch_id 0
		.amdhsa_user_sgpr_flat_scratch_init 0
		.amdhsa_user_sgpr_private_segment_size 0
		.amdhsa_wavefront_size32 1
		.amdhsa_uses_dynamic_stack 0
		.amdhsa_system_sgpr_private_segment_wavefront_offset 0
		.amdhsa_system_sgpr_workgroup_id_x 1
		.amdhsa_system_sgpr_workgroup_id_y 0
		.amdhsa_system_sgpr_workgroup_id_z 0
		.amdhsa_system_sgpr_workgroup_info 0
		.amdhsa_system_vgpr_workitem_id 0
		.amdhsa_next_free_vgpr 1
		.amdhsa_next_free_sgpr 1
		.amdhsa_reserve_vcc 0
		.amdhsa_reserve_flat_scratch 0
		.amdhsa_float_round_mode_32 0
		.amdhsa_float_round_mode_16_64 0
		.amdhsa_float_denorm_mode_32 3
		.amdhsa_float_denorm_mode_16_64 3
		.amdhsa_dx10_clamp 1
		.amdhsa_ieee_mode 1
		.amdhsa_fp16_overflow 0
		.amdhsa_workgroup_processor_mode 1
		.amdhsa_memory_ordered 1
		.amdhsa_forward_progress 1
		.amdhsa_shared_vgpr_count 0
		.amdhsa_exception_fp_ieee_invalid_op 0
		.amdhsa_exception_fp_denorm_src 0
		.amdhsa_exception_fp_ieee_div_zero 0
		.amdhsa_exception_fp_ieee_overflow 0
		.amdhsa_exception_fp_ieee_underflow 0
		.amdhsa_exception_fp_ieee_inexact 0
		.amdhsa_exception_int_div_zero 0
	.end_amdhsa_kernel
	.section	.text._ZN7rocprim17ROCPRIM_400000_NS6detail17trampoline_kernelINS0_14default_configENS1_37merge_sort_block_sort_config_selectorIiNS0_10empty_typeEEEZNS1_21merge_sort_block_sortIS3_N6thrust23THRUST_200600_302600_NS6detail15normal_iteratorINS9_10device_ptrIiEEEESE_PS5_SF_17evens_before_oddsEE10hipError_tT0_T1_T2_T3_mRjT4_P12ihipStream_tbNS1_7vsmem_tEEUlT_E_NS1_11comp_targetILNS1_3genE0ELNS1_11target_archE4294967295ELNS1_3gpuE0ELNS1_3repE0EEENS1_30default_config_static_selectorELNS0_4arch9wavefront6targetE0EEEvSJ_,"axG",@progbits,_ZN7rocprim17ROCPRIM_400000_NS6detail17trampoline_kernelINS0_14default_configENS1_37merge_sort_block_sort_config_selectorIiNS0_10empty_typeEEEZNS1_21merge_sort_block_sortIS3_N6thrust23THRUST_200600_302600_NS6detail15normal_iteratorINS9_10device_ptrIiEEEESE_PS5_SF_17evens_before_oddsEE10hipError_tT0_T1_T2_T3_mRjT4_P12ihipStream_tbNS1_7vsmem_tEEUlT_E_NS1_11comp_targetILNS1_3genE0ELNS1_11target_archE4294967295ELNS1_3gpuE0ELNS1_3repE0EEENS1_30default_config_static_selectorELNS0_4arch9wavefront6targetE0EEEvSJ_,comdat
.Lfunc_end399:
	.size	_ZN7rocprim17ROCPRIM_400000_NS6detail17trampoline_kernelINS0_14default_configENS1_37merge_sort_block_sort_config_selectorIiNS0_10empty_typeEEEZNS1_21merge_sort_block_sortIS3_N6thrust23THRUST_200600_302600_NS6detail15normal_iteratorINS9_10device_ptrIiEEEESE_PS5_SF_17evens_before_oddsEE10hipError_tT0_T1_T2_T3_mRjT4_P12ihipStream_tbNS1_7vsmem_tEEUlT_E_NS1_11comp_targetILNS1_3genE0ELNS1_11target_archE4294967295ELNS1_3gpuE0ELNS1_3repE0EEENS1_30default_config_static_selectorELNS0_4arch9wavefront6targetE0EEEvSJ_, .Lfunc_end399-_ZN7rocprim17ROCPRIM_400000_NS6detail17trampoline_kernelINS0_14default_configENS1_37merge_sort_block_sort_config_selectorIiNS0_10empty_typeEEEZNS1_21merge_sort_block_sortIS3_N6thrust23THRUST_200600_302600_NS6detail15normal_iteratorINS9_10device_ptrIiEEEESE_PS5_SF_17evens_before_oddsEE10hipError_tT0_T1_T2_T3_mRjT4_P12ihipStream_tbNS1_7vsmem_tEEUlT_E_NS1_11comp_targetILNS1_3genE0ELNS1_11target_archE4294967295ELNS1_3gpuE0ELNS1_3repE0EEENS1_30default_config_static_selectorELNS0_4arch9wavefront6targetE0EEEvSJ_
                                        ; -- End function
	.set _ZN7rocprim17ROCPRIM_400000_NS6detail17trampoline_kernelINS0_14default_configENS1_37merge_sort_block_sort_config_selectorIiNS0_10empty_typeEEEZNS1_21merge_sort_block_sortIS3_N6thrust23THRUST_200600_302600_NS6detail15normal_iteratorINS9_10device_ptrIiEEEESE_PS5_SF_17evens_before_oddsEE10hipError_tT0_T1_T2_T3_mRjT4_P12ihipStream_tbNS1_7vsmem_tEEUlT_E_NS1_11comp_targetILNS1_3genE0ELNS1_11target_archE4294967295ELNS1_3gpuE0ELNS1_3repE0EEENS1_30default_config_static_selectorELNS0_4arch9wavefront6targetE0EEEvSJ_.num_vgpr, 0
	.set _ZN7rocprim17ROCPRIM_400000_NS6detail17trampoline_kernelINS0_14default_configENS1_37merge_sort_block_sort_config_selectorIiNS0_10empty_typeEEEZNS1_21merge_sort_block_sortIS3_N6thrust23THRUST_200600_302600_NS6detail15normal_iteratorINS9_10device_ptrIiEEEESE_PS5_SF_17evens_before_oddsEE10hipError_tT0_T1_T2_T3_mRjT4_P12ihipStream_tbNS1_7vsmem_tEEUlT_E_NS1_11comp_targetILNS1_3genE0ELNS1_11target_archE4294967295ELNS1_3gpuE0ELNS1_3repE0EEENS1_30default_config_static_selectorELNS0_4arch9wavefront6targetE0EEEvSJ_.num_agpr, 0
	.set _ZN7rocprim17ROCPRIM_400000_NS6detail17trampoline_kernelINS0_14default_configENS1_37merge_sort_block_sort_config_selectorIiNS0_10empty_typeEEEZNS1_21merge_sort_block_sortIS3_N6thrust23THRUST_200600_302600_NS6detail15normal_iteratorINS9_10device_ptrIiEEEESE_PS5_SF_17evens_before_oddsEE10hipError_tT0_T1_T2_T3_mRjT4_P12ihipStream_tbNS1_7vsmem_tEEUlT_E_NS1_11comp_targetILNS1_3genE0ELNS1_11target_archE4294967295ELNS1_3gpuE0ELNS1_3repE0EEENS1_30default_config_static_selectorELNS0_4arch9wavefront6targetE0EEEvSJ_.numbered_sgpr, 0
	.set _ZN7rocprim17ROCPRIM_400000_NS6detail17trampoline_kernelINS0_14default_configENS1_37merge_sort_block_sort_config_selectorIiNS0_10empty_typeEEEZNS1_21merge_sort_block_sortIS3_N6thrust23THRUST_200600_302600_NS6detail15normal_iteratorINS9_10device_ptrIiEEEESE_PS5_SF_17evens_before_oddsEE10hipError_tT0_T1_T2_T3_mRjT4_P12ihipStream_tbNS1_7vsmem_tEEUlT_E_NS1_11comp_targetILNS1_3genE0ELNS1_11target_archE4294967295ELNS1_3gpuE0ELNS1_3repE0EEENS1_30default_config_static_selectorELNS0_4arch9wavefront6targetE0EEEvSJ_.num_named_barrier, 0
	.set _ZN7rocprim17ROCPRIM_400000_NS6detail17trampoline_kernelINS0_14default_configENS1_37merge_sort_block_sort_config_selectorIiNS0_10empty_typeEEEZNS1_21merge_sort_block_sortIS3_N6thrust23THRUST_200600_302600_NS6detail15normal_iteratorINS9_10device_ptrIiEEEESE_PS5_SF_17evens_before_oddsEE10hipError_tT0_T1_T2_T3_mRjT4_P12ihipStream_tbNS1_7vsmem_tEEUlT_E_NS1_11comp_targetILNS1_3genE0ELNS1_11target_archE4294967295ELNS1_3gpuE0ELNS1_3repE0EEENS1_30default_config_static_selectorELNS0_4arch9wavefront6targetE0EEEvSJ_.private_seg_size, 0
	.set _ZN7rocprim17ROCPRIM_400000_NS6detail17trampoline_kernelINS0_14default_configENS1_37merge_sort_block_sort_config_selectorIiNS0_10empty_typeEEEZNS1_21merge_sort_block_sortIS3_N6thrust23THRUST_200600_302600_NS6detail15normal_iteratorINS9_10device_ptrIiEEEESE_PS5_SF_17evens_before_oddsEE10hipError_tT0_T1_T2_T3_mRjT4_P12ihipStream_tbNS1_7vsmem_tEEUlT_E_NS1_11comp_targetILNS1_3genE0ELNS1_11target_archE4294967295ELNS1_3gpuE0ELNS1_3repE0EEENS1_30default_config_static_selectorELNS0_4arch9wavefront6targetE0EEEvSJ_.uses_vcc, 0
	.set _ZN7rocprim17ROCPRIM_400000_NS6detail17trampoline_kernelINS0_14default_configENS1_37merge_sort_block_sort_config_selectorIiNS0_10empty_typeEEEZNS1_21merge_sort_block_sortIS3_N6thrust23THRUST_200600_302600_NS6detail15normal_iteratorINS9_10device_ptrIiEEEESE_PS5_SF_17evens_before_oddsEE10hipError_tT0_T1_T2_T3_mRjT4_P12ihipStream_tbNS1_7vsmem_tEEUlT_E_NS1_11comp_targetILNS1_3genE0ELNS1_11target_archE4294967295ELNS1_3gpuE0ELNS1_3repE0EEENS1_30default_config_static_selectorELNS0_4arch9wavefront6targetE0EEEvSJ_.uses_flat_scratch, 0
	.set _ZN7rocprim17ROCPRIM_400000_NS6detail17trampoline_kernelINS0_14default_configENS1_37merge_sort_block_sort_config_selectorIiNS0_10empty_typeEEEZNS1_21merge_sort_block_sortIS3_N6thrust23THRUST_200600_302600_NS6detail15normal_iteratorINS9_10device_ptrIiEEEESE_PS5_SF_17evens_before_oddsEE10hipError_tT0_T1_T2_T3_mRjT4_P12ihipStream_tbNS1_7vsmem_tEEUlT_E_NS1_11comp_targetILNS1_3genE0ELNS1_11target_archE4294967295ELNS1_3gpuE0ELNS1_3repE0EEENS1_30default_config_static_selectorELNS0_4arch9wavefront6targetE0EEEvSJ_.has_dyn_sized_stack, 0
	.set _ZN7rocprim17ROCPRIM_400000_NS6detail17trampoline_kernelINS0_14default_configENS1_37merge_sort_block_sort_config_selectorIiNS0_10empty_typeEEEZNS1_21merge_sort_block_sortIS3_N6thrust23THRUST_200600_302600_NS6detail15normal_iteratorINS9_10device_ptrIiEEEESE_PS5_SF_17evens_before_oddsEE10hipError_tT0_T1_T2_T3_mRjT4_P12ihipStream_tbNS1_7vsmem_tEEUlT_E_NS1_11comp_targetILNS1_3genE0ELNS1_11target_archE4294967295ELNS1_3gpuE0ELNS1_3repE0EEENS1_30default_config_static_selectorELNS0_4arch9wavefront6targetE0EEEvSJ_.has_recursion, 0
	.set _ZN7rocprim17ROCPRIM_400000_NS6detail17trampoline_kernelINS0_14default_configENS1_37merge_sort_block_sort_config_selectorIiNS0_10empty_typeEEEZNS1_21merge_sort_block_sortIS3_N6thrust23THRUST_200600_302600_NS6detail15normal_iteratorINS9_10device_ptrIiEEEESE_PS5_SF_17evens_before_oddsEE10hipError_tT0_T1_T2_T3_mRjT4_P12ihipStream_tbNS1_7vsmem_tEEUlT_E_NS1_11comp_targetILNS1_3genE0ELNS1_11target_archE4294967295ELNS1_3gpuE0ELNS1_3repE0EEENS1_30default_config_static_selectorELNS0_4arch9wavefront6targetE0EEEvSJ_.has_indirect_call, 0
	.section	.AMDGPU.csdata,"",@progbits
; Kernel info:
; codeLenInByte = 0
; TotalNumSgprs: 0
; NumVgprs: 0
; ScratchSize: 0
; MemoryBound: 0
; FloatMode: 240
; IeeeMode: 1
; LDSByteSize: 0 bytes/workgroup (compile time only)
; SGPRBlocks: 0
; VGPRBlocks: 0
; NumSGPRsForWavesPerEU: 1
; NumVGPRsForWavesPerEU: 1
; Occupancy: 16
; WaveLimiterHint : 0
; COMPUTE_PGM_RSRC2:SCRATCH_EN: 0
; COMPUTE_PGM_RSRC2:USER_SGPR: 6
; COMPUTE_PGM_RSRC2:TRAP_HANDLER: 0
; COMPUTE_PGM_RSRC2:TGID_X_EN: 1
; COMPUTE_PGM_RSRC2:TGID_Y_EN: 0
; COMPUTE_PGM_RSRC2:TGID_Z_EN: 0
; COMPUTE_PGM_RSRC2:TIDIG_COMP_CNT: 0
	.section	.text._ZN7rocprim17ROCPRIM_400000_NS6detail17trampoline_kernelINS0_14default_configENS1_37merge_sort_block_sort_config_selectorIiNS0_10empty_typeEEEZNS1_21merge_sort_block_sortIS3_N6thrust23THRUST_200600_302600_NS6detail15normal_iteratorINS9_10device_ptrIiEEEESE_PS5_SF_17evens_before_oddsEE10hipError_tT0_T1_T2_T3_mRjT4_P12ihipStream_tbNS1_7vsmem_tEEUlT_E_NS1_11comp_targetILNS1_3genE5ELNS1_11target_archE942ELNS1_3gpuE9ELNS1_3repE0EEENS1_30default_config_static_selectorELNS0_4arch9wavefront6targetE0EEEvSJ_,"axG",@progbits,_ZN7rocprim17ROCPRIM_400000_NS6detail17trampoline_kernelINS0_14default_configENS1_37merge_sort_block_sort_config_selectorIiNS0_10empty_typeEEEZNS1_21merge_sort_block_sortIS3_N6thrust23THRUST_200600_302600_NS6detail15normal_iteratorINS9_10device_ptrIiEEEESE_PS5_SF_17evens_before_oddsEE10hipError_tT0_T1_T2_T3_mRjT4_P12ihipStream_tbNS1_7vsmem_tEEUlT_E_NS1_11comp_targetILNS1_3genE5ELNS1_11target_archE942ELNS1_3gpuE9ELNS1_3repE0EEENS1_30default_config_static_selectorELNS0_4arch9wavefront6targetE0EEEvSJ_,comdat
	.protected	_ZN7rocprim17ROCPRIM_400000_NS6detail17trampoline_kernelINS0_14default_configENS1_37merge_sort_block_sort_config_selectorIiNS0_10empty_typeEEEZNS1_21merge_sort_block_sortIS3_N6thrust23THRUST_200600_302600_NS6detail15normal_iteratorINS9_10device_ptrIiEEEESE_PS5_SF_17evens_before_oddsEE10hipError_tT0_T1_T2_T3_mRjT4_P12ihipStream_tbNS1_7vsmem_tEEUlT_E_NS1_11comp_targetILNS1_3genE5ELNS1_11target_archE942ELNS1_3gpuE9ELNS1_3repE0EEENS1_30default_config_static_selectorELNS0_4arch9wavefront6targetE0EEEvSJ_ ; -- Begin function _ZN7rocprim17ROCPRIM_400000_NS6detail17trampoline_kernelINS0_14default_configENS1_37merge_sort_block_sort_config_selectorIiNS0_10empty_typeEEEZNS1_21merge_sort_block_sortIS3_N6thrust23THRUST_200600_302600_NS6detail15normal_iteratorINS9_10device_ptrIiEEEESE_PS5_SF_17evens_before_oddsEE10hipError_tT0_T1_T2_T3_mRjT4_P12ihipStream_tbNS1_7vsmem_tEEUlT_E_NS1_11comp_targetILNS1_3genE5ELNS1_11target_archE942ELNS1_3gpuE9ELNS1_3repE0EEENS1_30default_config_static_selectorELNS0_4arch9wavefront6targetE0EEEvSJ_
	.globl	_ZN7rocprim17ROCPRIM_400000_NS6detail17trampoline_kernelINS0_14default_configENS1_37merge_sort_block_sort_config_selectorIiNS0_10empty_typeEEEZNS1_21merge_sort_block_sortIS3_N6thrust23THRUST_200600_302600_NS6detail15normal_iteratorINS9_10device_ptrIiEEEESE_PS5_SF_17evens_before_oddsEE10hipError_tT0_T1_T2_T3_mRjT4_P12ihipStream_tbNS1_7vsmem_tEEUlT_E_NS1_11comp_targetILNS1_3genE5ELNS1_11target_archE942ELNS1_3gpuE9ELNS1_3repE0EEENS1_30default_config_static_selectorELNS0_4arch9wavefront6targetE0EEEvSJ_
	.p2align	8
	.type	_ZN7rocprim17ROCPRIM_400000_NS6detail17trampoline_kernelINS0_14default_configENS1_37merge_sort_block_sort_config_selectorIiNS0_10empty_typeEEEZNS1_21merge_sort_block_sortIS3_N6thrust23THRUST_200600_302600_NS6detail15normal_iteratorINS9_10device_ptrIiEEEESE_PS5_SF_17evens_before_oddsEE10hipError_tT0_T1_T2_T3_mRjT4_P12ihipStream_tbNS1_7vsmem_tEEUlT_E_NS1_11comp_targetILNS1_3genE5ELNS1_11target_archE942ELNS1_3gpuE9ELNS1_3repE0EEENS1_30default_config_static_selectorELNS0_4arch9wavefront6targetE0EEEvSJ_,@function
_ZN7rocprim17ROCPRIM_400000_NS6detail17trampoline_kernelINS0_14default_configENS1_37merge_sort_block_sort_config_selectorIiNS0_10empty_typeEEEZNS1_21merge_sort_block_sortIS3_N6thrust23THRUST_200600_302600_NS6detail15normal_iteratorINS9_10device_ptrIiEEEESE_PS5_SF_17evens_before_oddsEE10hipError_tT0_T1_T2_T3_mRjT4_P12ihipStream_tbNS1_7vsmem_tEEUlT_E_NS1_11comp_targetILNS1_3genE5ELNS1_11target_archE942ELNS1_3gpuE9ELNS1_3repE0EEENS1_30default_config_static_selectorELNS0_4arch9wavefront6targetE0EEEvSJ_: ; @_ZN7rocprim17ROCPRIM_400000_NS6detail17trampoline_kernelINS0_14default_configENS1_37merge_sort_block_sort_config_selectorIiNS0_10empty_typeEEEZNS1_21merge_sort_block_sortIS3_N6thrust23THRUST_200600_302600_NS6detail15normal_iteratorINS9_10device_ptrIiEEEESE_PS5_SF_17evens_before_oddsEE10hipError_tT0_T1_T2_T3_mRjT4_P12ihipStream_tbNS1_7vsmem_tEEUlT_E_NS1_11comp_targetILNS1_3genE5ELNS1_11target_archE942ELNS1_3gpuE9ELNS1_3repE0EEENS1_30default_config_static_selectorELNS0_4arch9wavefront6targetE0EEEvSJ_
; %bb.0:
	.section	.rodata,"a",@progbits
	.p2align	6, 0x0
	.amdhsa_kernel _ZN7rocprim17ROCPRIM_400000_NS6detail17trampoline_kernelINS0_14default_configENS1_37merge_sort_block_sort_config_selectorIiNS0_10empty_typeEEEZNS1_21merge_sort_block_sortIS3_N6thrust23THRUST_200600_302600_NS6detail15normal_iteratorINS9_10device_ptrIiEEEESE_PS5_SF_17evens_before_oddsEE10hipError_tT0_T1_T2_T3_mRjT4_P12ihipStream_tbNS1_7vsmem_tEEUlT_E_NS1_11comp_targetILNS1_3genE5ELNS1_11target_archE942ELNS1_3gpuE9ELNS1_3repE0EEENS1_30default_config_static_selectorELNS0_4arch9wavefront6targetE0EEEvSJ_
		.amdhsa_group_segment_fixed_size 0
		.amdhsa_private_segment_fixed_size 0
		.amdhsa_kernarg_size 64
		.amdhsa_user_sgpr_count 6
		.amdhsa_user_sgpr_private_segment_buffer 1
		.amdhsa_user_sgpr_dispatch_ptr 0
		.amdhsa_user_sgpr_queue_ptr 0
		.amdhsa_user_sgpr_kernarg_segment_ptr 1
		.amdhsa_user_sgpr_dispatch_id 0
		.amdhsa_user_sgpr_flat_scratch_init 0
		.amdhsa_user_sgpr_private_segment_size 0
		.amdhsa_wavefront_size32 1
		.amdhsa_uses_dynamic_stack 0
		.amdhsa_system_sgpr_private_segment_wavefront_offset 0
		.amdhsa_system_sgpr_workgroup_id_x 1
		.amdhsa_system_sgpr_workgroup_id_y 0
		.amdhsa_system_sgpr_workgroup_id_z 0
		.amdhsa_system_sgpr_workgroup_info 0
		.amdhsa_system_vgpr_workitem_id 0
		.amdhsa_next_free_vgpr 1
		.amdhsa_next_free_sgpr 1
		.amdhsa_reserve_vcc 0
		.amdhsa_reserve_flat_scratch 0
		.amdhsa_float_round_mode_32 0
		.amdhsa_float_round_mode_16_64 0
		.amdhsa_float_denorm_mode_32 3
		.amdhsa_float_denorm_mode_16_64 3
		.amdhsa_dx10_clamp 1
		.amdhsa_ieee_mode 1
		.amdhsa_fp16_overflow 0
		.amdhsa_workgroup_processor_mode 1
		.amdhsa_memory_ordered 1
		.amdhsa_forward_progress 1
		.amdhsa_shared_vgpr_count 0
		.amdhsa_exception_fp_ieee_invalid_op 0
		.amdhsa_exception_fp_denorm_src 0
		.amdhsa_exception_fp_ieee_div_zero 0
		.amdhsa_exception_fp_ieee_overflow 0
		.amdhsa_exception_fp_ieee_underflow 0
		.amdhsa_exception_fp_ieee_inexact 0
		.amdhsa_exception_int_div_zero 0
	.end_amdhsa_kernel
	.section	.text._ZN7rocprim17ROCPRIM_400000_NS6detail17trampoline_kernelINS0_14default_configENS1_37merge_sort_block_sort_config_selectorIiNS0_10empty_typeEEEZNS1_21merge_sort_block_sortIS3_N6thrust23THRUST_200600_302600_NS6detail15normal_iteratorINS9_10device_ptrIiEEEESE_PS5_SF_17evens_before_oddsEE10hipError_tT0_T1_T2_T3_mRjT4_P12ihipStream_tbNS1_7vsmem_tEEUlT_E_NS1_11comp_targetILNS1_3genE5ELNS1_11target_archE942ELNS1_3gpuE9ELNS1_3repE0EEENS1_30default_config_static_selectorELNS0_4arch9wavefront6targetE0EEEvSJ_,"axG",@progbits,_ZN7rocprim17ROCPRIM_400000_NS6detail17trampoline_kernelINS0_14default_configENS1_37merge_sort_block_sort_config_selectorIiNS0_10empty_typeEEEZNS1_21merge_sort_block_sortIS3_N6thrust23THRUST_200600_302600_NS6detail15normal_iteratorINS9_10device_ptrIiEEEESE_PS5_SF_17evens_before_oddsEE10hipError_tT0_T1_T2_T3_mRjT4_P12ihipStream_tbNS1_7vsmem_tEEUlT_E_NS1_11comp_targetILNS1_3genE5ELNS1_11target_archE942ELNS1_3gpuE9ELNS1_3repE0EEENS1_30default_config_static_selectorELNS0_4arch9wavefront6targetE0EEEvSJ_,comdat
.Lfunc_end400:
	.size	_ZN7rocprim17ROCPRIM_400000_NS6detail17trampoline_kernelINS0_14default_configENS1_37merge_sort_block_sort_config_selectorIiNS0_10empty_typeEEEZNS1_21merge_sort_block_sortIS3_N6thrust23THRUST_200600_302600_NS6detail15normal_iteratorINS9_10device_ptrIiEEEESE_PS5_SF_17evens_before_oddsEE10hipError_tT0_T1_T2_T3_mRjT4_P12ihipStream_tbNS1_7vsmem_tEEUlT_E_NS1_11comp_targetILNS1_3genE5ELNS1_11target_archE942ELNS1_3gpuE9ELNS1_3repE0EEENS1_30default_config_static_selectorELNS0_4arch9wavefront6targetE0EEEvSJ_, .Lfunc_end400-_ZN7rocprim17ROCPRIM_400000_NS6detail17trampoline_kernelINS0_14default_configENS1_37merge_sort_block_sort_config_selectorIiNS0_10empty_typeEEEZNS1_21merge_sort_block_sortIS3_N6thrust23THRUST_200600_302600_NS6detail15normal_iteratorINS9_10device_ptrIiEEEESE_PS5_SF_17evens_before_oddsEE10hipError_tT0_T1_T2_T3_mRjT4_P12ihipStream_tbNS1_7vsmem_tEEUlT_E_NS1_11comp_targetILNS1_3genE5ELNS1_11target_archE942ELNS1_3gpuE9ELNS1_3repE0EEENS1_30default_config_static_selectorELNS0_4arch9wavefront6targetE0EEEvSJ_
                                        ; -- End function
	.set _ZN7rocprim17ROCPRIM_400000_NS6detail17trampoline_kernelINS0_14default_configENS1_37merge_sort_block_sort_config_selectorIiNS0_10empty_typeEEEZNS1_21merge_sort_block_sortIS3_N6thrust23THRUST_200600_302600_NS6detail15normal_iteratorINS9_10device_ptrIiEEEESE_PS5_SF_17evens_before_oddsEE10hipError_tT0_T1_T2_T3_mRjT4_P12ihipStream_tbNS1_7vsmem_tEEUlT_E_NS1_11comp_targetILNS1_3genE5ELNS1_11target_archE942ELNS1_3gpuE9ELNS1_3repE0EEENS1_30default_config_static_selectorELNS0_4arch9wavefront6targetE0EEEvSJ_.num_vgpr, 0
	.set _ZN7rocprim17ROCPRIM_400000_NS6detail17trampoline_kernelINS0_14default_configENS1_37merge_sort_block_sort_config_selectorIiNS0_10empty_typeEEEZNS1_21merge_sort_block_sortIS3_N6thrust23THRUST_200600_302600_NS6detail15normal_iteratorINS9_10device_ptrIiEEEESE_PS5_SF_17evens_before_oddsEE10hipError_tT0_T1_T2_T3_mRjT4_P12ihipStream_tbNS1_7vsmem_tEEUlT_E_NS1_11comp_targetILNS1_3genE5ELNS1_11target_archE942ELNS1_3gpuE9ELNS1_3repE0EEENS1_30default_config_static_selectorELNS0_4arch9wavefront6targetE0EEEvSJ_.num_agpr, 0
	.set _ZN7rocprim17ROCPRIM_400000_NS6detail17trampoline_kernelINS0_14default_configENS1_37merge_sort_block_sort_config_selectorIiNS0_10empty_typeEEEZNS1_21merge_sort_block_sortIS3_N6thrust23THRUST_200600_302600_NS6detail15normal_iteratorINS9_10device_ptrIiEEEESE_PS5_SF_17evens_before_oddsEE10hipError_tT0_T1_T2_T3_mRjT4_P12ihipStream_tbNS1_7vsmem_tEEUlT_E_NS1_11comp_targetILNS1_3genE5ELNS1_11target_archE942ELNS1_3gpuE9ELNS1_3repE0EEENS1_30default_config_static_selectorELNS0_4arch9wavefront6targetE0EEEvSJ_.numbered_sgpr, 0
	.set _ZN7rocprim17ROCPRIM_400000_NS6detail17trampoline_kernelINS0_14default_configENS1_37merge_sort_block_sort_config_selectorIiNS0_10empty_typeEEEZNS1_21merge_sort_block_sortIS3_N6thrust23THRUST_200600_302600_NS6detail15normal_iteratorINS9_10device_ptrIiEEEESE_PS5_SF_17evens_before_oddsEE10hipError_tT0_T1_T2_T3_mRjT4_P12ihipStream_tbNS1_7vsmem_tEEUlT_E_NS1_11comp_targetILNS1_3genE5ELNS1_11target_archE942ELNS1_3gpuE9ELNS1_3repE0EEENS1_30default_config_static_selectorELNS0_4arch9wavefront6targetE0EEEvSJ_.num_named_barrier, 0
	.set _ZN7rocprim17ROCPRIM_400000_NS6detail17trampoline_kernelINS0_14default_configENS1_37merge_sort_block_sort_config_selectorIiNS0_10empty_typeEEEZNS1_21merge_sort_block_sortIS3_N6thrust23THRUST_200600_302600_NS6detail15normal_iteratorINS9_10device_ptrIiEEEESE_PS5_SF_17evens_before_oddsEE10hipError_tT0_T1_T2_T3_mRjT4_P12ihipStream_tbNS1_7vsmem_tEEUlT_E_NS1_11comp_targetILNS1_3genE5ELNS1_11target_archE942ELNS1_3gpuE9ELNS1_3repE0EEENS1_30default_config_static_selectorELNS0_4arch9wavefront6targetE0EEEvSJ_.private_seg_size, 0
	.set _ZN7rocprim17ROCPRIM_400000_NS6detail17trampoline_kernelINS0_14default_configENS1_37merge_sort_block_sort_config_selectorIiNS0_10empty_typeEEEZNS1_21merge_sort_block_sortIS3_N6thrust23THRUST_200600_302600_NS6detail15normal_iteratorINS9_10device_ptrIiEEEESE_PS5_SF_17evens_before_oddsEE10hipError_tT0_T1_T2_T3_mRjT4_P12ihipStream_tbNS1_7vsmem_tEEUlT_E_NS1_11comp_targetILNS1_3genE5ELNS1_11target_archE942ELNS1_3gpuE9ELNS1_3repE0EEENS1_30default_config_static_selectorELNS0_4arch9wavefront6targetE0EEEvSJ_.uses_vcc, 0
	.set _ZN7rocprim17ROCPRIM_400000_NS6detail17trampoline_kernelINS0_14default_configENS1_37merge_sort_block_sort_config_selectorIiNS0_10empty_typeEEEZNS1_21merge_sort_block_sortIS3_N6thrust23THRUST_200600_302600_NS6detail15normal_iteratorINS9_10device_ptrIiEEEESE_PS5_SF_17evens_before_oddsEE10hipError_tT0_T1_T2_T3_mRjT4_P12ihipStream_tbNS1_7vsmem_tEEUlT_E_NS1_11comp_targetILNS1_3genE5ELNS1_11target_archE942ELNS1_3gpuE9ELNS1_3repE0EEENS1_30default_config_static_selectorELNS0_4arch9wavefront6targetE0EEEvSJ_.uses_flat_scratch, 0
	.set _ZN7rocprim17ROCPRIM_400000_NS6detail17trampoline_kernelINS0_14default_configENS1_37merge_sort_block_sort_config_selectorIiNS0_10empty_typeEEEZNS1_21merge_sort_block_sortIS3_N6thrust23THRUST_200600_302600_NS6detail15normal_iteratorINS9_10device_ptrIiEEEESE_PS5_SF_17evens_before_oddsEE10hipError_tT0_T1_T2_T3_mRjT4_P12ihipStream_tbNS1_7vsmem_tEEUlT_E_NS1_11comp_targetILNS1_3genE5ELNS1_11target_archE942ELNS1_3gpuE9ELNS1_3repE0EEENS1_30default_config_static_selectorELNS0_4arch9wavefront6targetE0EEEvSJ_.has_dyn_sized_stack, 0
	.set _ZN7rocprim17ROCPRIM_400000_NS6detail17trampoline_kernelINS0_14default_configENS1_37merge_sort_block_sort_config_selectorIiNS0_10empty_typeEEEZNS1_21merge_sort_block_sortIS3_N6thrust23THRUST_200600_302600_NS6detail15normal_iteratorINS9_10device_ptrIiEEEESE_PS5_SF_17evens_before_oddsEE10hipError_tT0_T1_T2_T3_mRjT4_P12ihipStream_tbNS1_7vsmem_tEEUlT_E_NS1_11comp_targetILNS1_3genE5ELNS1_11target_archE942ELNS1_3gpuE9ELNS1_3repE0EEENS1_30default_config_static_selectorELNS0_4arch9wavefront6targetE0EEEvSJ_.has_recursion, 0
	.set _ZN7rocprim17ROCPRIM_400000_NS6detail17trampoline_kernelINS0_14default_configENS1_37merge_sort_block_sort_config_selectorIiNS0_10empty_typeEEEZNS1_21merge_sort_block_sortIS3_N6thrust23THRUST_200600_302600_NS6detail15normal_iteratorINS9_10device_ptrIiEEEESE_PS5_SF_17evens_before_oddsEE10hipError_tT0_T1_T2_T3_mRjT4_P12ihipStream_tbNS1_7vsmem_tEEUlT_E_NS1_11comp_targetILNS1_3genE5ELNS1_11target_archE942ELNS1_3gpuE9ELNS1_3repE0EEENS1_30default_config_static_selectorELNS0_4arch9wavefront6targetE0EEEvSJ_.has_indirect_call, 0
	.section	.AMDGPU.csdata,"",@progbits
; Kernel info:
; codeLenInByte = 0
; TotalNumSgprs: 0
; NumVgprs: 0
; ScratchSize: 0
; MemoryBound: 0
; FloatMode: 240
; IeeeMode: 1
; LDSByteSize: 0 bytes/workgroup (compile time only)
; SGPRBlocks: 0
; VGPRBlocks: 0
; NumSGPRsForWavesPerEU: 1
; NumVGPRsForWavesPerEU: 1
; Occupancy: 16
; WaveLimiterHint : 0
; COMPUTE_PGM_RSRC2:SCRATCH_EN: 0
; COMPUTE_PGM_RSRC2:USER_SGPR: 6
; COMPUTE_PGM_RSRC2:TRAP_HANDLER: 0
; COMPUTE_PGM_RSRC2:TGID_X_EN: 1
; COMPUTE_PGM_RSRC2:TGID_Y_EN: 0
; COMPUTE_PGM_RSRC2:TGID_Z_EN: 0
; COMPUTE_PGM_RSRC2:TIDIG_COMP_CNT: 0
	.section	.text._ZN7rocprim17ROCPRIM_400000_NS6detail17trampoline_kernelINS0_14default_configENS1_37merge_sort_block_sort_config_selectorIiNS0_10empty_typeEEEZNS1_21merge_sort_block_sortIS3_N6thrust23THRUST_200600_302600_NS6detail15normal_iteratorINS9_10device_ptrIiEEEESE_PS5_SF_17evens_before_oddsEE10hipError_tT0_T1_T2_T3_mRjT4_P12ihipStream_tbNS1_7vsmem_tEEUlT_E_NS1_11comp_targetILNS1_3genE4ELNS1_11target_archE910ELNS1_3gpuE8ELNS1_3repE0EEENS1_30default_config_static_selectorELNS0_4arch9wavefront6targetE0EEEvSJ_,"axG",@progbits,_ZN7rocprim17ROCPRIM_400000_NS6detail17trampoline_kernelINS0_14default_configENS1_37merge_sort_block_sort_config_selectorIiNS0_10empty_typeEEEZNS1_21merge_sort_block_sortIS3_N6thrust23THRUST_200600_302600_NS6detail15normal_iteratorINS9_10device_ptrIiEEEESE_PS5_SF_17evens_before_oddsEE10hipError_tT0_T1_T2_T3_mRjT4_P12ihipStream_tbNS1_7vsmem_tEEUlT_E_NS1_11comp_targetILNS1_3genE4ELNS1_11target_archE910ELNS1_3gpuE8ELNS1_3repE0EEENS1_30default_config_static_selectorELNS0_4arch9wavefront6targetE0EEEvSJ_,comdat
	.protected	_ZN7rocprim17ROCPRIM_400000_NS6detail17trampoline_kernelINS0_14default_configENS1_37merge_sort_block_sort_config_selectorIiNS0_10empty_typeEEEZNS1_21merge_sort_block_sortIS3_N6thrust23THRUST_200600_302600_NS6detail15normal_iteratorINS9_10device_ptrIiEEEESE_PS5_SF_17evens_before_oddsEE10hipError_tT0_T1_T2_T3_mRjT4_P12ihipStream_tbNS1_7vsmem_tEEUlT_E_NS1_11comp_targetILNS1_3genE4ELNS1_11target_archE910ELNS1_3gpuE8ELNS1_3repE0EEENS1_30default_config_static_selectorELNS0_4arch9wavefront6targetE0EEEvSJ_ ; -- Begin function _ZN7rocprim17ROCPRIM_400000_NS6detail17trampoline_kernelINS0_14default_configENS1_37merge_sort_block_sort_config_selectorIiNS0_10empty_typeEEEZNS1_21merge_sort_block_sortIS3_N6thrust23THRUST_200600_302600_NS6detail15normal_iteratorINS9_10device_ptrIiEEEESE_PS5_SF_17evens_before_oddsEE10hipError_tT0_T1_T2_T3_mRjT4_P12ihipStream_tbNS1_7vsmem_tEEUlT_E_NS1_11comp_targetILNS1_3genE4ELNS1_11target_archE910ELNS1_3gpuE8ELNS1_3repE0EEENS1_30default_config_static_selectorELNS0_4arch9wavefront6targetE0EEEvSJ_
	.globl	_ZN7rocprim17ROCPRIM_400000_NS6detail17trampoline_kernelINS0_14default_configENS1_37merge_sort_block_sort_config_selectorIiNS0_10empty_typeEEEZNS1_21merge_sort_block_sortIS3_N6thrust23THRUST_200600_302600_NS6detail15normal_iteratorINS9_10device_ptrIiEEEESE_PS5_SF_17evens_before_oddsEE10hipError_tT0_T1_T2_T3_mRjT4_P12ihipStream_tbNS1_7vsmem_tEEUlT_E_NS1_11comp_targetILNS1_3genE4ELNS1_11target_archE910ELNS1_3gpuE8ELNS1_3repE0EEENS1_30default_config_static_selectorELNS0_4arch9wavefront6targetE0EEEvSJ_
	.p2align	8
	.type	_ZN7rocprim17ROCPRIM_400000_NS6detail17trampoline_kernelINS0_14default_configENS1_37merge_sort_block_sort_config_selectorIiNS0_10empty_typeEEEZNS1_21merge_sort_block_sortIS3_N6thrust23THRUST_200600_302600_NS6detail15normal_iteratorINS9_10device_ptrIiEEEESE_PS5_SF_17evens_before_oddsEE10hipError_tT0_T1_T2_T3_mRjT4_P12ihipStream_tbNS1_7vsmem_tEEUlT_E_NS1_11comp_targetILNS1_3genE4ELNS1_11target_archE910ELNS1_3gpuE8ELNS1_3repE0EEENS1_30default_config_static_selectorELNS0_4arch9wavefront6targetE0EEEvSJ_,@function
_ZN7rocprim17ROCPRIM_400000_NS6detail17trampoline_kernelINS0_14default_configENS1_37merge_sort_block_sort_config_selectorIiNS0_10empty_typeEEEZNS1_21merge_sort_block_sortIS3_N6thrust23THRUST_200600_302600_NS6detail15normal_iteratorINS9_10device_ptrIiEEEESE_PS5_SF_17evens_before_oddsEE10hipError_tT0_T1_T2_T3_mRjT4_P12ihipStream_tbNS1_7vsmem_tEEUlT_E_NS1_11comp_targetILNS1_3genE4ELNS1_11target_archE910ELNS1_3gpuE8ELNS1_3repE0EEENS1_30default_config_static_selectorELNS0_4arch9wavefront6targetE0EEEvSJ_: ; @_ZN7rocprim17ROCPRIM_400000_NS6detail17trampoline_kernelINS0_14default_configENS1_37merge_sort_block_sort_config_selectorIiNS0_10empty_typeEEEZNS1_21merge_sort_block_sortIS3_N6thrust23THRUST_200600_302600_NS6detail15normal_iteratorINS9_10device_ptrIiEEEESE_PS5_SF_17evens_before_oddsEE10hipError_tT0_T1_T2_T3_mRjT4_P12ihipStream_tbNS1_7vsmem_tEEUlT_E_NS1_11comp_targetILNS1_3genE4ELNS1_11target_archE910ELNS1_3gpuE8ELNS1_3repE0EEENS1_30default_config_static_selectorELNS0_4arch9wavefront6targetE0EEEvSJ_
; %bb.0:
	.section	.rodata,"a",@progbits
	.p2align	6, 0x0
	.amdhsa_kernel _ZN7rocprim17ROCPRIM_400000_NS6detail17trampoline_kernelINS0_14default_configENS1_37merge_sort_block_sort_config_selectorIiNS0_10empty_typeEEEZNS1_21merge_sort_block_sortIS3_N6thrust23THRUST_200600_302600_NS6detail15normal_iteratorINS9_10device_ptrIiEEEESE_PS5_SF_17evens_before_oddsEE10hipError_tT0_T1_T2_T3_mRjT4_P12ihipStream_tbNS1_7vsmem_tEEUlT_E_NS1_11comp_targetILNS1_3genE4ELNS1_11target_archE910ELNS1_3gpuE8ELNS1_3repE0EEENS1_30default_config_static_selectorELNS0_4arch9wavefront6targetE0EEEvSJ_
		.amdhsa_group_segment_fixed_size 0
		.amdhsa_private_segment_fixed_size 0
		.amdhsa_kernarg_size 64
		.amdhsa_user_sgpr_count 6
		.amdhsa_user_sgpr_private_segment_buffer 1
		.amdhsa_user_sgpr_dispatch_ptr 0
		.amdhsa_user_sgpr_queue_ptr 0
		.amdhsa_user_sgpr_kernarg_segment_ptr 1
		.amdhsa_user_sgpr_dispatch_id 0
		.amdhsa_user_sgpr_flat_scratch_init 0
		.amdhsa_user_sgpr_private_segment_size 0
		.amdhsa_wavefront_size32 1
		.amdhsa_uses_dynamic_stack 0
		.amdhsa_system_sgpr_private_segment_wavefront_offset 0
		.amdhsa_system_sgpr_workgroup_id_x 1
		.amdhsa_system_sgpr_workgroup_id_y 0
		.amdhsa_system_sgpr_workgroup_id_z 0
		.amdhsa_system_sgpr_workgroup_info 0
		.amdhsa_system_vgpr_workitem_id 0
		.amdhsa_next_free_vgpr 1
		.amdhsa_next_free_sgpr 1
		.amdhsa_reserve_vcc 0
		.amdhsa_reserve_flat_scratch 0
		.amdhsa_float_round_mode_32 0
		.amdhsa_float_round_mode_16_64 0
		.amdhsa_float_denorm_mode_32 3
		.amdhsa_float_denorm_mode_16_64 3
		.amdhsa_dx10_clamp 1
		.amdhsa_ieee_mode 1
		.amdhsa_fp16_overflow 0
		.amdhsa_workgroup_processor_mode 1
		.amdhsa_memory_ordered 1
		.amdhsa_forward_progress 1
		.amdhsa_shared_vgpr_count 0
		.amdhsa_exception_fp_ieee_invalid_op 0
		.amdhsa_exception_fp_denorm_src 0
		.amdhsa_exception_fp_ieee_div_zero 0
		.amdhsa_exception_fp_ieee_overflow 0
		.amdhsa_exception_fp_ieee_underflow 0
		.amdhsa_exception_fp_ieee_inexact 0
		.amdhsa_exception_int_div_zero 0
	.end_amdhsa_kernel
	.section	.text._ZN7rocprim17ROCPRIM_400000_NS6detail17trampoline_kernelINS0_14default_configENS1_37merge_sort_block_sort_config_selectorIiNS0_10empty_typeEEEZNS1_21merge_sort_block_sortIS3_N6thrust23THRUST_200600_302600_NS6detail15normal_iteratorINS9_10device_ptrIiEEEESE_PS5_SF_17evens_before_oddsEE10hipError_tT0_T1_T2_T3_mRjT4_P12ihipStream_tbNS1_7vsmem_tEEUlT_E_NS1_11comp_targetILNS1_3genE4ELNS1_11target_archE910ELNS1_3gpuE8ELNS1_3repE0EEENS1_30default_config_static_selectorELNS0_4arch9wavefront6targetE0EEEvSJ_,"axG",@progbits,_ZN7rocprim17ROCPRIM_400000_NS6detail17trampoline_kernelINS0_14default_configENS1_37merge_sort_block_sort_config_selectorIiNS0_10empty_typeEEEZNS1_21merge_sort_block_sortIS3_N6thrust23THRUST_200600_302600_NS6detail15normal_iteratorINS9_10device_ptrIiEEEESE_PS5_SF_17evens_before_oddsEE10hipError_tT0_T1_T2_T3_mRjT4_P12ihipStream_tbNS1_7vsmem_tEEUlT_E_NS1_11comp_targetILNS1_3genE4ELNS1_11target_archE910ELNS1_3gpuE8ELNS1_3repE0EEENS1_30default_config_static_selectorELNS0_4arch9wavefront6targetE0EEEvSJ_,comdat
.Lfunc_end401:
	.size	_ZN7rocprim17ROCPRIM_400000_NS6detail17trampoline_kernelINS0_14default_configENS1_37merge_sort_block_sort_config_selectorIiNS0_10empty_typeEEEZNS1_21merge_sort_block_sortIS3_N6thrust23THRUST_200600_302600_NS6detail15normal_iteratorINS9_10device_ptrIiEEEESE_PS5_SF_17evens_before_oddsEE10hipError_tT0_T1_T2_T3_mRjT4_P12ihipStream_tbNS1_7vsmem_tEEUlT_E_NS1_11comp_targetILNS1_3genE4ELNS1_11target_archE910ELNS1_3gpuE8ELNS1_3repE0EEENS1_30default_config_static_selectorELNS0_4arch9wavefront6targetE0EEEvSJ_, .Lfunc_end401-_ZN7rocprim17ROCPRIM_400000_NS6detail17trampoline_kernelINS0_14default_configENS1_37merge_sort_block_sort_config_selectorIiNS0_10empty_typeEEEZNS1_21merge_sort_block_sortIS3_N6thrust23THRUST_200600_302600_NS6detail15normal_iteratorINS9_10device_ptrIiEEEESE_PS5_SF_17evens_before_oddsEE10hipError_tT0_T1_T2_T3_mRjT4_P12ihipStream_tbNS1_7vsmem_tEEUlT_E_NS1_11comp_targetILNS1_3genE4ELNS1_11target_archE910ELNS1_3gpuE8ELNS1_3repE0EEENS1_30default_config_static_selectorELNS0_4arch9wavefront6targetE0EEEvSJ_
                                        ; -- End function
	.set _ZN7rocprim17ROCPRIM_400000_NS6detail17trampoline_kernelINS0_14default_configENS1_37merge_sort_block_sort_config_selectorIiNS0_10empty_typeEEEZNS1_21merge_sort_block_sortIS3_N6thrust23THRUST_200600_302600_NS6detail15normal_iteratorINS9_10device_ptrIiEEEESE_PS5_SF_17evens_before_oddsEE10hipError_tT0_T1_T2_T3_mRjT4_P12ihipStream_tbNS1_7vsmem_tEEUlT_E_NS1_11comp_targetILNS1_3genE4ELNS1_11target_archE910ELNS1_3gpuE8ELNS1_3repE0EEENS1_30default_config_static_selectorELNS0_4arch9wavefront6targetE0EEEvSJ_.num_vgpr, 0
	.set _ZN7rocprim17ROCPRIM_400000_NS6detail17trampoline_kernelINS0_14default_configENS1_37merge_sort_block_sort_config_selectorIiNS0_10empty_typeEEEZNS1_21merge_sort_block_sortIS3_N6thrust23THRUST_200600_302600_NS6detail15normal_iteratorINS9_10device_ptrIiEEEESE_PS5_SF_17evens_before_oddsEE10hipError_tT0_T1_T2_T3_mRjT4_P12ihipStream_tbNS1_7vsmem_tEEUlT_E_NS1_11comp_targetILNS1_3genE4ELNS1_11target_archE910ELNS1_3gpuE8ELNS1_3repE0EEENS1_30default_config_static_selectorELNS0_4arch9wavefront6targetE0EEEvSJ_.num_agpr, 0
	.set _ZN7rocprim17ROCPRIM_400000_NS6detail17trampoline_kernelINS0_14default_configENS1_37merge_sort_block_sort_config_selectorIiNS0_10empty_typeEEEZNS1_21merge_sort_block_sortIS3_N6thrust23THRUST_200600_302600_NS6detail15normal_iteratorINS9_10device_ptrIiEEEESE_PS5_SF_17evens_before_oddsEE10hipError_tT0_T1_T2_T3_mRjT4_P12ihipStream_tbNS1_7vsmem_tEEUlT_E_NS1_11comp_targetILNS1_3genE4ELNS1_11target_archE910ELNS1_3gpuE8ELNS1_3repE0EEENS1_30default_config_static_selectorELNS0_4arch9wavefront6targetE0EEEvSJ_.numbered_sgpr, 0
	.set _ZN7rocprim17ROCPRIM_400000_NS6detail17trampoline_kernelINS0_14default_configENS1_37merge_sort_block_sort_config_selectorIiNS0_10empty_typeEEEZNS1_21merge_sort_block_sortIS3_N6thrust23THRUST_200600_302600_NS6detail15normal_iteratorINS9_10device_ptrIiEEEESE_PS5_SF_17evens_before_oddsEE10hipError_tT0_T1_T2_T3_mRjT4_P12ihipStream_tbNS1_7vsmem_tEEUlT_E_NS1_11comp_targetILNS1_3genE4ELNS1_11target_archE910ELNS1_3gpuE8ELNS1_3repE0EEENS1_30default_config_static_selectorELNS0_4arch9wavefront6targetE0EEEvSJ_.num_named_barrier, 0
	.set _ZN7rocprim17ROCPRIM_400000_NS6detail17trampoline_kernelINS0_14default_configENS1_37merge_sort_block_sort_config_selectorIiNS0_10empty_typeEEEZNS1_21merge_sort_block_sortIS3_N6thrust23THRUST_200600_302600_NS6detail15normal_iteratorINS9_10device_ptrIiEEEESE_PS5_SF_17evens_before_oddsEE10hipError_tT0_T1_T2_T3_mRjT4_P12ihipStream_tbNS1_7vsmem_tEEUlT_E_NS1_11comp_targetILNS1_3genE4ELNS1_11target_archE910ELNS1_3gpuE8ELNS1_3repE0EEENS1_30default_config_static_selectorELNS0_4arch9wavefront6targetE0EEEvSJ_.private_seg_size, 0
	.set _ZN7rocprim17ROCPRIM_400000_NS6detail17trampoline_kernelINS0_14default_configENS1_37merge_sort_block_sort_config_selectorIiNS0_10empty_typeEEEZNS1_21merge_sort_block_sortIS3_N6thrust23THRUST_200600_302600_NS6detail15normal_iteratorINS9_10device_ptrIiEEEESE_PS5_SF_17evens_before_oddsEE10hipError_tT0_T1_T2_T3_mRjT4_P12ihipStream_tbNS1_7vsmem_tEEUlT_E_NS1_11comp_targetILNS1_3genE4ELNS1_11target_archE910ELNS1_3gpuE8ELNS1_3repE0EEENS1_30default_config_static_selectorELNS0_4arch9wavefront6targetE0EEEvSJ_.uses_vcc, 0
	.set _ZN7rocprim17ROCPRIM_400000_NS6detail17trampoline_kernelINS0_14default_configENS1_37merge_sort_block_sort_config_selectorIiNS0_10empty_typeEEEZNS1_21merge_sort_block_sortIS3_N6thrust23THRUST_200600_302600_NS6detail15normal_iteratorINS9_10device_ptrIiEEEESE_PS5_SF_17evens_before_oddsEE10hipError_tT0_T1_T2_T3_mRjT4_P12ihipStream_tbNS1_7vsmem_tEEUlT_E_NS1_11comp_targetILNS1_3genE4ELNS1_11target_archE910ELNS1_3gpuE8ELNS1_3repE0EEENS1_30default_config_static_selectorELNS0_4arch9wavefront6targetE0EEEvSJ_.uses_flat_scratch, 0
	.set _ZN7rocprim17ROCPRIM_400000_NS6detail17trampoline_kernelINS0_14default_configENS1_37merge_sort_block_sort_config_selectorIiNS0_10empty_typeEEEZNS1_21merge_sort_block_sortIS3_N6thrust23THRUST_200600_302600_NS6detail15normal_iteratorINS9_10device_ptrIiEEEESE_PS5_SF_17evens_before_oddsEE10hipError_tT0_T1_T2_T3_mRjT4_P12ihipStream_tbNS1_7vsmem_tEEUlT_E_NS1_11comp_targetILNS1_3genE4ELNS1_11target_archE910ELNS1_3gpuE8ELNS1_3repE0EEENS1_30default_config_static_selectorELNS0_4arch9wavefront6targetE0EEEvSJ_.has_dyn_sized_stack, 0
	.set _ZN7rocprim17ROCPRIM_400000_NS6detail17trampoline_kernelINS0_14default_configENS1_37merge_sort_block_sort_config_selectorIiNS0_10empty_typeEEEZNS1_21merge_sort_block_sortIS3_N6thrust23THRUST_200600_302600_NS6detail15normal_iteratorINS9_10device_ptrIiEEEESE_PS5_SF_17evens_before_oddsEE10hipError_tT0_T1_T2_T3_mRjT4_P12ihipStream_tbNS1_7vsmem_tEEUlT_E_NS1_11comp_targetILNS1_3genE4ELNS1_11target_archE910ELNS1_3gpuE8ELNS1_3repE0EEENS1_30default_config_static_selectorELNS0_4arch9wavefront6targetE0EEEvSJ_.has_recursion, 0
	.set _ZN7rocprim17ROCPRIM_400000_NS6detail17trampoline_kernelINS0_14default_configENS1_37merge_sort_block_sort_config_selectorIiNS0_10empty_typeEEEZNS1_21merge_sort_block_sortIS3_N6thrust23THRUST_200600_302600_NS6detail15normal_iteratorINS9_10device_ptrIiEEEESE_PS5_SF_17evens_before_oddsEE10hipError_tT0_T1_T2_T3_mRjT4_P12ihipStream_tbNS1_7vsmem_tEEUlT_E_NS1_11comp_targetILNS1_3genE4ELNS1_11target_archE910ELNS1_3gpuE8ELNS1_3repE0EEENS1_30default_config_static_selectorELNS0_4arch9wavefront6targetE0EEEvSJ_.has_indirect_call, 0
	.section	.AMDGPU.csdata,"",@progbits
; Kernel info:
; codeLenInByte = 0
; TotalNumSgprs: 0
; NumVgprs: 0
; ScratchSize: 0
; MemoryBound: 0
; FloatMode: 240
; IeeeMode: 1
; LDSByteSize: 0 bytes/workgroup (compile time only)
; SGPRBlocks: 0
; VGPRBlocks: 0
; NumSGPRsForWavesPerEU: 1
; NumVGPRsForWavesPerEU: 1
; Occupancy: 16
; WaveLimiterHint : 0
; COMPUTE_PGM_RSRC2:SCRATCH_EN: 0
; COMPUTE_PGM_RSRC2:USER_SGPR: 6
; COMPUTE_PGM_RSRC2:TRAP_HANDLER: 0
; COMPUTE_PGM_RSRC2:TGID_X_EN: 1
; COMPUTE_PGM_RSRC2:TGID_Y_EN: 0
; COMPUTE_PGM_RSRC2:TGID_Z_EN: 0
; COMPUTE_PGM_RSRC2:TIDIG_COMP_CNT: 0
	.section	.text._ZN7rocprim17ROCPRIM_400000_NS6detail17trampoline_kernelINS0_14default_configENS1_37merge_sort_block_sort_config_selectorIiNS0_10empty_typeEEEZNS1_21merge_sort_block_sortIS3_N6thrust23THRUST_200600_302600_NS6detail15normal_iteratorINS9_10device_ptrIiEEEESE_PS5_SF_17evens_before_oddsEE10hipError_tT0_T1_T2_T3_mRjT4_P12ihipStream_tbNS1_7vsmem_tEEUlT_E_NS1_11comp_targetILNS1_3genE3ELNS1_11target_archE908ELNS1_3gpuE7ELNS1_3repE0EEENS1_30default_config_static_selectorELNS0_4arch9wavefront6targetE0EEEvSJ_,"axG",@progbits,_ZN7rocprim17ROCPRIM_400000_NS6detail17trampoline_kernelINS0_14default_configENS1_37merge_sort_block_sort_config_selectorIiNS0_10empty_typeEEEZNS1_21merge_sort_block_sortIS3_N6thrust23THRUST_200600_302600_NS6detail15normal_iteratorINS9_10device_ptrIiEEEESE_PS5_SF_17evens_before_oddsEE10hipError_tT0_T1_T2_T3_mRjT4_P12ihipStream_tbNS1_7vsmem_tEEUlT_E_NS1_11comp_targetILNS1_3genE3ELNS1_11target_archE908ELNS1_3gpuE7ELNS1_3repE0EEENS1_30default_config_static_selectorELNS0_4arch9wavefront6targetE0EEEvSJ_,comdat
	.protected	_ZN7rocprim17ROCPRIM_400000_NS6detail17trampoline_kernelINS0_14default_configENS1_37merge_sort_block_sort_config_selectorIiNS0_10empty_typeEEEZNS1_21merge_sort_block_sortIS3_N6thrust23THRUST_200600_302600_NS6detail15normal_iteratorINS9_10device_ptrIiEEEESE_PS5_SF_17evens_before_oddsEE10hipError_tT0_T1_T2_T3_mRjT4_P12ihipStream_tbNS1_7vsmem_tEEUlT_E_NS1_11comp_targetILNS1_3genE3ELNS1_11target_archE908ELNS1_3gpuE7ELNS1_3repE0EEENS1_30default_config_static_selectorELNS0_4arch9wavefront6targetE0EEEvSJ_ ; -- Begin function _ZN7rocprim17ROCPRIM_400000_NS6detail17trampoline_kernelINS0_14default_configENS1_37merge_sort_block_sort_config_selectorIiNS0_10empty_typeEEEZNS1_21merge_sort_block_sortIS3_N6thrust23THRUST_200600_302600_NS6detail15normal_iteratorINS9_10device_ptrIiEEEESE_PS5_SF_17evens_before_oddsEE10hipError_tT0_T1_T2_T3_mRjT4_P12ihipStream_tbNS1_7vsmem_tEEUlT_E_NS1_11comp_targetILNS1_3genE3ELNS1_11target_archE908ELNS1_3gpuE7ELNS1_3repE0EEENS1_30default_config_static_selectorELNS0_4arch9wavefront6targetE0EEEvSJ_
	.globl	_ZN7rocprim17ROCPRIM_400000_NS6detail17trampoline_kernelINS0_14default_configENS1_37merge_sort_block_sort_config_selectorIiNS0_10empty_typeEEEZNS1_21merge_sort_block_sortIS3_N6thrust23THRUST_200600_302600_NS6detail15normal_iteratorINS9_10device_ptrIiEEEESE_PS5_SF_17evens_before_oddsEE10hipError_tT0_T1_T2_T3_mRjT4_P12ihipStream_tbNS1_7vsmem_tEEUlT_E_NS1_11comp_targetILNS1_3genE3ELNS1_11target_archE908ELNS1_3gpuE7ELNS1_3repE0EEENS1_30default_config_static_selectorELNS0_4arch9wavefront6targetE0EEEvSJ_
	.p2align	8
	.type	_ZN7rocprim17ROCPRIM_400000_NS6detail17trampoline_kernelINS0_14default_configENS1_37merge_sort_block_sort_config_selectorIiNS0_10empty_typeEEEZNS1_21merge_sort_block_sortIS3_N6thrust23THRUST_200600_302600_NS6detail15normal_iteratorINS9_10device_ptrIiEEEESE_PS5_SF_17evens_before_oddsEE10hipError_tT0_T1_T2_T3_mRjT4_P12ihipStream_tbNS1_7vsmem_tEEUlT_E_NS1_11comp_targetILNS1_3genE3ELNS1_11target_archE908ELNS1_3gpuE7ELNS1_3repE0EEENS1_30default_config_static_selectorELNS0_4arch9wavefront6targetE0EEEvSJ_,@function
_ZN7rocprim17ROCPRIM_400000_NS6detail17trampoline_kernelINS0_14default_configENS1_37merge_sort_block_sort_config_selectorIiNS0_10empty_typeEEEZNS1_21merge_sort_block_sortIS3_N6thrust23THRUST_200600_302600_NS6detail15normal_iteratorINS9_10device_ptrIiEEEESE_PS5_SF_17evens_before_oddsEE10hipError_tT0_T1_T2_T3_mRjT4_P12ihipStream_tbNS1_7vsmem_tEEUlT_E_NS1_11comp_targetILNS1_3genE3ELNS1_11target_archE908ELNS1_3gpuE7ELNS1_3repE0EEENS1_30default_config_static_selectorELNS0_4arch9wavefront6targetE0EEEvSJ_: ; @_ZN7rocprim17ROCPRIM_400000_NS6detail17trampoline_kernelINS0_14default_configENS1_37merge_sort_block_sort_config_selectorIiNS0_10empty_typeEEEZNS1_21merge_sort_block_sortIS3_N6thrust23THRUST_200600_302600_NS6detail15normal_iteratorINS9_10device_ptrIiEEEESE_PS5_SF_17evens_before_oddsEE10hipError_tT0_T1_T2_T3_mRjT4_P12ihipStream_tbNS1_7vsmem_tEEUlT_E_NS1_11comp_targetILNS1_3genE3ELNS1_11target_archE908ELNS1_3gpuE7ELNS1_3repE0EEENS1_30default_config_static_selectorELNS0_4arch9wavefront6targetE0EEEvSJ_
; %bb.0:
	.section	.rodata,"a",@progbits
	.p2align	6, 0x0
	.amdhsa_kernel _ZN7rocprim17ROCPRIM_400000_NS6detail17trampoline_kernelINS0_14default_configENS1_37merge_sort_block_sort_config_selectorIiNS0_10empty_typeEEEZNS1_21merge_sort_block_sortIS3_N6thrust23THRUST_200600_302600_NS6detail15normal_iteratorINS9_10device_ptrIiEEEESE_PS5_SF_17evens_before_oddsEE10hipError_tT0_T1_T2_T3_mRjT4_P12ihipStream_tbNS1_7vsmem_tEEUlT_E_NS1_11comp_targetILNS1_3genE3ELNS1_11target_archE908ELNS1_3gpuE7ELNS1_3repE0EEENS1_30default_config_static_selectorELNS0_4arch9wavefront6targetE0EEEvSJ_
		.amdhsa_group_segment_fixed_size 0
		.amdhsa_private_segment_fixed_size 0
		.amdhsa_kernarg_size 64
		.amdhsa_user_sgpr_count 6
		.amdhsa_user_sgpr_private_segment_buffer 1
		.amdhsa_user_sgpr_dispatch_ptr 0
		.amdhsa_user_sgpr_queue_ptr 0
		.amdhsa_user_sgpr_kernarg_segment_ptr 1
		.amdhsa_user_sgpr_dispatch_id 0
		.amdhsa_user_sgpr_flat_scratch_init 0
		.amdhsa_user_sgpr_private_segment_size 0
		.amdhsa_wavefront_size32 1
		.amdhsa_uses_dynamic_stack 0
		.amdhsa_system_sgpr_private_segment_wavefront_offset 0
		.amdhsa_system_sgpr_workgroup_id_x 1
		.amdhsa_system_sgpr_workgroup_id_y 0
		.amdhsa_system_sgpr_workgroup_id_z 0
		.amdhsa_system_sgpr_workgroup_info 0
		.amdhsa_system_vgpr_workitem_id 0
		.amdhsa_next_free_vgpr 1
		.amdhsa_next_free_sgpr 1
		.amdhsa_reserve_vcc 0
		.amdhsa_reserve_flat_scratch 0
		.amdhsa_float_round_mode_32 0
		.amdhsa_float_round_mode_16_64 0
		.amdhsa_float_denorm_mode_32 3
		.amdhsa_float_denorm_mode_16_64 3
		.amdhsa_dx10_clamp 1
		.amdhsa_ieee_mode 1
		.amdhsa_fp16_overflow 0
		.amdhsa_workgroup_processor_mode 1
		.amdhsa_memory_ordered 1
		.amdhsa_forward_progress 1
		.amdhsa_shared_vgpr_count 0
		.amdhsa_exception_fp_ieee_invalid_op 0
		.amdhsa_exception_fp_denorm_src 0
		.amdhsa_exception_fp_ieee_div_zero 0
		.amdhsa_exception_fp_ieee_overflow 0
		.amdhsa_exception_fp_ieee_underflow 0
		.amdhsa_exception_fp_ieee_inexact 0
		.amdhsa_exception_int_div_zero 0
	.end_amdhsa_kernel
	.section	.text._ZN7rocprim17ROCPRIM_400000_NS6detail17trampoline_kernelINS0_14default_configENS1_37merge_sort_block_sort_config_selectorIiNS0_10empty_typeEEEZNS1_21merge_sort_block_sortIS3_N6thrust23THRUST_200600_302600_NS6detail15normal_iteratorINS9_10device_ptrIiEEEESE_PS5_SF_17evens_before_oddsEE10hipError_tT0_T1_T2_T3_mRjT4_P12ihipStream_tbNS1_7vsmem_tEEUlT_E_NS1_11comp_targetILNS1_3genE3ELNS1_11target_archE908ELNS1_3gpuE7ELNS1_3repE0EEENS1_30default_config_static_selectorELNS0_4arch9wavefront6targetE0EEEvSJ_,"axG",@progbits,_ZN7rocprim17ROCPRIM_400000_NS6detail17trampoline_kernelINS0_14default_configENS1_37merge_sort_block_sort_config_selectorIiNS0_10empty_typeEEEZNS1_21merge_sort_block_sortIS3_N6thrust23THRUST_200600_302600_NS6detail15normal_iteratorINS9_10device_ptrIiEEEESE_PS5_SF_17evens_before_oddsEE10hipError_tT0_T1_T2_T3_mRjT4_P12ihipStream_tbNS1_7vsmem_tEEUlT_E_NS1_11comp_targetILNS1_3genE3ELNS1_11target_archE908ELNS1_3gpuE7ELNS1_3repE0EEENS1_30default_config_static_selectorELNS0_4arch9wavefront6targetE0EEEvSJ_,comdat
.Lfunc_end402:
	.size	_ZN7rocprim17ROCPRIM_400000_NS6detail17trampoline_kernelINS0_14default_configENS1_37merge_sort_block_sort_config_selectorIiNS0_10empty_typeEEEZNS1_21merge_sort_block_sortIS3_N6thrust23THRUST_200600_302600_NS6detail15normal_iteratorINS9_10device_ptrIiEEEESE_PS5_SF_17evens_before_oddsEE10hipError_tT0_T1_T2_T3_mRjT4_P12ihipStream_tbNS1_7vsmem_tEEUlT_E_NS1_11comp_targetILNS1_3genE3ELNS1_11target_archE908ELNS1_3gpuE7ELNS1_3repE0EEENS1_30default_config_static_selectorELNS0_4arch9wavefront6targetE0EEEvSJ_, .Lfunc_end402-_ZN7rocprim17ROCPRIM_400000_NS6detail17trampoline_kernelINS0_14default_configENS1_37merge_sort_block_sort_config_selectorIiNS0_10empty_typeEEEZNS1_21merge_sort_block_sortIS3_N6thrust23THRUST_200600_302600_NS6detail15normal_iteratorINS9_10device_ptrIiEEEESE_PS5_SF_17evens_before_oddsEE10hipError_tT0_T1_T2_T3_mRjT4_P12ihipStream_tbNS1_7vsmem_tEEUlT_E_NS1_11comp_targetILNS1_3genE3ELNS1_11target_archE908ELNS1_3gpuE7ELNS1_3repE0EEENS1_30default_config_static_selectorELNS0_4arch9wavefront6targetE0EEEvSJ_
                                        ; -- End function
	.set _ZN7rocprim17ROCPRIM_400000_NS6detail17trampoline_kernelINS0_14default_configENS1_37merge_sort_block_sort_config_selectorIiNS0_10empty_typeEEEZNS1_21merge_sort_block_sortIS3_N6thrust23THRUST_200600_302600_NS6detail15normal_iteratorINS9_10device_ptrIiEEEESE_PS5_SF_17evens_before_oddsEE10hipError_tT0_T1_T2_T3_mRjT4_P12ihipStream_tbNS1_7vsmem_tEEUlT_E_NS1_11comp_targetILNS1_3genE3ELNS1_11target_archE908ELNS1_3gpuE7ELNS1_3repE0EEENS1_30default_config_static_selectorELNS0_4arch9wavefront6targetE0EEEvSJ_.num_vgpr, 0
	.set _ZN7rocprim17ROCPRIM_400000_NS6detail17trampoline_kernelINS0_14default_configENS1_37merge_sort_block_sort_config_selectorIiNS0_10empty_typeEEEZNS1_21merge_sort_block_sortIS3_N6thrust23THRUST_200600_302600_NS6detail15normal_iteratorINS9_10device_ptrIiEEEESE_PS5_SF_17evens_before_oddsEE10hipError_tT0_T1_T2_T3_mRjT4_P12ihipStream_tbNS1_7vsmem_tEEUlT_E_NS1_11comp_targetILNS1_3genE3ELNS1_11target_archE908ELNS1_3gpuE7ELNS1_3repE0EEENS1_30default_config_static_selectorELNS0_4arch9wavefront6targetE0EEEvSJ_.num_agpr, 0
	.set _ZN7rocprim17ROCPRIM_400000_NS6detail17trampoline_kernelINS0_14default_configENS1_37merge_sort_block_sort_config_selectorIiNS0_10empty_typeEEEZNS1_21merge_sort_block_sortIS3_N6thrust23THRUST_200600_302600_NS6detail15normal_iteratorINS9_10device_ptrIiEEEESE_PS5_SF_17evens_before_oddsEE10hipError_tT0_T1_T2_T3_mRjT4_P12ihipStream_tbNS1_7vsmem_tEEUlT_E_NS1_11comp_targetILNS1_3genE3ELNS1_11target_archE908ELNS1_3gpuE7ELNS1_3repE0EEENS1_30default_config_static_selectorELNS0_4arch9wavefront6targetE0EEEvSJ_.numbered_sgpr, 0
	.set _ZN7rocprim17ROCPRIM_400000_NS6detail17trampoline_kernelINS0_14default_configENS1_37merge_sort_block_sort_config_selectorIiNS0_10empty_typeEEEZNS1_21merge_sort_block_sortIS3_N6thrust23THRUST_200600_302600_NS6detail15normal_iteratorINS9_10device_ptrIiEEEESE_PS5_SF_17evens_before_oddsEE10hipError_tT0_T1_T2_T3_mRjT4_P12ihipStream_tbNS1_7vsmem_tEEUlT_E_NS1_11comp_targetILNS1_3genE3ELNS1_11target_archE908ELNS1_3gpuE7ELNS1_3repE0EEENS1_30default_config_static_selectorELNS0_4arch9wavefront6targetE0EEEvSJ_.num_named_barrier, 0
	.set _ZN7rocprim17ROCPRIM_400000_NS6detail17trampoline_kernelINS0_14default_configENS1_37merge_sort_block_sort_config_selectorIiNS0_10empty_typeEEEZNS1_21merge_sort_block_sortIS3_N6thrust23THRUST_200600_302600_NS6detail15normal_iteratorINS9_10device_ptrIiEEEESE_PS5_SF_17evens_before_oddsEE10hipError_tT0_T1_T2_T3_mRjT4_P12ihipStream_tbNS1_7vsmem_tEEUlT_E_NS1_11comp_targetILNS1_3genE3ELNS1_11target_archE908ELNS1_3gpuE7ELNS1_3repE0EEENS1_30default_config_static_selectorELNS0_4arch9wavefront6targetE0EEEvSJ_.private_seg_size, 0
	.set _ZN7rocprim17ROCPRIM_400000_NS6detail17trampoline_kernelINS0_14default_configENS1_37merge_sort_block_sort_config_selectorIiNS0_10empty_typeEEEZNS1_21merge_sort_block_sortIS3_N6thrust23THRUST_200600_302600_NS6detail15normal_iteratorINS9_10device_ptrIiEEEESE_PS5_SF_17evens_before_oddsEE10hipError_tT0_T1_T2_T3_mRjT4_P12ihipStream_tbNS1_7vsmem_tEEUlT_E_NS1_11comp_targetILNS1_3genE3ELNS1_11target_archE908ELNS1_3gpuE7ELNS1_3repE0EEENS1_30default_config_static_selectorELNS0_4arch9wavefront6targetE0EEEvSJ_.uses_vcc, 0
	.set _ZN7rocprim17ROCPRIM_400000_NS6detail17trampoline_kernelINS0_14default_configENS1_37merge_sort_block_sort_config_selectorIiNS0_10empty_typeEEEZNS1_21merge_sort_block_sortIS3_N6thrust23THRUST_200600_302600_NS6detail15normal_iteratorINS9_10device_ptrIiEEEESE_PS5_SF_17evens_before_oddsEE10hipError_tT0_T1_T2_T3_mRjT4_P12ihipStream_tbNS1_7vsmem_tEEUlT_E_NS1_11comp_targetILNS1_3genE3ELNS1_11target_archE908ELNS1_3gpuE7ELNS1_3repE0EEENS1_30default_config_static_selectorELNS0_4arch9wavefront6targetE0EEEvSJ_.uses_flat_scratch, 0
	.set _ZN7rocprim17ROCPRIM_400000_NS6detail17trampoline_kernelINS0_14default_configENS1_37merge_sort_block_sort_config_selectorIiNS0_10empty_typeEEEZNS1_21merge_sort_block_sortIS3_N6thrust23THRUST_200600_302600_NS6detail15normal_iteratorINS9_10device_ptrIiEEEESE_PS5_SF_17evens_before_oddsEE10hipError_tT0_T1_T2_T3_mRjT4_P12ihipStream_tbNS1_7vsmem_tEEUlT_E_NS1_11comp_targetILNS1_3genE3ELNS1_11target_archE908ELNS1_3gpuE7ELNS1_3repE0EEENS1_30default_config_static_selectorELNS0_4arch9wavefront6targetE0EEEvSJ_.has_dyn_sized_stack, 0
	.set _ZN7rocprim17ROCPRIM_400000_NS6detail17trampoline_kernelINS0_14default_configENS1_37merge_sort_block_sort_config_selectorIiNS0_10empty_typeEEEZNS1_21merge_sort_block_sortIS3_N6thrust23THRUST_200600_302600_NS6detail15normal_iteratorINS9_10device_ptrIiEEEESE_PS5_SF_17evens_before_oddsEE10hipError_tT0_T1_T2_T3_mRjT4_P12ihipStream_tbNS1_7vsmem_tEEUlT_E_NS1_11comp_targetILNS1_3genE3ELNS1_11target_archE908ELNS1_3gpuE7ELNS1_3repE0EEENS1_30default_config_static_selectorELNS0_4arch9wavefront6targetE0EEEvSJ_.has_recursion, 0
	.set _ZN7rocprim17ROCPRIM_400000_NS6detail17trampoline_kernelINS0_14default_configENS1_37merge_sort_block_sort_config_selectorIiNS0_10empty_typeEEEZNS1_21merge_sort_block_sortIS3_N6thrust23THRUST_200600_302600_NS6detail15normal_iteratorINS9_10device_ptrIiEEEESE_PS5_SF_17evens_before_oddsEE10hipError_tT0_T1_T2_T3_mRjT4_P12ihipStream_tbNS1_7vsmem_tEEUlT_E_NS1_11comp_targetILNS1_3genE3ELNS1_11target_archE908ELNS1_3gpuE7ELNS1_3repE0EEENS1_30default_config_static_selectorELNS0_4arch9wavefront6targetE0EEEvSJ_.has_indirect_call, 0
	.section	.AMDGPU.csdata,"",@progbits
; Kernel info:
; codeLenInByte = 0
; TotalNumSgprs: 0
; NumVgprs: 0
; ScratchSize: 0
; MemoryBound: 0
; FloatMode: 240
; IeeeMode: 1
; LDSByteSize: 0 bytes/workgroup (compile time only)
; SGPRBlocks: 0
; VGPRBlocks: 0
; NumSGPRsForWavesPerEU: 1
; NumVGPRsForWavesPerEU: 1
; Occupancy: 16
; WaveLimiterHint : 0
; COMPUTE_PGM_RSRC2:SCRATCH_EN: 0
; COMPUTE_PGM_RSRC2:USER_SGPR: 6
; COMPUTE_PGM_RSRC2:TRAP_HANDLER: 0
; COMPUTE_PGM_RSRC2:TGID_X_EN: 1
; COMPUTE_PGM_RSRC2:TGID_Y_EN: 0
; COMPUTE_PGM_RSRC2:TGID_Z_EN: 0
; COMPUTE_PGM_RSRC2:TIDIG_COMP_CNT: 0
	.section	.text._ZN7rocprim17ROCPRIM_400000_NS6detail17trampoline_kernelINS0_14default_configENS1_37merge_sort_block_sort_config_selectorIiNS0_10empty_typeEEEZNS1_21merge_sort_block_sortIS3_N6thrust23THRUST_200600_302600_NS6detail15normal_iteratorINS9_10device_ptrIiEEEESE_PS5_SF_17evens_before_oddsEE10hipError_tT0_T1_T2_T3_mRjT4_P12ihipStream_tbNS1_7vsmem_tEEUlT_E_NS1_11comp_targetILNS1_3genE2ELNS1_11target_archE906ELNS1_3gpuE6ELNS1_3repE0EEENS1_30default_config_static_selectorELNS0_4arch9wavefront6targetE0EEEvSJ_,"axG",@progbits,_ZN7rocprim17ROCPRIM_400000_NS6detail17trampoline_kernelINS0_14default_configENS1_37merge_sort_block_sort_config_selectorIiNS0_10empty_typeEEEZNS1_21merge_sort_block_sortIS3_N6thrust23THRUST_200600_302600_NS6detail15normal_iteratorINS9_10device_ptrIiEEEESE_PS5_SF_17evens_before_oddsEE10hipError_tT0_T1_T2_T3_mRjT4_P12ihipStream_tbNS1_7vsmem_tEEUlT_E_NS1_11comp_targetILNS1_3genE2ELNS1_11target_archE906ELNS1_3gpuE6ELNS1_3repE0EEENS1_30default_config_static_selectorELNS0_4arch9wavefront6targetE0EEEvSJ_,comdat
	.protected	_ZN7rocprim17ROCPRIM_400000_NS6detail17trampoline_kernelINS0_14default_configENS1_37merge_sort_block_sort_config_selectorIiNS0_10empty_typeEEEZNS1_21merge_sort_block_sortIS3_N6thrust23THRUST_200600_302600_NS6detail15normal_iteratorINS9_10device_ptrIiEEEESE_PS5_SF_17evens_before_oddsEE10hipError_tT0_T1_T2_T3_mRjT4_P12ihipStream_tbNS1_7vsmem_tEEUlT_E_NS1_11comp_targetILNS1_3genE2ELNS1_11target_archE906ELNS1_3gpuE6ELNS1_3repE0EEENS1_30default_config_static_selectorELNS0_4arch9wavefront6targetE0EEEvSJ_ ; -- Begin function _ZN7rocprim17ROCPRIM_400000_NS6detail17trampoline_kernelINS0_14default_configENS1_37merge_sort_block_sort_config_selectorIiNS0_10empty_typeEEEZNS1_21merge_sort_block_sortIS3_N6thrust23THRUST_200600_302600_NS6detail15normal_iteratorINS9_10device_ptrIiEEEESE_PS5_SF_17evens_before_oddsEE10hipError_tT0_T1_T2_T3_mRjT4_P12ihipStream_tbNS1_7vsmem_tEEUlT_E_NS1_11comp_targetILNS1_3genE2ELNS1_11target_archE906ELNS1_3gpuE6ELNS1_3repE0EEENS1_30default_config_static_selectorELNS0_4arch9wavefront6targetE0EEEvSJ_
	.globl	_ZN7rocprim17ROCPRIM_400000_NS6detail17trampoline_kernelINS0_14default_configENS1_37merge_sort_block_sort_config_selectorIiNS0_10empty_typeEEEZNS1_21merge_sort_block_sortIS3_N6thrust23THRUST_200600_302600_NS6detail15normal_iteratorINS9_10device_ptrIiEEEESE_PS5_SF_17evens_before_oddsEE10hipError_tT0_T1_T2_T3_mRjT4_P12ihipStream_tbNS1_7vsmem_tEEUlT_E_NS1_11comp_targetILNS1_3genE2ELNS1_11target_archE906ELNS1_3gpuE6ELNS1_3repE0EEENS1_30default_config_static_selectorELNS0_4arch9wavefront6targetE0EEEvSJ_
	.p2align	8
	.type	_ZN7rocprim17ROCPRIM_400000_NS6detail17trampoline_kernelINS0_14default_configENS1_37merge_sort_block_sort_config_selectorIiNS0_10empty_typeEEEZNS1_21merge_sort_block_sortIS3_N6thrust23THRUST_200600_302600_NS6detail15normal_iteratorINS9_10device_ptrIiEEEESE_PS5_SF_17evens_before_oddsEE10hipError_tT0_T1_T2_T3_mRjT4_P12ihipStream_tbNS1_7vsmem_tEEUlT_E_NS1_11comp_targetILNS1_3genE2ELNS1_11target_archE906ELNS1_3gpuE6ELNS1_3repE0EEENS1_30default_config_static_selectorELNS0_4arch9wavefront6targetE0EEEvSJ_,@function
_ZN7rocprim17ROCPRIM_400000_NS6detail17trampoline_kernelINS0_14default_configENS1_37merge_sort_block_sort_config_selectorIiNS0_10empty_typeEEEZNS1_21merge_sort_block_sortIS3_N6thrust23THRUST_200600_302600_NS6detail15normal_iteratorINS9_10device_ptrIiEEEESE_PS5_SF_17evens_before_oddsEE10hipError_tT0_T1_T2_T3_mRjT4_P12ihipStream_tbNS1_7vsmem_tEEUlT_E_NS1_11comp_targetILNS1_3genE2ELNS1_11target_archE906ELNS1_3gpuE6ELNS1_3repE0EEENS1_30default_config_static_selectorELNS0_4arch9wavefront6targetE0EEEvSJ_: ; @_ZN7rocprim17ROCPRIM_400000_NS6detail17trampoline_kernelINS0_14default_configENS1_37merge_sort_block_sort_config_selectorIiNS0_10empty_typeEEEZNS1_21merge_sort_block_sortIS3_N6thrust23THRUST_200600_302600_NS6detail15normal_iteratorINS9_10device_ptrIiEEEESE_PS5_SF_17evens_before_oddsEE10hipError_tT0_T1_T2_T3_mRjT4_P12ihipStream_tbNS1_7vsmem_tEEUlT_E_NS1_11comp_targetILNS1_3genE2ELNS1_11target_archE906ELNS1_3gpuE6ELNS1_3repE0EEENS1_30default_config_static_selectorELNS0_4arch9wavefront6targetE0EEEvSJ_
; %bb.0:
	.section	.rodata,"a",@progbits
	.p2align	6, 0x0
	.amdhsa_kernel _ZN7rocprim17ROCPRIM_400000_NS6detail17trampoline_kernelINS0_14default_configENS1_37merge_sort_block_sort_config_selectorIiNS0_10empty_typeEEEZNS1_21merge_sort_block_sortIS3_N6thrust23THRUST_200600_302600_NS6detail15normal_iteratorINS9_10device_ptrIiEEEESE_PS5_SF_17evens_before_oddsEE10hipError_tT0_T1_T2_T3_mRjT4_P12ihipStream_tbNS1_7vsmem_tEEUlT_E_NS1_11comp_targetILNS1_3genE2ELNS1_11target_archE906ELNS1_3gpuE6ELNS1_3repE0EEENS1_30default_config_static_selectorELNS0_4arch9wavefront6targetE0EEEvSJ_
		.amdhsa_group_segment_fixed_size 0
		.amdhsa_private_segment_fixed_size 0
		.amdhsa_kernarg_size 64
		.amdhsa_user_sgpr_count 6
		.amdhsa_user_sgpr_private_segment_buffer 1
		.amdhsa_user_sgpr_dispatch_ptr 0
		.amdhsa_user_sgpr_queue_ptr 0
		.amdhsa_user_sgpr_kernarg_segment_ptr 1
		.amdhsa_user_sgpr_dispatch_id 0
		.amdhsa_user_sgpr_flat_scratch_init 0
		.amdhsa_user_sgpr_private_segment_size 0
		.amdhsa_wavefront_size32 1
		.amdhsa_uses_dynamic_stack 0
		.amdhsa_system_sgpr_private_segment_wavefront_offset 0
		.amdhsa_system_sgpr_workgroup_id_x 1
		.amdhsa_system_sgpr_workgroup_id_y 0
		.amdhsa_system_sgpr_workgroup_id_z 0
		.amdhsa_system_sgpr_workgroup_info 0
		.amdhsa_system_vgpr_workitem_id 0
		.amdhsa_next_free_vgpr 1
		.amdhsa_next_free_sgpr 1
		.amdhsa_reserve_vcc 0
		.amdhsa_reserve_flat_scratch 0
		.amdhsa_float_round_mode_32 0
		.amdhsa_float_round_mode_16_64 0
		.amdhsa_float_denorm_mode_32 3
		.amdhsa_float_denorm_mode_16_64 3
		.amdhsa_dx10_clamp 1
		.amdhsa_ieee_mode 1
		.amdhsa_fp16_overflow 0
		.amdhsa_workgroup_processor_mode 1
		.amdhsa_memory_ordered 1
		.amdhsa_forward_progress 1
		.amdhsa_shared_vgpr_count 0
		.amdhsa_exception_fp_ieee_invalid_op 0
		.amdhsa_exception_fp_denorm_src 0
		.amdhsa_exception_fp_ieee_div_zero 0
		.amdhsa_exception_fp_ieee_overflow 0
		.amdhsa_exception_fp_ieee_underflow 0
		.amdhsa_exception_fp_ieee_inexact 0
		.amdhsa_exception_int_div_zero 0
	.end_amdhsa_kernel
	.section	.text._ZN7rocprim17ROCPRIM_400000_NS6detail17trampoline_kernelINS0_14default_configENS1_37merge_sort_block_sort_config_selectorIiNS0_10empty_typeEEEZNS1_21merge_sort_block_sortIS3_N6thrust23THRUST_200600_302600_NS6detail15normal_iteratorINS9_10device_ptrIiEEEESE_PS5_SF_17evens_before_oddsEE10hipError_tT0_T1_T2_T3_mRjT4_P12ihipStream_tbNS1_7vsmem_tEEUlT_E_NS1_11comp_targetILNS1_3genE2ELNS1_11target_archE906ELNS1_3gpuE6ELNS1_3repE0EEENS1_30default_config_static_selectorELNS0_4arch9wavefront6targetE0EEEvSJ_,"axG",@progbits,_ZN7rocprim17ROCPRIM_400000_NS6detail17trampoline_kernelINS0_14default_configENS1_37merge_sort_block_sort_config_selectorIiNS0_10empty_typeEEEZNS1_21merge_sort_block_sortIS3_N6thrust23THRUST_200600_302600_NS6detail15normal_iteratorINS9_10device_ptrIiEEEESE_PS5_SF_17evens_before_oddsEE10hipError_tT0_T1_T2_T3_mRjT4_P12ihipStream_tbNS1_7vsmem_tEEUlT_E_NS1_11comp_targetILNS1_3genE2ELNS1_11target_archE906ELNS1_3gpuE6ELNS1_3repE0EEENS1_30default_config_static_selectorELNS0_4arch9wavefront6targetE0EEEvSJ_,comdat
.Lfunc_end403:
	.size	_ZN7rocprim17ROCPRIM_400000_NS6detail17trampoline_kernelINS0_14default_configENS1_37merge_sort_block_sort_config_selectorIiNS0_10empty_typeEEEZNS1_21merge_sort_block_sortIS3_N6thrust23THRUST_200600_302600_NS6detail15normal_iteratorINS9_10device_ptrIiEEEESE_PS5_SF_17evens_before_oddsEE10hipError_tT0_T1_T2_T3_mRjT4_P12ihipStream_tbNS1_7vsmem_tEEUlT_E_NS1_11comp_targetILNS1_3genE2ELNS1_11target_archE906ELNS1_3gpuE6ELNS1_3repE0EEENS1_30default_config_static_selectorELNS0_4arch9wavefront6targetE0EEEvSJ_, .Lfunc_end403-_ZN7rocprim17ROCPRIM_400000_NS6detail17trampoline_kernelINS0_14default_configENS1_37merge_sort_block_sort_config_selectorIiNS0_10empty_typeEEEZNS1_21merge_sort_block_sortIS3_N6thrust23THRUST_200600_302600_NS6detail15normal_iteratorINS9_10device_ptrIiEEEESE_PS5_SF_17evens_before_oddsEE10hipError_tT0_T1_T2_T3_mRjT4_P12ihipStream_tbNS1_7vsmem_tEEUlT_E_NS1_11comp_targetILNS1_3genE2ELNS1_11target_archE906ELNS1_3gpuE6ELNS1_3repE0EEENS1_30default_config_static_selectorELNS0_4arch9wavefront6targetE0EEEvSJ_
                                        ; -- End function
	.set _ZN7rocprim17ROCPRIM_400000_NS6detail17trampoline_kernelINS0_14default_configENS1_37merge_sort_block_sort_config_selectorIiNS0_10empty_typeEEEZNS1_21merge_sort_block_sortIS3_N6thrust23THRUST_200600_302600_NS6detail15normal_iteratorINS9_10device_ptrIiEEEESE_PS5_SF_17evens_before_oddsEE10hipError_tT0_T1_T2_T3_mRjT4_P12ihipStream_tbNS1_7vsmem_tEEUlT_E_NS1_11comp_targetILNS1_3genE2ELNS1_11target_archE906ELNS1_3gpuE6ELNS1_3repE0EEENS1_30default_config_static_selectorELNS0_4arch9wavefront6targetE0EEEvSJ_.num_vgpr, 0
	.set _ZN7rocprim17ROCPRIM_400000_NS6detail17trampoline_kernelINS0_14default_configENS1_37merge_sort_block_sort_config_selectorIiNS0_10empty_typeEEEZNS1_21merge_sort_block_sortIS3_N6thrust23THRUST_200600_302600_NS6detail15normal_iteratorINS9_10device_ptrIiEEEESE_PS5_SF_17evens_before_oddsEE10hipError_tT0_T1_T2_T3_mRjT4_P12ihipStream_tbNS1_7vsmem_tEEUlT_E_NS1_11comp_targetILNS1_3genE2ELNS1_11target_archE906ELNS1_3gpuE6ELNS1_3repE0EEENS1_30default_config_static_selectorELNS0_4arch9wavefront6targetE0EEEvSJ_.num_agpr, 0
	.set _ZN7rocprim17ROCPRIM_400000_NS6detail17trampoline_kernelINS0_14default_configENS1_37merge_sort_block_sort_config_selectorIiNS0_10empty_typeEEEZNS1_21merge_sort_block_sortIS3_N6thrust23THRUST_200600_302600_NS6detail15normal_iteratorINS9_10device_ptrIiEEEESE_PS5_SF_17evens_before_oddsEE10hipError_tT0_T1_T2_T3_mRjT4_P12ihipStream_tbNS1_7vsmem_tEEUlT_E_NS1_11comp_targetILNS1_3genE2ELNS1_11target_archE906ELNS1_3gpuE6ELNS1_3repE0EEENS1_30default_config_static_selectorELNS0_4arch9wavefront6targetE0EEEvSJ_.numbered_sgpr, 0
	.set _ZN7rocprim17ROCPRIM_400000_NS6detail17trampoline_kernelINS0_14default_configENS1_37merge_sort_block_sort_config_selectorIiNS0_10empty_typeEEEZNS1_21merge_sort_block_sortIS3_N6thrust23THRUST_200600_302600_NS6detail15normal_iteratorINS9_10device_ptrIiEEEESE_PS5_SF_17evens_before_oddsEE10hipError_tT0_T1_T2_T3_mRjT4_P12ihipStream_tbNS1_7vsmem_tEEUlT_E_NS1_11comp_targetILNS1_3genE2ELNS1_11target_archE906ELNS1_3gpuE6ELNS1_3repE0EEENS1_30default_config_static_selectorELNS0_4arch9wavefront6targetE0EEEvSJ_.num_named_barrier, 0
	.set _ZN7rocprim17ROCPRIM_400000_NS6detail17trampoline_kernelINS0_14default_configENS1_37merge_sort_block_sort_config_selectorIiNS0_10empty_typeEEEZNS1_21merge_sort_block_sortIS3_N6thrust23THRUST_200600_302600_NS6detail15normal_iteratorINS9_10device_ptrIiEEEESE_PS5_SF_17evens_before_oddsEE10hipError_tT0_T1_T2_T3_mRjT4_P12ihipStream_tbNS1_7vsmem_tEEUlT_E_NS1_11comp_targetILNS1_3genE2ELNS1_11target_archE906ELNS1_3gpuE6ELNS1_3repE0EEENS1_30default_config_static_selectorELNS0_4arch9wavefront6targetE0EEEvSJ_.private_seg_size, 0
	.set _ZN7rocprim17ROCPRIM_400000_NS6detail17trampoline_kernelINS0_14default_configENS1_37merge_sort_block_sort_config_selectorIiNS0_10empty_typeEEEZNS1_21merge_sort_block_sortIS3_N6thrust23THRUST_200600_302600_NS6detail15normal_iteratorINS9_10device_ptrIiEEEESE_PS5_SF_17evens_before_oddsEE10hipError_tT0_T1_T2_T3_mRjT4_P12ihipStream_tbNS1_7vsmem_tEEUlT_E_NS1_11comp_targetILNS1_3genE2ELNS1_11target_archE906ELNS1_3gpuE6ELNS1_3repE0EEENS1_30default_config_static_selectorELNS0_4arch9wavefront6targetE0EEEvSJ_.uses_vcc, 0
	.set _ZN7rocprim17ROCPRIM_400000_NS6detail17trampoline_kernelINS0_14default_configENS1_37merge_sort_block_sort_config_selectorIiNS0_10empty_typeEEEZNS1_21merge_sort_block_sortIS3_N6thrust23THRUST_200600_302600_NS6detail15normal_iteratorINS9_10device_ptrIiEEEESE_PS5_SF_17evens_before_oddsEE10hipError_tT0_T1_T2_T3_mRjT4_P12ihipStream_tbNS1_7vsmem_tEEUlT_E_NS1_11comp_targetILNS1_3genE2ELNS1_11target_archE906ELNS1_3gpuE6ELNS1_3repE0EEENS1_30default_config_static_selectorELNS0_4arch9wavefront6targetE0EEEvSJ_.uses_flat_scratch, 0
	.set _ZN7rocprim17ROCPRIM_400000_NS6detail17trampoline_kernelINS0_14default_configENS1_37merge_sort_block_sort_config_selectorIiNS0_10empty_typeEEEZNS1_21merge_sort_block_sortIS3_N6thrust23THRUST_200600_302600_NS6detail15normal_iteratorINS9_10device_ptrIiEEEESE_PS5_SF_17evens_before_oddsEE10hipError_tT0_T1_T2_T3_mRjT4_P12ihipStream_tbNS1_7vsmem_tEEUlT_E_NS1_11comp_targetILNS1_3genE2ELNS1_11target_archE906ELNS1_3gpuE6ELNS1_3repE0EEENS1_30default_config_static_selectorELNS0_4arch9wavefront6targetE0EEEvSJ_.has_dyn_sized_stack, 0
	.set _ZN7rocprim17ROCPRIM_400000_NS6detail17trampoline_kernelINS0_14default_configENS1_37merge_sort_block_sort_config_selectorIiNS0_10empty_typeEEEZNS1_21merge_sort_block_sortIS3_N6thrust23THRUST_200600_302600_NS6detail15normal_iteratorINS9_10device_ptrIiEEEESE_PS5_SF_17evens_before_oddsEE10hipError_tT0_T1_T2_T3_mRjT4_P12ihipStream_tbNS1_7vsmem_tEEUlT_E_NS1_11comp_targetILNS1_3genE2ELNS1_11target_archE906ELNS1_3gpuE6ELNS1_3repE0EEENS1_30default_config_static_selectorELNS0_4arch9wavefront6targetE0EEEvSJ_.has_recursion, 0
	.set _ZN7rocprim17ROCPRIM_400000_NS6detail17trampoline_kernelINS0_14default_configENS1_37merge_sort_block_sort_config_selectorIiNS0_10empty_typeEEEZNS1_21merge_sort_block_sortIS3_N6thrust23THRUST_200600_302600_NS6detail15normal_iteratorINS9_10device_ptrIiEEEESE_PS5_SF_17evens_before_oddsEE10hipError_tT0_T1_T2_T3_mRjT4_P12ihipStream_tbNS1_7vsmem_tEEUlT_E_NS1_11comp_targetILNS1_3genE2ELNS1_11target_archE906ELNS1_3gpuE6ELNS1_3repE0EEENS1_30default_config_static_selectorELNS0_4arch9wavefront6targetE0EEEvSJ_.has_indirect_call, 0
	.section	.AMDGPU.csdata,"",@progbits
; Kernel info:
; codeLenInByte = 0
; TotalNumSgprs: 0
; NumVgprs: 0
; ScratchSize: 0
; MemoryBound: 0
; FloatMode: 240
; IeeeMode: 1
; LDSByteSize: 0 bytes/workgroup (compile time only)
; SGPRBlocks: 0
; VGPRBlocks: 0
; NumSGPRsForWavesPerEU: 1
; NumVGPRsForWavesPerEU: 1
; Occupancy: 16
; WaveLimiterHint : 0
; COMPUTE_PGM_RSRC2:SCRATCH_EN: 0
; COMPUTE_PGM_RSRC2:USER_SGPR: 6
; COMPUTE_PGM_RSRC2:TRAP_HANDLER: 0
; COMPUTE_PGM_RSRC2:TGID_X_EN: 1
; COMPUTE_PGM_RSRC2:TGID_Y_EN: 0
; COMPUTE_PGM_RSRC2:TGID_Z_EN: 0
; COMPUTE_PGM_RSRC2:TIDIG_COMP_CNT: 0
	.section	.text._ZN7rocprim17ROCPRIM_400000_NS6detail17trampoline_kernelINS0_14default_configENS1_37merge_sort_block_sort_config_selectorIiNS0_10empty_typeEEEZNS1_21merge_sort_block_sortIS3_N6thrust23THRUST_200600_302600_NS6detail15normal_iteratorINS9_10device_ptrIiEEEESE_PS5_SF_17evens_before_oddsEE10hipError_tT0_T1_T2_T3_mRjT4_P12ihipStream_tbNS1_7vsmem_tEEUlT_E_NS1_11comp_targetILNS1_3genE10ELNS1_11target_archE1201ELNS1_3gpuE5ELNS1_3repE0EEENS1_30default_config_static_selectorELNS0_4arch9wavefront6targetE0EEEvSJ_,"axG",@progbits,_ZN7rocprim17ROCPRIM_400000_NS6detail17trampoline_kernelINS0_14default_configENS1_37merge_sort_block_sort_config_selectorIiNS0_10empty_typeEEEZNS1_21merge_sort_block_sortIS3_N6thrust23THRUST_200600_302600_NS6detail15normal_iteratorINS9_10device_ptrIiEEEESE_PS5_SF_17evens_before_oddsEE10hipError_tT0_T1_T2_T3_mRjT4_P12ihipStream_tbNS1_7vsmem_tEEUlT_E_NS1_11comp_targetILNS1_3genE10ELNS1_11target_archE1201ELNS1_3gpuE5ELNS1_3repE0EEENS1_30default_config_static_selectorELNS0_4arch9wavefront6targetE0EEEvSJ_,comdat
	.protected	_ZN7rocprim17ROCPRIM_400000_NS6detail17trampoline_kernelINS0_14default_configENS1_37merge_sort_block_sort_config_selectorIiNS0_10empty_typeEEEZNS1_21merge_sort_block_sortIS3_N6thrust23THRUST_200600_302600_NS6detail15normal_iteratorINS9_10device_ptrIiEEEESE_PS5_SF_17evens_before_oddsEE10hipError_tT0_T1_T2_T3_mRjT4_P12ihipStream_tbNS1_7vsmem_tEEUlT_E_NS1_11comp_targetILNS1_3genE10ELNS1_11target_archE1201ELNS1_3gpuE5ELNS1_3repE0EEENS1_30default_config_static_selectorELNS0_4arch9wavefront6targetE0EEEvSJ_ ; -- Begin function _ZN7rocprim17ROCPRIM_400000_NS6detail17trampoline_kernelINS0_14default_configENS1_37merge_sort_block_sort_config_selectorIiNS0_10empty_typeEEEZNS1_21merge_sort_block_sortIS3_N6thrust23THRUST_200600_302600_NS6detail15normal_iteratorINS9_10device_ptrIiEEEESE_PS5_SF_17evens_before_oddsEE10hipError_tT0_T1_T2_T3_mRjT4_P12ihipStream_tbNS1_7vsmem_tEEUlT_E_NS1_11comp_targetILNS1_3genE10ELNS1_11target_archE1201ELNS1_3gpuE5ELNS1_3repE0EEENS1_30default_config_static_selectorELNS0_4arch9wavefront6targetE0EEEvSJ_
	.globl	_ZN7rocprim17ROCPRIM_400000_NS6detail17trampoline_kernelINS0_14default_configENS1_37merge_sort_block_sort_config_selectorIiNS0_10empty_typeEEEZNS1_21merge_sort_block_sortIS3_N6thrust23THRUST_200600_302600_NS6detail15normal_iteratorINS9_10device_ptrIiEEEESE_PS5_SF_17evens_before_oddsEE10hipError_tT0_T1_T2_T3_mRjT4_P12ihipStream_tbNS1_7vsmem_tEEUlT_E_NS1_11comp_targetILNS1_3genE10ELNS1_11target_archE1201ELNS1_3gpuE5ELNS1_3repE0EEENS1_30default_config_static_selectorELNS0_4arch9wavefront6targetE0EEEvSJ_
	.p2align	8
	.type	_ZN7rocprim17ROCPRIM_400000_NS6detail17trampoline_kernelINS0_14default_configENS1_37merge_sort_block_sort_config_selectorIiNS0_10empty_typeEEEZNS1_21merge_sort_block_sortIS3_N6thrust23THRUST_200600_302600_NS6detail15normal_iteratorINS9_10device_ptrIiEEEESE_PS5_SF_17evens_before_oddsEE10hipError_tT0_T1_T2_T3_mRjT4_P12ihipStream_tbNS1_7vsmem_tEEUlT_E_NS1_11comp_targetILNS1_3genE10ELNS1_11target_archE1201ELNS1_3gpuE5ELNS1_3repE0EEENS1_30default_config_static_selectorELNS0_4arch9wavefront6targetE0EEEvSJ_,@function
_ZN7rocprim17ROCPRIM_400000_NS6detail17trampoline_kernelINS0_14default_configENS1_37merge_sort_block_sort_config_selectorIiNS0_10empty_typeEEEZNS1_21merge_sort_block_sortIS3_N6thrust23THRUST_200600_302600_NS6detail15normal_iteratorINS9_10device_ptrIiEEEESE_PS5_SF_17evens_before_oddsEE10hipError_tT0_T1_T2_T3_mRjT4_P12ihipStream_tbNS1_7vsmem_tEEUlT_E_NS1_11comp_targetILNS1_3genE10ELNS1_11target_archE1201ELNS1_3gpuE5ELNS1_3repE0EEENS1_30default_config_static_selectorELNS0_4arch9wavefront6targetE0EEEvSJ_: ; @_ZN7rocprim17ROCPRIM_400000_NS6detail17trampoline_kernelINS0_14default_configENS1_37merge_sort_block_sort_config_selectorIiNS0_10empty_typeEEEZNS1_21merge_sort_block_sortIS3_N6thrust23THRUST_200600_302600_NS6detail15normal_iteratorINS9_10device_ptrIiEEEESE_PS5_SF_17evens_before_oddsEE10hipError_tT0_T1_T2_T3_mRjT4_P12ihipStream_tbNS1_7vsmem_tEEUlT_E_NS1_11comp_targetILNS1_3genE10ELNS1_11target_archE1201ELNS1_3gpuE5ELNS1_3repE0EEENS1_30default_config_static_selectorELNS0_4arch9wavefront6targetE0EEEvSJ_
; %bb.0:
	.section	.rodata,"a",@progbits
	.p2align	6, 0x0
	.amdhsa_kernel _ZN7rocprim17ROCPRIM_400000_NS6detail17trampoline_kernelINS0_14default_configENS1_37merge_sort_block_sort_config_selectorIiNS0_10empty_typeEEEZNS1_21merge_sort_block_sortIS3_N6thrust23THRUST_200600_302600_NS6detail15normal_iteratorINS9_10device_ptrIiEEEESE_PS5_SF_17evens_before_oddsEE10hipError_tT0_T1_T2_T3_mRjT4_P12ihipStream_tbNS1_7vsmem_tEEUlT_E_NS1_11comp_targetILNS1_3genE10ELNS1_11target_archE1201ELNS1_3gpuE5ELNS1_3repE0EEENS1_30default_config_static_selectorELNS0_4arch9wavefront6targetE0EEEvSJ_
		.amdhsa_group_segment_fixed_size 0
		.amdhsa_private_segment_fixed_size 0
		.amdhsa_kernarg_size 64
		.amdhsa_user_sgpr_count 6
		.amdhsa_user_sgpr_private_segment_buffer 1
		.amdhsa_user_sgpr_dispatch_ptr 0
		.amdhsa_user_sgpr_queue_ptr 0
		.amdhsa_user_sgpr_kernarg_segment_ptr 1
		.amdhsa_user_sgpr_dispatch_id 0
		.amdhsa_user_sgpr_flat_scratch_init 0
		.amdhsa_user_sgpr_private_segment_size 0
		.amdhsa_wavefront_size32 1
		.amdhsa_uses_dynamic_stack 0
		.amdhsa_system_sgpr_private_segment_wavefront_offset 0
		.amdhsa_system_sgpr_workgroup_id_x 1
		.amdhsa_system_sgpr_workgroup_id_y 0
		.amdhsa_system_sgpr_workgroup_id_z 0
		.amdhsa_system_sgpr_workgroup_info 0
		.amdhsa_system_vgpr_workitem_id 0
		.amdhsa_next_free_vgpr 1
		.amdhsa_next_free_sgpr 1
		.amdhsa_reserve_vcc 0
		.amdhsa_reserve_flat_scratch 0
		.amdhsa_float_round_mode_32 0
		.amdhsa_float_round_mode_16_64 0
		.amdhsa_float_denorm_mode_32 3
		.amdhsa_float_denorm_mode_16_64 3
		.amdhsa_dx10_clamp 1
		.amdhsa_ieee_mode 1
		.amdhsa_fp16_overflow 0
		.amdhsa_workgroup_processor_mode 1
		.amdhsa_memory_ordered 1
		.amdhsa_forward_progress 1
		.amdhsa_shared_vgpr_count 0
		.amdhsa_exception_fp_ieee_invalid_op 0
		.amdhsa_exception_fp_denorm_src 0
		.amdhsa_exception_fp_ieee_div_zero 0
		.amdhsa_exception_fp_ieee_overflow 0
		.amdhsa_exception_fp_ieee_underflow 0
		.amdhsa_exception_fp_ieee_inexact 0
		.amdhsa_exception_int_div_zero 0
	.end_amdhsa_kernel
	.section	.text._ZN7rocprim17ROCPRIM_400000_NS6detail17trampoline_kernelINS0_14default_configENS1_37merge_sort_block_sort_config_selectorIiNS0_10empty_typeEEEZNS1_21merge_sort_block_sortIS3_N6thrust23THRUST_200600_302600_NS6detail15normal_iteratorINS9_10device_ptrIiEEEESE_PS5_SF_17evens_before_oddsEE10hipError_tT0_T1_T2_T3_mRjT4_P12ihipStream_tbNS1_7vsmem_tEEUlT_E_NS1_11comp_targetILNS1_3genE10ELNS1_11target_archE1201ELNS1_3gpuE5ELNS1_3repE0EEENS1_30default_config_static_selectorELNS0_4arch9wavefront6targetE0EEEvSJ_,"axG",@progbits,_ZN7rocprim17ROCPRIM_400000_NS6detail17trampoline_kernelINS0_14default_configENS1_37merge_sort_block_sort_config_selectorIiNS0_10empty_typeEEEZNS1_21merge_sort_block_sortIS3_N6thrust23THRUST_200600_302600_NS6detail15normal_iteratorINS9_10device_ptrIiEEEESE_PS5_SF_17evens_before_oddsEE10hipError_tT0_T1_T2_T3_mRjT4_P12ihipStream_tbNS1_7vsmem_tEEUlT_E_NS1_11comp_targetILNS1_3genE10ELNS1_11target_archE1201ELNS1_3gpuE5ELNS1_3repE0EEENS1_30default_config_static_selectorELNS0_4arch9wavefront6targetE0EEEvSJ_,comdat
.Lfunc_end404:
	.size	_ZN7rocprim17ROCPRIM_400000_NS6detail17trampoline_kernelINS0_14default_configENS1_37merge_sort_block_sort_config_selectorIiNS0_10empty_typeEEEZNS1_21merge_sort_block_sortIS3_N6thrust23THRUST_200600_302600_NS6detail15normal_iteratorINS9_10device_ptrIiEEEESE_PS5_SF_17evens_before_oddsEE10hipError_tT0_T1_T2_T3_mRjT4_P12ihipStream_tbNS1_7vsmem_tEEUlT_E_NS1_11comp_targetILNS1_3genE10ELNS1_11target_archE1201ELNS1_3gpuE5ELNS1_3repE0EEENS1_30default_config_static_selectorELNS0_4arch9wavefront6targetE0EEEvSJ_, .Lfunc_end404-_ZN7rocprim17ROCPRIM_400000_NS6detail17trampoline_kernelINS0_14default_configENS1_37merge_sort_block_sort_config_selectorIiNS0_10empty_typeEEEZNS1_21merge_sort_block_sortIS3_N6thrust23THRUST_200600_302600_NS6detail15normal_iteratorINS9_10device_ptrIiEEEESE_PS5_SF_17evens_before_oddsEE10hipError_tT0_T1_T2_T3_mRjT4_P12ihipStream_tbNS1_7vsmem_tEEUlT_E_NS1_11comp_targetILNS1_3genE10ELNS1_11target_archE1201ELNS1_3gpuE5ELNS1_3repE0EEENS1_30default_config_static_selectorELNS0_4arch9wavefront6targetE0EEEvSJ_
                                        ; -- End function
	.set _ZN7rocprim17ROCPRIM_400000_NS6detail17trampoline_kernelINS0_14default_configENS1_37merge_sort_block_sort_config_selectorIiNS0_10empty_typeEEEZNS1_21merge_sort_block_sortIS3_N6thrust23THRUST_200600_302600_NS6detail15normal_iteratorINS9_10device_ptrIiEEEESE_PS5_SF_17evens_before_oddsEE10hipError_tT0_T1_T2_T3_mRjT4_P12ihipStream_tbNS1_7vsmem_tEEUlT_E_NS1_11comp_targetILNS1_3genE10ELNS1_11target_archE1201ELNS1_3gpuE5ELNS1_3repE0EEENS1_30default_config_static_selectorELNS0_4arch9wavefront6targetE0EEEvSJ_.num_vgpr, 0
	.set _ZN7rocprim17ROCPRIM_400000_NS6detail17trampoline_kernelINS0_14default_configENS1_37merge_sort_block_sort_config_selectorIiNS0_10empty_typeEEEZNS1_21merge_sort_block_sortIS3_N6thrust23THRUST_200600_302600_NS6detail15normal_iteratorINS9_10device_ptrIiEEEESE_PS5_SF_17evens_before_oddsEE10hipError_tT0_T1_T2_T3_mRjT4_P12ihipStream_tbNS1_7vsmem_tEEUlT_E_NS1_11comp_targetILNS1_3genE10ELNS1_11target_archE1201ELNS1_3gpuE5ELNS1_3repE0EEENS1_30default_config_static_selectorELNS0_4arch9wavefront6targetE0EEEvSJ_.num_agpr, 0
	.set _ZN7rocprim17ROCPRIM_400000_NS6detail17trampoline_kernelINS0_14default_configENS1_37merge_sort_block_sort_config_selectorIiNS0_10empty_typeEEEZNS1_21merge_sort_block_sortIS3_N6thrust23THRUST_200600_302600_NS6detail15normal_iteratorINS9_10device_ptrIiEEEESE_PS5_SF_17evens_before_oddsEE10hipError_tT0_T1_T2_T3_mRjT4_P12ihipStream_tbNS1_7vsmem_tEEUlT_E_NS1_11comp_targetILNS1_3genE10ELNS1_11target_archE1201ELNS1_3gpuE5ELNS1_3repE0EEENS1_30default_config_static_selectorELNS0_4arch9wavefront6targetE0EEEvSJ_.numbered_sgpr, 0
	.set _ZN7rocprim17ROCPRIM_400000_NS6detail17trampoline_kernelINS0_14default_configENS1_37merge_sort_block_sort_config_selectorIiNS0_10empty_typeEEEZNS1_21merge_sort_block_sortIS3_N6thrust23THRUST_200600_302600_NS6detail15normal_iteratorINS9_10device_ptrIiEEEESE_PS5_SF_17evens_before_oddsEE10hipError_tT0_T1_T2_T3_mRjT4_P12ihipStream_tbNS1_7vsmem_tEEUlT_E_NS1_11comp_targetILNS1_3genE10ELNS1_11target_archE1201ELNS1_3gpuE5ELNS1_3repE0EEENS1_30default_config_static_selectorELNS0_4arch9wavefront6targetE0EEEvSJ_.num_named_barrier, 0
	.set _ZN7rocprim17ROCPRIM_400000_NS6detail17trampoline_kernelINS0_14default_configENS1_37merge_sort_block_sort_config_selectorIiNS0_10empty_typeEEEZNS1_21merge_sort_block_sortIS3_N6thrust23THRUST_200600_302600_NS6detail15normal_iteratorINS9_10device_ptrIiEEEESE_PS5_SF_17evens_before_oddsEE10hipError_tT0_T1_T2_T3_mRjT4_P12ihipStream_tbNS1_7vsmem_tEEUlT_E_NS1_11comp_targetILNS1_3genE10ELNS1_11target_archE1201ELNS1_3gpuE5ELNS1_3repE0EEENS1_30default_config_static_selectorELNS0_4arch9wavefront6targetE0EEEvSJ_.private_seg_size, 0
	.set _ZN7rocprim17ROCPRIM_400000_NS6detail17trampoline_kernelINS0_14default_configENS1_37merge_sort_block_sort_config_selectorIiNS0_10empty_typeEEEZNS1_21merge_sort_block_sortIS3_N6thrust23THRUST_200600_302600_NS6detail15normal_iteratorINS9_10device_ptrIiEEEESE_PS5_SF_17evens_before_oddsEE10hipError_tT0_T1_T2_T3_mRjT4_P12ihipStream_tbNS1_7vsmem_tEEUlT_E_NS1_11comp_targetILNS1_3genE10ELNS1_11target_archE1201ELNS1_3gpuE5ELNS1_3repE0EEENS1_30default_config_static_selectorELNS0_4arch9wavefront6targetE0EEEvSJ_.uses_vcc, 0
	.set _ZN7rocprim17ROCPRIM_400000_NS6detail17trampoline_kernelINS0_14default_configENS1_37merge_sort_block_sort_config_selectorIiNS0_10empty_typeEEEZNS1_21merge_sort_block_sortIS3_N6thrust23THRUST_200600_302600_NS6detail15normal_iteratorINS9_10device_ptrIiEEEESE_PS5_SF_17evens_before_oddsEE10hipError_tT0_T1_T2_T3_mRjT4_P12ihipStream_tbNS1_7vsmem_tEEUlT_E_NS1_11comp_targetILNS1_3genE10ELNS1_11target_archE1201ELNS1_3gpuE5ELNS1_3repE0EEENS1_30default_config_static_selectorELNS0_4arch9wavefront6targetE0EEEvSJ_.uses_flat_scratch, 0
	.set _ZN7rocprim17ROCPRIM_400000_NS6detail17trampoline_kernelINS0_14default_configENS1_37merge_sort_block_sort_config_selectorIiNS0_10empty_typeEEEZNS1_21merge_sort_block_sortIS3_N6thrust23THRUST_200600_302600_NS6detail15normal_iteratorINS9_10device_ptrIiEEEESE_PS5_SF_17evens_before_oddsEE10hipError_tT0_T1_T2_T3_mRjT4_P12ihipStream_tbNS1_7vsmem_tEEUlT_E_NS1_11comp_targetILNS1_3genE10ELNS1_11target_archE1201ELNS1_3gpuE5ELNS1_3repE0EEENS1_30default_config_static_selectorELNS0_4arch9wavefront6targetE0EEEvSJ_.has_dyn_sized_stack, 0
	.set _ZN7rocprim17ROCPRIM_400000_NS6detail17trampoline_kernelINS0_14default_configENS1_37merge_sort_block_sort_config_selectorIiNS0_10empty_typeEEEZNS1_21merge_sort_block_sortIS3_N6thrust23THRUST_200600_302600_NS6detail15normal_iteratorINS9_10device_ptrIiEEEESE_PS5_SF_17evens_before_oddsEE10hipError_tT0_T1_T2_T3_mRjT4_P12ihipStream_tbNS1_7vsmem_tEEUlT_E_NS1_11comp_targetILNS1_3genE10ELNS1_11target_archE1201ELNS1_3gpuE5ELNS1_3repE0EEENS1_30default_config_static_selectorELNS0_4arch9wavefront6targetE0EEEvSJ_.has_recursion, 0
	.set _ZN7rocprim17ROCPRIM_400000_NS6detail17trampoline_kernelINS0_14default_configENS1_37merge_sort_block_sort_config_selectorIiNS0_10empty_typeEEEZNS1_21merge_sort_block_sortIS3_N6thrust23THRUST_200600_302600_NS6detail15normal_iteratorINS9_10device_ptrIiEEEESE_PS5_SF_17evens_before_oddsEE10hipError_tT0_T1_T2_T3_mRjT4_P12ihipStream_tbNS1_7vsmem_tEEUlT_E_NS1_11comp_targetILNS1_3genE10ELNS1_11target_archE1201ELNS1_3gpuE5ELNS1_3repE0EEENS1_30default_config_static_selectorELNS0_4arch9wavefront6targetE0EEEvSJ_.has_indirect_call, 0
	.section	.AMDGPU.csdata,"",@progbits
; Kernel info:
; codeLenInByte = 0
; TotalNumSgprs: 0
; NumVgprs: 0
; ScratchSize: 0
; MemoryBound: 0
; FloatMode: 240
; IeeeMode: 1
; LDSByteSize: 0 bytes/workgroup (compile time only)
; SGPRBlocks: 0
; VGPRBlocks: 0
; NumSGPRsForWavesPerEU: 1
; NumVGPRsForWavesPerEU: 1
; Occupancy: 16
; WaveLimiterHint : 0
; COMPUTE_PGM_RSRC2:SCRATCH_EN: 0
; COMPUTE_PGM_RSRC2:USER_SGPR: 6
; COMPUTE_PGM_RSRC2:TRAP_HANDLER: 0
; COMPUTE_PGM_RSRC2:TGID_X_EN: 1
; COMPUTE_PGM_RSRC2:TGID_Y_EN: 0
; COMPUTE_PGM_RSRC2:TGID_Z_EN: 0
; COMPUTE_PGM_RSRC2:TIDIG_COMP_CNT: 0
	.section	.text._ZN7rocprim17ROCPRIM_400000_NS6detail17trampoline_kernelINS0_14default_configENS1_37merge_sort_block_sort_config_selectorIiNS0_10empty_typeEEEZNS1_21merge_sort_block_sortIS3_N6thrust23THRUST_200600_302600_NS6detail15normal_iteratorINS9_10device_ptrIiEEEESE_PS5_SF_17evens_before_oddsEE10hipError_tT0_T1_T2_T3_mRjT4_P12ihipStream_tbNS1_7vsmem_tEEUlT_E_NS1_11comp_targetILNS1_3genE10ELNS1_11target_archE1200ELNS1_3gpuE4ELNS1_3repE0EEENS1_30default_config_static_selectorELNS0_4arch9wavefront6targetE0EEEvSJ_,"axG",@progbits,_ZN7rocprim17ROCPRIM_400000_NS6detail17trampoline_kernelINS0_14default_configENS1_37merge_sort_block_sort_config_selectorIiNS0_10empty_typeEEEZNS1_21merge_sort_block_sortIS3_N6thrust23THRUST_200600_302600_NS6detail15normal_iteratorINS9_10device_ptrIiEEEESE_PS5_SF_17evens_before_oddsEE10hipError_tT0_T1_T2_T3_mRjT4_P12ihipStream_tbNS1_7vsmem_tEEUlT_E_NS1_11comp_targetILNS1_3genE10ELNS1_11target_archE1200ELNS1_3gpuE4ELNS1_3repE0EEENS1_30default_config_static_selectorELNS0_4arch9wavefront6targetE0EEEvSJ_,comdat
	.protected	_ZN7rocprim17ROCPRIM_400000_NS6detail17trampoline_kernelINS0_14default_configENS1_37merge_sort_block_sort_config_selectorIiNS0_10empty_typeEEEZNS1_21merge_sort_block_sortIS3_N6thrust23THRUST_200600_302600_NS6detail15normal_iteratorINS9_10device_ptrIiEEEESE_PS5_SF_17evens_before_oddsEE10hipError_tT0_T1_T2_T3_mRjT4_P12ihipStream_tbNS1_7vsmem_tEEUlT_E_NS1_11comp_targetILNS1_3genE10ELNS1_11target_archE1200ELNS1_3gpuE4ELNS1_3repE0EEENS1_30default_config_static_selectorELNS0_4arch9wavefront6targetE0EEEvSJ_ ; -- Begin function _ZN7rocprim17ROCPRIM_400000_NS6detail17trampoline_kernelINS0_14default_configENS1_37merge_sort_block_sort_config_selectorIiNS0_10empty_typeEEEZNS1_21merge_sort_block_sortIS3_N6thrust23THRUST_200600_302600_NS6detail15normal_iteratorINS9_10device_ptrIiEEEESE_PS5_SF_17evens_before_oddsEE10hipError_tT0_T1_T2_T3_mRjT4_P12ihipStream_tbNS1_7vsmem_tEEUlT_E_NS1_11comp_targetILNS1_3genE10ELNS1_11target_archE1200ELNS1_3gpuE4ELNS1_3repE0EEENS1_30default_config_static_selectorELNS0_4arch9wavefront6targetE0EEEvSJ_
	.globl	_ZN7rocprim17ROCPRIM_400000_NS6detail17trampoline_kernelINS0_14default_configENS1_37merge_sort_block_sort_config_selectorIiNS0_10empty_typeEEEZNS1_21merge_sort_block_sortIS3_N6thrust23THRUST_200600_302600_NS6detail15normal_iteratorINS9_10device_ptrIiEEEESE_PS5_SF_17evens_before_oddsEE10hipError_tT0_T1_T2_T3_mRjT4_P12ihipStream_tbNS1_7vsmem_tEEUlT_E_NS1_11comp_targetILNS1_3genE10ELNS1_11target_archE1200ELNS1_3gpuE4ELNS1_3repE0EEENS1_30default_config_static_selectorELNS0_4arch9wavefront6targetE0EEEvSJ_
	.p2align	8
	.type	_ZN7rocprim17ROCPRIM_400000_NS6detail17trampoline_kernelINS0_14default_configENS1_37merge_sort_block_sort_config_selectorIiNS0_10empty_typeEEEZNS1_21merge_sort_block_sortIS3_N6thrust23THRUST_200600_302600_NS6detail15normal_iteratorINS9_10device_ptrIiEEEESE_PS5_SF_17evens_before_oddsEE10hipError_tT0_T1_T2_T3_mRjT4_P12ihipStream_tbNS1_7vsmem_tEEUlT_E_NS1_11comp_targetILNS1_3genE10ELNS1_11target_archE1200ELNS1_3gpuE4ELNS1_3repE0EEENS1_30default_config_static_selectorELNS0_4arch9wavefront6targetE0EEEvSJ_,@function
_ZN7rocprim17ROCPRIM_400000_NS6detail17trampoline_kernelINS0_14default_configENS1_37merge_sort_block_sort_config_selectorIiNS0_10empty_typeEEEZNS1_21merge_sort_block_sortIS3_N6thrust23THRUST_200600_302600_NS6detail15normal_iteratorINS9_10device_ptrIiEEEESE_PS5_SF_17evens_before_oddsEE10hipError_tT0_T1_T2_T3_mRjT4_P12ihipStream_tbNS1_7vsmem_tEEUlT_E_NS1_11comp_targetILNS1_3genE10ELNS1_11target_archE1200ELNS1_3gpuE4ELNS1_3repE0EEENS1_30default_config_static_selectorELNS0_4arch9wavefront6targetE0EEEvSJ_: ; @_ZN7rocprim17ROCPRIM_400000_NS6detail17trampoline_kernelINS0_14default_configENS1_37merge_sort_block_sort_config_selectorIiNS0_10empty_typeEEEZNS1_21merge_sort_block_sortIS3_N6thrust23THRUST_200600_302600_NS6detail15normal_iteratorINS9_10device_ptrIiEEEESE_PS5_SF_17evens_before_oddsEE10hipError_tT0_T1_T2_T3_mRjT4_P12ihipStream_tbNS1_7vsmem_tEEUlT_E_NS1_11comp_targetILNS1_3genE10ELNS1_11target_archE1200ELNS1_3gpuE4ELNS1_3repE0EEENS1_30default_config_static_selectorELNS0_4arch9wavefront6targetE0EEEvSJ_
; %bb.0:
	.section	.rodata,"a",@progbits
	.p2align	6, 0x0
	.amdhsa_kernel _ZN7rocprim17ROCPRIM_400000_NS6detail17trampoline_kernelINS0_14default_configENS1_37merge_sort_block_sort_config_selectorIiNS0_10empty_typeEEEZNS1_21merge_sort_block_sortIS3_N6thrust23THRUST_200600_302600_NS6detail15normal_iteratorINS9_10device_ptrIiEEEESE_PS5_SF_17evens_before_oddsEE10hipError_tT0_T1_T2_T3_mRjT4_P12ihipStream_tbNS1_7vsmem_tEEUlT_E_NS1_11comp_targetILNS1_3genE10ELNS1_11target_archE1200ELNS1_3gpuE4ELNS1_3repE0EEENS1_30default_config_static_selectorELNS0_4arch9wavefront6targetE0EEEvSJ_
		.amdhsa_group_segment_fixed_size 0
		.amdhsa_private_segment_fixed_size 0
		.amdhsa_kernarg_size 64
		.amdhsa_user_sgpr_count 6
		.amdhsa_user_sgpr_private_segment_buffer 1
		.amdhsa_user_sgpr_dispatch_ptr 0
		.amdhsa_user_sgpr_queue_ptr 0
		.amdhsa_user_sgpr_kernarg_segment_ptr 1
		.amdhsa_user_sgpr_dispatch_id 0
		.amdhsa_user_sgpr_flat_scratch_init 0
		.amdhsa_user_sgpr_private_segment_size 0
		.amdhsa_wavefront_size32 1
		.amdhsa_uses_dynamic_stack 0
		.amdhsa_system_sgpr_private_segment_wavefront_offset 0
		.amdhsa_system_sgpr_workgroup_id_x 1
		.amdhsa_system_sgpr_workgroup_id_y 0
		.amdhsa_system_sgpr_workgroup_id_z 0
		.amdhsa_system_sgpr_workgroup_info 0
		.amdhsa_system_vgpr_workitem_id 0
		.amdhsa_next_free_vgpr 1
		.amdhsa_next_free_sgpr 1
		.amdhsa_reserve_vcc 0
		.amdhsa_reserve_flat_scratch 0
		.amdhsa_float_round_mode_32 0
		.amdhsa_float_round_mode_16_64 0
		.amdhsa_float_denorm_mode_32 3
		.amdhsa_float_denorm_mode_16_64 3
		.amdhsa_dx10_clamp 1
		.amdhsa_ieee_mode 1
		.amdhsa_fp16_overflow 0
		.amdhsa_workgroup_processor_mode 1
		.amdhsa_memory_ordered 1
		.amdhsa_forward_progress 1
		.amdhsa_shared_vgpr_count 0
		.amdhsa_exception_fp_ieee_invalid_op 0
		.amdhsa_exception_fp_denorm_src 0
		.amdhsa_exception_fp_ieee_div_zero 0
		.amdhsa_exception_fp_ieee_overflow 0
		.amdhsa_exception_fp_ieee_underflow 0
		.amdhsa_exception_fp_ieee_inexact 0
		.amdhsa_exception_int_div_zero 0
	.end_amdhsa_kernel
	.section	.text._ZN7rocprim17ROCPRIM_400000_NS6detail17trampoline_kernelINS0_14default_configENS1_37merge_sort_block_sort_config_selectorIiNS0_10empty_typeEEEZNS1_21merge_sort_block_sortIS3_N6thrust23THRUST_200600_302600_NS6detail15normal_iteratorINS9_10device_ptrIiEEEESE_PS5_SF_17evens_before_oddsEE10hipError_tT0_T1_T2_T3_mRjT4_P12ihipStream_tbNS1_7vsmem_tEEUlT_E_NS1_11comp_targetILNS1_3genE10ELNS1_11target_archE1200ELNS1_3gpuE4ELNS1_3repE0EEENS1_30default_config_static_selectorELNS0_4arch9wavefront6targetE0EEEvSJ_,"axG",@progbits,_ZN7rocprim17ROCPRIM_400000_NS6detail17trampoline_kernelINS0_14default_configENS1_37merge_sort_block_sort_config_selectorIiNS0_10empty_typeEEEZNS1_21merge_sort_block_sortIS3_N6thrust23THRUST_200600_302600_NS6detail15normal_iteratorINS9_10device_ptrIiEEEESE_PS5_SF_17evens_before_oddsEE10hipError_tT0_T1_T2_T3_mRjT4_P12ihipStream_tbNS1_7vsmem_tEEUlT_E_NS1_11comp_targetILNS1_3genE10ELNS1_11target_archE1200ELNS1_3gpuE4ELNS1_3repE0EEENS1_30default_config_static_selectorELNS0_4arch9wavefront6targetE0EEEvSJ_,comdat
.Lfunc_end405:
	.size	_ZN7rocprim17ROCPRIM_400000_NS6detail17trampoline_kernelINS0_14default_configENS1_37merge_sort_block_sort_config_selectorIiNS0_10empty_typeEEEZNS1_21merge_sort_block_sortIS3_N6thrust23THRUST_200600_302600_NS6detail15normal_iteratorINS9_10device_ptrIiEEEESE_PS5_SF_17evens_before_oddsEE10hipError_tT0_T1_T2_T3_mRjT4_P12ihipStream_tbNS1_7vsmem_tEEUlT_E_NS1_11comp_targetILNS1_3genE10ELNS1_11target_archE1200ELNS1_3gpuE4ELNS1_3repE0EEENS1_30default_config_static_selectorELNS0_4arch9wavefront6targetE0EEEvSJ_, .Lfunc_end405-_ZN7rocprim17ROCPRIM_400000_NS6detail17trampoline_kernelINS0_14default_configENS1_37merge_sort_block_sort_config_selectorIiNS0_10empty_typeEEEZNS1_21merge_sort_block_sortIS3_N6thrust23THRUST_200600_302600_NS6detail15normal_iteratorINS9_10device_ptrIiEEEESE_PS5_SF_17evens_before_oddsEE10hipError_tT0_T1_T2_T3_mRjT4_P12ihipStream_tbNS1_7vsmem_tEEUlT_E_NS1_11comp_targetILNS1_3genE10ELNS1_11target_archE1200ELNS1_3gpuE4ELNS1_3repE0EEENS1_30default_config_static_selectorELNS0_4arch9wavefront6targetE0EEEvSJ_
                                        ; -- End function
	.set _ZN7rocprim17ROCPRIM_400000_NS6detail17trampoline_kernelINS0_14default_configENS1_37merge_sort_block_sort_config_selectorIiNS0_10empty_typeEEEZNS1_21merge_sort_block_sortIS3_N6thrust23THRUST_200600_302600_NS6detail15normal_iteratorINS9_10device_ptrIiEEEESE_PS5_SF_17evens_before_oddsEE10hipError_tT0_T1_T2_T3_mRjT4_P12ihipStream_tbNS1_7vsmem_tEEUlT_E_NS1_11comp_targetILNS1_3genE10ELNS1_11target_archE1200ELNS1_3gpuE4ELNS1_3repE0EEENS1_30default_config_static_selectorELNS0_4arch9wavefront6targetE0EEEvSJ_.num_vgpr, 0
	.set _ZN7rocprim17ROCPRIM_400000_NS6detail17trampoline_kernelINS0_14default_configENS1_37merge_sort_block_sort_config_selectorIiNS0_10empty_typeEEEZNS1_21merge_sort_block_sortIS3_N6thrust23THRUST_200600_302600_NS6detail15normal_iteratorINS9_10device_ptrIiEEEESE_PS5_SF_17evens_before_oddsEE10hipError_tT0_T1_T2_T3_mRjT4_P12ihipStream_tbNS1_7vsmem_tEEUlT_E_NS1_11comp_targetILNS1_3genE10ELNS1_11target_archE1200ELNS1_3gpuE4ELNS1_3repE0EEENS1_30default_config_static_selectorELNS0_4arch9wavefront6targetE0EEEvSJ_.num_agpr, 0
	.set _ZN7rocprim17ROCPRIM_400000_NS6detail17trampoline_kernelINS0_14default_configENS1_37merge_sort_block_sort_config_selectorIiNS0_10empty_typeEEEZNS1_21merge_sort_block_sortIS3_N6thrust23THRUST_200600_302600_NS6detail15normal_iteratorINS9_10device_ptrIiEEEESE_PS5_SF_17evens_before_oddsEE10hipError_tT0_T1_T2_T3_mRjT4_P12ihipStream_tbNS1_7vsmem_tEEUlT_E_NS1_11comp_targetILNS1_3genE10ELNS1_11target_archE1200ELNS1_3gpuE4ELNS1_3repE0EEENS1_30default_config_static_selectorELNS0_4arch9wavefront6targetE0EEEvSJ_.numbered_sgpr, 0
	.set _ZN7rocprim17ROCPRIM_400000_NS6detail17trampoline_kernelINS0_14default_configENS1_37merge_sort_block_sort_config_selectorIiNS0_10empty_typeEEEZNS1_21merge_sort_block_sortIS3_N6thrust23THRUST_200600_302600_NS6detail15normal_iteratorINS9_10device_ptrIiEEEESE_PS5_SF_17evens_before_oddsEE10hipError_tT0_T1_T2_T3_mRjT4_P12ihipStream_tbNS1_7vsmem_tEEUlT_E_NS1_11comp_targetILNS1_3genE10ELNS1_11target_archE1200ELNS1_3gpuE4ELNS1_3repE0EEENS1_30default_config_static_selectorELNS0_4arch9wavefront6targetE0EEEvSJ_.num_named_barrier, 0
	.set _ZN7rocprim17ROCPRIM_400000_NS6detail17trampoline_kernelINS0_14default_configENS1_37merge_sort_block_sort_config_selectorIiNS0_10empty_typeEEEZNS1_21merge_sort_block_sortIS3_N6thrust23THRUST_200600_302600_NS6detail15normal_iteratorINS9_10device_ptrIiEEEESE_PS5_SF_17evens_before_oddsEE10hipError_tT0_T1_T2_T3_mRjT4_P12ihipStream_tbNS1_7vsmem_tEEUlT_E_NS1_11comp_targetILNS1_3genE10ELNS1_11target_archE1200ELNS1_3gpuE4ELNS1_3repE0EEENS1_30default_config_static_selectorELNS0_4arch9wavefront6targetE0EEEvSJ_.private_seg_size, 0
	.set _ZN7rocprim17ROCPRIM_400000_NS6detail17trampoline_kernelINS0_14default_configENS1_37merge_sort_block_sort_config_selectorIiNS0_10empty_typeEEEZNS1_21merge_sort_block_sortIS3_N6thrust23THRUST_200600_302600_NS6detail15normal_iteratorINS9_10device_ptrIiEEEESE_PS5_SF_17evens_before_oddsEE10hipError_tT0_T1_T2_T3_mRjT4_P12ihipStream_tbNS1_7vsmem_tEEUlT_E_NS1_11comp_targetILNS1_3genE10ELNS1_11target_archE1200ELNS1_3gpuE4ELNS1_3repE0EEENS1_30default_config_static_selectorELNS0_4arch9wavefront6targetE0EEEvSJ_.uses_vcc, 0
	.set _ZN7rocprim17ROCPRIM_400000_NS6detail17trampoline_kernelINS0_14default_configENS1_37merge_sort_block_sort_config_selectorIiNS0_10empty_typeEEEZNS1_21merge_sort_block_sortIS3_N6thrust23THRUST_200600_302600_NS6detail15normal_iteratorINS9_10device_ptrIiEEEESE_PS5_SF_17evens_before_oddsEE10hipError_tT0_T1_T2_T3_mRjT4_P12ihipStream_tbNS1_7vsmem_tEEUlT_E_NS1_11comp_targetILNS1_3genE10ELNS1_11target_archE1200ELNS1_3gpuE4ELNS1_3repE0EEENS1_30default_config_static_selectorELNS0_4arch9wavefront6targetE0EEEvSJ_.uses_flat_scratch, 0
	.set _ZN7rocprim17ROCPRIM_400000_NS6detail17trampoline_kernelINS0_14default_configENS1_37merge_sort_block_sort_config_selectorIiNS0_10empty_typeEEEZNS1_21merge_sort_block_sortIS3_N6thrust23THRUST_200600_302600_NS6detail15normal_iteratorINS9_10device_ptrIiEEEESE_PS5_SF_17evens_before_oddsEE10hipError_tT0_T1_T2_T3_mRjT4_P12ihipStream_tbNS1_7vsmem_tEEUlT_E_NS1_11comp_targetILNS1_3genE10ELNS1_11target_archE1200ELNS1_3gpuE4ELNS1_3repE0EEENS1_30default_config_static_selectorELNS0_4arch9wavefront6targetE0EEEvSJ_.has_dyn_sized_stack, 0
	.set _ZN7rocprim17ROCPRIM_400000_NS6detail17trampoline_kernelINS0_14default_configENS1_37merge_sort_block_sort_config_selectorIiNS0_10empty_typeEEEZNS1_21merge_sort_block_sortIS3_N6thrust23THRUST_200600_302600_NS6detail15normal_iteratorINS9_10device_ptrIiEEEESE_PS5_SF_17evens_before_oddsEE10hipError_tT0_T1_T2_T3_mRjT4_P12ihipStream_tbNS1_7vsmem_tEEUlT_E_NS1_11comp_targetILNS1_3genE10ELNS1_11target_archE1200ELNS1_3gpuE4ELNS1_3repE0EEENS1_30default_config_static_selectorELNS0_4arch9wavefront6targetE0EEEvSJ_.has_recursion, 0
	.set _ZN7rocprim17ROCPRIM_400000_NS6detail17trampoline_kernelINS0_14default_configENS1_37merge_sort_block_sort_config_selectorIiNS0_10empty_typeEEEZNS1_21merge_sort_block_sortIS3_N6thrust23THRUST_200600_302600_NS6detail15normal_iteratorINS9_10device_ptrIiEEEESE_PS5_SF_17evens_before_oddsEE10hipError_tT0_T1_T2_T3_mRjT4_P12ihipStream_tbNS1_7vsmem_tEEUlT_E_NS1_11comp_targetILNS1_3genE10ELNS1_11target_archE1200ELNS1_3gpuE4ELNS1_3repE0EEENS1_30default_config_static_selectorELNS0_4arch9wavefront6targetE0EEEvSJ_.has_indirect_call, 0
	.section	.AMDGPU.csdata,"",@progbits
; Kernel info:
; codeLenInByte = 0
; TotalNumSgprs: 0
; NumVgprs: 0
; ScratchSize: 0
; MemoryBound: 0
; FloatMode: 240
; IeeeMode: 1
; LDSByteSize: 0 bytes/workgroup (compile time only)
; SGPRBlocks: 0
; VGPRBlocks: 0
; NumSGPRsForWavesPerEU: 1
; NumVGPRsForWavesPerEU: 1
; Occupancy: 16
; WaveLimiterHint : 0
; COMPUTE_PGM_RSRC2:SCRATCH_EN: 0
; COMPUTE_PGM_RSRC2:USER_SGPR: 6
; COMPUTE_PGM_RSRC2:TRAP_HANDLER: 0
; COMPUTE_PGM_RSRC2:TGID_X_EN: 1
; COMPUTE_PGM_RSRC2:TGID_Y_EN: 0
; COMPUTE_PGM_RSRC2:TGID_Z_EN: 0
; COMPUTE_PGM_RSRC2:TIDIG_COMP_CNT: 0
	.section	.text._ZN7rocprim17ROCPRIM_400000_NS6detail17trampoline_kernelINS0_14default_configENS1_37merge_sort_block_sort_config_selectorIiNS0_10empty_typeEEEZNS1_21merge_sort_block_sortIS3_N6thrust23THRUST_200600_302600_NS6detail15normal_iteratorINS9_10device_ptrIiEEEESE_PS5_SF_17evens_before_oddsEE10hipError_tT0_T1_T2_T3_mRjT4_P12ihipStream_tbNS1_7vsmem_tEEUlT_E_NS1_11comp_targetILNS1_3genE9ELNS1_11target_archE1100ELNS1_3gpuE3ELNS1_3repE0EEENS1_30default_config_static_selectorELNS0_4arch9wavefront6targetE0EEEvSJ_,"axG",@progbits,_ZN7rocprim17ROCPRIM_400000_NS6detail17trampoline_kernelINS0_14default_configENS1_37merge_sort_block_sort_config_selectorIiNS0_10empty_typeEEEZNS1_21merge_sort_block_sortIS3_N6thrust23THRUST_200600_302600_NS6detail15normal_iteratorINS9_10device_ptrIiEEEESE_PS5_SF_17evens_before_oddsEE10hipError_tT0_T1_T2_T3_mRjT4_P12ihipStream_tbNS1_7vsmem_tEEUlT_E_NS1_11comp_targetILNS1_3genE9ELNS1_11target_archE1100ELNS1_3gpuE3ELNS1_3repE0EEENS1_30default_config_static_selectorELNS0_4arch9wavefront6targetE0EEEvSJ_,comdat
	.protected	_ZN7rocprim17ROCPRIM_400000_NS6detail17trampoline_kernelINS0_14default_configENS1_37merge_sort_block_sort_config_selectorIiNS0_10empty_typeEEEZNS1_21merge_sort_block_sortIS3_N6thrust23THRUST_200600_302600_NS6detail15normal_iteratorINS9_10device_ptrIiEEEESE_PS5_SF_17evens_before_oddsEE10hipError_tT0_T1_T2_T3_mRjT4_P12ihipStream_tbNS1_7vsmem_tEEUlT_E_NS1_11comp_targetILNS1_3genE9ELNS1_11target_archE1100ELNS1_3gpuE3ELNS1_3repE0EEENS1_30default_config_static_selectorELNS0_4arch9wavefront6targetE0EEEvSJ_ ; -- Begin function _ZN7rocprim17ROCPRIM_400000_NS6detail17trampoline_kernelINS0_14default_configENS1_37merge_sort_block_sort_config_selectorIiNS0_10empty_typeEEEZNS1_21merge_sort_block_sortIS3_N6thrust23THRUST_200600_302600_NS6detail15normal_iteratorINS9_10device_ptrIiEEEESE_PS5_SF_17evens_before_oddsEE10hipError_tT0_T1_T2_T3_mRjT4_P12ihipStream_tbNS1_7vsmem_tEEUlT_E_NS1_11comp_targetILNS1_3genE9ELNS1_11target_archE1100ELNS1_3gpuE3ELNS1_3repE0EEENS1_30default_config_static_selectorELNS0_4arch9wavefront6targetE0EEEvSJ_
	.globl	_ZN7rocprim17ROCPRIM_400000_NS6detail17trampoline_kernelINS0_14default_configENS1_37merge_sort_block_sort_config_selectorIiNS0_10empty_typeEEEZNS1_21merge_sort_block_sortIS3_N6thrust23THRUST_200600_302600_NS6detail15normal_iteratorINS9_10device_ptrIiEEEESE_PS5_SF_17evens_before_oddsEE10hipError_tT0_T1_T2_T3_mRjT4_P12ihipStream_tbNS1_7vsmem_tEEUlT_E_NS1_11comp_targetILNS1_3genE9ELNS1_11target_archE1100ELNS1_3gpuE3ELNS1_3repE0EEENS1_30default_config_static_selectorELNS0_4arch9wavefront6targetE0EEEvSJ_
	.p2align	8
	.type	_ZN7rocprim17ROCPRIM_400000_NS6detail17trampoline_kernelINS0_14default_configENS1_37merge_sort_block_sort_config_selectorIiNS0_10empty_typeEEEZNS1_21merge_sort_block_sortIS3_N6thrust23THRUST_200600_302600_NS6detail15normal_iteratorINS9_10device_ptrIiEEEESE_PS5_SF_17evens_before_oddsEE10hipError_tT0_T1_T2_T3_mRjT4_P12ihipStream_tbNS1_7vsmem_tEEUlT_E_NS1_11comp_targetILNS1_3genE9ELNS1_11target_archE1100ELNS1_3gpuE3ELNS1_3repE0EEENS1_30default_config_static_selectorELNS0_4arch9wavefront6targetE0EEEvSJ_,@function
_ZN7rocprim17ROCPRIM_400000_NS6detail17trampoline_kernelINS0_14default_configENS1_37merge_sort_block_sort_config_selectorIiNS0_10empty_typeEEEZNS1_21merge_sort_block_sortIS3_N6thrust23THRUST_200600_302600_NS6detail15normal_iteratorINS9_10device_ptrIiEEEESE_PS5_SF_17evens_before_oddsEE10hipError_tT0_T1_T2_T3_mRjT4_P12ihipStream_tbNS1_7vsmem_tEEUlT_E_NS1_11comp_targetILNS1_3genE9ELNS1_11target_archE1100ELNS1_3gpuE3ELNS1_3repE0EEENS1_30default_config_static_selectorELNS0_4arch9wavefront6targetE0EEEvSJ_: ; @_ZN7rocprim17ROCPRIM_400000_NS6detail17trampoline_kernelINS0_14default_configENS1_37merge_sort_block_sort_config_selectorIiNS0_10empty_typeEEEZNS1_21merge_sort_block_sortIS3_N6thrust23THRUST_200600_302600_NS6detail15normal_iteratorINS9_10device_ptrIiEEEESE_PS5_SF_17evens_before_oddsEE10hipError_tT0_T1_T2_T3_mRjT4_P12ihipStream_tbNS1_7vsmem_tEEUlT_E_NS1_11comp_targetILNS1_3genE9ELNS1_11target_archE1100ELNS1_3gpuE3ELNS1_3repE0EEENS1_30default_config_static_selectorELNS0_4arch9wavefront6targetE0EEEvSJ_
; %bb.0:
	.section	.rodata,"a",@progbits
	.p2align	6, 0x0
	.amdhsa_kernel _ZN7rocprim17ROCPRIM_400000_NS6detail17trampoline_kernelINS0_14default_configENS1_37merge_sort_block_sort_config_selectorIiNS0_10empty_typeEEEZNS1_21merge_sort_block_sortIS3_N6thrust23THRUST_200600_302600_NS6detail15normal_iteratorINS9_10device_ptrIiEEEESE_PS5_SF_17evens_before_oddsEE10hipError_tT0_T1_T2_T3_mRjT4_P12ihipStream_tbNS1_7vsmem_tEEUlT_E_NS1_11comp_targetILNS1_3genE9ELNS1_11target_archE1100ELNS1_3gpuE3ELNS1_3repE0EEENS1_30default_config_static_selectorELNS0_4arch9wavefront6targetE0EEEvSJ_
		.amdhsa_group_segment_fixed_size 0
		.amdhsa_private_segment_fixed_size 0
		.amdhsa_kernarg_size 64
		.amdhsa_user_sgpr_count 6
		.amdhsa_user_sgpr_private_segment_buffer 1
		.amdhsa_user_sgpr_dispatch_ptr 0
		.amdhsa_user_sgpr_queue_ptr 0
		.amdhsa_user_sgpr_kernarg_segment_ptr 1
		.amdhsa_user_sgpr_dispatch_id 0
		.amdhsa_user_sgpr_flat_scratch_init 0
		.amdhsa_user_sgpr_private_segment_size 0
		.amdhsa_wavefront_size32 1
		.amdhsa_uses_dynamic_stack 0
		.amdhsa_system_sgpr_private_segment_wavefront_offset 0
		.amdhsa_system_sgpr_workgroup_id_x 1
		.amdhsa_system_sgpr_workgroup_id_y 0
		.amdhsa_system_sgpr_workgroup_id_z 0
		.amdhsa_system_sgpr_workgroup_info 0
		.amdhsa_system_vgpr_workitem_id 0
		.amdhsa_next_free_vgpr 1
		.amdhsa_next_free_sgpr 1
		.amdhsa_reserve_vcc 0
		.amdhsa_reserve_flat_scratch 0
		.amdhsa_float_round_mode_32 0
		.amdhsa_float_round_mode_16_64 0
		.amdhsa_float_denorm_mode_32 3
		.amdhsa_float_denorm_mode_16_64 3
		.amdhsa_dx10_clamp 1
		.amdhsa_ieee_mode 1
		.amdhsa_fp16_overflow 0
		.amdhsa_workgroup_processor_mode 1
		.amdhsa_memory_ordered 1
		.amdhsa_forward_progress 1
		.amdhsa_shared_vgpr_count 0
		.amdhsa_exception_fp_ieee_invalid_op 0
		.amdhsa_exception_fp_denorm_src 0
		.amdhsa_exception_fp_ieee_div_zero 0
		.amdhsa_exception_fp_ieee_overflow 0
		.amdhsa_exception_fp_ieee_underflow 0
		.amdhsa_exception_fp_ieee_inexact 0
		.amdhsa_exception_int_div_zero 0
	.end_amdhsa_kernel
	.section	.text._ZN7rocprim17ROCPRIM_400000_NS6detail17trampoline_kernelINS0_14default_configENS1_37merge_sort_block_sort_config_selectorIiNS0_10empty_typeEEEZNS1_21merge_sort_block_sortIS3_N6thrust23THRUST_200600_302600_NS6detail15normal_iteratorINS9_10device_ptrIiEEEESE_PS5_SF_17evens_before_oddsEE10hipError_tT0_T1_T2_T3_mRjT4_P12ihipStream_tbNS1_7vsmem_tEEUlT_E_NS1_11comp_targetILNS1_3genE9ELNS1_11target_archE1100ELNS1_3gpuE3ELNS1_3repE0EEENS1_30default_config_static_selectorELNS0_4arch9wavefront6targetE0EEEvSJ_,"axG",@progbits,_ZN7rocprim17ROCPRIM_400000_NS6detail17trampoline_kernelINS0_14default_configENS1_37merge_sort_block_sort_config_selectorIiNS0_10empty_typeEEEZNS1_21merge_sort_block_sortIS3_N6thrust23THRUST_200600_302600_NS6detail15normal_iteratorINS9_10device_ptrIiEEEESE_PS5_SF_17evens_before_oddsEE10hipError_tT0_T1_T2_T3_mRjT4_P12ihipStream_tbNS1_7vsmem_tEEUlT_E_NS1_11comp_targetILNS1_3genE9ELNS1_11target_archE1100ELNS1_3gpuE3ELNS1_3repE0EEENS1_30default_config_static_selectorELNS0_4arch9wavefront6targetE0EEEvSJ_,comdat
.Lfunc_end406:
	.size	_ZN7rocprim17ROCPRIM_400000_NS6detail17trampoline_kernelINS0_14default_configENS1_37merge_sort_block_sort_config_selectorIiNS0_10empty_typeEEEZNS1_21merge_sort_block_sortIS3_N6thrust23THRUST_200600_302600_NS6detail15normal_iteratorINS9_10device_ptrIiEEEESE_PS5_SF_17evens_before_oddsEE10hipError_tT0_T1_T2_T3_mRjT4_P12ihipStream_tbNS1_7vsmem_tEEUlT_E_NS1_11comp_targetILNS1_3genE9ELNS1_11target_archE1100ELNS1_3gpuE3ELNS1_3repE0EEENS1_30default_config_static_selectorELNS0_4arch9wavefront6targetE0EEEvSJ_, .Lfunc_end406-_ZN7rocprim17ROCPRIM_400000_NS6detail17trampoline_kernelINS0_14default_configENS1_37merge_sort_block_sort_config_selectorIiNS0_10empty_typeEEEZNS1_21merge_sort_block_sortIS3_N6thrust23THRUST_200600_302600_NS6detail15normal_iteratorINS9_10device_ptrIiEEEESE_PS5_SF_17evens_before_oddsEE10hipError_tT0_T1_T2_T3_mRjT4_P12ihipStream_tbNS1_7vsmem_tEEUlT_E_NS1_11comp_targetILNS1_3genE9ELNS1_11target_archE1100ELNS1_3gpuE3ELNS1_3repE0EEENS1_30default_config_static_selectorELNS0_4arch9wavefront6targetE0EEEvSJ_
                                        ; -- End function
	.set _ZN7rocprim17ROCPRIM_400000_NS6detail17trampoline_kernelINS0_14default_configENS1_37merge_sort_block_sort_config_selectorIiNS0_10empty_typeEEEZNS1_21merge_sort_block_sortIS3_N6thrust23THRUST_200600_302600_NS6detail15normal_iteratorINS9_10device_ptrIiEEEESE_PS5_SF_17evens_before_oddsEE10hipError_tT0_T1_T2_T3_mRjT4_P12ihipStream_tbNS1_7vsmem_tEEUlT_E_NS1_11comp_targetILNS1_3genE9ELNS1_11target_archE1100ELNS1_3gpuE3ELNS1_3repE0EEENS1_30default_config_static_selectorELNS0_4arch9wavefront6targetE0EEEvSJ_.num_vgpr, 0
	.set _ZN7rocprim17ROCPRIM_400000_NS6detail17trampoline_kernelINS0_14default_configENS1_37merge_sort_block_sort_config_selectorIiNS0_10empty_typeEEEZNS1_21merge_sort_block_sortIS3_N6thrust23THRUST_200600_302600_NS6detail15normal_iteratorINS9_10device_ptrIiEEEESE_PS5_SF_17evens_before_oddsEE10hipError_tT0_T1_T2_T3_mRjT4_P12ihipStream_tbNS1_7vsmem_tEEUlT_E_NS1_11comp_targetILNS1_3genE9ELNS1_11target_archE1100ELNS1_3gpuE3ELNS1_3repE0EEENS1_30default_config_static_selectorELNS0_4arch9wavefront6targetE0EEEvSJ_.num_agpr, 0
	.set _ZN7rocprim17ROCPRIM_400000_NS6detail17trampoline_kernelINS0_14default_configENS1_37merge_sort_block_sort_config_selectorIiNS0_10empty_typeEEEZNS1_21merge_sort_block_sortIS3_N6thrust23THRUST_200600_302600_NS6detail15normal_iteratorINS9_10device_ptrIiEEEESE_PS5_SF_17evens_before_oddsEE10hipError_tT0_T1_T2_T3_mRjT4_P12ihipStream_tbNS1_7vsmem_tEEUlT_E_NS1_11comp_targetILNS1_3genE9ELNS1_11target_archE1100ELNS1_3gpuE3ELNS1_3repE0EEENS1_30default_config_static_selectorELNS0_4arch9wavefront6targetE0EEEvSJ_.numbered_sgpr, 0
	.set _ZN7rocprim17ROCPRIM_400000_NS6detail17trampoline_kernelINS0_14default_configENS1_37merge_sort_block_sort_config_selectorIiNS0_10empty_typeEEEZNS1_21merge_sort_block_sortIS3_N6thrust23THRUST_200600_302600_NS6detail15normal_iteratorINS9_10device_ptrIiEEEESE_PS5_SF_17evens_before_oddsEE10hipError_tT0_T1_T2_T3_mRjT4_P12ihipStream_tbNS1_7vsmem_tEEUlT_E_NS1_11comp_targetILNS1_3genE9ELNS1_11target_archE1100ELNS1_3gpuE3ELNS1_3repE0EEENS1_30default_config_static_selectorELNS0_4arch9wavefront6targetE0EEEvSJ_.num_named_barrier, 0
	.set _ZN7rocprim17ROCPRIM_400000_NS6detail17trampoline_kernelINS0_14default_configENS1_37merge_sort_block_sort_config_selectorIiNS0_10empty_typeEEEZNS1_21merge_sort_block_sortIS3_N6thrust23THRUST_200600_302600_NS6detail15normal_iteratorINS9_10device_ptrIiEEEESE_PS5_SF_17evens_before_oddsEE10hipError_tT0_T1_T2_T3_mRjT4_P12ihipStream_tbNS1_7vsmem_tEEUlT_E_NS1_11comp_targetILNS1_3genE9ELNS1_11target_archE1100ELNS1_3gpuE3ELNS1_3repE0EEENS1_30default_config_static_selectorELNS0_4arch9wavefront6targetE0EEEvSJ_.private_seg_size, 0
	.set _ZN7rocprim17ROCPRIM_400000_NS6detail17trampoline_kernelINS0_14default_configENS1_37merge_sort_block_sort_config_selectorIiNS0_10empty_typeEEEZNS1_21merge_sort_block_sortIS3_N6thrust23THRUST_200600_302600_NS6detail15normal_iteratorINS9_10device_ptrIiEEEESE_PS5_SF_17evens_before_oddsEE10hipError_tT0_T1_T2_T3_mRjT4_P12ihipStream_tbNS1_7vsmem_tEEUlT_E_NS1_11comp_targetILNS1_3genE9ELNS1_11target_archE1100ELNS1_3gpuE3ELNS1_3repE0EEENS1_30default_config_static_selectorELNS0_4arch9wavefront6targetE0EEEvSJ_.uses_vcc, 0
	.set _ZN7rocprim17ROCPRIM_400000_NS6detail17trampoline_kernelINS0_14default_configENS1_37merge_sort_block_sort_config_selectorIiNS0_10empty_typeEEEZNS1_21merge_sort_block_sortIS3_N6thrust23THRUST_200600_302600_NS6detail15normal_iteratorINS9_10device_ptrIiEEEESE_PS5_SF_17evens_before_oddsEE10hipError_tT0_T1_T2_T3_mRjT4_P12ihipStream_tbNS1_7vsmem_tEEUlT_E_NS1_11comp_targetILNS1_3genE9ELNS1_11target_archE1100ELNS1_3gpuE3ELNS1_3repE0EEENS1_30default_config_static_selectorELNS0_4arch9wavefront6targetE0EEEvSJ_.uses_flat_scratch, 0
	.set _ZN7rocprim17ROCPRIM_400000_NS6detail17trampoline_kernelINS0_14default_configENS1_37merge_sort_block_sort_config_selectorIiNS0_10empty_typeEEEZNS1_21merge_sort_block_sortIS3_N6thrust23THRUST_200600_302600_NS6detail15normal_iteratorINS9_10device_ptrIiEEEESE_PS5_SF_17evens_before_oddsEE10hipError_tT0_T1_T2_T3_mRjT4_P12ihipStream_tbNS1_7vsmem_tEEUlT_E_NS1_11comp_targetILNS1_3genE9ELNS1_11target_archE1100ELNS1_3gpuE3ELNS1_3repE0EEENS1_30default_config_static_selectorELNS0_4arch9wavefront6targetE0EEEvSJ_.has_dyn_sized_stack, 0
	.set _ZN7rocprim17ROCPRIM_400000_NS6detail17trampoline_kernelINS0_14default_configENS1_37merge_sort_block_sort_config_selectorIiNS0_10empty_typeEEEZNS1_21merge_sort_block_sortIS3_N6thrust23THRUST_200600_302600_NS6detail15normal_iteratorINS9_10device_ptrIiEEEESE_PS5_SF_17evens_before_oddsEE10hipError_tT0_T1_T2_T3_mRjT4_P12ihipStream_tbNS1_7vsmem_tEEUlT_E_NS1_11comp_targetILNS1_3genE9ELNS1_11target_archE1100ELNS1_3gpuE3ELNS1_3repE0EEENS1_30default_config_static_selectorELNS0_4arch9wavefront6targetE0EEEvSJ_.has_recursion, 0
	.set _ZN7rocprim17ROCPRIM_400000_NS6detail17trampoline_kernelINS0_14default_configENS1_37merge_sort_block_sort_config_selectorIiNS0_10empty_typeEEEZNS1_21merge_sort_block_sortIS3_N6thrust23THRUST_200600_302600_NS6detail15normal_iteratorINS9_10device_ptrIiEEEESE_PS5_SF_17evens_before_oddsEE10hipError_tT0_T1_T2_T3_mRjT4_P12ihipStream_tbNS1_7vsmem_tEEUlT_E_NS1_11comp_targetILNS1_3genE9ELNS1_11target_archE1100ELNS1_3gpuE3ELNS1_3repE0EEENS1_30default_config_static_selectorELNS0_4arch9wavefront6targetE0EEEvSJ_.has_indirect_call, 0
	.section	.AMDGPU.csdata,"",@progbits
; Kernel info:
; codeLenInByte = 0
; TotalNumSgprs: 0
; NumVgprs: 0
; ScratchSize: 0
; MemoryBound: 0
; FloatMode: 240
; IeeeMode: 1
; LDSByteSize: 0 bytes/workgroup (compile time only)
; SGPRBlocks: 0
; VGPRBlocks: 0
; NumSGPRsForWavesPerEU: 1
; NumVGPRsForWavesPerEU: 1
; Occupancy: 16
; WaveLimiterHint : 0
; COMPUTE_PGM_RSRC2:SCRATCH_EN: 0
; COMPUTE_PGM_RSRC2:USER_SGPR: 6
; COMPUTE_PGM_RSRC2:TRAP_HANDLER: 0
; COMPUTE_PGM_RSRC2:TGID_X_EN: 1
; COMPUTE_PGM_RSRC2:TGID_Y_EN: 0
; COMPUTE_PGM_RSRC2:TGID_Z_EN: 0
; COMPUTE_PGM_RSRC2:TIDIG_COMP_CNT: 0
	.section	.text._ZN7rocprim17ROCPRIM_400000_NS6detail17trampoline_kernelINS0_14default_configENS1_37merge_sort_block_sort_config_selectorIiNS0_10empty_typeEEEZNS1_21merge_sort_block_sortIS3_N6thrust23THRUST_200600_302600_NS6detail15normal_iteratorINS9_10device_ptrIiEEEESE_PS5_SF_17evens_before_oddsEE10hipError_tT0_T1_T2_T3_mRjT4_P12ihipStream_tbNS1_7vsmem_tEEUlT_E_NS1_11comp_targetILNS1_3genE8ELNS1_11target_archE1030ELNS1_3gpuE2ELNS1_3repE0EEENS1_30default_config_static_selectorELNS0_4arch9wavefront6targetE0EEEvSJ_,"axG",@progbits,_ZN7rocprim17ROCPRIM_400000_NS6detail17trampoline_kernelINS0_14default_configENS1_37merge_sort_block_sort_config_selectorIiNS0_10empty_typeEEEZNS1_21merge_sort_block_sortIS3_N6thrust23THRUST_200600_302600_NS6detail15normal_iteratorINS9_10device_ptrIiEEEESE_PS5_SF_17evens_before_oddsEE10hipError_tT0_T1_T2_T3_mRjT4_P12ihipStream_tbNS1_7vsmem_tEEUlT_E_NS1_11comp_targetILNS1_3genE8ELNS1_11target_archE1030ELNS1_3gpuE2ELNS1_3repE0EEENS1_30default_config_static_selectorELNS0_4arch9wavefront6targetE0EEEvSJ_,comdat
	.protected	_ZN7rocprim17ROCPRIM_400000_NS6detail17trampoline_kernelINS0_14default_configENS1_37merge_sort_block_sort_config_selectorIiNS0_10empty_typeEEEZNS1_21merge_sort_block_sortIS3_N6thrust23THRUST_200600_302600_NS6detail15normal_iteratorINS9_10device_ptrIiEEEESE_PS5_SF_17evens_before_oddsEE10hipError_tT0_T1_T2_T3_mRjT4_P12ihipStream_tbNS1_7vsmem_tEEUlT_E_NS1_11comp_targetILNS1_3genE8ELNS1_11target_archE1030ELNS1_3gpuE2ELNS1_3repE0EEENS1_30default_config_static_selectorELNS0_4arch9wavefront6targetE0EEEvSJ_ ; -- Begin function _ZN7rocprim17ROCPRIM_400000_NS6detail17trampoline_kernelINS0_14default_configENS1_37merge_sort_block_sort_config_selectorIiNS0_10empty_typeEEEZNS1_21merge_sort_block_sortIS3_N6thrust23THRUST_200600_302600_NS6detail15normal_iteratorINS9_10device_ptrIiEEEESE_PS5_SF_17evens_before_oddsEE10hipError_tT0_T1_T2_T3_mRjT4_P12ihipStream_tbNS1_7vsmem_tEEUlT_E_NS1_11comp_targetILNS1_3genE8ELNS1_11target_archE1030ELNS1_3gpuE2ELNS1_3repE0EEENS1_30default_config_static_selectorELNS0_4arch9wavefront6targetE0EEEvSJ_
	.globl	_ZN7rocprim17ROCPRIM_400000_NS6detail17trampoline_kernelINS0_14default_configENS1_37merge_sort_block_sort_config_selectorIiNS0_10empty_typeEEEZNS1_21merge_sort_block_sortIS3_N6thrust23THRUST_200600_302600_NS6detail15normal_iteratorINS9_10device_ptrIiEEEESE_PS5_SF_17evens_before_oddsEE10hipError_tT0_T1_T2_T3_mRjT4_P12ihipStream_tbNS1_7vsmem_tEEUlT_E_NS1_11comp_targetILNS1_3genE8ELNS1_11target_archE1030ELNS1_3gpuE2ELNS1_3repE0EEENS1_30default_config_static_selectorELNS0_4arch9wavefront6targetE0EEEvSJ_
	.p2align	8
	.type	_ZN7rocprim17ROCPRIM_400000_NS6detail17trampoline_kernelINS0_14default_configENS1_37merge_sort_block_sort_config_selectorIiNS0_10empty_typeEEEZNS1_21merge_sort_block_sortIS3_N6thrust23THRUST_200600_302600_NS6detail15normal_iteratorINS9_10device_ptrIiEEEESE_PS5_SF_17evens_before_oddsEE10hipError_tT0_T1_T2_T3_mRjT4_P12ihipStream_tbNS1_7vsmem_tEEUlT_E_NS1_11comp_targetILNS1_3genE8ELNS1_11target_archE1030ELNS1_3gpuE2ELNS1_3repE0EEENS1_30default_config_static_selectorELNS0_4arch9wavefront6targetE0EEEvSJ_,@function
_ZN7rocprim17ROCPRIM_400000_NS6detail17trampoline_kernelINS0_14default_configENS1_37merge_sort_block_sort_config_selectorIiNS0_10empty_typeEEEZNS1_21merge_sort_block_sortIS3_N6thrust23THRUST_200600_302600_NS6detail15normal_iteratorINS9_10device_ptrIiEEEESE_PS5_SF_17evens_before_oddsEE10hipError_tT0_T1_T2_T3_mRjT4_P12ihipStream_tbNS1_7vsmem_tEEUlT_E_NS1_11comp_targetILNS1_3genE8ELNS1_11target_archE1030ELNS1_3gpuE2ELNS1_3repE0EEENS1_30default_config_static_selectorELNS0_4arch9wavefront6targetE0EEEvSJ_: ; @_ZN7rocprim17ROCPRIM_400000_NS6detail17trampoline_kernelINS0_14default_configENS1_37merge_sort_block_sort_config_selectorIiNS0_10empty_typeEEEZNS1_21merge_sort_block_sortIS3_N6thrust23THRUST_200600_302600_NS6detail15normal_iteratorINS9_10device_ptrIiEEEESE_PS5_SF_17evens_before_oddsEE10hipError_tT0_T1_T2_T3_mRjT4_P12ihipStream_tbNS1_7vsmem_tEEUlT_E_NS1_11comp_targetILNS1_3genE8ELNS1_11target_archE1030ELNS1_3gpuE2ELNS1_3repE0EEENS1_30default_config_static_selectorELNS0_4arch9wavefront6targetE0EEEvSJ_
; %bb.0:
	s_clause 0x1
	s_load_dwordx2 s[12:13], s[4:5], 0x40
	s_load_dword s0, s[4:5], 0x0
	s_add_u32 s10, s4, 64
	s_addc_u32 s11, s5, 0
	s_waitcnt lgkmcnt(0)
	s_mul_i32 s1, s13, s8
	s_add_i32 s1, s1, s7
	s_mul_i32 s1, s1, s12
	s_add_i32 s2, s1, s6
	s_cmp_ge_u32 s2, s0
	s_cbranch_scc1 .LBB407_670
; %bb.1:
	s_clause 0x1
	s_load_dwordx2 s[8:9], s[4:5], 0x8
	s_load_dwordx4 s[16:19], s[4:5], 0x18
	s_mov_b32 s3, 0
	v_mov_b32_e32 v3, v1
	s_lshl_b64 s[0:1], s[2:3], 13
	v_lshlrev_b32_e32 v20, 2, v0
	v_lshrrev_b32_e32 v28, 3, v0
	v_or_b32_e32 v30, 0x100, v0
	v_or_b32_e32 v29, 0x200, v0
	;; [unrolled: 1-line block ×7, first 2 shown]
	v_and_b32_e32 v22, 0xfc, v0
	v_lshlrev_b32_e32 v21, 5, v0
	s_waitcnt lgkmcnt(0)
	s_lshr_b64 s[4:5], s[8:9], 11
	s_add_u32 s7, s16, s0
	s_addc_u32 s9, s17, s1
	s_add_u32 s14, s18, s0
	s_addc_u32 s15, s19, s1
	s_cmp_lg_u64 s[4:5], s[2:3]
	s_cbranch_scc0 .LBB407_327
; %bb.2:
	v_add_co_u32 v4, s0, s7, v20
	v_add_co_ci_u32_e64 v5, null, s9, 0, s0
	v_lshrrev_b32_e32 v12, 3, v30
	v_add_co_u32 v6, vcc_lo, 0x800, v4
	v_add_co_ci_u32_e64 v7, null, 0, v5, vcc_lo
	v_add_co_u32 v8, vcc_lo, 0x1000, v4
	v_add_co_ci_u32_e64 v9, null, 0, v5, vcc_lo
	v_add_co_u32 v10, vcc_lo, 0x1800, v4
	v_add_co_ci_u32_e64 v11, null, 0, v5, vcc_lo
	s_clause 0x7
	flat_load_dword v1, v[4:5]
	flat_load_dword v4, v[4:5] offset:1024
	flat_load_dword v5, v[6:7]
	flat_load_dword v6, v[6:7] offset:1024
	;; [unrolled: 2-line block ×4, first 2 shown]
	v_and_b32_e32 v11, 28, v28
	v_lshrrev_b32_e32 v13, 3, v29
	v_lshrrev_b32_e32 v14, 3, v27
	;; [unrolled: 1-line block ×6, first 2 shown]
	v_add_nc_u32_e32 v31, v11, v20
	v_and_b32_e32 v11, 60, v12
	v_and_b32_e32 v12, 0x5c, v13
	;; [unrolled: 1-line block ×4, first 2 shown]
	v_add_nc_u32_e32 v37, v22, v21
	v_and_b32_e32 v15, 0xbc, v16
	v_and_b32_e32 v16, 0xdc, v17
	;; [unrolled: 1-line block ×3, first 2 shown]
	v_add_nc_u32_e32 v38, v11, v20
	v_add_nc_u32_e32 v39, v12, v20
	;; [unrolled: 1-line block ×7, first 2 shown]
	s_waitcnt vmcnt(7) lgkmcnt(7)
	ds_write_b32 v31, v1
	s_waitcnt vmcnt(6) lgkmcnt(7)
	ds_write_b32 v38, v4 offset:1024
	s_waitcnt vmcnt(5) lgkmcnt(7)
	ds_write_b32 v39, v5 offset:2048
	;; [unrolled: 2-line block ×7, first 2 shown]
	s_waitcnt lgkmcnt(0)
	s_barrier
	buffer_gl0_inv
	ds_read2_b32 v[4:5], v37 offset1:1
	ds_read2_b32 v[6:7], v37 offset0:2 offset1:3
	ds_read2_b32 v[8:9], v37 offset0:4 offset1:5
	;; [unrolled: 1-line block ×3, first 2 shown]
	s_waitcnt lgkmcnt(0)
	s_barrier
	buffer_gl0_inv
	s_load_dword s0, s[10:11], 0xc
	v_mov_b32_e32 v1, 0
	s_waitcnt lgkmcnt(0)
	s_lshr_b32 s4, s0, 16
	s_cmp_lt_u32 s6, s12
	v_mad_u32_u24 v13, v2, s4, v3
	s_cselect_b32 s0, 12, 18
	s_mov_b32 s4, exec_lo
	s_add_u32 s0, s10, s0
	s_addc_u32 s1, s11, 0
	global_load_ushort v12, v1, s[0:1]
	s_waitcnt vmcnt(0)
	v_mul_lo_u32 v12, v13, v12
	v_add_lshl_u32 v40, v12, v0, 3
	v_mov_b32_e32 v12, v4
	v_cmpx_gt_u32_e32 0x800, v40
	s_cbranch_execz .LBB407_6
; %bb.3:
	v_lshrrev_b32_e32 v12, 31, v5
	v_lshrrev_b32_e32 v13, 31, v4
	v_cmp_lt_i32_e32 vcc_lo, v5, v4
	v_lshrrev_b32_e32 v15, 31, v7
	v_lshrrev_b32_e32 v16, 31, v6
	v_add_nc_u32_e32 v12, v5, v12
	v_add_nc_u32_e32 v13, v4, v13
	v_cndmask_b32_e64 v14, 0, 1, vcc_lo
	v_cmp_lt_i32_e32 vcc_lo, v7, v6
	v_add_nc_u32_e32 v15, v7, v15
	v_and_b32_e32 v12, -2, v12
	v_and_b32_e32 v13, -2, v13
	v_add_nc_u32_e32 v16, v6, v16
	v_cndmask_b32_e64 v17, 0, 1, vcc_lo
	v_and_b32_e32 v15, -2, v15
	v_sub_nc_u32_e32 v12, v5, v12
	v_sub_nc_u32_e32 v13, v4, v13
	v_lshrrev_b32_e32 v18, 31, v9
	v_and_b32_e32 v16, -2, v16
	v_sub_nc_u32_e32 v15, v7, v15
	v_cmp_eq_u32_e32 vcc_lo, 0, v12
	v_lshrrev_b32_e32 v41, 31, v8
	v_cmp_lt_i32_e64 s0, v9, v8
	v_sub_nc_u32_e32 v16, v6, v16
	v_cndmask_b32_e64 v19, 0, 1, vcc_lo
	v_cmp_eq_u32_e32 vcc_lo, v12, v13
	v_cndmask_b32_e32 v12, v19, v14, vcc_lo
	v_cmp_eq_u32_e32 vcc_lo, 0, v15
	v_add_nc_u32_e32 v14, v9, v18
	v_add_nc_u32_e32 v18, v8, v41
	v_and_b32_e32 v12, 1, v12
	v_cndmask_b32_e64 v13, 0, 1, vcc_lo
	v_cmp_eq_u32_e32 vcc_lo, v15, v16
	v_and_b32_e32 v14, -2, v14
	v_and_b32_e32 v15, -2, v18
	v_lshrrev_b32_e32 v16, 31, v11
	v_cndmask_b32_e64 v18, 0, 1, s0
	v_cndmask_b32_e32 v13, v13, v17, vcc_lo
	v_sub_nc_u32_e32 v14, v9, v14
	v_sub_nc_u32_e32 v15, v8, v15
	v_lshrrev_b32_e32 v17, 31, v10
	v_add_nc_u32_e32 v16, v11, v16
	v_and_b32_e32 v13, 1, v13
	v_cmp_eq_u32_e64 s0, 0, v14
	v_cmp_eq_u32_e32 vcc_lo, 1, v12
	v_add_nc_u32_e32 v17, v10, v17
	v_cmp_eq_u32_e64 s1, v14, v15
	v_and_b32_e32 v15, -2, v16
	v_cndmask_b32_e64 v19, 0, 1, s0
	v_cmp_eq_u32_e64 s0, 1, v13
	v_cndmask_b32_e32 v12, v4, v5, vcc_lo
	v_and_b32_e32 v16, -2, v17
	v_cndmask_b32_e32 v4, v5, v4, vcc_lo
	v_cndmask_b32_e64 v14, v19, v18, s1
	v_cndmask_b32_e64 v13, v7, v6, s0
	;; [unrolled: 1-line block ×3, first 2 shown]
	v_sub_nc_u32_e32 v7, v11, v15
	v_cmp_lt_i32_e32 vcc_lo, v11, v10
	v_and_b32_e32 v5, 1, v14
	v_sub_nc_u32_e32 v14, v10, v16
	v_lshrrev_b32_e32 v15, 31, v6
	v_lshrrev_b32_e32 v16, 31, v4
	v_cndmask_b32_e64 v17, 0, 1, vcc_lo
	v_cmp_eq_u32_e32 vcc_lo, 0, v7
	v_cmp_eq_u32_e64 s0, v7, v14
	v_add_nc_u32_e32 v15, v6, v15
	v_add_nc_u32_e32 v16, v4, v16
	v_cndmask_b32_e64 v18, 0, 1, vcc_lo
	v_cmp_eq_u32_e32 vcc_lo, 1, v5
	v_and_b32_e32 v14, -2, v15
	v_and_b32_e32 v15, -2, v16
	v_lshrrev_b32_e32 v16, 31, v13
	v_cndmask_b32_e64 v7, v18, v17, s0
	v_cndmask_b32_e32 v5, v9, v8, vcc_lo
	v_cndmask_b32_e32 v8, v8, v9, vcc_lo
	v_sub_nc_u32_e32 v9, v6, v14
	v_sub_nc_u32_e32 v14, v4, v15
	v_cmp_lt_i32_e32 vcc_lo, v6, v4
	v_and_b32_e32 v7, 1, v7
	v_lshrrev_b32_e32 v15, 31, v8
	v_add_nc_u32_e32 v16, v13, v16
	v_cmp_eq_u32_e64 s0, v9, v14
	v_cndmask_b32_e64 v17, 0, 1, vcc_lo
	v_cmp_eq_u32_e32 vcc_lo, 0, v9
	v_add_nc_u32_e32 v15, v8, v15
	v_cndmask_b32_e64 v18, 0, 1, vcc_lo
	v_cmp_eq_u32_e32 vcc_lo, 1, v7
	v_and_b32_e32 v14, -2, v15
	v_and_b32_e32 v15, -2, v16
	v_lshrrev_b32_e32 v16, 31, v5
	v_cndmask_b32_e64 v9, v18, v17, s0
	v_cndmask_b32_e32 v7, v11, v10, vcc_lo
	v_cndmask_b32_e32 v10, v10, v11, vcc_lo
	v_sub_nc_u32_e32 v11, v8, v14
	v_cmp_lt_i32_e32 vcc_lo, v8, v13
	v_and_b32_e32 v9, 1, v9
	v_sub_nc_u32_e32 v14, v13, v15
	v_lshrrev_b32_e32 v15, 31, v10
	v_add_nc_u32_e32 v16, v5, v16
	v_cndmask_b32_e64 v17, 0, 1, vcc_lo
	v_cmp_eq_u32_e32 vcc_lo, 0, v11
	v_cmp_eq_u32_e64 s0, v11, v14
	v_add_nc_u32_e32 v15, v10, v15
	v_cndmask_b32_e64 v18, 0, 1, vcc_lo
	v_cmp_eq_u32_e32 vcc_lo, 1, v9
	v_and_b32_e32 v14, -2, v15
	v_and_b32_e32 v15, -2, v16
	v_cndmask_b32_e64 v11, v18, v17, s0
	v_cndmask_b32_e32 v9, v6, v4, vcc_lo
	v_cndmask_b32_e32 v4, v4, v6, vcc_lo
	v_cmp_lt_i32_e32 vcc_lo, v10, v5
	v_lshrrev_b32_e32 v18, 31, v12
	v_and_b32_e32 v6, 1, v11
	v_sub_nc_u32_e32 v11, v10, v14
	v_sub_nc_u32_e32 v14, v5, v15
	v_lshrrev_b32_e32 v15, 31, v4
	v_cndmask_b32_e64 v16, 0, 1, vcc_lo
	v_cmp_eq_u32_e32 vcc_lo, 0, v11
	v_cmp_eq_u32_e64 s0, v11, v14
	v_add_nc_u32_e32 v15, v4, v15
	v_cndmask_b32_e64 v17, 0, 1, vcc_lo
	v_cmp_eq_u32_e32 vcc_lo, 1, v6
	v_and_b32_e32 v14, -2, v15
	v_add_nc_u32_e32 v15, v12, v18
	v_cndmask_b32_e64 v11, v17, v16, s0
	v_cndmask_b32_e32 v6, v8, v13, vcc_lo
	v_cndmask_b32_e32 v8, v13, v8, vcc_lo
	v_sub_nc_u32_e32 v13, v4, v14
	v_and_b32_e32 v14, -2, v15
	v_and_b32_e32 v11, 1, v11
	v_lshrrev_b32_e32 v16, 31, v9
	v_lshrrev_b32_e32 v15, 31, v8
	v_cmp_eq_u32_e64 s0, 0, v13
	v_sub_nc_u32_e32 v14, v12, v14
	v_cmp_eq_u32_e32 vcc_lo, 1, v11
	v_add_nc_u32_e32 v16, v9, v16
	v_add_nc_u32_e32 v15, v8, v15
	v_cndmask_b32_e64 v17, 0, 1, s0
	v_cmp_lt_i32_e64 s0, v4, v12
	v_cndmask_b32_e32 v11, v10, v5, vcc_lo
	v_cndmask_b32_e32 v5, v5, v10, vcc_lo
	v_and_b32_e32 v15, -2, v15
	v_cmp_eq_u32_e32 vcc_lo, v13, v14
	v_cndmask_b32_e64 v18, 0, 1, s0
	v_and_b32_e32 v16, -2, v16
	v_cmp_lt_i32_e64 s0, v5, v6
	v_sub_nc_u32_e32 v13, v8, v15
	v_lshrrev_b32_e32 v15, 31, v5
	v_cndmask_b32_e32 v10, v17, v18, vcc_lo
	v_cmp_lt_i32_e32 vcc_lo, v8, v9
	v_sub_nc_u32_e32 v14, v9, v16
	v_lshrrev_b32_e32 v16, 31, v6
	v_add_nc_u32_e32 v15, v5, v15
	v_and_b32_e32 v10, 1, v10
	v_cndmask_b32_e64 v17, 0, 1, vcc_lo
	v_cmp_eq_u32_e32 vcc_lo, 0, v13
	v_add_nc_u32_e32 v16, v6, v16
	v_cndmask_b32_e64 v18, 0, 1, vcc_lo
	v_cmp_eq_u32_e32 vcc_lo, v13, v14
	v_and_b32_e32 v14, -2, v15
	v_and_b32_e32 v15, -2, v16
	v_lshrrev_b32_e32 v16, 31, v7
	v_cndmask_b32_e32 v13, v18, v17, vcc_lo
	v_sub_nc_u32_e32 v14, v5, v14
	v_sub_nc_u32_e32 v15, v6, v15
	v_lshrrev_b32_e32 v17, 31, v11
	v_cndmask_b32_e64 v18, 0, 1, s0
	v_and_b32_e32 v13, 1, v13
	v_cmp_eq_u32_e64 s0, 0, v14
	v_add_nc_u32_e32 v16, v7, v16
	v_cmp_eq_u32_e32 vcc_lo, 1, v10
	v_add_nc_u32_e32 v17, v11, v17
	v_cmp_eq_u32_e64 s1, v14, v15
	v_cndmask_b32_e64 v19, 0, 1, s0
	v_cmp_eq_u32_e64 s0, 1, v13
	v_and_b32_e32 v15, -2, v16
	v_cndmask_b32_e32 v10, v12, v4, vcc_lo
	v_and_b32_e32 v16, -2, v17
	v_cndmask_b32_e64 v14, v19, v18, s1
	v_cndmask_b32_e64 v13, v8, v9, s0
	;; [unrolled: 1-line block ×3, first 2 shown]
	v_cndmask_b32_e32 v4, v4, v12, vcc_lo
	v_sub_nc_u32_e32 v12, v7, v15
	v_cmp_lt_i32_e32 vcc_lo, v7, v11
	v_and_b32_e32 v9, 1, v14
	v_sub_nc_u32_e32 v14, v11, v16
	v_lshrrev_b32_e32 v15, 31, v8
	v_lshrrev_b32_e32 v16, 31, v4
	v_cndmask_b32_e64 v17, 0, 1, vcc_lo
	v_cmp_eq_u32_e32 vcc_lo, 0, v12
	v_cmp_eq_u32_e64 s0, v12, v14
	v_add_nc_u32_e32 v15, v8, v15
	v_add_nc_u32_e32 v16, v4, v16
	v_cndmask_b32_e64 v18, 0, 1, vcc_lo
	v_cmp_eq_u32_e32 vcc_lo, 1, v9
	v_and_b32_e32 v14, -2, v15
	v_and_b32_e32 v15, -2, v16
	v_lshrrev_b32_e32 v16, 31, v13
	v_cndmask_b32_e64 v12, v18, v17, s0
	v_cndmask_b32_e32 v9, v5, v6, vcc_lo
	v_cndmask_b32_e32 v5, v6, v5, vcc_lo
	v_cmp_lt_i32_e32 vcc_lo, v8, v4
	v_add_nc_u32_e32 v16, v13, v16
	v_and_b32_e32 v6, 1, v12
	v_sub_nc_u32_e32 v12, v8, v14
	v_sub_nc_u32_e32 v14, v4, v15
	v_lshrrev_b32_e32 v15, 31, v5
	v_cndmask_b32_e64 v17, 0, 1, vcc_lo
	v_cmp_eq_u32_e32 vcc_lo, 0, v12
	v_cmp_eq_u32_e64 s0, v12, v14
	v_add_nc_u32_e32 v15, v5, v15
	v_cndmask_b32_e64 v18, 0, 1, vcc_lo
	v_cmp_eq_u32_e32 vcc_lo, 1, v6
	v_and_b32_e32 v14, -2, v15
	v_and_b32_e32 v15, -2, v16
	v_lshrrev_b32_e32 v16, 31, v9
	v_cndmask_b32_e64 v12, v18, v17, s0
	v_cndmask_b32_e32 v6, v7, v11, vcc_lo
	v_cndmask_b32_e32 v7, v11, v7, vcc_lo
	v_cmp_lt_i32_e32 vcc_lo, v5, v13
	v_add_nc_u32_e32 v16, v9, v16
	v_and_b32_e32 v11, 1, v12
	v_sub_nc_u32_e32 v12, v5, v14
	v_sub_nc_u32_e32 v14, v13, v15
	v_lshrrev_b32_e32 v15, 31, v7
	v_cndmask_b32_e64 v17, 0, 1, vcc_lo
	v_cmp_eq_u32_e32 vcc_lo, 0, v12
	v_cmp_eq_u32_e64 s0, v12, v14
	v_add_nc_u32_e32 v15, v7, v15
	v_cndmask_b32_e64 v18, 0, 1, vcc_lo
	v_cmp_eq_u32_e32 vcc_lo, 1, v11
	v_and_b32_e32 v14, -2, v15
	v_and_b32_e32 v15, -2, v16
	v_cndmask_b32_e64 v12, v18, v17, s0
	v_cndmask_b32_e32 v11, v8, v4, vcc_lo
	v_cndmask_b32_e32 v4, v4, v8, vcc_lo
	v_cmp_lt_i32_e32 vcc_lo, v7, v9
	v_lshrrev_b32_e32 v18, 31, v10
	v_and_b32_e32 v8, 1, v12
	v_sub_nc_u32_e32 v12, v7, v14
	v_sub_nc_u32_e32 v14, v9, v15
	v_lshrrev_b32_e32 v15, 31, v4
	v_cndmask_b32_e64 v16, 0, 1, vcc_lo
	v_cmp_eq_u32_e32 vcc_lo, 0, v12
	v_cmp_eq_u32_e64 s0, v12, v14
	v_add_nc_u32_e32 v15, v4, v15
	v_cndmask_b32_e64 v17, 0, 1, vcc_lo
	v_cmp_eq_u32_e32 vcc_lo, 1, v8
	v_and_b32_e32 v14, -2, v15
	v_add_nc_u32_e32 v15, v10, v18
	v_cndmask_b32_e64 v12, v17, v16, s0
	v_cndmask_b32_e32 v8, v5, v13, vcc_lo
	v_cndmask_b32_e32 v5, v13, v5, vcc_lo
	v_sub_nc_u32_e32 v13, v4, v14
	v_and_b32_e32 v14, -2, v15
	v_and_b32_e32 v12, 1, v12
	v_lshrrev_b32_e32 v16, 31, v11
	v_lshrrev_b32_e32 v15, 31, v5
	v_cmp_eq_u32_e64 s0, 0, v13
	v_sub_nc_u32_e32 v14, v10, v14
	v_cmp_eq_u32_e32 vcc_lo, 1, v12
	v_add_nc_u32_e32 v16, v11, v16
	v_add_nc_u32_e32 v15, v5, v15
	v_cndmask_b32_e64 v17, 0, 1, s0
	v_cmp_lt_i32_e64 s0, v4, v10
	v_cndmask_b32_e32 v12, v7, v9, vcc_lo
	v_cndmask_b32_e32 v7, v9, v7, vcc_lo
	v_and_b32_e32 v15, -2, v15
	v_cmp_eq_u32_e32 vcc_lo, v13, v14
	v_cndmask_b32_e64 v18, 0, 1, s0
	v_and_b32_e32 v16, -2, v16
	v_cmp_lt_i32_e64 s0, v7, v8
	v_sub_nc_u32_e32 v13, v5, v15
	v_lshrrev_b32_e32 v15, 31, v7
	v_cndmask_b32_e32 v9, v17, v18, vcc_lo
	v_cmp_lt_i32_e32 vcc_lo, v5, v11
	v_sub_nc_u32_e32 v14, v11, v16
	v_lshrrev_b32_e32 v16, 31, v8
	v_add_nc_u32_e32 v15, v7, v15
	v_and_b32_e32 v9, 1, v9
	v_cndmask_b32_e64 v17, 0, 1, vcc_lo
	v_cmp_eq_u32_e32 vcc_lo, 0, v13
	v_add_nc_u32_e32 v16, v8, v16
	v_cndmask_b32_e64 v18, 0, 1, vcc_lo
	v_cmp_eq_u32_e32 vcc_lo, v13, v14
	v_and_b32_e32 v14, -2, v15
	v_and_b32_e32 v15, -2, v16
	v_lshrrev_b32_e32 v16, 31, v6
	v_cndmask_b32_e32 v13, v18, v17, vcc_lo
	v_sub_nc_u32_e32 v14, v7, v14
	v_sub_nc_u32_e32 v15, v8, v15
	v_lshrrev_b32_e32 v17, 31, v12
	v_cndmask_b32_e64 v18, 0, 1, s0
	v_and_b32_e32 v13, 1, v13
	v_cmp_eq_u32_e64 s0, 0, v14
	v_add_nc_u32_e32 v16, v6, v16
	v_cmp_eq_u32_e32 vcc_lo, 1, v9
	v_add_nc_u32_e32 v17, v12, v17
	v_cmp_eq_u32_e64 s1, v14, v15
	v_cndmask_b32_e64 v19, 0, 1, s0
	v_cmp_eq_u32_e64 s0, 1, v13
	v_and_b32_e32 v15, -2, v16
	v_cndmask_b32_e32 v9, v10, v4, vcc_lo
	v_and_b32_e32 v16, -2, v17
	v_cndmask_b32_e64 v14, v19, v18, s1
	v_cndmask_b32_e64 v13, v5, v11, s0
	;; [unrolled: 1-line block ×3, first 2 shown]
	v_cndmask_b32_e32 v4, v4, v10, vcc_lo
	v_sub_nc_u32_e32 v11, v6, v15
	v_cmp_lt_i32_e32 vcc_lo, v6, v12
	v_and_b32_e32 v10, 1, v14
	v_sub_nc_u32_e32 v14, v12, v16
	v_lshrrev_b32_e32 v15, 31, v5
	v_lshrrev_b32_e32 v16, 31, v4
	v_cndmask_b32_e64 v17, 0, 1, vcc_lo
	v_cmp_eq_u32_e32 vcc_lo, 0, v11
	v_cmp_eq_u32_e64 s0, v11, v14
	v_add_nc_u32_e32 v15, v5, v15
	v_add_nc_u32_e32 v16, v4, v16
	v_cndmask_b32_e64 v18, 0, 1, vcc_lo
	v_cmp_eq_u32_e32 vcc_lo, 1, v10
	v_and_b32_e32 v14, -2, v15
	v_and_b32_e32 v15, -2, v16
	v_lshrrev_b32_e32 v16, 31, v13
	v_cndmask_b32_e64 v11, v18, v17, s0
	v_cndmask_b32_e32 v10, v7, v8, vcc_lo
	v_cndmask_b32_e32 v7, v8, v7, vcc_lo
	v_cmp_lt_i32_e32 vcc_lo, v5, v4
	v_add_nc_u32_e32 v16, v13, v16
	v_and_b32_e32 v8, 1, v11
	v_sub_nc_u32_e32 v11, v5, v14
	v_sub_nc_u32_e32 v14, v4, v15
	v_lshrrev_b32_e32 v15, 31, v7
	v_cndmask_b32_e64 v17, 0, 1, vcc_lo
	v_cmp_eq_u32_e32 vcc_lo, 0, v11
	v_cmp_eq_u32_e64 s0, v11, v14
	v_add_nc_u32_e32 v15, v7, v15
	v_cndmask_b32_e64 v18, 0, 1, vcc_lo
	v_cmp_eq_u32_e32 vcc_lo, 1, v8
	v_and_b32_e32 v14, -2, v15
	v_and_b32_e32 v15, -2, v16
	v_cndmask_b32_e64 v11, v18, v17, s0
	v_cndmask_b32_e32 v8, v6, v12, vcc_lo
	v_cndmask_b32_e32 v6, v12, v6, vcc_lo
	v_sub_nc_u32_e32 v12, v7, v14
	v_cmp_lt_i32_e32 vcc_lo, v7, v13
	v_and_b32_e32 v11, 1, v11
	v_sub_nc_u32_e32 v14, v13, v15
	v_lshrrev_b32_e32 v15, 31, v6
	v_lshrrev_b32_e32 v17, 31, v10
	v_cndmask_b32_e64 v16, 0, 1, vcc_lo
	v_cmp_eq_u32_e32 vcc_lo, 0, v12
	v_cmp_eq_u32_e64 s0, v12, v14
	v_add_nc_u32_e32 v15, v6, v15
	v_add_nc_u32_e32 v17, v10, v17
	v_cndmask_b32_e64 v18, 0, 1, vcc_lo
	v_cmp_eq_u32_e32 vcc_lo, 1, v11
	v_and_b32_e32 v14, -2, v15
	v_cndmask_b32_e64 v12, v18, v16, s0
	v_cndmask_b32_e32 v11, v5, v4, vcc_lo
	v_cndmask_b32_e32 v4, v4, v5, vcc_lo
	v_sub_nc_u32_e32 v14, v6, v14
	v_cmp_lt_i32_e32 vcc_lo, v6, v10
	v_and_b32_e32 v5, -2, v17
	v_and_b32_e32 v12, 1, v12
	v_lshrrev_b32_e32 v15, 31, v4
	v_lshrrev_b32_e32 v16, 31, v9
	v_cndmask_b32_e64 v17, 0, 1, vcc_lo
	v_cmp_eq_u32_e32 vcc_lo, 0, v14
	v_sub_nc_u32_e32 v5, v10, v5
	v_add_nc_u32_e32 v15, v4, v15
	v_add_nc_u32_e32 v16, v9, v16
	v_cndmask_b32_e64 v18, 0, 1, vcc_lo
	v_cmp_eq_u32_e32 vcc_lo, 1, v12
	v_and_b32_e32 v12, -2, v15
	v_cmp_eq_u32_e64 s0, v14, v5
	v_and_b32_e32 v14, -2, v16
	v_lshrrev_b32_e32 v15, 31, v11
	v_cndmask_b32_e32 v19, v7, v13, vcc_lo
	v_sub_nc_u32_e32 v12, v4, v12
	v_cndmask_b32_e32 v7, v13, v7, vcc_lo
	v_cndmask_b32_e64 v5, v18, v17, s0
	v_sub_nc_u32_e32 v13, v9, v14
	v_add_nc_u32_e32 v15, v11, v15
	v_cmp_eq_u32_e32 vcc_lo, 0, v12
	v_lshrrev_b32_e32 v14, 31, v7
	v_and_b32_e32 v5, 1, v5
	v_cmp_eq_u32_e64 s0, v12, v13
	v_cndmask_b32_e64 v16, 0, 1, vcc_lo
	v_cmp_lt_i32_e32 vcc_lo, v4, v9
	v_add_nc_u32_e32 v14, v7, v14
	v_cndmask_b32_e64 v17, 0, 1, vcc_lo
	v_cmp_eq_u32_e32 vcc_lo, 1, v5
	v_and_b32_e32 v13, -2, v14
	v_and_b32_e32 v14, -2, v15
	v_cndmask_b32_e64 v12, v16, v17, s0
	v_cndmask_b32_e32 v5, v6, v10, vcc_lo
	v_cndmask_b32_e32 v6, v10, v6, vcc_lo
	v_cmp_lt_i32_e32 vcc_lo, v7, v11
	v_lshrrev_b32_e32 v16, 31, v19
	v_and_b32_e32 v10, 1, v12
	v_sub_nc_u32_e32 v12, v7, v13
	v_sub_nc_u32_e32 v13, v11, v14
	v_lshrrev_b32_e32 v14, 31, v6
	v_cndmask_b32_e64 v15, 0, 1, vcc_lo
	v_cmp_eq_u32_e32 vcc_lo, 0, v12
	v_cmp_eq_u32_e64 s0, v12, v13
	v_add_nc_u32_e32 v14, v6, v14
	v_cndmask_b32_e64 v17, 0, 1, vcc_lo
	v_cmp_eq_u32_e32 vcc_lo, 1, v10
	v_and_b32_e32 v14, -2, v14
	v_add_nc_u32_e32 v10, v19, v16
	v_cndmask_b32_e64 v13, v17, v15, s0
	v_cndmask_b32_e32 v12, v9, v4, vcc_lo
	v_cndmask_b32_e32 v4, v4, v9, vcc_lo
	v_cmp_lt_i32_e32 vcc_lo, v6, v19
	v_and_b32_e32 v10, -2, v10
	v_and_b32_e32 v9, 1, v13
	v_sub_nc_u32_e32 v13, v6, v14
	v_lshrrev_b32_e32 v14, 31, v8
	v_lshrrev_b32_e32 v15, 31, v5
	v_cndmask_b32_e64 v16, 0, 1, vcc_lo
	v_sub_nc_u32_e32 v10, v19, v10
	v_cmp_eq_u32_e32 vcc_lo, 0, v13
	v_add_nc_u32_e32 v14, v8, v14
	v_add_nc_u32_e32 v15, v5, v15
	v_lshrrev_b32_e32 v18, 31, v4
	v_cmp_eq_u32_e64 s0, v13, v10
	v_cndmask_b32_e64 v17, 0, 1, vcc_lo
	v_cmp_eq_u32_e32 vcc_lo, 1, v9
	v_and_b32_e32 v9, -2, v14
	v_and_b32_e32 v13, -2, v15
	v_cndmask_b32_e64 v10, v17, v16, s0
	v_cndmask_b32_e32 v15, v7, v11, vcc_lo
	v_cndmask_b32_e32 v7, v11, v7, vcc_lo
	v_sub_nc_u32_e32 v9, v8, v9
	v_cmp_lt_i32_e32 vcc_lo, v8, v5
	v_sub_nc_u32_e32 v11, v5, v13
	v_and_b32_e32 v10, 1, v10
	v_lshrrev_b32_e32 v16, 31, v7
	v_cndmask_b32_e64 v13, 0, 1, vcc_lo
	v_cmp_eq_u32_e32 vcc_lo, 0, v9
	v_cmp_eq_u32_e64 s0, v9, v11
	v_add_nc_u32_e32 v11, v4, v18
	v_cndmask_b32_e64 v14, 0, 1, vcc_lo
	v_cmp_eq_u32_e32 vcc_lo, 1, v10
	v_add_nc_u32_e32 v10, v7, v16
	v_and_b32_e32 v11, -2, v11
	v_cndmask_b32_e64 v9, v14, v13, s0
	v_cndmask_b32_e32 v17, v6, v19, vcc_lo
	v_cndmask_b32_e32 v6, v19, v6, vcc_lo
	v_and_b32_e32 v10, -2, v10
	v_lshrrev_b32_e32 v14, 31, v15
	v_and_b32_e32 v9, 1, v9
	v_cmp_lt_i32_e64 s0, v7, v4
	v_lshrrev_b32_e32 v13, 31, v6
	v_lshrrev_b32_e32 v41, 31, v17
	v_cmp_eq_u32_e32 vcc_lo, 1, v9
	v_sub_nc_u32_e32 v9, v7, v10
	v_sub_nc_u32_e32 v10, v4, v11
	v_add_nc_u32_e32 v11, v6, v13
	v_add_nc_u32_e32 v13, v15, v14
	v_cndmask_b32_e64 v14, 0, 1, s0
	v_cmp_eq_u32_e64 s0, 0, v9
	v_cndmask_b32_e32 v18, v5, v8, vcc_lo
	v_and_b32_e32 v11, -2, v11
	v_and_b32_e32 v13, -2, v13
	v_cndmask_b32_e64 v16, 0, 1, s0
	v_cmp_eq_u32_e64 s0, v9, v10
	v_lshrrev_b32_e32 v19, 31, v18
	v_sub_nc_u32_e32 v10, v6, v11
	v_sub_nc_u32_e32 v13, v15, v13
	v_cndmask_b32_e64 v9, v16, v14, s0
	v_cmp_lt_i32_e64 s0, v6, v15
	v_add_nc_u32_e32 v11, v18, v19
	v_add_nc_u32_e32 v14, v17, v41
	v_and_b32_e32 v9, 1, v9
	v_cndmask_b32_e64 v16, 0, 1, s0
	v_cmp_eq_u32_e64 s0, 0, v10
	v_and_b32_e32 v11, -2, v11
	v_and_b32_e32 v14, -2, v14
	v_cndmask_b32_e64 v19, 0, 1, s0
	v_cmp_eq_u32_e64 s0, v10, v13
	v_sub_nc_u32_e32 v11, v18, v11
	v_sub_nc_u32_e32 v13, v17, v14
	v_cndmask_b32_e64 v10, v19, v16, s0
	v_cmp_lt_i32_e64 s0, v18, v17
	v_cndmask_b32_e32 v19, v8, v5, vcc_lo
	v_cmp_eq_u32_e32 vcc_lo, 1, v9
	v_and_b32_e32 v10, 1, v10
	v_cndmask_b32_e64 v14, 0, 1, s0
	v_cmp_eq_u32_e64 s0, 0, v11
	v_cndmask_b32_e64 v16, 0, 1, s0
	v_cmp_eq_u32_e64 s0, v11, v13
	v_cndmask_b32_e32 v13, v4, v7, vcc_lo
	v_cndmask_b32_e64 v5, v16, v14, s0
	v_cmp_eq_u32_e64 s0, 1, v10
	v_cndmask_b32_e32 v14, v7, v4, vcc_lo
	v_and_b32_e32 v4, 1, v5
	v_cndmask_b32_e64 v16, v6, v15, s0
	v_cndmask_b32_e64 v15, v15, v6, s0
	v_cmp_eq_u32_e32 vcc_lo, 1, v4
	v_mov_b32_e32 v4, v12
	v_mov_b32_e32 v5, v13
	;; [unrolled: 1-line block ×8, first 2 shown]
	s_and_saveexec_b32 s0, vcc_lo
	s_cbranch_execz .LBB407_5
; %bb.4:
	v_mov_b32_e32 v4, v12
	v_mov_b32_e32 v9, v17
	v_mov_b32_e32 v10, v18
	v_mov_b32_e32 v5, v13
	v_mov_b32_e32 v6, v14
	v_mov_b32_e32 v7, v15
	v_mov_b32_e32 v8, v16
	v_mov_b32_e32 v11, v19
	v_mov_b32_e32 v9, v18
	v_mov_b32_e32 v10, v17
.LBB407_5:
	s_or_b32 exec_lo, exec_lo, s0
.LBB407_6:
	s_or_b32 exec_lo, exec_lo, s4
	v_mbcnt_lo_u32_b32 v13, -1, 0
	v_and_b32_e32 v14, 0xffffff00, v40
	s_mov_b32 s0, exec_lo
	v_lshlrev_b32_e32 v18, 3, v13
	v_sub_nc_u32_e64 v17, 0x800, v14 clamp
	v_lshlrev_b32_e32 v16, 2, v14
	v_lshlrev_b32_e32 v19, 5, v13
	v_mov_b32_e32 v13, v5
	v_or_b32_e32 v15, 8, v18
	v_and_b32_e32 v42, 8, v18
	v_and_b32_e32 v44, 0xf0, v18
	v_mov_b32_e32 v14, v6
	v_or_b32_e32 v47, v16, v19
	v_min_u32_e32 v40, v17, v15
	v_min_u32_e32 v45, v17, v42
	v_add_nc_u32_e32 v15, 8, v40
	v_sub_nc_u32_e32 v43, v40, v44
	v_min_u32_e32 v41, v17, v15
	v_min_u32_e32 v46, v45, v43
	v_lshl_or_b32 v43, v44, 2, v16
	v_sub_nc_u32_e32 v15, v41, v40
	v_sub_nc_u32_e64 v42, v45, v15 clamp
	v_mov_b32_e32 v15, v7
	ds_write_b128 v47, v[12:15]
	ds_write_b128 v47, v[8:11] offset:16
	; wave barrier
	v_cmpx_lt_u32_e64 v42, v46
	s_cbranch_execz .LBB407_10
; %bb.7:
	v_lshlrev_b32_e32 v12, 2, v40
	v_lshlrev_b32_e32 v13, 2, v45
	s_mov_b32 s1, 0
	v_add3_u32 v12, v16, v12, v13
	s_inst_prefetch 0x1
	.p2align	6
.LBB407_8:                              ; =>This Inner Loop Header: Depth=1
	v_add_nc_u32_e32 v13, v46, v42
	v_lshrrev_b32_e32 v13, 1, v13
	v_not_b32_e32 v14, v13
	v_lshl_add_u32 v15, v13, 2, v43
	v_lshl_add_u32 v14, v14, 2, v12
	ds_read_b32 v15, v15
	ds_read_b32 v14, v14
	s_waitcnt lgkmcnt(1)
	v_lshrrev_b32_e32 v48, 31, v15
	s_waitcnt lgkmcnt(0)
	v_lshrrev_b32_e32 v47, 31, v14
	v_cmp_lt_i32_e32 vcc_lo, v14, v15
	v_add_nc_u32_e32 v48, v15, v48
	v_add_nc_u32_e32 v47, v14, v47
	v_and_b32_e32 v48, -2, v48
	v_and_b32_e32 v47, -2, v47
	v_sub_nc_u32_e32 v15, v15, v48
	v_sub_nc_u32_e32 v47, v14, v47
	v_cndmask_b32_e64 v14, 0, 1, vcc_lo
	v_cmp_eq_u32_e32 vcc_lo, 0, v47
	v_cndmask_b32_e64 v48, 0, 1, vcc_lo
	v_cmp_eq_u32_e32 vcc_lo, v47, v15
	v_add_nc_u32_e32 v15, 1, v13
	v_cndmask_b32_e32 v14, v48, v14, vcc_lo
	v_and_b32_e32 v14, 1, v14
	v_cmp_eq_u32_e32 vcc_lo, 1, v14
	v_cndmask_b32_e32 v46, v46, v13, vcc_lo
	v_cndmask_b32_e32 v42, v15, v42, vcc_lo
	v_cmp_ge_u32_e32 vcc_lo, v42, v46
	s_or_b32 s1, vcc_lo, s1
	s_andn2_b32 exec_lo, exec_lo, s1
	s_cbranch_execnz .LBB407_8
; %bb.9:
	s_inst_prefetch 0x2
	s_or_b32 exec_lo, exec_lo, s1
.LBB407_10:
	s_or_b32 exec_lo, exec_lo, s0
	v_add_nc_u32_e32 v13, v40, v45
	v_add_nc_u32_e32 v12, v42, v44
	v_sub_nc_u32_e32 v13, v13, v42
	v_cmp_le_u32_e32 vcc_lo, v12, v40
	v_cmp_le_u32_e64 s0, v13, v41
	s_or_b32 s0, vcc_lo, s0
	s_and_saveexec_b32 s1, s0
	s_cbranch_execz .LBB407_46
; %bb.11:
	s_mov_b32 s4, exec_lo
	v_cmp_ge_u32_e32 vcc_lo, v12, v40
                                        ; implicit-def: $vgpr4
	v_cmpx_lt_u32_e64 v12, v40
; %bb.12:
	v_lshl_add_u32 v4, v42, 2, v43
	ds_read_b32 v4, v4
; %bb.13:
	s_or_b32 exec_lo, exec_lo, s4
	v_cmp_ge_u32_e64 s4, v13, v41
	s_mov_b32 s5, exec_lo
                                        ; implicit-def: $vgpr5
	v_cmpx_lt_u32_e64 v13, v41
; %bb.14:
	v_lshl_add_u32 v5, v13, 2, v16
	ds_read_b32 v5, v5
; %bb.15:
	s_or_b32 exec_lo, exec_lo, s5
	s_nor_b32 s5, vcc_lo, s4
	s_and_saveexec_b32 s0, s5
	s_cbranch_execz .LBB407_17
; %bb.16:
	s_waitcnt lgkmcnt(0)
	v_lshrrev_b32_e32 v6, 31, v5
	v_lshrrev_b32_e32 v7, 31, v4
	v_cmp_ge_i32_e32 vcc_lo, v5, v4
	s_andn2_b32 s4, s4, exec_lo
	v_add_nc_u32_e32 v6, v5, v6
	v_add_nc_u32_e32 v7, v4, v7
	v_cndmask_b32_e64 v8, 0, 1, vcc_lo
	v_and_b32_e32 v6, -2, v6
	v_and_b32_e32 v7, -2, v7
	v_sub_nc_u32_e32 v6, v5, v6
	v_sub_nc_u32_e32 v7, v4, v7
	v_cmp_ne_u32_e32 vcc_lo, 0, v6
	v_cndmask_b32_e64 v9, 0, 1, vcc_lo
	v_cmp_eq_u32_e32 vcc_lo, v6, v7
	v_cndmask_b32_e32 v6, v9, v8, vcc_lo
	v_and_b32_e32 v6, 1, v6
	v_cmp_eq_u32_e32 vcc_lo, 1, v6
	s_and_b32 s5, vcc_lo, exec_lo
	s_or_b32 s4, s4, s5
.LBB407_17:
	s_or_b32 exec_lo, exec_lo, s0
	v_cndmask_b32_e64 v6, v13, v12, s4
	v_cndmask_b32_e64 v7, v41, v40, s4
	s_mov_b32 s0, -1
	s_mov_b32 s5, -1
	s_mov_b32 s13, exec_lo
	v_add_nc_u32_e32 v6, 1, v6
	v_add_nc_u32_e32 v7, -1, v7
	v_cndmask_b32_e64 v8, v6, v13, s4
	v_min_u32_e32 v7, v6, v7
	v_cndmask_b32_e64 v9, v12, v6, s4
	v_lshl_add_u32 v7, v7, 2, v16
	ds_read_b32 v7, v7
	s_waitcnt lgkmcnt(0)
	v_cndmask_b32_e64 v6, v7, v5, s4
	v_cndmask_b32_e64 v7, v4, v7, s4
	v_cmpx_lt_u32_e64 v8, v41
	s_cbranch_execz .LBB407_21
; %bb.18:
	s_mov_b32 s16, 0
	s_mov_b32 s5, exec_lo
	v_cmpx_lt_u32_e64 v9, v40
	s_cbranch_execz .LBB407_20
; %bb.19:
	v_lshrrev_b32_e32 v10, 31, v6
	v_lshrrev_b32_e32 v11, 31, v7
	v_cmp_ge_i32_e32 vcc_lo, v6, v7
	v_add_nc_u32_e32 v10, v6, v10
	v_add_nc_u32_e32 v11, v7, v11
	v_cndmask_b32_e64 v12, 0, 1, vcc_lo
	v_and_b32_e32 v10, -2, v10
	v_and_b32_e32 v11, -2, v11
	v_sub_nc_u32_e32 v10, v6, v10
	v_sub_nc_u32_e32 v11, v7, v11
	v_cmp_ne_u32_e32 vcc_lo, 0, v10
	v_cndmask_b32_e64 v13, 0, 1, vcc_lo
	v_cmp_eq_u32_e32 vcc_lo, v10, v11
	v_cndmask_b32_e32 v10, v13, v12, vcc_lo
	v_and_b32_e32 v10, 1, v10
	v_cmp_eq_u32_e32 vcc_lo, 1, v10
	s_and_b32 s16, vcc_lo, exec_lo
.LBB407_20:
	s_or_b32 exec_lo, exec_lo, s5
	s_orn2_b32 s5, s16, exec_lo
.LBB407_21:
	s_or_b32 exec_lo, exec_lo, s13
	v_cndmask_b32_e64 v10, v8, v9, s5
	v_cndmask_b32_e64 v11, v41, v40, s5
	s_mov_b32 s13, exec_lo
	v_add_nc_u32_e32 v12, 1, v10
	v_add_nc_u32_e32 v10, -1, v11
	v_cndmask_b32_e64 v11, v9, v12, s5
	v_min_u32_e32 v10, v12, v10
	v_lshl_add_u32 v10, v10, 2, v16
	ds_read_b32 v13, v10
	v_cndmask_b32_e64 v10, v12, v8, s5
	s_waitcnt lgkmcnt(0)
	v_cndmask_b32_e64 v8, v13, v6, s5
	v_cndmask_b32_e64 v9, v7, v13, s5
	v_cmpx_lt_u32_e64 v10, v41
	s_cbranch_execz .LBB407_25
; %bb.22:
	s_mov_b32 s16, 0
	s_mov_b32 s0, exec_lo
	v_cmpx_lt_u32_e64 v11, v40
	s_cbranch_execz .LBB407_24
; %bb.23:
	v_lshrrev_b32_e32 v12, 31, v8
	v_lshrrev_b32_e32 v13, 31, v9
	v_cmp_ge_i32_e32 vcc_lo, v8, v9
	v_add_nc_u32_e32 v12, v8, v12
	v_add_nc_u32_e32 v13, v9, v13
	v_cndmask_b32_e64 v14, 0, 1, vcc_lo
	v_and_b32_e32 v12, -2, v12
	v_and_b32_e32 v13, -2, v13
	v_sub_nc_u32_e32 v12, v8, v12
	v_sub_nc_u32_e32 v13, v9, v13
	v_cmp_ne_u32_e32 vcc_lo, 0, v12
	v_cndmask_b32_e64 v15, 0, 1, vcc_lo
	v_cmp_eq_u32_e32 vcc_lo, v12, v13
	v_cndmask_b32_e32 v12, v15, v14, vcc_lo
	v_and_b32_e32 v12, 1, v12
	v_cmp_eq_u32_e32 vcc_lo, 1, v12
	s_and_b32 s16, vcc_lo, exec_lo
.LBB407_24:
	s_or_b32 exec_lo, exec_lo, s0
	s_orn2_b32 s0, s16, exec_lo
.LBB407_25:
	s_or_b32 exec_lo, exec_lo, s13
	v_cndmask_b32_e64 v12, v10, v11, s0
	v_cndmask_b32_e64 v13, v41, v40, s0
	s_mov_b32 s13, -1
	s_mov_b32 s16, -1
	s_mov_b32 s17, exec_lo
	v_add_nc_u32_e32 v12, 1, v12
	v_add_nc_u32_e32 v13, -1, v13
	v_cndmask_b32_e64 v11, v11, v12, s0
	v_min_u32_e32 v13, v12, v13
	v_lshl_add_u32 v13, v13, 2, v16
	ds_read_b32 v14, v13
	v_cndmask_b32_e64 v13, v12, v10, s0
	s_waitcnt lgkmcnt(0)
	v_cndmask_b32_e64 v10, v14, v8, s0
	v_cndmask_b32_e64 v12, v9, v14, s0
	v_cmpx_lt_u32_e64 v13, v41
	s_cbranch_execz .LBB407_29
; %bb.26:
	s_mov_b32 s18, 0
	s_mov_b32 s16, exec_lo
	v_cmpx_lt_u32_e64 v11, v40
	s_cbranch_execz .LBB407_28
; %bb.27:
	v_lshrrev_b32_e32 v14, 31, v10
	v_lshrrev_b32_e32 v15, 31, v12
	v_cmp_ge_i32_e32 vcc_lo, v10, v12
	v_add_nc_u32_e32 v14, v10, v14
	v_add_nc_u32_e32 v15, v12, v15
	v_cndmask_b32_e64 v42, 0, 1, vcc_lo
	v_and_b32_e32 v14, -2, v14
	v_and_b32_e32 v15, -2, v15
	v_sub_nc_u32_e32 v14, v10, v14
	v_sub_nc_u32_e32 v15, v12, v15
	v_cmp_ne_u32_e32 vcc_lo, 0, v14
	v_cndmask_b32_e64 v43, 0, 1, vcc_lo
	v_cmp_eq_u32_e32 vcc_lo, v14, v15
	v_cndmask_b32_e32 v14, v43, v42, vcc_lo
	v_and_b32_e32 v14, 1, v14
	v_cmp_eq_u32_e32 vcc_lo, 1, v14
	s_and_b32 s18, vcc_lo, exec_lo
.LBB407_28:
	s_or_b32 exec_lo, exec_lo, s16
	s_orn2_b32 s16, s18, exec_lo
.LBB407_29:
	s_or_b32 exec_lo, exec_lo, s17
	v_cndmask_b32_e64 v14, v13, v11, s16
	v_cndmask_b32_e64 v15, v41, v40, s16
	s_mov_b32 s17, exec_lo
	v_add_nc_u32_e32 v14, 1, v14
	v_add_nc_u32_e32 v15, -1, v15
	v_cndmask_b32_e64 v11, v11, v14, s16
	v_min_u32_e32 v15, v14, v15
	v_lshl_add_u32 v15, v15, 2, v16
	ds_read_b32 v42, v15
	v_cndmask_b32_e64 v15, v14, v13, s16
	s_waitcnt lgkmcnt(0)
	v_cndmask_b32_e64 v13, v42, v10, s16
	v_cndmask_b32_e64 v14, v12, v42, s16
	v_cmpx_lt_u32_e64 v15, v41
	s_cbranch_execz .LBB407_33
; %bb.30:
	s_mov_b32 s18, 0
	s_mov_b32 s13, exec_lo
	v_cmpx_lt_u32_e64 v11, v40
	s_cbranch_execz .LBB407_32
; %bb.31:
	v_lshrrev_b32_e32 v42, 31, v13
	v_lshrrev_b32_e32 v43, 31, v14
	v_cmp_ge_i32_e32 vcc_lo, v13, v14
	v_add_nc_u32_e32 v42, v13, v42
	v_add_nc_u32_e32 v43, v14, v43
	v_cndmask_b32_e64 v44, 0, 1, vcc_lo
	v_and_b32_e32 v42, -2, v42
	v_and_b32_e32 v43, -2, v43
	v_sub_nc_u32_e32 v42, v13, v42
	v_sub_nc_u32_e32 v43, v14, v43
	v_cmp_ne_u32_e32 vcc_lo, 0, v42
	v_cndmask_b32_e64 v45, 0, 1, vcc_lo
	v_cmp_eq_u32_e32 vcc_lo, v42, v43
	v_cndmask_b32_e32 v42, v45, v44, vcc_lo
	v_and_b32_e32 v42, 1, v42
	v_cmp_eq_u32_e32 vcc_lo, 1, v42
	s_and_b32 s18, vcc_lo, exec_lo
.LBB407_32:
	s_or_b32 exec_lo, exec_lo, s13
	s_orn2_b32 s13, s18, exec_lo
.LBB407_33:
	s_or_b32 exec_lo, exec_lo, s17
	v_cndmask_b32_e64 v42, v15, v11, s13
	v_cndmask_b32_e64 v43, v41, v40, s13
	s_mov_b32 s17, -1
	s_mov_b32 s18, -1
	s_mov_b32 s19, exec_lo
	v_add_nc_u32_e32 v42, 1, v42
	v_add_nc_u32_e32 v43, -1, v43
	v_cndmask_b32_e64 v11, v11, v42, s13
	v_min_u32_e32 v43, v42, v43
	v_lshl_add_u32 v43, v43, 2, v16
	ds_read_b32 v44, v43
	v_cndmask_b32_e64 v43, v42, v15, s13
	s_waitcnt lgkmcnt(0)
	v_cndmask_b32_e64 v15, v44, v13, s13
	v_cndmask_b32_e64 v42, v14, v44, s13
	v_cmpx_lt_u32_e64 v43, v41
	s_cbranch_execz .LBB407_37
; %bb.34:
	s_mov_b32 s20, 0
	s_mov_b32 s18, exec_lo
	v_cmpx_lt_u32_e64 v11, v40
	s_cbranch_execz .LBB407_36
; %bb.35:
	v_lshrrev_b32_e32 v44, 31, v15
	v_lshrrev_b32_e32 v45, 31, v42
	v_cmp_ge_i32_e32 vcc_lo, v15, v42
	v_add_nc_u32_e32 v44, v15, v44
	v_add_nc_u32_e32 v45, v42, v45
	v_cndmask_b32_e64 v46, 0, 1, vcc_lo
	v_and_b32_e32 v44, -2, v44
	v_and_b32_e32 v45, -2, v45
	v_sub_nc_u32_e32 v44, v15, v44
	v_sub_nc_u32_e32 v45, v42, v45
	v_cmp_ne_u32_e32 vcc_lo, 0, v44
	v_cndmask_b32_e64 v47, 0, 1, vcc_lo
	v_cmp_eq_u32_e32 vcc_lo, v44, v45
	v_cndmask_b32_e32 v44, v47, v46, vcc_lo
	v_and_b32_e32 v44, 1, v44
	v_cmp_eq_u32_e32 vcc_lo, 1, v44
	s_and_b32 s20, vcc_lo, exec_lo
.LBB407_36:
	s_or_b32 exec_lo, exec_lo, s18
	s_orn2_b32 s18, s20, exec_lo
.LBB407_37:
	s_or_b32 exec_lo, exec_lo, s19
	v_cndmask_b32_e64 v44, v43, v11, s18
	v_cndmask_b32_e64 v45, v41, v40, s18
	s_mov_b32 s19, exec_lo
	v_add_nc_u32_e32 v44, 1, v44
	v_add_nc_u32_e32 v45, -1, v45
	v_cndmask_b32_e64 v46, v44, v43, s18
	v_min_u32_e32 v45, v44, v45
	v_lshl_add_u32 v45, v45, 2, v16
	ds_read_b32 v47, v45
	v_cndmask_b32_e64 v45, v11, v44, s18
	s_waitcnt lgkmcnt(0)
	v_cndmask_b32_e64 v43, v47, v15, s18
	v_cndmask_b32_e64 v44, v42, v47, s18
	v_cmpx_lt_u32_e64 v46, v41
	s_cbranch_execz .LBB407_41
; %bb.38:
	s_mov_b32 s20, 0
	s_mov_b32 s17, exec_lo
	v_cmpx_lt_u32_e64 v45, v40
	s_cbranch_execz .LBB407_40
; %bb.39:
	v_lshrrev_b32_e32 v11, 31, v43
	v_lshrrev_b32_e32 v47, 31, v44
	v_cmp_ge_i32_e32 vcc_lo, v43, v44
	v_add_nc_u32_e32 v11, v43, v11
	v_add_nc_u32_e32 v47, v44, v47
	v_cndmask_b32_e64 v48, 0, 1, vcc_lo
	v_and_b32_e32 v11, -2, v11
	v_and_b32_e32 v47, -2, v47
	v_sub_nc_u32_e32 v11, v43, v11
	v_sub_nc_u32_e32 v47, v44, v47
	v_cmp_ne_u32_e32 vcc_lo, 0, v11
	v_cndmask_b32_e64 v49, 0, 1, vcc_lo
	v_cmp_eq_u32_e32 vcc_lo, v11, v47
	v_cndmask_b32_e32 v11, v49, v48, vcc_lo
	v_and_b32_e32 v11, 1, v11
	v_cmp_eq_u32_e32 vcc_lo, 1, v11
	s_and_b32 s20, vcc_lo, exec_lo
.LBB407_40:
	s_or_b32 exec_lo, exec_lo, s17
	s_orn2_b32 s17, s20, exec_lo
.LBB407_41:
	s_or_b32 exec_lo, exec_lo, s19
	v_cndmask_b32_e64 v11, v46, v45, s17
	v_cndmask_b32_e64 v48, v41, v40, s17
	s_mov_b32 s19, exec_lo
	v_add_nc_u32_e32 v47, 1, v11
	v_add_nc_u32_e32 v11, -1, v48
	v_cndmask_b32_e64 v46, v47, v46, s17
	v_min_u32_e32 v11, v47, v11
	v_lshl_add_u32 v11, v11, 2, v16
	ds_read_b32 v48, v11
	s_waitcnt lgkmcnt(0)
	v_cndmask_b32_e64 v11, v44, v48, s17
	v_cmpx_lt_u32_e64 v46, v41
	s_cbranch_execz .LBB407_45
; %bb.42:
	v_cndmask_b32_e64 v45, v45, v47, s17
	v_cndmask_b32_e64 v41, v48, v43, s17
	s_mov_b32 s20, exec_lo
	v_cmpx_lt_u32_e64 v45, v40
	s_cbranch_execz .LBB407_44
; %bb.43:
	v_lshrrev_b32_e32 v40, 31, v41
	v_lshrrev_b32_e32 v45, 31, v11
	v_cmp_ge_i32_e32 vcc_lo, v41, v11
	v_add_nc_u32_e32 v40, v41, v40
	v_add_nc_u32_e32 v45, v11, v45
	v_cndmask_b32_e64 v46, 0, 1, vcc_lo
	v_and_b32_e32 v40, -2, v40
	v_and_b32_e32 v45, -2, v45
	v_sub_nc_u32_e32 v40, v41, v40
	v_sub_nc_u32_e32 v45, v11, v45
	v_cmp_ne_u32_e32 vcc_lo, 0, v40
	v_cndmask_b32_e64 v47, 0, 1, vcc_lo
	v_cmp_eq_u32_e32 vcc_lo, v40, v45
	v_cndmask_b32_e32 v40, v47, v46, vcc_lo
	v_and_b32_e32 v40, 1, v40
	v_cmp_eq_u32_e32 vcc_lo, 1, v40
	v_cndmask_b32_e32 v41, v41, v11, vcc_lo
.LBB407_44:
	s_or_b32 exec_lo, exec_lo, s20
	v_mov_b32_e32 v11, v41
.LBB407_45:
	s_or_b32 exec_lo, exec_lo, s19
	v_cndmask_b32_e64 v4, v5, v4, s4
	v_cndmask_b32_e64 v5, v6, v7, s5
	v_cndmask_b32_e64 v6, v8, v9, s0
	v_cndmask_b32_e64 v7, v10, v12, s16
	v_cndmask_b32_e64 v8, v13, v14, s13
	v_cndmask_b32_e64 v9, v15, v42, s18
	v_cndmask_b32_e64 v10, v43, v44, s17
.LBB407_46:
	s_or_b32 exec_lo, exec_lo, s1
	v_and_b32_e32 v40, 0xe0, v18
	v_and_b32_e32 v15, 24, v18
	s_mov_b32 s0, exec_lo
	; wave barrier
	v_or_b32_e32 v12, 16, v40
	v_min_u32_e32 v41, v17, v15
	v_min_u32_e32 v13, v17, v12
	v_add_nc_u32_e32 v12, 16, v13
	v_sub_nc_u32_e32 v42, v13, v40
	v_min_u32_e32 v14, v17, v12
	v_min_u32_e32 v42, v41, v42
	v_sub_nc_u32_e32 v12, v14, v13
	v_sub_nc_u32_e64 v15, v41, v12 clamp
	v_add_nc_u32_e32 v12, v16, v19
	v_lshl_add_u32 v19, v40, 2, v16
	ds_write_b128 v12, v[4:7]
	ds_write_b128 v12, v[8:11] offset:16
	; wave barrier
	v_cmpx_lt_u32_e64 v15, v42
	s_cbranch_execz .LBB407_50
; %bb.47:
	v_lshlrev_b32_e32 v43, 2, v13
	v_lshlrev_b32_e32 v44, 2, v41
	s_mov_b32 s1, 0
	v_add3_u32 v43, v16, v43, v44
	s_inst_prefetch 0x1
	.p2align	6
.LBB407_48:                             ; =>This Inner Loop Header: Depth=1
	v_add_nc_u32_e32 v44, v42, v15
	v_lshrrev_b32_e32 v44, 1, v44
	v_not_b32_e32 v45, v44
	v_lshl_add_u32 v46, v44, 2, v19
	v_lshl_add_u32 v45, v45, 2, v43
	ds_read_b32 v46, v46
	ds_read_b32 v45, v45
	s_waitcnt lgkmcnt(1)
	v_lshrrev_b32_e32 v48, 31, v46
	s_waitcnt lgkmcnt(0)
	v_lshrrev_b32_e32 v47, 31, v45
	v_cmp_lt_i32_e32 vcc_lo, v45, v46
	v_add_nc_u32_e32 v48, v46, v48
	v_add_nc_u32_e32 v47, v45, v47
	v_and_b32_e32 v48, -2, v48
	v_and_b32_e32 v47, -2, v47
	v_sub_nc_u32_e32 v46, v46, v48
	v_sub_nc_u32_e32 v47, v45, v47
	v_cndmask_b32_e64 v45, 0, 1, vcc_lo
	v_cmp_eq_u32_e32 vcc_lo, 0, v47
	v_cndmask_b32_e64 v48, 0, 1, vcc_lo
	v_cmp_eq_u32_e32 vcc_lo, v47, v46
	v_add_nc_u32_e32 v46, 1, v44
	v_cndmask_b32_e32 v45, v48, v45, vcc_lo
	v_and_b32_e32 v45, 1, v45
	v_cmp_eq_u32_e32 vcc_lo, 1, v45
	v_cndmask_b32_e32 v42, v42, v44, vcc_lo
	v_cndmask_b32_e32 v15, v46, v15, vcc_lo
	v_cmp_ge_u32_e32 vcc_lo, v15, v42
	s_or_b32 s1, vcc_lo, s1
	s_andn2_b32 exec_lo, exec_lo, s1
	s_cbranch_execnz .LBB407_48
; %bb.49:
	s_inst_prefetch 0x2
	s_or_b32 exec_lo, exec_lo, s1
.LBB407_50:
	s_or_b32 exec_lo, exec_lo, s0
	v_add_nc_u32_e32 v41, v13, v41
	v_add_nc_u32_e32 v40, v15, v40
	v_sub_nc_u32_e32 v41, v41, v15
	v_cmp_le_u32_e32 vcc_lo, v40, v13
	v_cmp_le_u32_e64 s0, v41, v14
	s_or_b32 s0, vcc_lo, s0
	s_and_saveexec_b32 s1, s0
	s_cbranch_execz .LBB407_86
; %bb.51:
	s_mov_b32 s4, exec_lo
	v_cmp_ge_u32_e32 vcc_lo, v40, v13
                                        ; implicit-def: $vgpr4
	v_cmpx_lt_u32_e64 v40, v13
; %bb.52:
	v_lshl_add_u32 v4, v15, 2, v19
	ds_read_b32 v4, v4
; %bb.53:
	s_or_b32 exec_lo, exec_lo, s4
	v_cmp_ge_u32_e64 s4, v41, v14
	s_mov_b32 s5, exec_lo
                                        ; implicit-def: $vgpr10
	v_cmpx_lt_u32_e64 v41, v14
; %bb.54:
	v_lshl_add_u32 v5, v41, 2, v16
	ds_read_b32 v10, v5
; %bb.55:
	s_or_b32 exec_lo, exec_lo, s5
	s_nor_b32 s5, vcc_lo, s4
	s_and_saveexec_b32 s0, s5
	s_cbranch_execz .LBB407_57
; %bb.56:
	s_waitcnt lgkmcnt(0)
	v_lshrrev_b32_e32 v5, 31, v10
	v_lshrrev_b32_e32 v6, 31, v4
	v_cmp_ge_i32_e32 vcc_lo, v10, v4
	s_andn2_b32 s4, s4, exec_lo
	v_add_nc_u32_e32 v5, v10, v5
	v_add_nc_u32_e32 v6, v4, v6
	v_cndmask_b32_e64 v7, 0, 1, vcc_lo
	v_and_b32_e32 v5, -2, v5
	v_and_b32_e32 v6, -2, v6
	v_sub_nc_u32_e32 v5, v10, v5
	v_sub_nc_u32_e32 v6, v4, v6
	v_cmp_ne_u32_e32 vcc_lo, 0, v5
	v_cndmask_b32_e64 v8, 0, 1, vcc_lo
	v_cmp_eq_u32_e32 vcc_lo, v5, v6
	v_cndmask_b32_e32 v5, v8, v7, vcc_lo
	v_and_b32_e32 v5, 1, v5
	v_cmp_eq_u32_e32 vcc_lo, 1, v5
	s_and_b32 s5, vcc_lo, exec_lo
	s_or_b32 s4, s4, s5
.LBB407_57:
	s_or_b32 exec_lo, exec_lo, s0
	v_cndmask_b32_e64 v5, v41, v40, s4
	v_cndmask_b32_e64 v6, v14, v13, s4
	s_mov_b32 s5, -1
	s_mov_b32 s0, -1
	s_mov_b32 s13, exec_lo
	v_add_nc_u32_e32 v5, 1, v5
	v_add_nc_u32_e32 v6, -1, v6
	v_cndmask_b32_e64 v7, v40, v5, s4
	v_min_u32_e32 v6, v5, v6
	v_lshl_add_u32 v6, v6, 2, v16
	ds_read_b32 v8, v6
	v_cndmask_b32_e64 v6, v5, v41, s4
	s_waitcnt lgkmcnt(0)
	v_cndmask_b32_e64 v5, v8, v10, s4
	v_cndmask_b32_e64 v15, v4, v8, s4
	v_cmpx_lt_u32_e64 v6, v14
	s_cbranch_execz .LBB407_61
; %bb.58:
	s_mov_b32 s16, 0
	s_mov_b32 s0, exec_lo
	v_cmpx_lt_u32_e64 v7, v13
	s_cbranch_execz .LBB407_60
; %bb.59:
	v_lshrrev_b32_e32 v8, 31, v5
	v_lshrrev_b32_e32 v9, 31, v15
	v_cmp_ge_i32_e32 vcc_lo, v5, v15
	v_add_nc_u32_e32 v8, v5, v8
	v_add_nc_u32_e32 v9, v15, v9
	v_cndmask_b32_e64 v11, 0, 1, vcc_lo
	v_and_b32_e32 v8, -2, v8
	v_and_b32_e32 v9, -2, v9
	v_sub_nc_u32_e32 v8, v5, v8
	v_sub_nc_u32_e32 v9, v15, v9
	v_cmp_ne_u32_e32 vcc_lo, 0, v8
	v_cndmask_b32_e64 v19, 0, 1, vcc_lo
	v_cmp_eq_u32_e32 vcc_lo, v8, v9
	v_cndmask_b32_e32 v8, v19, v11, vcc_lo
	v_and_b32_e32 v8, 1, v8
	v_cmp_eq_u32_e32 vcc_lo, 1, v8
	s_and_b32 s16, vcc_lo, exec_lo
.LBB407_60:
	s_or_b32 exec_lo, exec_lo, s0
	s_orn2_b32 s0, s16, exec_lo
.LBB407_61:
	s_or_b32 exec_lo, exec_lo, s13
	v_cndmask_b32_e64 v8, v6, v7, s0
	v_cndmask_b32_e64 v9, v14, v13, s0
	s_mov_b32 s13, exec_lo
	v_add_nc_u32_e32 v11, 1, v8
	v_add_nc_u32_e32 v8, -1, v9
	v_cndmask_b32_e64 v7, v7, v11, s0
	v_min_u32_e32 v8, v11, v8
	v_lshl_add_u32 v8, v8, 2, v16
	ds_read_b32 v9, v8
	v_cndmask_b32_e64 v8, v11, v6, s0
	s_waitcnt lgkmcnt(0)
	v_cndmask_b32_e64 v6, v9, v5, s0
	v_cndmask_b32_e64 v19, v15, v9, s0
	v_cmpx_lt_u32_e64 v8, v14
	s_cbranch_execz .LBB407_65
; %bb.62:
	s_mov_b32 s16, 0
	s_mov_b32 s5, exec_lo
	v_cmpx_lt_u32_e64 v7, v13
	s_cbranch_execz .LBB407_64
; %bb.63:
	v_lshrrev_b32_e32 v9, 31, v6
	v_lshrrev_b32_e32 v11, 31, v19
	v_cmp_ge_i32_e32 vcc_lo, v6, v19
	v_add_nc_u32_e32 v9, v6, v9
	v_add_nc_u32_e32 v11, v19, v11
	v_cndmask_b32_e64 v40, 0, 1, vcc_lo
	v_and_b32_e32 v9, -2, v9
	v_and_b32_e32 v11, -2, v11
	v_sub_nc_u32_e32 v9, v6, v9
	v_sub_nc_u32_e32 v11, v19, v11
	v_cmp_ne_u32_e32 vcc_lo, 0, v9
	v_cndmask_b32_e64 v41, 0, 1, vcc_lo
	v_cmp_eq_u32_e32 vcc_lo, v9, v11
	v_cndmask_b32_e32 v9, v41, v40, vcc_lo
	v_and_b32_e32 v9, 1, v9
	v_cmp_eq_u32_e32 vcc_lo, 1, v9
	s_and_b32 s16, vcc_lo, exec_lo
.LBB407_64:
	s_or_b32 exec_lo, exec_lo, s5
	s_orn2_b32 s5, s16, exec_lo
.LBB407_65:
	s_or_b32 exec_lo, exec_lo, s13
	v_cndmask_b32_e64 v9, v8, v7, s5
	v_cndmask_b32_e64 v11, v14, v13, s5
	s_mov_b32 s16, -1
	s_mov_b32 s13, -1
	s_mov_b32 s17, exec_lo
	v_add_nc_u32_e32 v9, 1, v9
	v_add_nc_u32_e32 v11, -1, v11
	v_cndmask_b32_e64 v8, v9, v8, s5
	v_min_u32_e32 v11, v9, v11
	v_cndmask_b32_e64 v9, v7, v9, s5
	v_lshl_add_u32 v11, v11, 2, v16
	ds_read_b32 v11, v11
	s_waitcnt lgkmcnt(0)
	v_cndmask_b32_e64 v7, v11, v6, s5
	v_cndmask_b32_e64 v40, v19, v11, s5
	v_cmpx_lt_u32_e64 v8, v14
	s_cbranch_execz .LBB407_69
; %bb.66:
	s_mov_b32 s18, 0
	s_mov_b32 s13, exec_lo
	v_cmpx_lt_u32_e64 v9, v13
	s_cbranch_execz .LBB407_68
; %bb.67:
	v_lshrrev_b32_e32 v11, 31, v7
	v_lshrrev_b32_e32 v41, 31, v40
	v_cmp_ge_i32_e32 vcc_lo, v7, v40
	v_add_nc_u32_e32 v11, v7, v11
	v_add_nc_u32_e32 v41, v40, v41
	v_cndmask_b32_e64 v42, 0, 1, vcc_lo
	v_and_b32_e32 v11, -2, v11
	v_and_b32_e32 v41, -2, v41
	v_sub_nc_u32_e32 v11, v7, v11
	v_sub_nc_u32_e32 v41, v40, v41
	v_cmp_ne_u32_e32 vcc_lo, 0, v11
	v_cndmask_b32_e64 v43, 0, 1, vcc_lo
	v_cmp_eq_u32_e32 vcc_lo, v11, v41
	v_cndmask_b32_e32 v11, v43, v42, vcc_lo
	v_and_b32_e32 v11, 1, v11
	v_cmp_eq_u32_e32 vcc_lo, 1, v11
	s_and_b32 s18, vcc_lo, exec_lo
.LBB407_68:
	s_or_b32 exec_lo, exec_lo, s13
	s_orn2_b32 s13, s18, exec_lo
.LBB407_69:
	s_or_b32 exec_lo, exec_lo, s17
	v_cndmask_b32_e64 v11, v8, v9, s13
	v_cndmask_b32_e64 v41, v14, v13, s13
	s_mov_b32 s17, exec_lo
	v_add_nc_u32_e32 v42, 1, v11
	v_add_nc_u32_e32 v11, -1, v41
	v_cndmask_b32_e64 v9, v9, v42, s13
	v_min_u32_e32 v11, v42, v11
	v_lshl_add_u32 v11, v11, 2, v16
	ds_read_b32 v41, v11
	v_cndmask_b32_e64 v11, v42, v8, s13
	s_waitcnt lgkmcnt(0)
	v_cndmask_b32_e64 v8, v41, v7, s13
	v_cndmask_b32_e64 v41, v40, v41, s13
	v_cmpx_lt_u32_e64 v11, v14
	s_cbranch_execz .LBB407_73
; %bb.70:
	s_mov_b32 s18, 0
	s_mov_b32 s16, exec_lo
	v_cmpx_lt_u32_e64 v9, v13
	s_cbranch_execz .LBB407_72
; %bb.71:
	v_lshrrev_b32_e32 v42, 31, v8
	v_lshrrev_b32_e32 v43, 31, v41
	v_cmp_ge_i32_e32 vcc_lo, v8, v41
	v_add_nc_u32_e32 v42, v8, v42
	v_add_nc_u32_e32 v43, v41, v43
	v_cndmask_b32_e64 v44, 0, 1, vcc_lo
	v_and_b32_e32 v42, -2, v42
	v_and_b32_e32 v43, -2, v43
	v_sub_nc_u32_e32 v42, v8, v42
	v_sub_nc_u32_e32 v43, v41, v43
	v_cmp_ne_u32_e32 vcc_lo, 0, v42
	v_cndmask_b32_e64 v45, 0, 1, vcc_lo
	v_cmp_eq_u32_e32 vcc_lo, v42, v43
	v_cndmask_b32_e32 v42, v45, v44, vcc_lo
	v_and_b32_e32 v42, 1, v42
	v_cmp_eq_u32_e32 vcc_lo, 1, v42
	s_and_b32 s18, vcc_lo, exec_lo
.LBB407_72:
	s_or_b32 exec_lo, exec_lo, s16
	s_orn2_b32 s16, s18, exec_lo
.LBB407_73:
	s_or_b32 exec_lo, exec_lo, s17
	v_cndmask_b32_e64 v42, v11, v9, s16
	v_cndmask_b32_e64 v43, v14, v13, s16
	s_mov_b32 s17, -1
	s_mov_b32 s18, -1
	s_mov_b32 s19, exec_lo
	v_add_nc_u32_e32 v42, 1, v42
	v_add_nc_u32_e32 v43, -1, v43
	v_cndmask_b32_e64 v11, v42, v11, s16
	v_min_u32_e32 v43, v42, v43
	v_lshl_add_u32 v43, v43, 2, v16
	ds_read_b32 v44, v43
	v_cndmask_b32_e64 v43, v9, v42, s16
	s_waitcnt lgkmcnt(0)
	v_cndmask_b32_e64 v9, v44, v8, s16
	v_cndmask_b32_e64 v42, v41, v44, s16
	v_cmpx_lt_u32_e64 v11, v14
	s_cbranch_execz .LBB407_77
; %bb.74:
	s_mov_b32 s20, 0
	s_mov_b32 s18, exec_lo
	v_cmpx_lt_u32_e64 v43, v13
	s_cbranch_execz .LBB407_76
; %bb.75:
	v_lshrrev_b32_e32 v44, 31, v9
	v_lshrrev_b32_e32 v45, 31, v42
	v_cmp_ge_i32_e32 vcc_lo, v9, v42
	v_add_nc_u32_e32 v44, v9, v44
	v_add_nc_u32_e32 v45, v42, v45
	v_cndmask_b32_e64 v46, 0, 1, vcc_lo
	v_and_b32_e32 v44, -2, v44
	v_and_b32_e32 v45, -2, v45
	v_sub_nc_u32_e32 v44, v9, v44
	v_sub_nc_u32_e32 v45, v42, v45
	v_cmp_ne_u32_e32 vcc_lo, 0, v44
	v_cndmask_b32_e64 v47, 0, 1, vcc_lo
	v_cmp_eq_u32_e32 vcc_lo, v44, v45
	v_cndmask_b32_e32 v44, v47, v46, vcc_lo
	v_and_b32_e32 v44, 1, v44
	v_cmp_eq_u32_e32 vcc_lo, 1, v44
	s_and_b32 s20, vcc_lo, exec_lo
.LBB407_76:
	s_or_b32 exec_lo, exec_lo, s18
	s_orn2_b32 s18, s20, exec_lo
.LBB407_77:
	s_or_b32 exec_lo, exec_lo, s19
	v_cndmask_b32_e64 v44, v11, v43, s18
	v_cndmask_b32_e64 v45, v14, v13, s18
	s_mov_b32 s19, exec_lo
	v_add_nc_u32_e32 v44, 1, v44
	v_add_nc_u32_e32 v45, -1, v45
	v_cndmask_b32_e64 v11, v44, v11, s18
	v_min_u32_e32 v45, v44, v45
	v_lshl_add_u32 v45, v45, 2, v16
	ds_read_b32 v46, v45
	v_cndmask_b32_e64 v45, v43, v44, s18
	s_waitcnt lgkmcnt(0)
	v_cndmask_b32_e64 v43, v46, v9, s18
	v_cndmask_b32_e64 v44, v42, v46, s18
	v_cmpx_lt_u32_e64 v11, v14
	s_cbranch_execz .LBB407_81
; %bb.78:
	s_mov_b32 s20, 0
	s_mov_b32 s17, exec_lo
	v_cmpx_lt_u32_e64 v45, v13
	s_cbranch_execz .LBB407_80
; %bb.79:
	v_lshrrev_b32_e32 v46, 31, v43
	v_lshrrev_b32_e32 v47, 31, v44
	v_cmp_ge_i32_e32 vcc_lo, v43, v44
	v_add_nc_u32_e32 v46, v43, v46
	v_add_nc_u32_e32 v47, v44, v47
	v_cndmask_b32_e64 v48, 0, 1, vcc_lo
	v_and_b32_e32 v46, -2, v46
	v_and_b32_e32 v47, -2, v47
	v_sub_nc_u32_e32 v46, v43, v46
	v_sub_nc_u32_e32 v47, v44, v47
	v_cmp_ne_u32_e32 vcc_lo, 0, v46
	v_cndmask_b32_e64 v49, 0, 1, vcc_lo
	v_cmp_eq_u32_e32 vcc_lo, v46, v47
	v_cndmask_b32_e32 v46, v49, v48, vcc_lo
	v_and_b32_e32 v46, 1, v46
	v_cmp_eq_u32_e32 vcc_lo, 1, v46
	s_and_b32 s20, vcc_lo, exec_lo
.LBB407_80:
	s_or_b32 exec_lo, exec_lo, s17
	s_orn2_b32 s17, s20, exec_lo
.LBB407_81:
	s_or_b32 exec_lo, exec_lo, s19
	v_cndmask_b32_e64 v46, v11, v45, s17
	v_cndmask_b32_e64 v47, v14, v13, s17
	s_mov_b32 s19, exec_lo
	v_add_nc_u32_e32 v46, 1, v46
	v_add_nc_u32_e32 v47, -1, v47
	v_cndmask_b32_e64 v48, v46, v11, s17
	v_min_u32_e32 v47, v46, v47
	v_lshl_add_u32 v47, v47, 2, v16
	ds_read_b32 v47, v47
	s_waitcnt lgkmcnt(0)
	v_cndmask_b32_e64 v11, v44, v47, s17
	v_cmpx_lt_u32_e64 v48, v14
	s_cbranch_execz .LBB407_85
; %bb.82:
	v_cndmask_b32_e64 v45, v45, v46, s17
	v_cndmask_b32_e64 v14, v47, v43, s17
	s_mov_b32 s20, exec_lo
	v_cmpx_lt_u32_e64 v45, v13
	s_cbranch_execz .LBB407_84
; %bb.83:
	v_lshrrev_b32_e32 v13, 31, v14
	v_lshrrev_b32_e32 v45, 31, v11
	v_cmp_ge_i32_e32 vcc_lo, v14, v11
	v_add_nc_u32_e32 v13, v14, v13
	v_add_nc_u32_e32 v45, v11, v45
	v_cndmask_b32_e64 v46, 0, 1, vcc_lo
	v_and_b32_e32 v13, -2, v13
	v_and_b32_e32 v45, -2, v45
	v_sub_nc_u32_e32 v13, v14, v13
	v_sub_nc_u32_e32 v45, v11, v45
	v_cmp_ne_u32_e32 vcc_lo, 0, v13
	v_cndmask_b32_e64 v47, 0, 1, vcc_lo
	v_cmp_eq_u32_e32 vcc_lo, v13, v45
	v_cndmask_b32_e32 v13, v47, v46, vcc_lo
	v_and_b32_e32 v13, 1, v13
	v_cmp_eq_u32_e32 vcc_lo, 1, v13
	v_cndmask_b32_e32 v14, v14, v11, vcc_lo
.LBB407_84:
	s_or_b32 exec_lo, exec_lo, s20
	v_mov_b32_e32 v11, v14
.LBB407_85:
	s_or_b32 exec_lo, exec_lo, s19
	v_cndmask_b32_e64 v9, v9, v42, s18
	v_cndmask_b32_e64 v8, v8, v41, s16
	;; [unrolled: 1-line block ×7, first 2 shown]
.LBB407_86:
	s_or_b32 exec_lo, exec_lo, s1
	v_and_b32_e32 v40, 0xc0, v18
	v_and_b32_e32 v15, 56, v18
	s_mov_b32 s0, exec_lo
	; wave barrier
	v_or_b32_e32 v13, 32, v40
	v_min_u32_e32 v41, v17, v15
	ds_write_b128 v12, v[4:7]
	ds_write_b128 v12, v[8:11] offset:16
	; wave barrier
	v_min_u32_e32 v13, v17, v13
	v_add_nc_u32_e32 v14, 32, v13
	v_sub_nc_u32_e32 v19, v13, v40
	v_min_u32_e32 v14, v17, v14
	v_min_u32_e32 v42, v41, v19
	v_lshl_add_u32 v19, v40, 2, v16
	v_sub_nc_u32_e32 v15, v14, v13
	v_sub_nc_u32_e64 v15, v41, v15 clamp
	v_cmpx_lt_u32_e64 v15, v42
	s_cbranch_execz .LBB407_90
; %bb.87:
	v_lshlrev_b32_e32 v43, 2, v13
	v_lshlrev_b32_e32 v44, 2, v41
	s_mov_b32 s1, 0
	v_add3_u32 v43, v16, v43, v44
	s_inst_prefetch 0x1
	.p2align	6
.LBB407_88:                             ; =>This Inner Loop Header: Depth=1
	v_add_nc_u32_e32 v44, v42, v15
	v_lshrrev_b32_e32 v44, 1, v44
	v_not_b32_e32 v45, v44
	v_lshl_add_u32 v46, v44, 2, v19
	v_lshl_add_u32 v45, v45, 2, v43
	ds_read_b32 v46, v46
	ds_read_b32 v45, v45
	s_waitcnt lgkmcnt(1)
	v_lshrrev_b32_e32 v48, 31, v46
	s_waitcnt lgkmcnt(0)
	v_lshrrev_b32_e32 v47, 31, v45
	v_cmp_lt_i32_e32 vcc_lo, v45, v46
	v_add_nc_u32_e32 v48, v46, v48
	v_add_nc_u32_e32 v47, v45, v47
	v_and_b32_e32 v48, -2, v48
	v_and_b32_e32 v47, -2, v47
	v_sub_nc_u32_e32 v46, v46, v48
	v_sub_nc_u32_e32 v47, v45, v47
	v_cndmask_b32_e64 v45, 0, 1, vcc_lo
	v_cmp_eq_u32_e32 vcc_lo, 0, v47
	v_cndmask_b32_e64 v48, 0, 1, vcc_lo
	v_cmp_eq_u32_e32 vcc_lo, v47, v46
	v_add_nc_u32_e32 v46, 1, v44
	v_cndmask_b32_e32 v45, v48, v45, vcc_lo
	v_and_b32_e32 v45, 1, v45
	v_cmp_eq_u32_e32 vcc_lo, 1, v45
	v_cndmask_b32_e32 v42, v42, v44, vcc_lo
	v_cndmask_b32_e32 v15, v46, v15, vcc_lo
	v_cmp_ge_u32_e32 vcc_lo, v15, v42
	s_or_b32 s1, vcc_lo, s1
	s_andn2_b32 exec_lo, exec_lo, s1
	s_cbranch_execnz .LBB407_88
; %bb.89:
	s_inst_prefetch 0x2
	s_or_b32 exec_lo, exec_lo, s1
.LBB407_90:
	s_or_b32 exec_lo, exec_lo, s0
	v_add_nc_u32_e32 v41, v13, v41
	v_add_nc_u32_e32 v40, v15, v40
	v_sub_nc_u32_e32 v41, v41, v15
	v_cmp_le_u32_e32 vcc_lo, v40, v13
	v_cmp_le_u32_e64 s0, v41, v14
	s_or_b32 s0, vcc_lo, s0
	s_and_saveexec_b32 s1, s0
	s_cbranch_execz .LBB407_126
; %bb.91:
	s_mov_b32 s4, exec_lo
	v_cmp_ge_u32_e32 vcc_lo, v40, v13
                                        ; implicit-def: $vgpr4
	v_cmpx_lt_u32_e64 v40, v13
; %bb.92:
	v_lshl_add_u32 v4, v15, 2, v19
	ds_read_b32 v4, v4
; %bb.93:
	s_or_b32 exec_lo, exec_lo, s4
	v_cmp_ge_u32_e64 s4, v41, v14
	s_mov_b32 s5, exec_lo
                                        ; implicit-def: $vgpr10
	v_cmpx_lt_u32_e64 v41, v14
; %bb.94:
	v_lshl_add_u32 v5, v41, 2, v16
	ds_read_b32 v10, v5
; %bb.95:
	s_or_b32 exec_lo, exec_lo, s5
	s_nor_b32 s5, vcc_lo, s4
	s_and_saveexec_b32 s0, s5
	s_cbranch_execz .LBB407_97
; %bb.96:
	s_waitcnt lgkmcnt(0)
	v_lshrrev_b32_e32 v5, 31, v10
	v_lshrrev_b32_e32 v6, 31, v4
	v_cmp_ge_i32_e32 vcc_lo, v10, v4
	s_andn2_b32 s4, s4, exec_lo
	v_add_nc_u32_e32 v5, v10, v5
	v_add_nc_u32_e32 v6, v4, v6
	v_cndmask_b32_e64 v7, 0, 1, vcc_lo
	v_and_b32_e32 v5, -2, v5
	v_and_b32_e32 v6, -2, v6
	v_sub_nc_u32_e32 v5, v10, v5
	v_sub_nc_u32_e32 v6, v4, v6
	v_cmp_ne_u32_e32 vcc_lo, 0, v5
	v_cndmask_b32_e64 v8, 0, 1, vcc_lo
	v_cmp_eq_u32_e32 vcc_lo, v5, v6
	v_cndmask_b32_e32 v5, v8, v7, vcc_lo
	v_and_b32_e32 v5, 1, v5
	v_cmp_eq_u32_e32 vcc_lo, 1, v5
	s_and_b32 s5, vcc_lo, exec_lo
	s_or_b32 s4, s4, s5
.LBB407_97:
	s_or_b32 exec_lo, exec_lo, s0
	v_cndmask_b32_e64 v5, v41, v40, s4
	v_cndmask_b32_e64 v6, v14, v13, s4
	s_mov_b32 s5, -1
	s_mov_b32 s0, -1
	s_mov_b32 s13, exec_lo
	v_add_nc_u32_e32 v5, 1, v5
	v_add_nc_u32_e32 v6, -1, v6
	v_cndmask_b32_e64 v7, v40, v5, s4
	v_min_u32_e32 v6, v5, v6
	v_lshl_add_u32 v6, v6, 2, v16
	ds_read_b32 v8, v6
	v_cndmask_b32_e64 v6, v5, v41, s4
	s_waitcnt lgkmcnt(0)
	v_cndmask_b32_e64 v5, v8, v10, s4
	v_cndmask_b32_e64 v15, v4, v8, s4
	v_cmpx_lt_u32_e64 v6, v14
	s_cbranch_execz .LBB407_101
; %bb.98:
	s_mov_b32 s16, 0
	s_mov_b32 s0, exec_lo
	v_cmpx_lt_u32_e64 v7, v13
	s_cbranch_execz .LBB407_100
; %bb.99:
	v_lshrrev_b32_e32 v8, 31, v5
	v_lshrrev_b32_e32 v9, 31, v15
	v_cmp_ge_i32_e32 vcc_lo, v5, v15
	v_add_nc_u32_e32 v8, v5, v8
	v_add_nc_u32_e32 v9, v15, v9
	v_cndmask_b32_e64 v11, 0, 1, vcc_lo
	v_and_b32_e32 v8, -2, v8
	v_and_b32_e32 v9, -2, v9
	v_sub_nc_u32_e32 v8, v5, v8
	v_sub_nc_u32_e32 v9, v15, v9
	v_cmp_ne_u32_e32 vcc_lo, 0, v8
	v_cndmask_b32_e64 v19, 0, 1, vcc_lo
	v_cmp_eq_u32_e32 vcc_lo, v8, v9
	v_cndmask_b32_e32 v8, v19, v11, vcc_lo
	v_and_b32_e32 v8, 1, v8
	v_cmp_eq_u32_e32 vcc_lo, 1, v8
	s_and_b32 s16, vcc_lo, exec_lo
.LBB407_100:
	s_or_b32 exec_lo, exec_lo, s0
	s_orn2_b32 s0, s16, exec_lo
.LBB407_101:
	s_or_b32 exec_lo, exec_lo, s13
	v_cndmask_b32_e64 v8, v6, v7, s0
	v_cndmask_b32_e64 v9, v14, v13, s0
	s_mov_b32 s13, exec_lo
	v_add_nc_u32_e32 v11, 1, v8
	v_add_nc_u32_e32 v8, -1, v9
	v_cndmask_b32_e64 v7, v7, v11, s0
	v_min_u32_e32 v8, v11, v8
	v_lshl_add_u32 v8, v8, 2, v16
	ds_read_b32 v9, v8
	v_cndmask_b32_e64 v8, v11, v6, s0
	s_waitcnt lgkmcnt(0)
	v_cndmask_b32_e64 v6, v9, v5, s0
	v_cndmask_b32_e64 v19, v15, v9, s0
	v_cmpx_lt_u32_e64 v8, v14
	s_cbranch_execz .LBB407_105
; %bb.102:
	s_mov_b32 s16, 0
	s_mov_b32 s5, exec_lo
	v_cmpx_lt_u32_e64 v7, v13
	s_cbranch_execz .LBB407_104
; %bb.103:
	v_lshrrev_b32_e32 v9, 31, v6
	v_lshrrev_b32_e32 v11, 31, v19
	v_cmp_ge_i32_e32 vcc_lo, v6, v19
	v_add_nc_u32_e32 v9, v6, v9
	v_add_nc_u32_e32 v11, v19, v11
	v_cndmask_b32_e64 v40, 0, 1, vcc_lo
	v_and_b32_e32 v9, -2, v9
	v_and_b32_e32 v11, -2, v11
	v_sub_nc_u32_e32 v9, v6, v9
	v_sub_nc_u32_e32 v11, v19, v11
	v_cmp_ne_u32_e32 vcc_lo, 0, v9
	v_cndmask_b32_e64 v41, 0, 1, vcc_lo
	v_cmp_eq_u32_e32 vcc_lo, v9, v11
	v_cndmask_b32_e32 v9, v41, v40, vcc_lo
	v_and_b32_e32 v9, 1, v9
	v_cmp_eq_u32_e32 vcc_lo, 1, v9
	s_and_b32 s16, vcc_lo, exec_lo
.LBB407_104:
	s_or_b32 exec_lo, exec_lo, s5
	s_orn2_b32 s5, s16, exec_lo
.LBB407_105:
	s_or_b32 exec_lo, exec_lo, s13
	v_cndmask_b32_e64 v9, v8, v7, s5
	v_cndmask_b32_e64 v11, v14, v13, s5
	s_mov_b32 s16, -1
	s_mov_b32 s13, -1
	s_mov_b32 s17, exec_lo
	v_add_nc_u32_e32 v9, 1, v9
	v_add_nc_u32_e32 v11, -1, v11
	v_cndmask_b32_e64 v8, v9, v8, s5
	v_min_u32_e32 v11, v9, v11
	v_cndmask_b32_e64 v9, v7, v9, s5
	v_lshl_add_u32 v11, v11, 2, v16
	ds_read_b32 v11, v11
	s_waitcnt lgkmcnt(0)
	v_cndmask_b32_e64 v7, v11, v6, s5
	v_cndmask_b32_e64 v40, v19, v11, s5
	v_cmpx_lt_u32_e64 v8, v14
	s_cbranch_execz .LBB407_109
; %bb.106:
	s_mov_b32 s18, 0
	s_mov_b32 s13, exec_lo
	v_cmpx_lt_u32_e64 v9, v13
	s_cbranch_execz .LBB407_108
; %bb.107:
	v_lshrrev_b32_e32 v11, 31, v7
	v_lshrrev_b32_e32 v41, 31, v40
	v_cmp_ge_i32_e32 vcc_lo, v7, v40
	v_add_nc_u32_e32 v11, v7, v11
	v_add_nc_u32_e32 v41, v40, v41
	v_cndmask_b32_e64 v42, 0, 1, vcc_lo
	v_and_b32_e32 v11, -2, v11
	v_and_b32_e32 v41, -2, v41
	v_sub_nc_u32_e32 v11, v7, v11
	v_sub_nc_u32_e32 v41, v40, v41
	v_cmp_ne_u32_e32 vcc_lo, 0, v11
	v_cndmask_b32_e64 v43, 0, 1, vcc_lo
	v_cmp_eq_u32_e32 vcc_lo, v11, v41
	v_cndmask_b32_e32 v11, v43, v42, vcc_lo
	v_and_b32_e32 v11, 1, v11
	v_cmp_eq_u32_e32 vcc_lo, 1, v11
	s_and_b32 s18, vcc_lo, exec_lo
.LBB407_108:
	s_or_b32 exec_lo, exec_lo, s13
	s_orn2_b32 s13, s18, exec_lo
.LBB407_109:
	s_or_b32 exec_lo, exec_lo, s17
	v_cndmask_b32_e64 v11, v8, v9, s13
	v_cndmask_b32_e64 v41, v14, v13, s13
	s_mov_b32 s17, exec_lo
	v_add_nc_u32_e32 v42, 1, v11
	v_add_nc_u32_e32 v11, -1, v41
	v_cndmask_b32_e64 v9, v9, v42, s13
	v_min_u32_e32 v11, v42, v11
	v_lshl_add_u32 v11, v11, 2, v16
	ds_read_b32 v41, v11
	v_cndmask_b32_e64 v11, v42, v8, s13
	s_waitcnt lgkmcnt(0)
	v_cndmask_b32_e64 v8, v41, v7, s13
	v_cndmask_b32_e64 v41, v40, v41, s13
	v_cmpx_lt_u32_e64 v11, v14
	s_cbranch_execz .LBB407_113
; %bb.110:
	s_mov_b32 s18, 0
	s_mov_b32 s16, exec_lo
	v_cmpx_lt_u32_e64 v9, v13
	s_cbranch_execz .LBB407_112
; %bb.111:
	v_lshrrev_b32_e32 v42, 31, v8
	v_lshrrev_b32_e32 v43, 31, v41
	v_cmp_ge_i32_e32 vcc_lo, v8, v41
	v_add_nc_u32_e32 v42, v8, v42
	v_add_nc_u32_e32 v43, v41, v43
	v_cndmask_b32_e64 v44, 0, 1, vcc_lo
	v_and_b32_e32 v42, -2, v42
	v_and_b32_e32 v43, -2, v43
	v_sub_nc_u32_e32 v42, v8, v42
	v_sub_nc_u32_e32 v43, v41, v43
	v_cmp_ne_u32_e32 vcc_lo, 0, v42
	v_cndmask_b32_e64 v45, 0, 1, vcc_lo
	v_cmp_eq_u32_e32 vcc_lo, v42, v43
	v_cndmask_b32_e32 v42, v45, v44, vcc_lo
	v_and_b32_e32 v42, 1, v42
	v_cmp_eq_u32_e32 vcc_lo, 1, v42
	s_and_b32 s18, vcc_lo, exec_lo
.LBB407_112:
	s_or_b32 exec_lo, exec_lo, s16
	s_orn2_b32 s16, s18, exec_lo
.LBB407_113:
	s_or_b32 exec_lo, exec_lo, s17
	v_cndmask_b32_e64 v42, v11, v9, s16
	v_cndmask_b32_e64 v43, v14, v13, s16
	s_mov_b32 s17, -1
	s_mov_b32 s18, -1
	s_mov_b32 s19, exec_lo
	v_add_nc_u32_e32 v42, 1, v42
	v_add_nc_u32_e32 v43, -1, v43
	v_cndmask_b32_e64 v11, v42, v11, s16
	v_min_u32_e32 v43, v42, v43
	v_lshl_add_u32 v43, v43, 2, v16
	ds_read_b32 v44, v43
	v_cndmask_b32_e64 v43, v9, v42, s16
	s_waitcnt lgkmcnt(0)
	v_cndmask_b32_e64 v9, v44, v8, s16
	v_cndmask_b32_e64 v42, v41, v44, s16
	v_cmpx_lt_u32_e64 v11, v14
	s_cbranch_execz .LBB407_117
; %bb.114:
	s_mov_b32 s20, 0
	s_mov_b32 s18, exec_lo
	v_cmpx_lt_u32_e64 v43, v13
	s_cbranch_execz .LBB407_116
; %bb.115:
	v_lshrrev_b32_e32 v44, 31, v9
	v_lshrrev_b32_e32 v45, 31, v42
	v_cmp_ge_i32_e32 vcc_lo, v9, v42
	v_add_nc_u32_e32 v44, v9, v44
	v_add_nc_u32_e32 v45, v42, v45
	v_cndmask_b32_e64 v46, 0, 1, vcc_lo
	v_and_b32_e32 v44, -2, v44
	v_and_b32_e32 v45, -2, v45
	v_sub_nc_u32_e32 v44, v9, v44
	v_sub_nc_u32_e32 v45, v42, v45
	v_cmp_ne_u32_e32 vcc_lo, 0, v44
	v_cndmask_b32_e64 v47, 0, 1, vcc_lo
	v_cmp_eq_u32_e32 vcc_lo, v44, v45
	v_cndmask_b32_e32 v44, v47, v46, vcc_lo
	v_and_b32_e32 v44, 1, v44
	v_cmp_eq_u32_e32 vcc_lo, 1, v44
	s_and_b32 s20, vcc_lo, exec_lo
.LBB407_116:
	s_or_b32 exec_lo, exec_lo, s18
	s_orn2_b32 s18, s20, exec_lo
.LBB407_117:
	s_or_b32 exec_lo, exec_lo, s19
	v_cndmask_b32_e64 v44, v11, v43, s18
	v_cndmask_b32_e64 v45, v14, v13, s18
	s_mov_b32 s19, exec_lo
	v_add_nc_u32_e32 v44, 1, v44
	v_add_nc_u32_e32 v45, -1, v45
	v_cndmask_b32_e64 v11, v44, v11, s18
	v_min_u32_e32 v45, v44, v45
	v_lshl_add_u32 v45, v45, 2, v16
	ds_read_b32 v46, v45
	v_cndmask_b32_e64 v45, v43, v44, s18
	s_waitcnt lgkmcnt(0)
	v_cndmask_b32_e64 v43, v46, v9, s18
	v_cndmask_b32_e64 v44, v42, v46, s18
	v_cmpx_lt_u32_e64 v11, v14
	s_cbranch_execz .LBB407_121
; %bb.118:
	s_mov_b32 s20, 0
	s_mov_b32 s17, exec_lo
	v_cmpx_lt_u32_e64 v45, v13
	s_cbranch_execz .LBB407_120
; %bb.119:
	v_lshrrev_b32_e32 v46, 31, v43
	v_lshrrev_b32_e32 v47, 31, v44
	v_cmp_ge_i32_e32 vcc_lo, v43, v44
	v_add_nc_u32_e32 v46, v43, v46
	v_add_nc_u32_e32 v47, v44, v47
	v_cndmask_b32_e64 v48, 0, 1, vcc_lo
	v_and_b32_e32 v46, -2, v46
	v_and_b32_e32 v47, -2, v47
	v_sub_nc_u32_e32 v46, v43, v46
	v_sub_nc_u32_e32 v47, v44, v47
	v_cmp_ne_u32_e32 vcc_lo, 0, v46
	v_cndmask_b32_e64 v49, 0, 1, vcc_lo
	v_cmp_eq_u32_e32 vcc_lo, v46, v47
	v_cndmask_b32_e32 v46, v49, v48, vcc_lo
	v_and_b32_e32 v46, 1, v46
	v_cmp_eq_u32_e32 vcc_lo, 1, v46
	s_and_b32 s20, vcc_lo, exec_lo
.LBB407_120:
	s_or_b32 exec_lo, exec_lo, s17
	s_orn2_b32 s17, s20, exec_lo
.LBB407_121:
	s_or_b32 exec_lo, exec_lo, s19
	v_cndmask_b32_e64 v46, v11, v45, s17
	v_cndmask_b32_e64 v47, v14, v13, s17
	s_mov_b32 s19, exec_lo
	v_add_nc_u32_e32 v46, 1, v46
	v_add_nc_u32_e32 v47, -1, v47
	v_cndmask_b32_e64 v48, v46, v11, s17
	v_min_u32_e32 v47, v46, v47
	v_lshl_add_u32 v47, v47, 2, v16
	ds_read_b32 v47, v47
	s_waitcnt lgkmcnt(0)
	v_cndmask_b32_e64 v11, v44, v47, s17
	v_cmpx_lt_u32_e64 v48, v14
	s_cbranch_execz .LBB407_125
; %bb.122:
	v_cndmask_b32_e64 v45, v45, v46, s17
	v_cndmask_b32_e64 v14, v47, v43, s17
	s_mov_b32 s20, exec_lo
	v_cmpx_lt_u32_e64 v45, v13
	s_cbranch_execz .LBB407_124
; %bb.123:
	v_lshrrev_b32_e32 v13, 31, v14
	v_lshrrev_b32_e32 v45, 31, v11
	v_cmp_ge_i32_e32 vcc_lo, v14, v11
	v_add_nc_u32_e32 v13, v14, v13
	v_add_nc_u32_e32 v45, v11, v45
	v_cndmask_b32_e64 v46, 0, 1, vcc_lo
	v_and_b32_e32 v13, -2, v13
	v_and_b32_e32 v45, -2, v45
	v_sub_nc_u32_e32 v13, v14, v13
	v_sub_nc_u32_e32 v45, v11, v45
	v_cmp_ne_u32_e32 vcc_lo, 0, v13
	v_cndmask_b32_e64 v47, 0, 1, vcc_lo
	v_cmp_eq_u32_e32 vcc_lo, v13, v45
	v_cndmask_b32_e32 v13, v47, v46, vcc_lo
	v_and_b32_e32 v13, 1, v13
	v_cmp_eq_u32_e32 vcc_lo, 1, v13
	v_cndmask_b32_e32 v14, v14, v11, vcc_lo
.LBB407_124:
	s_or_b32 exec_lo, exec_lo, s20
	v_mov_b32_e32 v11, v14
.LBB407_125:
	s_or_b32 exec_lo, exec_lo, s19
	v_cndmask_b32_e64 v9, v9, v42, s18
	v_cndmask_b32_e64 v8, v8, v41, s16
	;; [unrolled: 1-line block ×7, first 2 shown]
.LBB407_126:
	s_or_b32 exec_lo, exec_lo, s1
	v_and_b32_e32 v19, 0x80, v18
	v_and_b32_e32 v15, 0x78, v18
	s_mov_b32 s0, exec_lo
	; wave barrier
	v_or_b32_e32 v13, 64, v19
	v_min_u32_e32 v18, v17, v15
	ds_write_b128 v12, v[4:7]
	ds_write_b128 v12, v[8:11] offset:16
	; wave barrier
	v_min_u32_e32 v13, v17, v13
	v_add_nc_u32_e32 v14, 64, v13
	v_min_u32_e32 v14, v17, v14
	v_sub_nc_u32_e32 v17, v13, v19
	v_sub_nc_u32_e32 v15, v14, v13
	v_min_u32_e32 v40, v18, v17
	v_lshl_add_u32 v17, v19, 2, v16
	v_sub_nc_u32_e64 v15, v18, v15 clamp
	v_cmpx_lt_u32_e64 v15, v40
	s_cbranch_execz .LBB407_130
; %bb.127:
	v_lshlrev_b32_e32 v12, 2, v13
	v_lshlrev_b32_e32 v41, 2, v18
	s_mov_b32 s1, 0
	v_add3_u32 v12, v16, v12, v41
	s_inst_prefetch 0x1
	.p2align	6
.LBB407_128:                            ; =>This Inner Loop Header: Depth=1
	v_add_nc_u32_e32 v41, v40, v15
	v_lshrrev_b32_e32 v41, 1, v41
	v_not_b32_e32 v42, v41
	v_lshl_add_u32 v43, v41, 2, v17
	v_lshl_add_u32 v42, v42, 2, v12
	ds_read_b32 v43, v43
	ds_read_b32 v42, v42
	s_waitcnt lgkmcnt(1)
	v_lshrrev_b32_e32 v45, 31, v43
	s_waitcnt lgkmcnt(0)
	v_lshrrev_b32_e32 v44, 31, v42
	v_cmp_lt_i32_e32 vcc_lo, v42, v43
	v_add_nc_u32_e32 v45, v43, v45
	v_add_nc_u32_e32 v44, v42, v44
	v_and_b32_e32 v45, -2, v45
	v_and_b32_e32 v44, -2, v44
	v_sub_nc_u32_e32 v43, v43, v45
	v_sub_nc_u32_e32 v44, v42, v44
	v_cndmask_b32_e64 v42, 0, 1, vcc_lo
	v_cmp_eq_u32_e32 vcc_lo, 0, v44
	v_cndmask_b32_e64 v45, 0, 1, vcc_lo
	v_cmp_eq_u32_e32 vcc_lo, v44, v43
	v_add_nc_u32_e32 v43, 1, v41
	v_cndmask_b32_e32 v42, v45, v42, vcc_lo
	v_and_b32_e32 v42, 1, v42
	v_cmp_eq_u32_e32 vcc_lo, 1, v42
	v_cndmask_b32_e32 v40, v40, v41, vcc_lo
	v_cndmask_b32_e32 v15, v43, v15, vcc_lo
	v_cmp_ge_u32_e32 vcc_lo, v15, v40
	s_or_b32 s1, vcc_lo, s1
	s_andn2_b32 exec_lo, exec_lo, s1
	s_cbranch_execnz .LBB407_128
; %bb.129:
	s_inst_prefetch 0x2
	s_or_b32 exec_lo, exec_lo, s1
.LBB407_130:
	s_or_b32 exec_lo, exec_lo, s0
	v_add_nc_u32_e32 v18, v13, v18
	v_add_nc_u32_e32 v12, v15, v19
	v_sub_nc_u32_e32 v18, v18, v15
	v_cmp_le_u32_e32 vcc_lo, v12, v13
	v_cmp_le_u32_e64 s0, v18, v14
	s_or_b32 s0, vcc_lo, s0
	s_and_saveexec_b32 s1, s0
	s_cbranch_execz .LBB407_166
; %bb.131:
	s_mov_b32 s4, exec_lo
	v_cmp_ge_u32_e32 vcc_lo, v12, v13
                                        ; implicit-def: $vgpr4
	v_cmpx_lt_u32_e64 v12, v13
; %bb.132:
	v_lshl_add_u32 v4, v15, 2, v17
	ds_read_b32 v4, v4
; %bb.133:
	s_or_b32 exec_lo, exec_lo, s4
	v_cmp_ge_u32_e64 s4, v18, v14
	s_mov_b32 s5, exec_lo
                                        ; implicit-def: $vgpr10
	v_cmpx_lt_u32_e64 v18, v14
; %bb.134:
	v_lshl_add_u32 v5, v18, 2, v16
	ds_read_b32 v10, v5
; %bb.135:
	s_or_b32 exec_lo, exec_lo, s5
	s_nor_b32 s5, vcc_lo, s4
	s_and_saveexec_b32 s0, s5
	s_cbranch_execz .LBB407_137
; %bb.136:
	s_waitcnt lgkmcnt(0)
	v_lshrrev_b32_e32 v5, 31, v10
	v_lshrrev_b32_e32 v6, 31, v4
	v_cmp_ge_i32_e32 vcc_lo, v10, v4
	s_andn2_b32 s4, s4, exec_lo
	v_add_nc_u32_e32 v5, v10, v5
	v_add_nc_u32_e32 v6, v4, v6
	v_cndmask_b32_e64 v7, 0, 1, vcc_lo
	v_and_b32_e32 v5, -2, v5
	v_and_b32_e32 v6, -2, v6
	v_sub_nc_u32_e32 v5, v10, v5
	v_sub_nc_u32_e32 v6, v4, v6
	v_cmp_ne_u32_e32 vcc_lo, 0, v5
	v_cndmask_b32_e64 v8, 0, 1, vcc_lo
	v_cmp_eq_u32_e32 vcc_lo, v5, v6
	v_cndmask_b32_e32 v5, v8, v7, vcc_lo
	v_and_b32_e32 v5, 1, v5
	v_cmp_eq_u32_e32 vcc_lo, 1, v5
	s_and_b32 s5, vcc_lo, exec_lo
	s_or_b32 s4, s4, s5
.LBB407_137:
	s_or_b32 exec_lo, exec_lo, s0
	v_cndmask_b32_e64 v5, v18, v12, s4
	v_cndmask_b32_e64 v6, v14, v13, s4
	s_mov_b32 s5, -1
	s_mov_b32 s0, -1
	s_mov_b32 s13, exec_lo
	v_add_nc_u32_e32 v5, 1, v5
	v_add_nc_u32_e32 v6, -1, v6
	v_cndmask_b32_e64 v7, v12, v5, s4
	v_min_u32_e32 v6, v5, v6
	v_lshl_add_u32 v6, v6, 2, v16
	ds_read_b32 v8, v6
	v_cndmask_b32_e64 v6, v5, v18, s4
	s_waitcnt lgkmcnt(0)
	v_cndmask_b32_e64 v5, v8, v10, s4
	v_cndmask_b32_e64 v12, v4, v8, s4
	v_cmpx_lt_u32_e64 v6, v14
	s_cbranch_execz .LBB407_141
; %bb.138:
	s_mov_b32 s16, 0
	s_mov_b32 s0, exec_lo
	v_cmpx_lt_u32_e64 v7, v13
	s_cbranch_execz .LBB407_140
; %bb.139:
	v_lshrrev_b32_e32 v8, 31, v5
	v_lshrrev_b32_e32 v9, 31, v12
	v_cmp_ge_i32_e32 vcc_lo, v5, v12
	v_add_nc_u32_e32 v8, v5, v8
	v_add_nc_u32_e32 v9, v12, v9
	v_cndmask_b32_e64 v11, 0, 1, vcc_lo
	v_and_b32_e32 v8, -2, v8
	v_and_b32_e32 v9, -2, v9
	v_sub_nc_u32_e32 v8, v5, v8
	v_sub_nc_u32_e32 v9, v12, v9
	v_cmp_ne_u32_e32 vcc_lo, 0, v8
	v_cndmask_b32_e64 v15, 0, 1, vcc_lo
	v_cmp_eq_u32_e32 vcc_lo, v8, v9
	v_cndmask_b32_e32 v8, v15, v11, vcc_lo
	v_and_b32_e32 v8, 1, v8
	v_cmp_eq_u32_e32 vcc_lo, 1, v8
	s_and_b32 s16, vcc_lo, exec_lo
.LBB407_140:
	s_or_b32 exec_lo, exec_lo, s0
	s_orn2_b32 s0, s16, exec_lo
.LBB407_141:
	s_or_b32 exec_lo, exec_lo, s13
	v_cndmask_b32_e64 v8, v6, v7, s0
	v_cndmask_b32_e64 v9, v14, v13, s0
	s_mov_b32 s13, exec_lo
	v_add_nc_u32_e32 v11, 1, v8
	v_add_nc_u32_e32 v8, -1, v9
	v_cndmask_b32_e64 v7, v7, v11, s0
	v_min_u32_e32 v8, v11, v8
	v_lshl_add_u32 v8, v8, 2, v16
	ds_read_b32 v9, v8
	v_cndmask_b32_e64 v8, v11, v6, s0
	s_waitcnt lgkmcnt(0)
	v_cndmask_b32_e64 v6, v9, v5, s0
	v_cndmask_b32_e64 v15, v12, v9, s0
	v_cmpx_lt_u32_e64 v8, v14
	s_cbranch_execz .LBB407_145
; %bb.142:
	s_mov_b32 s16, 0
	s_mov_b32 s5, exec_lo
	v_cmpx_lt_u32_e64 v7, v13
	s_cbranch_execz .LBB407_144
; %bb.143:
	v_lshrrev_b32_e32 v9, 31, v6
	v_lshrrev_b32_e32 v11, 31, v15
	v_cmp_ge_i32_e32 vcc_lo, v6, v15
	v_add_nc_u32_e32 v9, v6, v9
	v_add_nc_u32_e32 v11, v15, v11
	v_cndmask_b32_e64 v17, 0, 1, vcc_lo
	v_and_b32_e32 v9, -2, v9
	v_and_b32_e32 v11, -2, v11
	v_sub_nc_u32_e32 v9, v6, v9
	v_sub_nc_u32_e32 v11, v15, v11
	v_cmp_ne_u32_e32 vcc_lo, 0, v9
	v_cndmask_b32_e64 v18, 0, 1, vcc_lo
	v_cmp_eq_u32_e32 vcc_lo, v9, v11
	v_cndmask_b32_e32 v9, v18, v17, vcc_lo
	v_and_b32_e32 v9, 1, v9
	v_cmp_eq_u32_e32 vcc_lo, 1, v9
	s_and_b32 s16, vcc_lo, exec_lo
.LBB407_144:
	s_or_b32 exec_lo, exec_lo, s5
	s_orn2_b32 s5, s16, exec_lo
.LBB407_145:
	s_or_b32 exec_lo, exec_lo, s13
	v_cndmask_b32_e64 v9, v8, v7, s5
	v_cndmask_b32_e64 v11, v14, v13, s5
	s_mov_b32 s16, -1
	s_mov_b32 s13, -1
	s_mov_b32 s17, exec_lo
	v_add_nc_u32_e32 v9, 1, v9
	v_add_nc_u32_e32 v11, -1, v11
	v_cndmask_b32_e64 v8, v9, v8, s5
	v_min_u32_e32 v11, v9, v11
	v_cndmask_b32_e64 v9, v7, v9, s5
	v_lshl_add_u32 v11, v11, 2, v16
	ds_read_b32 v11, v11
	s_waitcnt lgkmcnt(0)
	v_cndmask_b32_e64 v7, v11, v6, s5
	v_cndmask_b32_e64 v17, v15, v11, s5
	v_cmpx_lt_u32_e64 v8, v14
	s_cbranch_execz .LBB407_149
; %bb.146:
	s_mov_b32 s18, 0
	s_mov_b32 s13, exec_lo
	v_cmpx_lt_u32_e64 v9, v13
	s_cbranch_execz .LBB407_148
; %bb.147:
	v_lshrrev_b32_e32 v11, 31, v7
	v_lshrrev_b32_e32 v18, 31, v17
	v_cmp_ge_i32_e32 vcc_lo, v7, v17
	v_add_nc_u32_e32 v11, v7, v11
	v_add_nc_u32_e32 v18, v17, v18
	v_cndmask_b32_e64 v19, 0, 1, vcc_lo
	v_and_b32_e32 v11, -2, v11
	v_and_b32_e32 v18, -2, v18
	v_sub_nc_u32_e32 v11, v7, v11
	v_sub_nc_u32_e32 v18, v17, v18
	v_cmp_ne_u32_e32 vcc_lo, 0, v11
	v_cndmask_b32_e64 v40, 0, 1, vcc_lo
	v_cmp_eq_u32_e32 vcc_lo, v11, v18
	v_cndmask_b32_e32 v11, v40, v19, vcc_lo
	v_and_b32_e32 v11, 1, v11
	v_cmp_eq_u32_e32 vcc_lo, 1, v11
	s_and_b32 s18, vcc_lo, exec_lo
.LBB407_148:
	s_or_b32 exec_lo, exec_lo, s13
	s_orn2_b32 s13, s18, exec_lo
.LBB407_149:
	s_or_b32 exec_lo, exec_lo, s17
	v_cndmask_b32_e64 v11, v8, v9, s13
	v_cndmask_b32_e64 v18, v14, v13, s13
	s_mov_b32 s17, exec_lo
	v_add_nc_u32_e32 v19, 1, v11
	v_add_nc_u32_e32 v11, -1, v18
	v_cndmask_b32_e64 v9, v9, v19, s13
	v_min_u32_e32 v11, v19, v11
	v_lshl_add_u32 v11, v11, 2, v16
	ds_read_b32 v18, v11
	v_cndmask_b32_e64 v11, v19, v8, s13
	s_waitcnt lgkmcnt(0)
	v_cndmask_b32_e64 v8, v18, v7, s13
	v_cndmask_b32_e64 v18, v17, v18, s13
	v_cmpx_lt_u32_e64 v11, v14
	s_cbranch_execz .LBB407_153
; %bb.150:
	s_mov_b32 s18, 0
	s_mov_b32 s16, exec_lo
	v_cmpx_lt_u32_e64 v9, v13
	s_cbranch_execz .LBB407_152
; %bb.151:
	v_lshrrev_b32_e32 v19, 31, v8
	v_lshrrev_b32_e32 v40, 31, v18
	v_cmp_ge_i32_e32 vcc_lo, v8, v18
	v_add_nc_u32_e32 v19, v8, v19
	v_add_nc_u32_e32 v40, v18, v40
	v_cndmask_b32_e64 v41, 0, 1, vcc_lo
	v_and_b32_e32 v19, -2, v19
	v_and_b32_e32 v40, -2, v40
	v_sub_nc_u32_e32 v19, v8, v19
	v_sub_nc_u32_e32 v40, v18, v40
	v_cmp_ne_u32_e32 vcc_lo, 0, v19
	v_cndmask_b32_e64 v42, 0, 1, vcc_lo
	v_cmp_eq_u32_e32 vcc_lo, v19, v40
	v_cndmask_b32_e32 v19, v42, v41, vcc_lo
	v_and_b32_e32 v19, 1, v19
	v_cmp_eq_u32_e32 vcc_lo, 1, v19
	s_and_b32 s18, vcc_lo, exec_lo
.LBB407_152:
	s_or_b32 exec_lo, exec_lo, s16
	s_orn2_b32 s16, s18, exec_lo
.LBB407_153:
	s_or_b32 exec_lo, exec_lo, s17
	v_cndmask_b32_e64 v19, v11, v9, s16
	v_cndmask_b32_e64 v40, v14, v13, s16
	s_mov_b32 s17, -1
	s_mov_b32 s18, -1
	s_mov_b32 s19, exec_lo
	v_add_nc_u32_e32 v19, 1, v19
	v_add_nc_u32_e32 v40, -1, v40
	v_cndmask_b32_e64 v11, v19, v11, s16
	v_min_u32_e32 v40, v19, v40
	v_lshl_add_u32 v40, v40, 2, v16
	ds_read_b32 v41, v40
	v_cndmask_b32_e64 v40, v9, v19, s16
	s_waitcnt lgkmcnt(0)
	v_cndmask_b32_e64 v9, v41, v8, s16
	v_cndmask_b32_e64 v19, v18, v41, s16
	v_cmpx_lt_u32_e64 v11, v14
	s_cbranch_execz .LBB407_157
; %bb.154:
	s_mov_b32 s20, 0
	s_mov_b32 s18, exec_lo
	v_cmpx_lt_u32_e64 v40, v13
	s_cbranch_execz .LBB407_156
; %bb.155:
	v_lshrrev_b32_e32 v41, 31, v9
	v_lshrrev_b32_e32 v42, 31, v19
	v_cmp_ge_i32_e32 vcc_lo, v9, v19
	v_add_nc_u32_e32 v41, v9, v41
	v_add_nc_u32_e32 v42, v19, v42
	v_cndmask_b32_e64 v43, 0, 1, vcc_lo
	v_and_b32_e32 v41, -2, v41
	v_and_b32_e32 v42, -2, v42
	v_sub_nc_u32_e32 v41, v9, v41
	v_sub_nc_u32_e32 v42, v19, v42
	v_cmp_ne_u32_e32 vcc_lo, 0, v41
	v_cndmask_b32_e64 v44, 0, 1, vcc_lo
	v_cmp_eq_u32_e32 vcc_lo, v41, v42
	v_cndmask_b32_e32 v41, v44, v43, vcc_lo
	v_and_b32_e32 v41, 1, v41
	v_cmp_eq_u32_e32 vcc_lo, 1, v41
	s_and_b32 s20, vcc_lo, exec_lo
.LBB407_156:
	s_or_b32 exec_lo, exec_lo, s18
	s_orn2_b32 s18, s20, exec_lo
.LBB407_157:
	s_or_b32 exec_lo, exec_lo, s19
	v_cndmask_b32_e64 v41, v11, v40, s18
	v_cndmask_b32_e64 v42, v14, v13, s18
	s_mov_b32 s19, exec_lo
	v_add_nc_u32_e32 v41, 1, v41
	v_add_nc_u32_e32 v42, -1, v42
	v_cndmask_b32_e64 v11, v41, v11, s18
	v_min_u32_e32 v42, v41, v42
	v_lshl_add_u32 v42, v42, 2, v16
	ds_read_b32 v43, v42
	v_cndmask_b32_e64 v42, v40, v41, s18
	s_waitcnt lgkmcnt(0)
	v_cndmask_b32_e64 v40, v43, v9, s18
	v_cndmask_b32_e64 v41, v19, v43, s18
	v_cmpx_lt_u32_e64 v11, v14
	s_cbranch_execz .LBB407_161
; %bb.158:
	s_mov_b32 s20, 0
	s_mov_b32 s17, exec_lo
	v_cmpx_lt_u32_e64 v42, v13
	s_cbranch_execz .LBB407_160
; %bb.159:
	v_lshrrev_b32_e32 v43, 31, v40
	v_lshrrev_b32_e32 v44, 31, v41
	v_cmp_ge_i32_e32 vcc_lo, v40, v41
	v_add_nc_u32_e32 v43, v40, v43
	v_add_nc_u32_e32 v44, v41, v44
	v_cndmask_b32_e64 v45, 0, 1, vcc_lo
	v_and_b32_e32 v43, -2, v43
	v_and_b32_e32 v44, -2, v44
	v_sub_nc_u32_e32 v43, v40, v43
	v_sub_nc_u32_e32 v44, v41, v44
	v_cmp_ne_u32_e32 vcc_lo, 0, v43
	v_cndmask_b32_e64 v46, 0, 1, vcc_lo
	v_cmp_eq_u32_e32 vcc_lo, v43, v44
	v_cndmask_b32_e32 v43, v46, v45, vcc_lo
	v_and_b32_e32 v43, 1, v43
	v_cmp_eq_u32_e32 vcc_lo, 1, v43
	s_and_b32 s20, vcc_lo, exec_lo
.LBB407_160:
	s_or_b32 exec_lo, exec_lo, s17
	s_orn2_b32 s17, s20, exec_lo
.LBB407_161:
	s_or_b32 exec_lo, exec_lo, s19
	v_cndmask_b32_e64 v43, v11, v42, s17
	v_cndmask_b32_e64 v44, v14, v13, s17
	s_mov_b32 s19, exec_lo
	v_add_nc_u32_e32 v43, 1, v43
	v_add_nc_u32_e32 v44, -1, v44
	v_min_u32_e32 v44, v43, v44
	v_lshl_add_u32 v16, v44, 2, v16
	v_cndmask_b32_e64 v44, v43, v11, s17
	ds_read_b32 v16, v16
	s_waitcnt lgkmcnt(0)
	v_cndmask_b32_e64 v11, v41, v16, s17
	v_cmpx_lt_u32_e64 v44, v14
	s_cbranch_execz .LBB407_165
; %bb.162:
	v_cndmask_b32_e64 v42, v42, v43, s17
	v_cndmask_b32_e64 v14, v16, v40, s17
	s_mov_b32 s20, exec_lo
	v_cmpx_lt_u32_e64 v42, v13
	s_cbranch_execz .LBB407_164
; %bb.163:
	v_lshrrev_b32_e32 v13, 31, v14
	v_lshrrev_b32_e32 v16, 31, v11
	v_cmp_ge_i32_e32 vcc_lo, v14, v11
	v_add_nc_u32_e32 v13, v14, v13
	v_add_nc_u32_e32 v16, v11, v16
	v_cndmask_b32_e64 v42, 0, 1, vcc_lo
	v_and_b32_e32 v13, -2, v13
	v_and_b32_e32 v16, -2, v16
	v_sub_nc_u32_e32 v13, v14, v13
	v_sub_nc_u32_e32 v16, v11, v16
	v_cmp_ne_u32_e32 vcc_lo, 0, v13
	v_cndmask_b32_e64 v43, 0, 1, vcc_lo
	v_cmp_eq_u32_e32 vcc_lo, v13, v16
	v_cndmask_b32_e32 v13, v43, v42, vcc_lo
	v_and_b32_e32 v13, 1, v13
	v_cmp_eq_u32_e32 vcc_lo, 1, v13
	v_cndmask_b32_e32 v14, v14, v11, vcc_lo
.LBB407_164:
	s_or_b32 exec_lo, exec_lo, s20
	v_mov_b32_e32 v11, v14
.LBB407_165:
	s_or_b32 exec_lo, exec_lo, s19
	v_cndmask_b32_e64 v9, v9, v19, s18
	v_cndmask_b32_e64 v8, v8, v18, s16
	v_cndmask_b32_e64 v7, v7, v17, s13
	v_cndmask_b32_e64 v6, v6, v15, s5
	v_cndmask_b32_e64 v5, v5, v12, s0
	v_cndmask_b32_e64 v4, v10, v4, s4
	v_cndmask_b32_e64 v10, v40, v41, s17
.LBB407_166:
	s_or_b32 exec_lo, exec_lo, s1
	v_lshlrev_b32_e32 v12, 3, v0
	s_mov_b32 s0, exec_lo
	; wave barrier
	s_waitcnt lgkmcnt(0)
	v_and_b32_e32 v17, 0x700, v12
	v_and_b32_e32 v18, 0xf8, v12
	s_barrier
	buffer_gl0_inv
	ds_write_b128 v21, v[4:7]
	v_or_b32_e32 v13, 0x80, v17
	v_add_nc_u32_e32 v14, 0x100, v17
	ds_write_b128 v21, v[8:11] offset:16
	s_waitcnt lgkmcnt(0)
	s_barrier
	v_sub_nc_u32_e32 v16, v13, v17
	v_sub_nc_u32_e32 v15, v14, v13
	buffer_gl0_inv
	v_min_u32_e32 v19, v18, v16
	v_sub_nc_u32_e64 v15, v18, v15 clamp
	v_lshlrev_b32_e32 v16, 2, v17
	v_cmpx_lt_u32_e64 v15, v19
	s_cbranch_execz .LBB407_170
; %bb.167:
	v_lshlrev_b32_e32 v40, 2, v18
	s_mov_b32 s1, 0
	v_lshl_add_u32 v40, v13, 2, v40
	s_inst_prefetch 0x1
	.p2align	6
.LBB407_168:                            ; =>This Inner Loop Header: Depth=1
	v_add_nc_u32_e32 v41, v19, v15
	v_lshrrev_b32_e32 v41, 1, v41
	v_not_b32_e32 v42, v41
	v_lshl_add_u32 v43, v41, 2, v16
	v_lshl_add_u32 v42, v42, 2, v40
	ds_read_b32 v43, v43
	ds_read_b32 v42, v42
	s_waitcnt lgkmcnt(1)
	v_lshrrev_b32_e32 v45, 31, v43
	s_waitcnt lgkmcnt(0)
	v_lshrrev_b32_e32 v44, 31, v42
	v_cmp_lt_i32_e32 vcc_lo, v42, v43
	v_add_nc_u32_e32 v45, v43, v45
	v_add_nc_u32_e32 v44, v42, v44
	v_and_b32_e32 v45, -2, v45
	v_and_b32_e32 v44, -2, v44
	v_sub_nc_u32_e32 v43, v43, v45
	v_sub_nc_u32_e32 v44, v42, v44
	v_cndmask_b32_e64 v42, 0, 1, vcc_lo
	v_cmp_eq_u32_e32 vcc_lo, 0, v44
	v_cndmask_b32_e64 v45, 0, 1, vcc_lo
	v_cmp_eq_u32_e32 vcc_lo, v44, v43
	v_add_nc_u32_e32 v43, 1, v41
	v_cndmask_b32_e32 v42, v45, v42, vcc_lo
	v_and_b32_e32 v42, 1, v42
	v_cmp_eq_u32_e32 vcc_lo, 1, v42
	v_cndmask_b32_e32 v19, v19, v41, vcc_lo
	v_cndmask_b32_e32 v15, v43, v15, vcc_lo
	v_cmp_ge_u32_e32 vcc_lo, v15, v19
	s_or_b32 s1, vcc_lo, s1
	s_andn2_b32 exec_lo, exec_lo, s1
	s_cbranch_execnz .LBB407_168
; %bb.169:
	s_inst_prefetch 0x2
	s_or_b32 exec_lo, exec_lo, s1
.LBB407_170:
	s_or_b32 exec_lo, exec_lo, s0
	v_sub_nc_u32_e32 v18, v18, v15
	v_add_nc_u32_e32 v17, v15, v17
	v_add_nc_u32_e32 v18, v18, v13
	v_cmp_le_u32_e32 vcc_lo, v17, v13
	v_cmp_le_u32_e64 s0, v18, v14
	s_or_b32 s0, vcc_lo, s0
	s_and_saveexec_b32 s1, s0
	s_cbranch_execz .LBB407_206
; %bb.171:
	s_mov_b32 s4, exec_lo
	v_cmp_ge_u32_e32 vcc_lo, v17, v13
                                        ; implicit-def: $vgpr4
	v_cmpx_lt_u32_e64 v17, v13
; %bb.172:
	v_lshl_add_u32 v4, v15, 2, v16
	ds_read_b32 v4, v4
; %bb.173:
	s_or_b32 exec_lo, exec_lo, s4
	v_cmp_ge_u32_e64 s4, v18, v14
	s_mov_b32 s5, exec_lo
                                        ; implicit-def: $vgpr10
	v_cmpx_lt_u32_e64 v18, v14
; %bb.174:
	v_lshlrev_b32_e32 v5, 2, v18
	ds_read_b32 v10, v5
; %bb.175:
	s_or_b32 exec_lo, exec_lo, s5
	s_nor_b32 s5, vcc_lo, s4
	s_and_saveexec_b32 s0, s5
	s_cbranch_execz .LBB407_177
; %bb.176:
	s_waitcnt lgkmcnt(0)
	v_lshrrev_b32_e32 v5, 31, v10
	v_lshrrev_b32_e32 v6, 31, v4
	v_cmp_ge_i32_e32 vcc_lo, v10, v4
	s_andn2_b32 s4, s4, exec_lo
	v_add_nc_u32_e32 v5, v10, v5
	v_add_nc_u32_e32 v6, v4, v6
	v_cndmask_b32_e64 v7, 0, 1, vcc_lo
	v_and_b32_e32 v5, -2, v5
	v_and_b32_e32 v6, -2, v6
	v_sub_nc_u32_e32 v5, v10, v5
	v_sub_nc_u32_e32 v6, v4, v6
	v_cmp_ne_u32_e32 vcc_lo, 0, v5
	v_cndmask_b32_e64 v8, 0, 1, vcc_lo
	v_cmp_eq_u32_e32 vcc_lo, v5, v6
	v_cndmask_b32_e32 v5, v8, v7, vcc_lo
	v_and_b32_e32 v5, 1, v5
	v_cmp_eq_u32_e32 vcc_lo, 1, v5
	s_and_b32 s5, vcc_lo, exec_lo
	s_or_b32 s4, s4, s5
.LBB407_177:
	s_or_b32 exec_lo, exec_lo, s0
	v_cndmask_b32_e64 v5, v18, v17, s4
	v_cndmask_b32_e64 v6, v14, v13, s4
	s_mov_b32 s5, -1
	s_mov_b32 s0, -1
	s_mov_b32 s13, exec_lo
	v_add_nc_u32_e32 v5, 1, v5
	v_add_nc_u32_e32 v6, -1, v6
	v_cndmask_b32_e64 v7, v17, v5, s4
	v_min_u32_e32 v6, v5, v6
	v_lshlrev_b32_e32 v6, 2, v6
	ds_read_b32 v8, v6
	v_cndmask_b32_e64 v6, v5, v18, s4
	s_waitcnt lgkmcnt(0)
	v_cndmask_b32_e64 v5, v8, v10, s4
	v_cndmask_b32_e64 v15, v4, v8, s4
	v_cmpx_lt_u32_e64 v6, v14
	s_cbranch_execz .LBB407_181
; %bb.178:
	s_mov_b32 s16, 0
	s_mov_b32 s0, exec_lo
	v_cmpx_lt_u32_e64 v7, v13
	s_cbranch_execz .LBB407_180
; %bb.179:
	v_lshrrev_b32_e32 v8, 31, v5
	v_lshrrev_b32_e32 v9, 31, v15
	v_cmp_ge_i32_e32 vcc_lo, v5, v15
	v_add_nc_u32_e32 v8, v5, v8
	v_add_nc_u32_e32 v9, v15, v9
	v_cndmask_b32_e64 v11, 0, 1, vcc_lo
	v_and_b32_e32 v8, -2, v8
	v_and_b32_e32 v9, -2, v9
	v_sub_nc_u32_e32 v8, v5, v8
	v_sub_nc_u32_e32 v9, v15, v9
	v_cmp_ne_u32_e32 vcc_lo, 0, v8
	v_cndmask_b32_e64 v16, 0, 1, vcc_lo
	v_cmp_eq_u32_e32 vcc_lo, v8, v9
	v_cndmask_b32_e32 v8, v16, v11, vcc_lo
	v_and_b32_e32 v8, 1, v8
	v_cmp_eq_u32_e32 vcc_lo, 1, v8
	s_and_b32 s16, vcc_lo, exec_lo
.LBB407_180:
	s_or_b32 exec_lo, exec_lo, s0
	s_orn2_b32 s0, s16, exec_lo
.LBB407_181:
	s_or_b32 exec_lo, exec_lo, s13
	v_cndmask_b32_e64 v8, v6, v7, s0
	v_cndmask_b32_e64 v9, v14, v13, s0
	s_mov_b32 s13, exec_lo
	v_add_nc_u32_e32 v11, 1, v8
	v_add_nc_u32_e32 v8, -1, v9
	v_cndmask_b32_e64 v7, v7, v11, s0
	v_min_u32_e32 v8, v11, v8
	v_lshlrev_b32_e32 v8, 2, v8
	ds_read_b32 v9, v8
	v_cndmask_b32_e64 v8, v11, v6, s0
	s_waitcnt lgkmcnt(0)
	v_cndmask_b32_e64 v6, v9, v5, s0
	v_cndmask_b32_e64 v16, v15, v9, s0
	v_cmpx_lt_u32_e64 v8, v14
	s_cbranch_execz .LBB407_185
; %bb.182:
	s_mov_b32 s16, 0
	s_mov_b32 s5, exec_lo
	v_cmpx_lt_u32_e64 v7, v13
	s_cbranch_execz .LBB407_184
; %bb.183:
	v_lshrrev_b32_e32 v9, 31, v6
	v_lshrrev_b32_e32 v11, 31, v16
	v_cmp_ge_i32_e32 vcc_lo, v6, v16
	v_add_nc_u32_e32 v9, v6, v9
	v_add_nc_u32_e32 v11, v16, v11
	v_cndmask_b32_e64 v17, 0, 1, vcc_lo
	v_and_b32_e32 v9, -2, v9
	v_and_b32_e32 v11, -2, v11
	v_sub_nc_u32_e32 v9, v6, v9
	v_sub_nc_u32_e32 v11, v16, v11
	v_cmp_ne_u32_e32 vcc_lo, 0, v9
	v_cndmask_b32_e64 v18, 0, 1, vcc_lo
	v_cmp_eq_u32_e32 vcc_lo, v9, v11
	v_cndmask_b32_e32 v9, v18, v17, vcc_lo
	v_and_b32_e32 v9, 1, v9
	v_cmp_eq_u32_e32 vcc_lo, 1, v9
	s_and_b32 s16, vcc_lo, exec_lo
.LBB407_184:
	s_or_b32 exec_lo, exec_lo, s5
	s_orn2_b32 s5, s16, exec_lo
.LBB407_185:
	s_or_b32 exec_lo, exec_lo, s13
	v_cndmask_b32_e64 v9, v8, v7, s5
	v_cndmask_b32_e64 v11, v14, v13, s5
	s_mov_b32 s16, -1
	s_mov_b32 s13, -1
	s_mov_b32 s17, exec_lo
	v_add_nc_u32_e32 v9, 1, v9
	v_add_nc_u32_e32 v11, -1, v11
	v_cndmask_b32_e64 v8, v9, v8, s5
	v_min_u32_e32 v11, v9, v11
	v_cndmask_b32_e64 v9, v7, v9, s5
	v_lshlrev_b32_e32 v11, 2, v11
	ds_read_b32 v11, v11
	s_waitcnt lgkmcnt(0)
	v_cndmask_b32_e64 v7, v11, v6, s5
	v_cndmask_b32_e64 v17, v16, v11, s5
	v_cmpx_lt_u32_e64 v8, v14
	s_cbranch_execz .LBB407_189
; %bb.186:
	s_mov_b32 s18, 0
	s_mov_b32 s13, exec_lo
	v_cmpx_lt_u32_e64 v9, v13
	s_cbranch_execz .LBB407_188
; %bb.187:
	v_lshrrev_b32_e32 v11, 31, v7
	v_lshrrev_b32_e32 v18, 31, v17
	v_cmp_ge_i32_e32 vcc_lo, v7, v17
	v_add_nc_u32_e32 v11, v7, v11
	v_add_nc_u32_e32 v18, v17, v18
	v_cndmask_b32_e64 v19, 0, 1, vcc_lo
	v_and_b32_e32 v11, -2, v11
	v_and_b32_e32 v18, -2, v18
	v_sub_nc_u32_e32 v11, v7, v11
	v_sub_nc_u32_e32 v18, v17, v18
	v_cmp_ne_u32_e32 vcc_lo, 0, v11
	v_cndmask_b32_e64 v40, 0, 1, vcc_lo
	v_cmp_eq_u32_e32 vcc_lo, v11, v18
	v_cndmask_b32_e32 v11, v40, v19, vcc_lo
	v_and_b32_e32 v11, 1, v11
	v_cmp_eq_u32_e32 vcc_lo, 1, v11
	s_and_b32 s18, vcc_lo, exec_lo
.LBB407_188:
	s_or_b32 exec_lo, exec_lo, s13
	s_orn2_b32 s13, s18, exec_lo
.LBB407_189:
	s_or_b32 exec_lo, exec_lo, s17
	v_cndmask_b32_e64 v11, v8, v9, s13
	v_cndmask_b32_e64 v18, v14, v13, s13
	s_mov_b32 s17, exec_lo
	v_add_nc_u32_e32 v19, 1, v11
	v_add_nc_u32_e32 v11, -1, v18
	v_cndmask_b32_e64 v9, v9, v19, s13
	v_min_u32_e32 v11, v19, v11
	v_lshlrev_b32_e32 v11, 2, v11
	ds_read_b32 v18, v11
	v_cndmask_b32_e64 v11, v19, v8, s13
	s_waitcnt lgkmcnt(0)
	v_cndmask_b32_e64 v8, v18, v7, s13
	v_cndmask_b32_e64 v18, v17, v18, s13
	v_cmpx_lt_u32_e64 v11, v14
	s_cbranch_execz .LBB407_193
; %bb.190:
	s_mov_b32 s18, 0
	s_mov_b32 s16, exec_lo
	v_cmpx_lt_u32_e64 v9, v13
	s_cbranch_execz .LBB407_192
; %bb.191:
	v_lshrrev_b32_e32 v19, 31, v8
	v_lshrrev_b32_e32 v40, 31, v18
	v_cmp_ge_i32_e32 vcc_lo, v8, v18
	v_add_nc_u32_e32 v19, v8, v19
	v_add_nc_u32_e32 v40, v18, v40
	v_cndmask_b32_e64 v41, 0, 1, vcc_lo
	v_and_b32_e32 v19, -2, v19
	v_and_b32_e32 v40, -2, v40
	v_sub_nc_u32_e32 v19, v8, v19
	v_sub_nc_u32_e32 v40, v18, v40
	v_cmp_ne_u32_e32 vcc_lo, 0, v19
	v_cndmask_b32_e64 v42, 0, 1, vcc_lo
	v_cmp_eq_u32_e32 vcc_lo, v19, v40
	v_cndmask_b32_e32 v19, v42, v41, vcc_lo
	v_and_b32_e32 v19, 1, v19
	v_cmp_eq_u32_e32 vcc_lo, 1, v19
	s_and_b32 s18, vcc_lo, exec_lo
.LBB407_192:
	s_or_b32 exec_lo, exec_lo, s16
	s_orn2_b32 s16, s18, exec_lo
.LBB407_193:
	s_or_b32 exec_lo, exec_lo, s17
	v_cndmask_b32_e64 v19, v11, v9, s16
	v_cndmask_b32_e64 v40, v14, v13, s16
	s_mov_b32 s17, -1
	s_mov_b32 s18, -1
	s_mov_b32 s19, exec_lo
	v_add_nc_u32_e32 v19, 1, v19
	v_add_nc_u32_e32 v40, -1, v40
	v_cndmask_b32_e64 v11, v19, v11, s16
	v_min_u32_e32 v40, v19, v40
	v_lshlrev_b32_e32 v40, 2, v40
	ds_read_b32 v41, v40
	v_cndmask_b32_e64 v40, v9, v19, s16
	s_waitcnt lgkmcnt(0)
	v_cndmask_b32_e64 v9, v41, v8, s16
	v_cndmask_b32_e64 v19, v18, v41, s16
	v_cmpx_lt_u32_e64 v11, v14
	s_cbranch_execz .LBB407_197
; %bb.194:
	s_mov_b32 s20, 0
	s_mov_b32 s18, exec_lo
	v_cmpx_lt_u32_e64 v40, v13
	s_cbranch_execz .LBB407_196
; %bb.195:
	v_lshrrev_b32_e32 v41, 31, v9
	v_lshrrev_b32_e32 v42, 31, v19
	v_cmp_ge_i32_e32 vcc_lo, v9, v19
	v_add_nc_u32_e32 v41, v9, v41
	v_add_nc_u32_e32 v42, v19, v42
	v_cndmask_b32_e64 v43, 0, 1, vcc_lo
	v_and_b32_e32 v41, -2, v41
	v_and_b32_e32 v42, -2, v42
	v_sub_nc_u32_e32 v41, v9, v41
	v_sub_nc_u32_e32 v42, v19, v42
	v_cmp_ne_u32_e32 vcc_lo, 0, v41
	v_cndmask_b32_e64 v44, 0, 1, vcc_lo
	v_cmp_eq_u32_e32 vcc_lo, v41, v42
	v_cndmask_b32_e32 v41, v44, v43, vcc_lo
	v_and_b32_e32 v41, 1, v41
	v_cmp_eq_u32_e32 vcc_lo, 1, v41
	s_and_b32 s20, vcc_lo, exec_lo
.LBB407_196:
	s_or_b32 exec_lo, exec_lo, s18
	s_orn2_b32 s18, s20, exec_lo
.LBB407_197:
	s_or_b32 exec_lo, exec_lo, s19
	v_cndmask_b32_e64 v41, v11, v40, s18
	v_cndmask_b32_e64 v42, v14, v13, s18
	s_mov_b32 s19, exec_lo
	v_add_nc_u32_e32 v41, 1, v41
	v_add_nc_u32_e32 v42, -1, v42
	v_cndmask_b32_e64 v11, v41, v11, s18
	v_min_u32_e32 v42, v41, v42
	v_lshlrev_b32_e32 v42, 2, v42
	ds_read_b32 v43, v42
	v_cndmask_b32_e64 v42, v40, v41, s18
	s_waitcnt lgkmcnt(0)
	v_cndmask_b32_e64 v40, v43, v9, s18
	v_cndmask_b32_e64 v41, v19, v43, s18
	v_cmpx_lt_u32_e64 v11, v14
	s_cbranch_execz .LBB407_201
; %bb.198:
	s_mov_b32 s20, 0
	s_mov_b32 s17, exec_lo
	v_cmpx_lt_u32_e64 v42, v13
	s_cbranch_execz .LBB407_200
; %bb.199:
	v_lshrrev_b32_e32 v43, 31, v40
	v_lshrrev_b32_e32 v44, 31, v41
	v_cmp_ge_i32_e32 vcc_lo, v40, v41
	v_add_nc_u32_e32 v43, v40, v43
	v_add_nc_u32_e32 v44, v41, v44
	v_cndmask_b32_e64 v45, 0, 1, vcc_lo
	v_and_b32_e32 v43, -2, v43
	v_and_b32_e32 v44, -2, v44
	v_sub_nc_u32_e32 v43, v40, v43
	v_sub_nc_u32_e32 v44, v41, v44
	v_cmp_ne_u32_e32 vcc_lo, 0, v43
	v_cndmask_b32_e64 v46, 0, 1, vcc_lo
	v_cmp_eq_u32_e32 vcc_lo, v43, v44
	v_cndmask_b32_e32 v43, v46, v45, vcc_lo
	v_and_b32_e32 v43, 1, v43
	v_cmp_eq_u32_e32 vcc_lo, 1, v43
	s_and_b32 s20, vcc_lo, exec_lo
.LBB407_200:
	s_or_b32 exec_lo, exec_lo, s17
	s_orn2_b32 s17, s20, exec_lo
.LBB407_201:
	s_or_b32 exec_lo, exec_lo, s19
	v_cndmask_b32_e64 v43, v11, v42, s17
	v_cndmask_b32_e64 v44, v14, v13, s17
	s_mov_b32 s19, exec_lo
	v_add_nc_u32_e32 v43, 1, v43
	v_add_nc_u32_e32 v44, -1, v44
	v_cndmask_b32_e64 v45, v43, v11, s17
	v_min_u32_e32 v44, v43, v44
	v_lshlrev_b32_e32 v44, 2, v44
	ds_read_b32 v44, v44
	s_waitcnt lgkmcnt(0)
	v_cndmask_b32_e64 v11, v41, v44, s17
	v_cmpx_lt_u32_e64 v45, v14
	s_cbranch_execz .LBB407_205
; %bb.202:
	v_cndmask_b32_e64 v42, v42, v43, s17
	v_cndmask_b32_e64 v14, v44, v40, s17
	s_mov_b32 s20, exec_lo
	v_cmpx_lt_u32_e64 v42, v13
	s_cbranch_execz .LBB407_204
; %bb.203:
	v_lshrrev_b32_e32 v13, 31, v14
	v_lshrrev_b32_e32 v42, 31, v11
	v_cmp_ge_i32_e32 vcc_lo, v14, v11
	v_add_nc_u32_e32 v13, v14, v13
	v_add_nc_u32_e32 v42, v11, v42
	v_cndmask_b32_e64 v43, 0, 1, vcc_lo
	v_and_b32_e32 v13, -2, v13
	v_and_b32_e32 v42, -2, v42
	v_sub_nc_u32_e32 v13, v14, v13
	v_sub_nc_u32_e32 v42, v11, v42
	v_cmp_ne_u32_e32 vcc_lo, 0, v13
	v_cndmask_b32_e64 v44, 0, 1, vcc_lo
	v_cmp_eq_u32_e32 vcc_lo, v13, v42
	v_cndmask_b32_e32 v13, v44, v43, vcc_lo
	v_and_b32_e32 v13, 1, v13
	v_cmp_eq_u32_e32 vcc_lo, 1, v13
	v_cndmask_b32_e32 v14, v14, v11, vcc_lo
.LBB407_204:
	s_or_b32 exec_lo, exec_lo, s20
	v_mov_b32_e32 v11, v14
.LBB407_205:
	s_or_b32 exec_lo, exec_lo, s19
	v_cndmask_b32_e64 v9, v9, v19, s18
	v_cndmask_b32_e64 v8, v8, v18, s16
	;; [unrolled: 1-line block ×7, first 2 shown]
.LBB407_206:
	s_or_b32 exec_lo, exec_lo, s1
	v_and_b32_e32 v17, 0x600, v12
	v_and_b32_e32 v18, 0x1f8, v12
	s_mov_b32 s0, exec_lo
	s_barrier
	v_or_b32_e32 v13, 0x100, v17
	v_add_nc_u32_e32 v14, 0x200, v17
	buffer_gl0_inv
	ds_write_b128 v21, v[4:7]
	ds_write_b128 v21, v[8:11] offset:16
	v_sub_nc_u32_e32 v16, v13, v17
	v_sub_nc_u32_e32 v15, v14, v13
	s_waitcnt lgkmcnt(0)
	s_barrier
	buffer_gl0_inv
	v_min_u32_e32 v19, v18, v16
	v_sub_nc_u32_e64 v15, v18, v15 clamp
	v_lshlrev_b32_e32 v16, 2, v17
	v_cmpx_lt_u32_e64 v15, v19
	s_cbranch_execz .LBB407_210
; %bb.207:
	v_lshlrev_b32_e32 v40, 2, v18
	s_mov_b32 s1, 0
	v_lshl_add_u32 v40, v13, 2, v40
	s_inst_prefetch 0x1
	.p2align	6
.LBB407_208:                            ; =>This Inner Loop Header: Depth=1
	v_add_nc_u32_e32 v41, v19, v15
	v_lshrrev_b32_e32 v41, 1, v41
	v_not_b32_e32 v42, v41
	v_lshl_add_u32 v43, v41, 2, v16
	v_lshl_add_u32 v42, v42, 2, v40
	ds_read_b32 v43, v43
	ds_read_b32 v42, v42
	s_waitcnt lgkmcnt(1)
	v_lshrrev_b32_e32 v45, 31, v43
	s_waitcnt lgkmcnt(0)
	v_lshrrev_b32_e32 v44, 31, v42
	v_cmp_lt_i32_e32 vcc_lo, v42, v43
	v_add_nc_u32_e32 v45, v43, v45
	v_add_nc_u32_e32 v44, v42, v44
	v_and_b32_e32 v45, -2, v45
	v_and_b32_e32 v44, -2, v44
	v_sub_nc_u32_e32 v43, v43, v45
	v_sub_nc_u32_e32 v44, v42, v44
	v_cndmask_b32_e64 v42, 0, 1, vcc_lo
	v_cmp_eq_u32_e32 vcc_lo, 0, v44
	v_cndmask_b32_e64 v45, 0, 1, vcc_lo
	v_cmp_eq_u32_e32 vcc_lo, v44, v43
	v_add_nc_u32_e32 v43, 1, v41
	v_cndmask_b32_e32 v42, v45, v42, vcc_lo
	v_and_b32_e32 v42, 1, v42
	v_cmp_eq_u32_e32 vcc_lo, 1, v42
	v_cndmask_b32_e32 v19, v19, v41, vcc_lo
	v_cndmask_b32_e32 v15, v43, v15, vcc_lo
	v_cmp_ge_u32_e32 vcc_lo, v15, v19
	s_or_b32 s1, vcc_lo, s1
	s_andn2_b32 exec_lo, exec_lo, s1
	s_cbranch_execnz .LBB407_208
; %bb.209:
	s_inst_prefetch 0x2
	s_or_b32 exec_lo, exec_lo, s1
.LBB407_210:
	s_or_b32 exec_lo, exec_lo, s0
	v_sub_nc_u32_e32 v18, v18, v15
	v_add_nc_u32_e32 v17, v15, v17
	v_add_nc_u32_e32 v18, v18, v13
	v_cmp_le_u32_e32 vcc_lo, v17, v13
	v_cmp_le_u32_e64 s0, v18, v14
	s_or_b32 s0, vcc_lo, s0
	s_and_saveexec_b32 s1, s0
	s_cbranch_execz .LBB407_246
; %bb.211:
	s_mov_b32 s4, exec_lo
	v_cmp_ge_u32_e32 vcc_lo, v17, v13
                                        ; implicit-def: $vgpr4
	v_cmpx_lt_u32_e64 v17, v13
; %bb.212:
	v_lshl_add_u32 v4, v15, 2, v16
	ds_read_b32 v4, v4
; %bb.213:
	s_or_b32 exec_lo, exec_lo, s4
	v_cmp_ge_u32_e64 s4, v18, v14
	s_mov_b32 s5, exec_lo
                                        ; implicit-def: $vgpr10
	v_cmpx_lt_u32_e64 v18, v14
; %bb.214:
	v_lshlrev_b32_e32 v5, 2, v18
	ds_read_b32 v10, v5
; %bb.215:
	s_or_b32 exec_lo, exec_lo, s5
	s_nor_b32 s5, vcc_lo, s4
	s_and_saveexec_b32 s0, s5
	s_cbranch_execz .LBB407_217
; %bb.216:
	s_waitcnt lgkmcnt(0)
	v_lshrrev_b32_e32 v5, 31, v10
	v_lshrrev_b32_e32 v6, 31, v4
	v_cmp_ge_i32_e32 vcc_lo, v10, v4
	s_andn2_b32 s4, s4, exec_lo
	v_add_nc_u32_e32 v5, v10, v5
	v_add_nc_u32_e32 v6, v4, v6
	v_cndmask_b32_e64 v7, 0, 1, vcc_lo
	v_and_b32_e32 v5, -2, v5
	v_and_b32_e32 v6, -2, v6
	v_sub_nc_u32_e32 v5, v10, v5
	v_sub_nc_u32_e32 v6, v4, v6
	v_cmp_ne_u32_e32 vcc_lo, 0, v5
	v_cndmask_b32_e64 v8, 0, 1, vcc_lo
	v_cmp_eq_u32_e32 vcc_lo, v5, v6
	v_cndmask_b32_e32 v5, v8, v7, vcc_lo
	v_and_b32_e32 v5, 1, v5
	v_cmp_eq_u32_e32 vcc_lo, 1, v5
	s_and_b32 s5, vcc_lo, exec_lo
	s_or_b32 s4, s4, s5
.LBB407_217:
	s_or_b32 exec_lo, exec_lo, s0
	v_cndmask_b32_e64 v5, v18, v17, s4
	v_cndmask_b32_e64 v6, v14, v13, s4
	s_mov_b32 s5, -1
	s_mov_b32 s0, -1
	s_mov_b32 s13, exec_lo
	v_add_nc_u32_e32 v5, 1, v5
	v_add_nc_u32_e32 v6, -1, v6
	v_cndmask_b32_e64 v7, v17, v5, s4
	v_min_u32_e32 v6, v5, v6
	v_lshlrev_b32_e32 v6, 2, v6
	ds_read_b32 v8, v6
	v_cndmask_b32_e64 v6, v5, v18, s4
	s_waitcnt lgkmcnt(0)
	v_cndmask_b32_e64 v5, v8, v10, s4
	v_cndmask_b32_e64 v15, v4, v8, s4
	v_cmpx_lt_u32_e64 v6, v14
	s_cbranch_execz .LBB407_221
; %bb.218:
	s_mov_b32 s16, 0
	s_mov_b32 s0, exec_lo
	v_cmpx_lt_u32_e64 v7, v13
	s_cbranch_execz .LBB407_220
; %bb.219:
	v_lshrrev_b32_e32 v8, 31, v5
	v_lshrrev_b32_e32 v9, 31, v15
	v_cmp_ge_i32_e32 vcc_lo, v5, v15
	v_add_nc_u32_e32 v8, v5, v8
	v_add_nc_u32_e32 v9, v15, v9
	v_cndmask_b32_e64 v11, 0, 1, vcc_lo
	v_and_b32_e32 v8, -2, v8
	v_and_b32_e32 v9, -2, v9
	v_sub_nc_u32_e32 v8, v5, v8
	v_sub_nc_u32_e32 v9, v15, v9
	v_cmp_ne_u32_e32 vcc_lo, 0, v8
	v_cndmask_b32_e64 v16, 0, 1, vcc_lo
	v_cmp_eq_u32_e32 vcc_lo, v8, v9
	v_cndmask_b32_e32 v8, v16, v11, vcc_lo
	v_and_b32_e32 v8, 1, v8
	v_cmp_eq_u32_e32 vcc_lo, 1, v8
	s_and_b32 s16, vcc_lo, exec_lo
.LBB407_220:
	s_or_b32 exec_lo, exec_lo, s0
	s_orn2_b32 s0, s16, exec_lo
.LBB407_221:
	s_or_b32 exec_lo, exec_lo, s13
	v_cndmask_b32_e64 v8, v6, v7, s0
	v_cndmask_b32_e64 v9, v14, v13, s0
	s_mov_b32 s13, exec_lo
	v_add_nc_u32_e32 v11, 1, v8
	v_add_nc_u32_e32 v8, -1, v9
	v_cndmask_b32_e64 v7, v7, v11, s0
	v_min_u32_e32 v8, v11, v8
	v_lshlrev_b32_e32 v8, 2, v8
	ds_read_b32 v9, v8
	v_cndmask_b32_e64 v8, v11, v6, s0
	s_waitcnt lgkmcnt(0)
	v_cndmask_b32_e64 v6, v9, v5, s0
	v_cndmask_b32_e64 v16, v15, v9, s0
	v_cmpx_lt_u32_e64 v8, v14
	s_cbranch_execz .LBB407_225
; %bb.222:
	s_mov_b32 s16, 0
	s_mov_b32 s5, exec_lo
	v_cmpx_lt_u32_e64 v7, v13
	s_cbranch_execz .LBB407_224
; %bb.223:
	v_lshrrev_b32_e32 v9, 31, v6
	v_lshrrev_b32_e32 v11, 31, v16
	v_cmp_ge_i32_e32 vcc_lo, v6, v16
	v_add_nc_u32_e32 v9, v6, v9
	v_add_nc_u32_e32 v11, v16, v11
	v_cndmask_b32_e64 v17, 0, 1, vcc_lo
	v_and_b32_e32 v9, -2, v9
	v_and_b32_e32 v11, -2, v11
	v_sub_nc_u32_e32 v9, v6, v9
	v_sub_nc_u32_e32 v11, v16, v11
	v_cmp_ne_u32_e32 vcc_lo, 0, v9
	v_cndmask_b32_e64 v18, 0, 1, vcc_lo
	v_cmp_eq_u32_e32 vcc_lo, v9, v11
	v_cndmask_b32_e32 v9, v18, v17, vcc_lo
	v_and_b32_e32 v9, 1, v9
	v_cmp_eq_u32_e32 vcc_lo, 1, v9
	s_and_b32 s16, vcc_lo, exec_lo
.LBB407_224:
	s_or_b32 exec_lo, exec_lo, s5
	s_orn2_b32 s5, s16, exec_lo
.LBB407_225:
	s_or_b32 exec_lo, exec_lo, s13
	v_cndmask_b32_e64 v9, v8, v7, s5
	v_cndmask_b32_e64 v11, v14, v13, s5
	s_mov_b32 s16, -1
	s_mov_b32 s13, -1
	s_mov_b32 s17, exec_lo
	v_add_nc_u32_e32 v9, 1, v9
	v_add_nc_u32_e32 v11, -1, v11
	v_cndmask_b32_e64 v8, v9, v8, s5
	v_min_u32_e32 v11, v9, v11
	v_cndmask_b32_e64 v9, v7, v9, s5
	v_lshlrev_b32_e32 v11, 2, v11
	ds_read_b32 v11, v11
	s_waitcnt lgkmcnt(0)
	v_cndmask_b32_e64 v7, v11, v6, s5
	v_cndmask_b32_e64 v17, v16, v11, s5
	v_cmpx_lt_u32_e64 v8, v14
	s_cbranch_execz .LBB407_229
; %bb.226:
	s_mov_b32 s18, 0
	s_mov_b32 s13, exec_lo
	v_cmpx_lt_u32_e64 v9, v13
	s_cbranch_execz .LBB407_228
; %bb.227:
	v_lshrrev_b32_e32 v11, 31, v7
	v_lshrrev_b32_e32 v18, 31, v17
	v_cmp_ge_i32_e32 vcc_lo, v7, v17
	v_add_nc_u32_e32 v11, v7, v11
	v_add_nc_u32_e32 v18, v17, v18
	v_cndmask_b32_e64 v19, 0, 1, vcc_lo
	v_and_b32_e32 v11, -2, v11
	v_and_b32_e32 v18, -2, v18
	v_sub_nc_u32_e32 v11, v7, v11
	v_sub_nc_u32_e32 v18, v17, v18
	v_cmp_ne_u32_e32 vcc_lo, 0, v11
	v_cndmask_b32_e64 v40, 0, 1, vcc_lo
	v_cmp_eq_u32_e32 vcc_lo, v11, v18
	v_cndmask_b32_e32 v11, v40, v19, vcc_lo
	v_and_b32_e32 v11, 1, v11
	v_cmp_eq_u32_e32 vcc_lo, 1, v11
	s_and_b32 s18, vcc_lo, exec_lo
.LBB407_228:
	s_or_b32 exec_lo, exec_lo, s13
	s_orn2_b32 s13, s18, exec_lo
.LBB407_229:
	s_or_b32 exec_lo, exec_lo, s17
	v_cndmask_b32_e64 v11, v8, v9, s13
	v_cndmask_b32_e64 v18, v14, v13, s13
	s_mov_b32 s17, exec_lo
	v_add_nc_u32_e32 v19, 1, v11
	v_add_nc_u32_e32 v11, -1, v18
	v_cndmask_b32_e64 v9, v9, v19, s13
	v_min_u32_e32 v11, v19, v11
	v_lshlrev_b32_e32 v11, 2, v11
	ds_read_b32 v18, v11
	v_cndmask_b32_e64 v11, v19, v8, s13
	s_waitcnt lgkmcnt(0)
	v_cndmask_b32_e64 v8, v18, v7, s13
	v_cndmask_b32_e64 v18, v17, v18, s13
	v_cmpx_lt_u32_e64 v11, v14
	s_cbranch_execz .LBB407_233
; %bb.230:
	s_mov_b32 s18, 0
	s_mov_b32 s16, exec_lo
	v_cmpx_lt_u32_e64 v9, v13
	s_cbranch_execz .LBB407_232
; %bb.231:
	v_lshrrev_b32_e32 v19, 31, v8
	v_lshrrev_b32_e32 v40, 31, v18
	v_cmp_ge_i32_e32 vcc_lo, v8, v18
	v_add_nc_u32_e32 v19, v8, v19
	v_add_nc_u32_e32 v40, v18, v40
	v_cndmask_b32_e64 v41, 0, 1, vcc_lo
	v_and_b32_e32 v19, -2, v19
	v_and_b32_e32 v40, -2, v40
	v_sub_nc_u32_e32 v19, v8, v19
	v_sub_nc_u32_e32 v40, v18, v40
	v_cmp_ne_u32_e32 vcc_lo, 0, v19
	v_cndmask_b32_e64 v42, 0, 1, vcc_lo
	v_cmp_eq_u32_e32 vcc_lo, v19, v40
	v_cndmask_b32_e32 v19, v42, v41, vcc_lo
	v_and_b32_e32 v19, 1, v19
	v_cmp_eq_u32_e32 vcc_lo, 1, v19
	s_and_b32 s18, vcc_lo, exec_lo
.LBB407_232:
	s_or_b32 exec_lo, exec_lo, s16
	s_orn2_b32 s16, s18, exec_lo
.LBB407_233:
	s_or_b32 exec_lo, exec_lo, s17
	v_cndmask_b32_e64 v19, v11, v9, s16
	v_cndmask_b32_e64 v40, v14, v13, s16
	s_mov_b32 s17, -1
	s_mov_b32 s18, -1
	s_mov_b32 s19, exec_lo
	v_add_nc_u32_e32 v19, 1, v19
	v_add_nc_u32_e32 v40, -1, v40
	v_cndmask_b32_e64 v11, v19, v11, s16
	v_min_u32_e32 v40, v19, v40
	v_lshlrev_b32_e32 v40, 2, v40
	ds_read_b32 v41, v40
	v_cndmask_b32_e64 v40, v9, v19, s16
	s_waitcnt lgkmcnt(0)
	v_cndmask_b32_e64 v9, v41, v8, s16
	v_cndmask_b32_e64 v19, v18, v41, s16
	v_cmpx_lt_u32_e64 v11, v14
	s_cbranch_execz .LBB407_237
; %bb.234:
	s_mov_b32 s20, 0
	s_mov_b32 s18, exec_lo
	v_cmpx_lt_u32_e64 v40, v13
	s_cbranch_execz .LBB407_236
; %bb.235:
	v_lshrrev_b32_e32 v41, 31, v9
	v_lshrrev_b32_e32 v42, 31, v19
	v_cmp_ge_i32_e32 vcc_lo, v9, v19
	v_add_nc_u32_e32 v41, v9, v41
	v_add_nc_u32_e32 v42, v19, v42
	v_cndmask_b32_e64 v43, 0, 1, vcc_lo
	v_and_b32_e32 v41, -2, v41
	v_and_b32_e32 v42, -2, v42
	v_sub_nc_u32_e32 v41, v9, v41
	v_sub_nc_u32_e32 v42, v19, v42
	v_cmp_ne_u32_e32 vcc_lo, 0, v41
	v_cndmask_b32_e64 v44, 0, 1, vcc_lo
	v_cmp_eq_u32_e32 vcc_lo, v41, v42
	v_cndmask_b32_e32 v41, v44, v43, vcc_lo
	v_and_b32_e32 v41, 1, v41
	v_cmp_eq_u32_e32 vcc_lo, 1, v41
	s_and_b32 s20, vcc_lo, exec_lo
.LBB407_236:
	s_or_b32 exec_lo, exec_lo, s18
	s_orn2_b32 s18, s20, exec_lo
.LBB407_237:
	s_or_b32 exec_lo, exec_lo, s19
	v_cndmask_b32_e64 v41, v11, v40, s18
	v_cndmask_b32_e64 v42, v14, v13, s18
	s_mov_b32 s19, exec_lo
	v_add_nc_u32_e32 v41, 1, v41
	v_add_nc_u32_e32 v42, -1, v42
	v_cndmask_b32_e64 v11, v41, v11, s18
	v_min_u32_e32 v42, v41, v42
	v_lshlrev_b32_e32 v42, 2, v42
	ds_read_b32 v43, v42
	v_cndmask_b32_e64 v42, v40, v41, s18
	s_waitcnt lgkmcnt(0)
	v_cndmask_b32_e64 v40, v43, v9, s18
	v_cndmask_b32_e64 v41, v19, v43, s18
	v_cmpx_lt_u32_e64 v11, v14
	s_cbranch_execz .LBB407_241
; %bb.238:
	s_mov_b32 s20, 0
	s_mov_b32 s17, exec_lo
	v_cmpx_lt_u32_e64 v42, v13
	s_cbranch_execz .LBB407_240
; %bb.239:
	v_lshrrev_b32_e32 v43, 31, v40
	v_lshrrev_b32_e32 v44, 31, v41
	v_cmp_ge_i32_e32 vcc_lo, v40, v41
	v_add_nc_u32_e32 v43, v40, v43
	v_add_nc_u32_e32 v44, v41, v44
	v_cndmask_b32_e64 v45, 0, 1, vcc_lo
	v_and_b32_e32 v43, -2, v43
	v_and_b32_e32 v44, -2, v44
	v_sub_nc_u32_e32 v43, v40, v43
	v_sub_nc_u32_e32 v44, v41, v44
	v_cmp_ne_u32_e32 vcc_lo, 0, v43
	v_cndmask_b32_e64 v46, 0, 1, vcc_lo
	v_cmp_eq_u32_e32 vcc_lo, v43, v44
	v_cndmask_b32_e32 v43, v46, v45, vcc_lo
	v_and_b32_e32 v43, 1, v43
	v_cmp_eq_u32_e32 vcc_lo, 1, v43
	s_and_b32 s20, vcc_lo, exec_lo
.LBB407_240:
	s_or_b32 exec_lo, exec_lo, s17
	s_orn2_b32 s17, s20, exec_lo
.LBB407_241:
	s_or_b32 exec_lo, exec_lo, s19
	v_cndmask_b32_e64 v43, v11, v42, s17
	v_cndmask_b32_e64 v44, v14, v13, s17
	s_mov_b32 s19, exec_lo
	v_add_nc_u32_e32 v43, 1, v43
	v_add_nc_u32_e32 v44, -1, v44
	v_cndmask_b32_e64 v45, v43, v11, s17
	v_min_u32_e32 v44, v43, v44
	v_lshlrev_b32_e32 v44, 2, v44
	ds_read_b32 v44, v44
	s_waitcnt lgkmcnt(0)
	v_cndmask_b32_e64 v11, v41, v44, s17
	v_cmpx_lt_u32_e64 v45, v14
	s_cbranch_execz .LBB407_245
; %bb.242:
	v_cndmask_b32_e64 v42, v42, v43, s17
	v_cndmask_b32_e64 v14, v44, v40, s17
	s_mov_b32 s20, exec_lo
	v_cmpx_lt_u32_e64 v42, v13
	s_cbranch_execz .LBB407_244
; %bb.243:
	v_lshrrev_b32_e32 v13, 31, v14
	v_lshrrev_b32_e32 v42, 31, v11
	v_cmp_ge_i32_e32 vcc_lo, v14, v11
	v_add_nc_u32_e32 v13, v14, v13
	v_add_nc_u32_e32 v42, v11, v42
	v_cndmask_b32_e64 v43, 0, 1, vcc_lo
	v_and_b32_e32 v13, -2, v13
	v_and_b32_e32 v42, -2, v42
	v_sub_nc_u32_e32 v13, v14, v13
	v_sub_nc_u32_e32 v42, v11, v42
	v_cmp_ne_u32_e32 vcc_lo, 0, v13
	v_cndmask_b32_e64 v44, 0, 1, vcc_lo
	v_cmp_eq_u32_e32 vcc_lo, v13, v42
	v_cndmask_b32_e32 v13, v44, v43, vcc_lo
	v_and_b32_e32 v13, 1, v13
	v_cmp_eq_u32_e32 vcc_lo, 1, v13
	v_cndmask_b32_e32 v14, v14, v11, vcc_lo
.LBB407_244:
	s_or_b32 exec_lo, exec_lo, s20
	v_mov_b32_e32 v11, v14
.LBB407_245:
	s_or_b32 exec_lo, exec_lo, s19
	v_cndmask_b32_e64 v9, v9, v19, s18
	v_cndmask_b32_e64 v8, v8, v18, s16
	;; [unrolled: 1-line block ×7, first 2 shown]
.LBB407_246:
	s_or_b32 exec_lo, exec_lo, s1
	v_and_b32_e32 v17, 0x400, v12
	v_and_b32_e32 v18, 0x3f8, v12
	s_mov_b32 s0, exec_lo
	s_barrier
	v_or_b32_e32 v13, 0x200, v17
	v_add_nc_u32_e32 v14, 0x400, v17
	buffer_gl0_inv
	ds_write_b128 v21, v[4:7]
	ds_write_b128 v21, v[8:11] offset:16
	v_sub_nc_u32_e32 v16, v13, v17
	v_sub_nc_u32_e32 v15, v14, v13
	s_waitcnt lgkmcnt(0)
	s_barrier
	buffer_gl0_inv
	v_min_u32_e32 v19, v18, v16
	v_sub_nc_u32_e64 v15, v18, v15 clamp
	v_lshlrev_b32_e32 v16, 2, v17
	v_cmpx_lt_u32_e64 v15, v19
	s_cbranch_execz .LBB407_250
; %bb.247:
	v_lshlrev_b32_e32 v40, 2, v18
	s_mov_b32 s1, 0
	v_lshl_add_u32 v40, v13, 2, v40
	s_inst_prefetch 0x1
	.p2align	6
.LBB407_248:                            ; =>This Inner Loop Header: Depth=1
	v_add_nc_u32_e32 v41, v19, v15
	v_lshrrev_b32_e32 v41, 1, v41
	v_not_b32_e32 v42, v41
	v_lshl_add_u32 v43, v41, 2, v16
	v_lshl_add_u32 v42, v42, 2, v40
	ds_read_b32 v43, v43
	ds_read_b32 v42, v42
	s_waitcnt lgkmcnt(1)
	v_lshrrev_b32_e32 v45, 31, v43
	s_waitcnt lgkmcnt(0)
	v_lshrrev_b32_e32 v44, 31, v42
	v_cmp_lt_i32_e32 vcc_lo, v42, v43
	v_add_nc_u32_e32 v45, v43, v45
	v_add_nc_u32_e32 v44, v42, v44
	v_and_b32_e32 v45, -2, v45
	v_and_b32_e32 v44, -2, v44
	v_sub_nc_u32_e32 v43, v43, v45
	v_sub_nc_u32_e32 v44, v42, v44
	v_cndmask_b32_e64 v42, 0, 1, vcc_lo
	v_cmp_eq_u32_e32 vcc_lo, 0, v44
	v_cndmask_b32_e64 v45, 0, 1, vcc_lo
	v_cmp_eq_u32_e32 vcc_lo, v44, v43
	v_add_nc_u32_e32 v43, 1, v41
	v_cndmask_b32_e32 v42, v45, v42, vcc_lo
	v_and_b32_e32 v42, 1, v42
	v_cmp_eq_u32_e32 vcc_lo, 1, v42
	v_cndmask_b32_e32 v19, v19, v41, vcc_lo
	v_cndmask_b32_e32 v15, v43, v15, vcc_lo
	v_cmp_ge_u32_e32 vcc_lo, v15, v19
	s_or_b32 s1, vcc_lo, s1
	s_andn2_b32 exec_lo, exec_lo, s1
	s_cbranch_execnz .LBB407_248
; %bb.249:
	s_inst_prefetch 0x2
	s_or_b32 exec_lo, exec_lo, s1
.LBB407_250:
	s_or_b32 exec_lo, exec_lo, s0
	v_sub_nc_u32_e32 v18, v18, v15
	v_add_nc_u32_e32 v17, v15, v17
	v_add_nc_u32_e32 v18, v18, v13
	v_cmp_le_u32_e32 vcc_lo, v17, v13
	v_cmp_le_u32_e64 s0, v18, v14
	s_or_b32 s0, vcc_lo, s0
	s_and_saveexec_b32 s1, s0
	s_cbranch_execz .LBB407_286
; %bb.251:
	s_mov_b32 s4, exec_lo
	v_cmp_ge_u32_e32 vcc_lo, v17, v13
                                        ; implicit-def: $vgpr4
	v_cmpx_lt_u32_e64 v17, v13
; %bb.252:
	v_lshl_add_u32 v4, v15, 2, v16
	ds_read_b32 v4, v4
; %bb.253:
	s_or_b32 exec_lo, exec_lo, s4
	v_cmp_ge_u32_e64 s4, v18, v14
	s_mov_b32 s5, exec_lo
                                        ; implicit-def: $vgpr10
	v_cmpx_lt_u32_e64 v18, v14
; %bb.254:
	v_lshlrev_b32_e32 v5, 2, v18
	ds_read_b32 v10, v5
; %bb.255:
	s_or_b32 exec_lo, exec_lo, s5
	s_nor_b32 s5, vcc_lo, s4
	s_and_saveexec_b32 s0, s5
	s_cbranch_execz .LBB407_257
; %bb.256:
	s_waitcnt lgkmcnt(0)
	v_lshrrev_b32_e32 v5, 31, v10
	v_lshrrev_b32_e32 v6, 31, v4
	v_cmp_ge_i32_e32 vcc_lo, v10, v4
	s_andn2_b32 s4, s4, exec_lo
	v_add_nc_u32_e32 v5, v10, v5
	v_add_nc_u32_e32 v6, v4, v6
	v_cndmask_b32_e64 v7, 0, 1, vcc_lo
	v_and_b32_e32 v5, -2, v5
	v_and_b32_e32 v6, -2, v6
	v_sub_nc_u32_e32 v5, v10, v5
	v_sub_nc_u32_e32 v6, v4, v6
	v_cmp_ne_u32_e32 vcc_lo, 0, v5
	v_cndmask_b32_e64 v8, 0, 1, vcc_lo
	v_cmp_eq_u32_e32 vcc_lo, v5, v6
	v_cndmask_b32_e32 v5, v8, v7, vcc_lo
	v_and_b32_e32 v5, 1, v5
	v_cmp_eq_u32_e32 vcc_lo, 1, v5
	s_and_b32 s5, vcc_lo, exec_lo
	s_or_b32 s4, s4, s5
.LBB407_257:
	s_or_b32 exec_lo, exec_lo, s0
	v_cndmask_b32_e64 v5, v18, v17, s4
	v_cndmask_b32_e64 v6, v14, v13, s4
	s_mov_b32 s5, -1
	s_mov_b32 s0, -1
	s_mov_b32 s13, exec_lo
	v_add_nc_u32_e32 v5, 1, v5
	v_add_nc_u32_e32 v6, -1, v6
	v_cndmask_b32_e64 v7, v17, v5, s4
	v_min_u32_e32 v6, v5, v6
	v_lshlrev_b32_e32 v6, 2, v6
	ds_read_b32 v8, v6
	v_cndmask_b32_e64 v6, v5, v18, s4
	s_waitcnt lgkmcnt(0)
	v_cndmask_b32_e64 v5, v8, v10, s4
	v_cndmask_b32_e64 v15, v4, v8, s4
	v_cmpx_lt_u32_e64 v6, v14
	s_cbranch_execz .LBB407_261
; %bb.258:
	s_mov_b32 s16, 0
	s_mov_b32 s0, exec_lo
	v_cmpx_lt_u32_e64 v7, v13
	s_cbranch_execz .LBB407_260
; %bb.259:
	v_lshrrev_b32_e32 v8, 31, v5
	v_lshrrev_b32_e32 v9, 31, v15
	v_cmp_ge_i32_e32 vcc_lo, v5, v15
	v_add_nc_u32_e32 v8, v5, v8
	v_add_nc_u32_e32 v9, v15, v9
	v_cndmask_b32_e64 v11, 0, 1, vcc_lo
	v_and_b32_e32 v8, -2, v8
	v_and_b32_e32 v9, -2, v9
	v_sub_nc_u32_e32 v8, v5, v8
	v_sub_nc_u32_e32 v9, v15, v9
	v_cmp_ne_u32_e32 vcc_lo, 0, v8
	v_cndmask_b32_e64 v16, 0, 1, vcc_lo
	v_cmp_eq_u32_e32 vcc_lo, v8, v9
	v_cndmask_b32_e32 v8, v16, v11, vcc_lo
	v_and_b32_e32 v8, 1, v8
	v_cmp_eq_u32_e32 vcc_lo, 1, v8
	s_and_b32 s16, vcc_lo, exec_lo
.LBB407_260:
	s_or_b32 exec_lo, exec_lo, s0
	s_orn2_b32 s0, s16, exec_lo
.LBB407_261:
	s_or_b32 exec_lo, exec_lo, s13
	v_cndmask_b32_e64 v8, v6, v7, s0
	v_cndmask_b32_e64 v9, v14, v13, s0
	s_mov_b32 s13, exec_lo
	v_add_nc_u32_e32 v11, 1, v8
	v_add_nc_u32_e32 v8, -1, v9
	v_cndmask_b32_e64 v7, v7, v11, s0
	v_min_u32_e32 v8, v11, v8
	v_lshlrev_b32_e32 v8, 2, v8
	ds_read_b32 v9, v8
	v_cndmask_b32_e64 v8, v11, v6, s0
	s_waitcnt lgkmcnt(0)
	v_cndmask_b32_e64 v6, v9, v5, s0
	v_cndmask_b32_e64 v16, v15, v9, s0
	v_cmpx_lt_u32_e64 v8, v14
	s_cbranch_execz .LBB407_265
; %bb.262:
	s_mov_b32 s16, 0
	s_mov_b32 s5, exec_lo
	v_cmpx_lt_u32_e64 v7, v13
	s_cbranch_execz .LBB407_264
; %bb.263:
	v_lshrrev_b32_e32 v9, 31, v6
	v_lshrrev_b32_e32 v11, 31, v16
	v_cmp_ge_i32_e32 vcc_lo, v6, v16
	v_add_nc_u32_e32 v9, v6, v9
	v_add_nc_u32_e32 v11, v16, v11
	v_cndmask_b32_e64 v17, 0, 1, vcc_lo
	v_and_b32_e32 v9, -2, v9
	v_and_b32_e32 v11, -2, v11
	v_sub_nc_u32_e32 v9, v6, v9
	v_sub_nc_u32_e32 v11, v16, v11
	v_cmp_ne_u32_e32 vcc_lo, 0, v9
	v_cndmask_b32_e64 v18, 0, 1, vcc_lo
	v_cmp_eq_u32_e32 vcc_lo, v9, v11
	v_cndmask_b32_e32 v9, v18, v17, vcc_lo
	v_and_b32_e32 v9, 1, v9
	v_cmp_eq_u32_e32 vcc_lo, 1, v9
	s_and_b32 s16, vcc_lo, exec_lo
.LBB407_264:
	s_or_b32 exec_lo, exec_lo, s5
	s_orn2_b32 s5, s16, exec_lo
.LBB407_265:
	s_or_b32 exec_lo, exec_lo, s13
	v_cndmask_b32_e64 v9, v8, v7, s5
	v_cndmask_b32_e64 v11, v14, v13, s5
	s_mov_b32 s16, -1
	s_mov_b32 s13, -1
	s_mov_b32 s17, exec_lo
	v_add_nc_u32_e32 v9, 1, v9
	v_add_nc_u32_e32 v11, -1, v11
	v_cndmask_b32_e64 v8, v9, v8, s5
	v_min_u32_e32 v11, v9, v11
	v_cndmask_b32_e64 v9, v7, v9, s5
	v_lshlrev_b32_e32 v11, 2, v11
	ds_read_b32 v11, v11
	s_waitcnt lgkmcnt(0)
	v_cndmask_b32_e64 v7, v11, v6, s5
	v_cndmask_b32_e64 v17, v16, v11, s5
	v_cmpx_lt_u32_e64 v8, v14
	s_cbranch_execz .LBB407_269
; %bb.266:
	s_mov_b32 s18, 0
	s_mov_b32 s13, exec_lo
	v_cmpx_lt_u32_e64 v9, v13
	s_cbranch_execz .LBB407_268
; %bb.267:
	v_lshrrev_b32_e32 v11, 31, v7
	v_lshrrev_b32_e32 v18, 31, v17
	v_cmp_ge_i32_e32 vcc_lo, v7, v17
	v_add_nc_u32_e32 v11, v7, v11
	v_add_nc_u32_e32 v18, v17, v18
	v_cndmask_b32_e64 v19, 0, 1, vcc_lo
	v_and_b32_e32 v11, -2, v11
	v_and_b32_e32 v18, -2, v18
	v_sub_nc_u32_e32 v11, v7, v11
	v_sub_nc_u32_e32 v18, v17, v18
	v_cmp_ne_u32_e32 vcc_lo, 0, v11
	v_cndmask_b32_e64 v40, 0, 1, vcc_lo
	v_cmp_eq_u32_e32 vcc_lo, v11, v18
	v_cndmask_b32_e32 v11, v40, v19, vcc_lo
	v_and_b32_e32 v11, 1, v11
	v_cmp_eq_u32_e32 vcc_lo, 1, v11
	s_and_b32 s18, vcc_lo, exec_lo
.LBB407_268:
	s_or_b32 exec_lo, exec_lo, s13
	s_orn2_b32 s13, s18, exec_lo
.LBB407_269:
	s_or_b32 exec_lo, exec_lo, s17
	v_cndmask_b32_e64 v11, v8, v9, s13
	v_cndmask_b32_e64 v18, v14, v13, s13
	s_mov_b32 s17, exec_lo
	v_add_nc_u32_e32 v19, 1, v11
	v_add_nc_u32_e32 v11, -1, v18
	v_cndmask_b32_e64 v9, v9, v19, s13
	v_min_u32_e32 v11, v19, v11
	v_lshlrev_b32_e32 v11, 2, v11
	ds_read_b32 v18, v11
	v_cndmask_b32_e64 v11, v19, v8, s13
	s_waitcnt lgkmcnt(0)
	v_cndmask_b32_e64 v8, v18, v7, s13
	v_cndmask_b32_e64 v18, v17, v18, s13
	v_cmpx_lt_u32_e64 v11, v14
	s_cbranch_execz .LBB407_273
; %bb.270:
	s_mov_b32 s18, 0
	s_mov_b32 s16, exec_lo
	v_cmpx_lt_u32_e64 v9, v13
	s_cbranch_execz .LBB407_272
; %bb.271:
	v_lshrrev_b32_e32 v19, 31, v8
	v_lshrrev_b32_e32 v40, 31, v18
	v_cmp_ge_i32_e32 vcc_lo, v8, v18
	v_add_nc_u32_e32 v19, v8, v19
	v_add_nc_u32_e32 v40, v18, v40
	v_cndmask_b32_e64 v41, 0, 1, vcc_lo
	v_and_b32_e32 v19, -2, v19
	v_and_b32_e32 v40, -2, v40
	v_sub_nc_u32_e32 v19, v8, v19
	v_sub_nc_u32_e32 v40, v18, v40
	v_cmp_ne_u32_e32 vcc_lo, 0, v19
	v_cndmask_b32_e64 v42, 0, 1, vcc_lo
	v_cmp_eq_u32_e32 vcc_lo, v19, v40
	v_cndmask_b32_e32 v19, v42, v41, vcc_lo
	v_and_b32_e32 v19, 1, v19
	v_cmp_eq_u32_e32 vcc_lo, 1, v19
	s_and_b32 s18, vcc_lo, exec_lo
.LBB407_272:
	s_or_b32 exec_lo, exec_lo, s16
	s_orn2_b32 s16, s18, exec_lo
.LBB407_273:
	s_or_b32 exec_lo, exec_lo, s17
	v_cndmask_b32_e64 v19, v11, v9, s16
	v_cndmask_b32_e64 v40, v14, v13, s16
	s_mov_b32 s17, -1
	s_mov_b32 s18, -1
	s_mov_b32 s19, exec_lo
	v_add_nc_u32_e32 v19, 1, v19
	v_add_nc_u32_e32 v40, -1, v40
	v_cndmask_b32_e64 v11, v19, v11, s16
	v_min_u32_e32 v40, v19, v40
	v_lshlrev_b32_e32 v40, 2, v40
	ds_read_b32 v41, v40
	v_cndmask_b32_e64 v40, v9, v19, s16
	s_waitcnt lgkmcnt(0)
	v_cndmask_b32_e64 v9, v41, v8, s16
	v_cndmask_b32_e64 v19, v18, v41, s16
	v_cmpx_lt_u32_e64 v11, v14
	s_cbranch_execz .LBB407_277
; %bb.274:
	s_mov_b32 s20, 0
	s_mov_b32 s18, exec_lo
	v_cmpx_lt_u32_e64 v40, v13
	s_cbranch_execz .LBB407_276
; %bb.275:
	v_lshrrev_b32_e32 v41, 31, v9
	v_lshrrev_b32_e32 v42, 31, v19
	v_cmp_ge_i32_e32 vcc_lo, v9, v19
	v_add_nc_u32_e32 v41, v9, v41
	v_add_nc_u32_e32 v42, v19, v42
	v_cndmask_b32_e64 v43, 0, 1, vcc_lo
	v_and_b32_e32 v41, -2, v41
	v_and_b32_e32 v42, -2, v42
	v_sub_nc_u32_e32 v41, v9, v41
	v_sub_nc_u32_e32 v42, v19, v42
	v_cmp_ne_u32_e32 vcc_lo, 0, v41
	v_cndmask_b32_e64 v44, 0, 1, vcc_lo
	v_cmp_eq_u32_e32 vcc_lo, v41, v42
	v_cndmask_b32_e32 v41, v44, v43, vcc_lo
	v_and_b32_e32 v41, 1, v41
	v_cmp_eq_u32_e32 vcc_lo, 1, v41
	s_and_b32 s20, vcc_lo, exec_lo
.LBB407_276:
	s_or_b32 exec_lo, exec_lo, s18
	s_orn2_b32 s18, s20, exec_lo
.LBB407_277:
	s_or_b32 exec_lo, exec_lo, s19
	v_cndmask_b32_e64 v41, v11, v40, s18
	v_cndmask_b32_e64 v42, v14, v13, s18
	s_mov_b32 s19, exec_lo
	v_add_nc_u32_e32 v41, 1, v41
	v_add_nc_u32_e32 v42, -1, v42
	v_cndmask_b32_e64 v11, v41, v11, s18
	v_min_u32_e32 v42, v41, v42
	v_lshlrev_b32_e32 v42, 2, v42
	ds_read_b32 v43, v42
	v_cndmask_b32_e64 v42, v40, v41, s18
	s_waitcnt lgkmcnt(0)
	v_cndmask_b32_e64 v40, v43, v9, s18
	v_cndmask_b32_e64 v41, v19, v43, s18
	v_cmpx_lt_u32_e64 v11, v14
	s_cbranch_execz .LBB407_281
; %bb.278:
	s_mov_b32 s20, 0
	s_mov_b32 s17, exec_lo
	v_cmpx_lt_u32_e64 v42, v13
	s_cbranch_execz .LBB407_280
; %bb.279:
	v_lshrrev_b32_e32 v43, 31, v40
	v_lshrrev_b32_e32 v44, 31, v41
	v_cmp_ge_i32_e32 vcc_lo, v40, v41
	v_add_nc_u32_e32 v43, v40, v43
	v_add_nc_u32_e32 v44, v41, v44
	v_cndmask_b32_e64 v45, 0, 1, vcc_lo
	v_and_b32_e32 v43, -2, v43
	v_and_b32_e32 v44, -2, v44
	v_sub_nc_u32_e32 v43, v40, v43
	v_sub_nc_u32_e32 v44, v41, v44
	v_cmp_ne_u32_e32 vcc_lo, 0, v43
	v_cndmask_b32_e64 v46, 0, 1, vcc_lo
	v_cmp_eq_u32_e32 vcc_lo, v43, v44
	v_cndmask_b32_e32 v43, v46, v45, vcc_lo
	v_and_b32_e32 v43, 1, v43
	v_cmp_eq_u32_e32 vcc_lo, 1, v43
	s_and_b32 s20, vcc_lo, exec_lo
.LBB407_280:
	s_or_b32 exec_lo, exec_lo, s17
	s_orn2_b32 s17, s20, exec_lo
.LBB407_281:
	s_or_b32 exec_lo, exec_lo, s19
	v_cndmask_b32_e64 v43, v11, v42, s17
	v_cndmask_b32_e64 v44, v14, v13, s17
	s_mov_b32 s19, exec_lo
	v_add_nc_u32_e32 v43, 1, v43
	v_add_nc_u32_e32 v44, -1, v44
	v_cndmask_b32_e64 v45, v43, v11, s17
	v_min_u32_e32 v44, v43, v44
	v_lshlrev_b32_e32 v44, 2, v44
	ds_read_b32 v44, v44
	s_waitcnt lgkmcnt(0)
	v_cndmask_b32_e64 v11, v41, v44, s17
	v_cmpx_lt_u32_e64 v45, v14
	s_cbranch_execz .LBB407_285
; %bb.282:
	v_cndmask_b32_e64 v42, v42, v43, s17
	v_cndmask_b32_e64 v14, v44, v40, s17
	s_mov_b32 s20, exec_lo
	v_cmpx_lt_u32_e64 v42, v13
	s_cbranch_execz .LBB407_284
; %bb.283:
	v_lshrrev_b32_e32 v13, 31, v14
	v_lshrrev_b32_e32 v42, 31, v11
	v_cmp_ge_i32_e32 vcc_lo, v14, v11
	v_add_nc_u32_e32 v13, v14, v13
	v_add_nc_u32_e32 v42, v11, v42
	v_cndmask_b32_e64 v43, 0, 1, vcc_lo
	v_and_b32_e32 v13, -2, v13
	v_and_b32_e32 v42, -2, v42
	v_sub_nc_u32_e32 v13, v14, v13
	v_sub_nc_u32_e32 v42, v11, v42
	v_cmp_ne_u32_e32 vcc_lo, 0, v13
	v_cndmask_b32_e64 v44, 0, 1, vcc_lo
	v_cmp_eq_u32_e32 vcc_lo, v13, v42
	v_cndmask_b32_e32 v13, v44, v43, vcc_lo
	v_and_b32_e32 v13, 1, v13
	v_cmp_eq_u32_e32 vcc_lo, 1, v13
	v_cndmask_b32_e32 v14, v14, v11, vcc_lo
.LBB407_284:
	s_or_b32 exec_lo, exec_lo, s20
	v_mov_b32_e32 v11, v14
.LBB407_285:
	s_or_b32 exec_lo, exec_lo, s19
	v_cndmask_b32_e64 v9, v9, v19, s18
	v_cndmask_b32_e64 v8, v8, v18, s16
	;; [unrolled: 1-line block ×7, first 2 shown]
.LBB407_286:
	s_or_b32 exec_lo, exec_lo, s1
	v_and_b32_e32 v13, 0x7f8, v12
	s_mov_b32 s0, exec_lo
	s_barrier
	buffer_gl0_inv
	v_subrev_nc_u32_e64 v12, 0x400, v13 clamp
	v_min_u32_e32 v14, 0x400, v13
	ds_write_b128 v21, v[4:7]
	ds_write_b128 v21, v[8:11] offset:16
	s_waitcnt lgkmcnt(0)
	s_barrier
	buffer_gl0_inv
	v_cmpx_lt_u32_e64 v12, v14
	s_cbranch_execz .LBB407_290
; %bb.287:
	v_lshlrev_b32_e32 v15, 2, v13
	s_mov_b32 s1, 0
	v_lshl_add_u32 v15, 0x400, 2, v15
	s_inst_prefetch 0x1
	.p2align	6
.LBB407_288:                            ; =>This Inner Loop Header: Depth=1
	v_add_nc_u32_e32 v16, v14, v12
	v_lshrrev_b32_e32 v16, 1, v16
	v_not_b32_e32 v17, v16
	v_lshlrev_b32_e32 v18, 2, v16
	v_lshl_add_u32 v17, v17, 2, v15
	ds_read_b32 v18, v18
	ds_read_b32 v17, v17
	s_waitcnt lgkmcnt(1)
	v_lshrrev_b32_e32 v40, 31, v18
	s_waitcnt lgkmcnt(0)
	v_lshrrev_b32_e32 v19, 31, v17
	v_cmp_lt_i32_e32 vcc_lo, v17, v18
	v_add_nc_u32_e32 v40, v18, v40
	v_add_nc_u32_e32 v19, v17, v19
	v_and_b32_e32 v40, -2, v40
	v_and_b32_e32 v19, -2, v19
	v_sub_nc_u32_e32 v18, v18, v40
	v_sub_nc_u32_e32 v19, v17, v19
	v_cndmask_b32_e64 v17, 0, 1, vcc_lo
	v_cmp_eq_u32_e32 vcc_lo, 0, v19
	v_cndmask_b32_e64 v40, 0, 1, vcc_lo
	v_cmp_eq_u32_e32 vcc_lo, v19, v18
	v_add_nc_u32_e32 v18, 1, v16
	v_cndmask_b32_e32 v17, v40, v17, vcc_lo
	v_and_b32_e32 v17, 1, v17
	v_cmp_eq_u32_e32 vcc_lo, 1, v17
	v_cndmask_b32_e32 v14, v14, v16, vcc_lo
	v_cndmask_b32_e32 v12, v18, v12, vcc_lo
	v_cmp_ge_u32_e32 vcc_lo, v12, v14
	s_or_b32 s1, vcc_lo, s1
	s_andn2_b32 exec_lo, exec_lo, s1
	s_cbranch_execnz .LBB407_288
; %bb.289:
	s_inst_prefetch 0x2
	s_or_b32 exec_lo, exec_lo, s1
.LBB407_290:
	s_or_b32 exec_lo, exec_lo, s0
	v_sub_nc_u32_e32 v13, v13, v12
	v_cmp_ge_u32_e32 vcc_lo, 0x400, v12
	v_add_nc_u32_e32 v13, 0x400, v13
	v_cmp_gt_u32_e64 s0, 0x801, v13
	s_or_b32 s0, vcc_lo, s0
	s_and_saveexec_b32 s1, s0
	s_cbranch_execz .LBB407_326
; %bb.291:
	s_mov_b32 s4, exec_lo
	v_cmp_le_u32_e32 vcc_lo, 0x400, v12
                                        ; implicit-def: $vgpr4
	v_cmpx_gt_u32_e32 0x400, v12
; %bb.292:
	v_lshlrev_b32_e32 v4, 2, v12
	ds_read_b32 v4, v4
; %bb.293:
	s_or_b32 exec_lo, exec_lo, s4
	v_cmp_lt_u32_e64 s4, 0x7ff, v13
	s_mov_b32 s5, exec_lo
                                        ; implicit-def: $vgpr10
	v_cmpx_gt_u32_e32 0x800, v13
; %bb.294:
	v_lshlrev_b32_e32 v5, 2, v13
	ds_read_b32 v10, v5
; %bb.295:
	s_or_b32 exec_lo, exec_lo, s5
	s_nor_b32 s5, vcc_lo, s4
	s_and_saveexec_b32 s0, s5
	s_cbranch_execz .LBB407_297
; %bb.296:
	s_waitcnt lgkmcnt(0)
	v_lshrrev_b32_e32 v5, 31, v10
	v_lshrrev_b32_e32 v6, 31, v4
	v_cmp_ge_i32_e32 vcc_lo, v10, v4
	s_andn2_b32 s4, s4, exec_lo
	v_add_nc_u32_e32 v5, v10, v5
	v_add_nc_u32_e32 v6, v4, v6
	v_cndmask_b32_e64 v7, 0, 1, vcc_lo
	v_and_b32_e32 v5, -2, v5
	v_and_b32_e32 v6, -2, v6
	v_sub_nc_u32_e32 v5, v10, v5
	v_sub_nc_u32_e32 v6, v4, v6
	v_cmp_ne_u32_e32 vcc_lo, 0, v5
	v_cndmask_b32_e64 v8, 0, 1, vcc_lo
	v_cmp_eq_u32_e32 vcc_lo, v5, v6
	v_cndmask_b32_e32 v5, v8, v7, vcc_lo
	v_and_b32_e32 v5, 1, v5
	v_cmp_eq_u32_e32 vcc_lo, 1, v5
	s_and_b32 s5, vcc_lo, exec_lo
	s_or_b32 s4, s4, s5
.LBB407_297:
	s_or_b32 exec_lo, exec_lo, s0
	v_cndmask_b32_e64 v5, v13, v12, s4
	v_add_nc_u32_e64 v6, 0x400, -1
	s_mov_b32 s5, -1
	s_mov_b32 s0, -1
	s_mov_b32 s13, exec_lo
	v_add_nc_u32_e32 v5, 1, v5
	v_cndmask_b32_e64 v7, 0x7ff, v6, s4
	v_cndmask_b32_e64 v8, v12, v5, s4
	v_min_u32_e32 v7, v5, v7
	v_lshlrev_b32_e32 v7, 2, v7
	ds_read_b32 v9, v7
	v_cndmask_b32_e64 v7, v5, v13, s4
	s_waitcnt lgkmcnt(0)
	v_cndmask_b32_e64 v5, v9, v10, s4
	v_cndmask_b32_e64 v12, v4, v9, s4
	v_cmpx_gt_u32_e32 0x800, v7
	s_cbranch_execz .LBB407_301
; %bb.298:
	s_mov_b32 s16, 0
	s_mov_b32 s0, exec_lo
	v_cmpx_gt_u32_e32 0x400, v8
	s_cbranch_execz .LBB407_300
; %bb.299:
	v_lshrrev_b32_e32 v9, 31, v5
	v_lshrrev_b32_e32 v11, 31, v12
	v_cmp_ge_i32_e32 vcc_lo, v5, v12
	v_add_nc_u32_e32 v9, v5, v9
	v_add_nc_u32_e32 v11, v12, v11
	v_cndmask_b32_e64 v13, 0, 1, vcc_lo
	v_and_b32_e32 v9, -2, v9
	v_and_b32_e32 v11, -2, v11
	v_sub_nc_u32_e32 v9, v5, v9
	v_sub_nc_u32_e32 v11, v12, v11
	v_cmp_ne_u32_e32 vcc_lo, 0, v9
	v_cndmask_b32_e64 v14, 0, 1, vcc_lo
	v_cmp_eq_u32_e32 vcc_lo, v9, v11
	v_cndmask_b32_e32 v9, v14, v13, vcc_lo
	v_and_b32_e32 v9, 1, v9
	v_cmp_eq_u32_e32 vcc_lo, 1, v9
	s_and_b32 s16, vcc_lo, exec_lo
.LBB407_300:
	s_or_b32 exec_lo, exec_lo, s0
	s_orn2_b32 s0, s16, exec_lo
.LBB407_301:
	s_or_b32 exec_lo, exec_lo, s13
	v_cndmask_b32_e64 v9, v7, v8, s0
	v_cndmask_b32_e64 v11, 0x7ff, v6, s0
	s_mov_b32 s13, exec_lo
	v_add_nc_u32_e32 v9, 1, v9
	v_min_u32_e32 v11, v9, v11
	v_cndmask_b32_e64 v7, v9, v7, s0
	v_cndmask_b32_e64 v9, v8, v9, s0
	v_lshlrev_b32_e32 v11, 2, v11
	ds_read_b32 v11, v11
	s_waitcnt lgkmcnt(0)
	v_cndmask_b32_e64 v13, v11, v5, s0
	v_cndmask_b32_e64 v14, v12, v11, s0
	v_cmpx_gt_u32_e32 0x800, v7
	s_cbranch_execz .LBB407_305
; %bb.302:
	s_mov_b32 s16, 0
	s_mov_b32 s5, exec_lo
	v_cmpx_gt_u32_e32 0x400, v9
	s_cbranch_execz .LBB407_304
; %bb.303:
	v_lshrrev_b32_e32 v8, 31, v13
	v_lshrrev_b32_e32 v11, 31, v14
	v_cmp_ge_i32_e32 vcc_lo, v13, v14
	v_add_nc_u32_e32 v8, v13, v8
	v_add_nc_u32_e32 v11, v14, v11
	v_cndmask_b32_e64 v15, 0, 1, vcc_lo
	v_and_b32_e32 v8, -2, v8
	v_and_b32_e32 v11, -2, v11
	v_sub_nc_u32_e32 v8, v13, v8
	v_sub_nc_u32_e32 v11, v14, v11
	v_cmp_ne_u32_e32 vcc_lo, 0, v8
	v_cndmask_b32_e64 v16, 0, 1, vcc_lo
	v_cmp_eq_u32_e32 vcc_lo, v8, v11
	v_cndmask_b32_e32 v8, v16, v15, vcc_lo
	v_and_b32_e32 v8, 1, v8
	v_cmp_eq_u32_e32 vcc_lo, 1, v8
	s_and_b32 s16, vcc_lo, exec_lo
.LBB407_304:
	s_or_b32 exec_lo, exec_lo, s5
	s_orn2_b32 s5, s16, exec_lo
.LBB407_305:
	s_or_b32 exec_lo, exec_lo, s13
	v_cndmask_b32_e64 v8, v7, v9, s5
	v_cndmask_b32_e64 v11, 0x7ff, v6, s5
	s_mov_b32 s16, -1
	s_mov_b32 s13, -1
	s_mov_b32 s17, exec_lo
	v_add_nc_u32_e32 v15, 1, v8
	v_min_u32_e32 v8, v15, v11
	v_cndmask_b32_e64 v9, v9, v15, s5
	v_lshlrev_b32_e32 v8, 2, v8
	ds_read_b32 v11, v8
	v_cndmask_b32_e64 v8, v15, v7, s5
	s_waitcnt lgkmcnt(0)
	v_cndmask_b32_e64 v7, v11, v13, s5
	v_cndmask_b32_e64 v15, v14, v11, s5
	v_cmpx_gt_u32_e32 0x800, v8
	s_cbranch_execz .LBB407_309
; %bb.306:
	s_mov_b32 s18, 0
	s_mov_b32 s13, exec_lo
	v_cmpx_gt_u32_e32 0x400, v9
	s_cbranch_execz .LBB407_308
; %bb.307:
	v_lshrrev_b32_e32 v11, 31, v7
	v_lshrrev_b32_e32 v16, 31, v15
	v_cmp_ge_i32_e32 vcc_lo, v7, v15
	v_add_nc_u32_e32 v11, v7, v11
	v_add_nc_u32_e32 v16, v15, v16
	v_cndmask_b32_e64 v17, 0, 1, vcc_lo
	v_and_b32_e32 v11, -2, v11
	v_and_b32_e32 v16, -2, v16
	v_sub_nc_u32_e32 v11, v7, v11
	v_sub_nc_u32_e32 v16, v15, v16
	v_cmp_ne_u32_e32 vcc_lo, 0, v11
	v_cndmask_b32_e64 v18, 0, 1, vcc_lo
	v_cmp_eq_u32_e32 vcc_lo, v11, v16
	v_cndmask_b32_e32 v11, v18, v17, vcc_lo
	v_and_b32_e32 v11, 1, v11
	v_cmp_eq_u32_e32 vcc_lo, 1, v11
	s_and_b32 s18, vcc_lo, exec_lo
.LBB407_308:
	s_or_b32 exec_lo, exec_lo, s13
	s_orn2_b32 s13, s18, exec_lo
.LBB407_309:
	s_or_b32 exec_lo, exec_lo, s17
	v_cndmask_b32_e64 v11, v8, v9, s13
	v_cndmask_b32_e64 v16, 0x7ff, v6, s13
	s_mov_b32 s17, exec_lo
	v_add_nc_u32_e32 v17, 1, v11
	v_min_u32_e32 v11, v17, v16
	v_cndmask_b32_e64 v9, v9, v17, s13
	v_lshlrev_b32_e32 v11, 2, v11
	ds_read_b32 v16, v11
	v_cndmask_b32_e64 v11, v17, v8, s13
	s_waitcnt lgkmcnt(0)
	v_cndmask_b32_e64 v8, v16, v7, s13
	v_cndmask_b32_e64 v16, v15, v16, s13
	v_cmpx_gt_u32_e32 0x800, v11
	s_cbranch_execz .LBB407_313
; %bb.310:
	s_mov_b32 s18, 0
	s_mov_b32 s16, exec_lo
	v_cmpx_gt_u32_e32 0x400, v9
	s_cbranch_execz .LBB407_312
; %bb.311:
	v_lshrrev_b32_e32 v17, 31, v8
	v_lshrrev_b32_e32 v18, 31, v16
	v_cmp_ge_i32_e32 vcc_lo, v8, v16
	v_add_nc_u32_e32 v17, v8, v17
	v_add_nc_u32_e32 v18, v16, v18
	v_cndmask_b32_e64 v19, 0, 1, vcc_lo
	v_and_b32_e32 v17, -2, v17
	v_and_b32_e32 v18, -2, v18
	v_sub_nc_u32_e32 v17, v8, v17
	v_sub_nc_u32_e32 v18, v16, v18
	v_cmp_ne_u32_e32 vcc_lo, 0, v17
	v_cndmask_b32_e64 v40, 0, 1, vcc_lo
	v_cmp_eq_u32_e32 vcc_lo, v17, v18
	v_cndmask_b32_e32 v17, v40, v19, vcc_lo
	v_and_b32_e32 v17, 1, v17
	v_cmp_eq_u32_e32 vcc_lo, 1, v17
	s_and_b32 s18, vcc_lo, exec_lo
.LBB407_312:
	s_or_b32 exec_lo, exec_lo, s16
	s_orn2_b32 s16, s18, exec_lo
.LBB407_313:
	s_or_b32 exec_lo, exec_lo, s17
	v_cndmask_b32_e64 v17, v11, v9, s16
	v_cndmask_b32_e64 v18, 0x7ff, v6, s16
	s_mov_b32 s17, -1
	s_mov_b32 s18, -1
	s_mov_b32 s19, exec_lo
	v_add_nc_u32_e32 v17, 1, v17
	v_min_u32_e32 v18, v17, v18
	v_cndmask_b32_e64 v11, v17, v11, s16
	v_lshlrev_b32_e32 v18, 2, v18
	ds_read_b32 v19, v18
	v_cndmask_b32_e64 v18, v9, v17, s16
	s_waitcnt lgkmcnt(0)
	v_cndmask_b32_e64 v9, v19, v8, s16
	v_cndmask_b32_e64 v17, v16, v19, s16
	v_cmpx_gt_u32_e32 0x800, v11
	s_cbranch_execz .LBB407_317
; %bb.314:
	s_mov_b32 s20, 0
	s_mov_b32 s18, exec_lo
	v_cmpx_gt_u32_e32 0x400, v18
	s_cbranch_execz .LBB407_316
; %bb.315:
	v_lshrrev_b32_e32 v19, 31, v9
	v_lshrrev_b32_e32 v40, 31, v17
	v_cmp_ge_i32_e32 vcc_lo, v9, v17
	v_add_nc_u32_e32 v19, v9, v19
	v_add_nc_u32_e32 v40, v17, v40
	v_cndmask_b32_e64 v41, 0, 1, vcc_lo
	v_and_b32_e32 v19, -2, v19
	v_and_b32_e32 v40, -2, v40
	v_sub_nc_u32_e32 v19, v9, v19
	v_sub_nc_u32_e32 v40, v17, v40
	v_cmp_ne_u32_e32 vcc_lo, 0, v19
	v_cndmask_b32_e64 v42, 0, 1, vcc_lo
	v_cmp_eq_u32_e32 vcc_lo, v19, v40
	v_cndmask_b32_e32 v19, v42, v41, vcc_lo
	v_and_b32_e32 v19, 1, v19
	v_cmp_eq_u32_e32 vcc_lo, 1, v19
	s_and_b32 s20, vcc_lo, exec_lo
.LBB407_316:
	s_or_b32 exec_lo, exec_lo, s18
	s_orn2_b32 s18, s20, exec_lo
.LBB407_317:
	s_or_b32 exec_lo, exec_lo, s19
	v_cndmask_b32_e64 v19, v11, v18, s18
	v_cndmask_b32_e64 v40, 0x7ff, v6, s18
	s_mov_b32 s19, exec_lo
	v_add_nc_u32_e32 v19, 1, v19
	v_min_u32_e32 v40, v19, v40
	v_cndmask_b32_e64 v11, v19, v11, s18
	v_lshlrev_b32_e32 v40, 2, v40
	ds_read_b32 v41, v40
	v_cndmask_b32_e64 v40, v18, v19, s18
	s_waitcnt lgkmcnt(0)
	v_cndmask_b32_e64 v18, v41, v9, s18
	v_cndmask_b32_e64 v19, v17, v41, s18
	v_cmpx_gt_u32_e32 0x800, v11
	s_cbranch_execz .LBB407_321
; %bb.318:
	s_mov_b32 s20, 0
	s_mov_b32 s17, exec_lo
	v_cmpx_gt_u32_e32 0x400, v40
	s_cbranch_execz .LBB407_320
; %bb.319:
	v_lshrrev_b32_e32 v41, 31, v18
	v_lshrrev_b32_e32 v42, 31, v19
	v_cmp_ge_i32_e32 vcc_lo, v18, v19
	v_add_nc_u32_e32 v41, v18, v41
	v_add_nc_u32_e32 v42, v19, v42
	v_cndmask_b32_e64 v43, 0, 1, vcc_lo
	v_and_b32_e32 v41, -2, v41
	v_and_b32_e32 v42, -2, v42
	v_sub_nc_u32_e32 v41, v18, v41
	v_sub_nc_u32_e32 v42, v19, v42
	v_cmp_ne_u32_e32 vcc_lo, 0, v41
	v_cndmask_b32_e64 v44, 0, 1, vcc_lo
	v_cmp_eq_u32_e32 vcc_lo, v41, v42
	v_cndmask_b32_e32 v41, v44, v43, vcc_lo
	v_and_b32_e32 v41, 1, v41
	v_cmp_eq_u32_e32 vcc_lo, 1, v41
	s_and_b32 s20, vcc_lo, exec_lo
.LBB407_320:
	s_or_b32 exec_lo, exec_lo, s17
	s_orn2_b32 s17, s20, exec_lo
.LBB407_321:
	s_or_b32 exec_lo, exec_lo, s19
	v_cndmask_b32_e64 v41, v11, v40, s17
	v_cndmask_b32_e64 v42, 0x7ff, v6, s17
	s_mov_b32 s19, exec_lo
	v_add_nc_u32_e32 v6, 1, v41
	v_min_u32_e32 v41, v6, v42
	v_cndmask_b32_e64 v42, v6, v11, s17
	v_lshlrev_b32_e32 v41, 2, v41
	ds_read_b32 v41, v41
	s_waitcnt lgkmcnt(0)
	v_cndmask_b32_e64 v11, v19, v41, s17
	v_cmpx_gt_u32_e32 0x800, v42
	s_cbranch_execz .LBB407_325
; %bb.322:
	v_cndmask_b32_e64 v40, v40, v6, s17
	v_cndmask_b32_e64 v6, v41, v18, s17
	s_mov_b32 s20, exec_lo
	v_cmpx_gt_u32_e32 0x400, v40
	s_cbranch_execz .LBB407_324
; %bb.323:
	v_lshrrev_b32_e32 v40, 31, v6
	v_lshrrev_b32_e32 v41, 31, v11
	v_cmp_ge_i32_e32 vcc_lo, v6, v11
	v_add_nc_u32_e32 v40, v6, v40
	v_add_nc_u32_e32 v41, v11, v41
	v_cndmask_b32_e64 v42, 0, 1, vcc_lo
	v_and_b32_e32 v40, -2, v40
	v_and_b32_e32 v41, -2, v41
	v_sub_nc_u32_e32 v40, v6, v40
	v_sub_nc_u32_e32 v41, v11, v41
	v_cmp_ne_u32_e32 vcc_lo, 0, v40
	v_cndmask_b32_e64 v43, 0, 1, vcc_lo
	v_cmp_eq_u32_e32 vcc_lo, v40, v41
	v_cndmask_b32_e32 v40, v43, v42, vcc_lo
	v_and_b32_e32 v40, 1, v40
	v_cmp_eq_u32_e32 vcc_lo, 1, v40
	v_cndmask_b32_e32 v6, v6, v11, vcc_lo
.LBB407_324:
	s_or_b32 exec_lo, exec_lo, s20
	v_mov_b32_e32 v11, v6
.LBB407_325:
	s_or_b32 exec_lo, exec_lo, s19
	v_cndmask_b32_e64 v9, v9, v17, s18
	v_cndmask_b32_e64 v8, v8, v16, s16
	v_cndmask_b32_e64 v7, v7, v15, s13
	v_cndmask_b32_e64 v6, v13, v14, s5
	v_cndmask_b32_e64 v5, v5, v12, s0
	v_cndmask_b32_e64 v4, v10, v4, s4
	v_cndmask_b32_e64 v10, v18, v19, s17
.LBB407_326:
	s_or_b32 exec_lo, exec_lo, s1
	s_barrier
	buffer_gl0_inv
	s_barrier
	buffer_gl0_inv
	ds_write2_b32 v37, v4, v5 offset1:1
	ds_write2_b32 v37, v6, v7 offset0:2 offset1:3
	ds_write2_b32 v37, v8, v9 offset0:4 offset1:5
	;; [unrolled: 1-line block ×3, first 2 shown]
	s_waitcnt lgkmcnt(0)
	s_barrier
	buffer_gl0_inv
	ds_read_b32 v9, v31
	ds_read_b32 v10, v38 offset:1024
	ds_read_b32 v11, v39 offset:2048
	;; [unrolled: 1-line block ×7, first 2 shown]
	v_add_co_u32 v5, s0, s14, v20
	v_add_co_ci_u32_e64 v6, null, s15, 0, s0
	v_add_co_u32 v7, vcc_lo, 0x800, v5
	v_add_co_ci_u32_e64 v8, null, 0, v6, vcc_lo
	s_waitcnt lgkmcnt(7)
	flat_store_dword v[5:6], v9
	s_waitcnt lgkmcnt(7)
	flat_store_dword v[5:6], v10 offset:1024
	v_add_co_u32 v9, vcc_lo, 0x1000, v5
	v_add_co_ci_u32_e64 v10, null, 0, v6, vcc_lo
	v_add_co_u32 v5, vcc_lo, 0x1800, v5
	v_add_co_ci_u32_e64 v6, null, 0, v6, vcc_lo
	s_waitcnt lgkmcnt(7)
	flat_store_dword v[7:8], v11
	s_waitcnt lgkmcnt(7)
	flat_store_dword v[7:8], v12 offset:1024
	s_waitcnt lgkmcnt(7)
	flat_store_dword v[9:10], v13
	s_waitcnt lgkmcnt(7)
	flat_store_dword v[9:10], v14 offset:1024
	s_mov_b32 s16, -1
	s_waitcnt lgkmcnt(7)
	flat_store_dword v[5:6], v15
	s_branch .LBB407_668
.LBB407_327:
	s_mov_b32 s16, s3
                                        ; implicit-def: $vgpr4
	s_cbranch_execz .LBB407_668
; %bb.328:
	s_waitcnt lgkmcnt(7)
	v_mov_b32_e32 v4, 0
	s_lshl_b64 s[0:1], s[2:3], 11
	s_sub_i32 s17, s8, s0
	v_cmp_gt_u32_e32 vcc_lo, s17, v0
	v_mov_b32_e32 v5, v4
	v_mov_b32_e32 v6, v4
	;; [unrolled: 1-line block ×7, first 2 shown]
	s_and_saveexec_b32 s0, vcc_lo
	s_cbranch_execz .LBB407_336
; %bb.329:
	v_add_co_u32 v5, s1, s7, v20
	v_add_co_ci_u32_e64 v6, null, s9, 0, s1
	v_mov_b32_e32 v12, v4
	v_mov_b32_e32 v7, v4
	;; [unrolled: 1-line block ×3, first 2 shown]
	flat_load_dword v5, v[5:6]
	v_mov_b32_e32 v6, v4
	v_mov_b32_e32 v9, v4
	;; [unrolled: 1-line block ×4, first 2 shown]
	s_waitcnt vmcnt(0) lgkmcnt(0)
	v_mov_b32_e32 v4, v5
	v_mov_b32_e32 v5, v6
	v_mov_b32_e32 v6, v7
	v_mov_b32_e32 v7, v8
	v_mov_b32_e32 v8, v9
	v_mov_b32_e32 v9, v10
	v_mov_b32_e32 v10, v11
	v_mov_b32_e32 v11, v12
	s_or_b32 exec_lo, exec_lo, s0
	v_cmp_gt_u32_e64 s0, s17, v30
	s_and_saveexec_b32 s1, s0
	s_cbranch_execnz .LBB407_337
.LBB407_330:
	s_or_b32 exec_lo, exec_lo, s1
	v_cmp_gt_u32_e64 s1, s17, v29
	s_and_saveexec_b32 s2, s1
	s_cbranch_execz .LBB407_338
.LBB407_331:
	v_lshlrev_b32_e32 v1, 2, v29
	v_add_co_u32 v12, s3, s7, v1
	v_add_co_ci_u32_e64 v13, null, s9, 0, s3
	flat_load_dword v6, v[12:13]
	s_or_b32 exec_lo, exec_lo, s2
	v_cmp_gt_u32_e64 s2, s17, v27
	s_and_saveexec_b32 s3, s2
	s_cbranch_execnz .LBB407_339
.LBB407_332:
	s_or_b32 exec_lo, exec_lo, s3
	v_cmp_gt_u32_e64 s3, s17, v26
	s_and_saveexec_b32 s4, s3
	s_cbranch_execz .LBB407_340
.LBB407_333:
	v_lshlrev_b32_e32 v1, 2, v26
	v_add_co_u32 v12, s5, s7, v1
	v_add_co_ci_u32_e64 v13, null, s9, 0, s5
	flat_load_dword v8, v[12:13]
	s_or_b32 exec_lo, exec_lo, s4
	v_cmp_gt_u32_e64 s4, s17, v25
	s_and_saveexec_b32 s5, s4
	s_cbranch_execnz .LBB407_341
.LBB407_334:
	s_or_b32 exec_lo, exec_lo, s5
	v_cmp_gt_u32_e64 s5, s17, v24
	s_and_saveexec_b32 s8, s5
	s_cbranch_execz .LBB407_342
.LBB407_335:
	v_lshlrev_b32_e32 v1, 2, v24
	v_add_co_u32 v12, s13, s7, v1
	v_add_co_ci_u32_e64 v13, null, s9, 0, s13
	flat_load_dword v10, v[12:13]
	s_or_b32 exec_lo, exec_lo, s8
	v_cmp_gt_u32_e64 s16, s17, v23
	s_and_saveexec_b32 s8, s16
	s_cbranch_execnz .LBB407_343
	s_branch .LBB407_344
.LBB407_336:
	s_or_b32 exec_lo, exec_lo, s0
	v_cmp_gt_u32_e64 s0, s17, v30
	s_and_saveexec_b32 s1, s0
	s_cbranch_execz .LBB407_330
.LBB407_337:
	v_add_co_u32 v12, s2, s7, v20
	v_add_co_ci_u32_e64 v13, null, s9, 0, s2
	flat_load_dword v5, v[12:13] offset:1024
	s_or_b32 exec_lo, exec_lo, s1
	v_cmp_gt_u32_e64 s1, s17, v29
	s_and_saveexec_b32 s2, s1
	s_cbranch_execnz .LBB407_331
.LBB407_338:
	s_or_b32 exec_lo, exec_lo, s2
	v_cmp_gt_u32_e64 s2, s17, v27
	s_and_saveexec_b32 s3, s2
	s_cbranch_execz .LBB407_332
.LBB407_339:
	v_lshlrev_b32_e32 v1, 2, v27
	v_add_co_u32 v12, s4, s7, v1
	v_add_co_ci_u32_e64 v13, null, s9, 0, s4
	flat_load_dword v7, v[12:13]
	s_or_b32 exec_lo, exec_lo, s3
	v_cmp_gt_u32_e64 s3, s17, v26
	s_and_saveexec_b32 s4, s3
	s_cbranch_execnz .LBB407_333
.LBB407_340:
	s_or_b32 exec_lo, exec_lo, s4
	v_cmp_gt_u32_e64 s4, s17, v25
	s_and_saveexec_b32 s5, s4
	s_cbranch_execz .LBB407_334
.LBB407_341:
	v_lshlrev_b32_e32 v1, 2, v25
	v_add_co_u32 v12, s8, s7, v1
	v_add_co_ci_u32_e64 v13, null, s9, 0, s8
	flat_load_dword v9, v[12:13]
	s_or_b32 exec_lo, exec_lo, s5
	v_cmp_gt_u32_e64 s5, s17, v24
	s_and_saveexec_b32 s8, s5
	s_cbranch_execnz .LBB407_335
.LBB407_342:
	s_or_b32 exec_lo, exec_lo, s8
	v_cmp_gt_u32_e64 s16, s17, v23
	s_and_saveexec_b32 s8, s16
	s_cbranch_execz .LBB407_344
.LBB407_343:
	v_lshlrev_b32_e32 v1, 2, v23
	v_add_co_u32 v11, s7, s7, v1
	v_add_co_ci_u32_e64 v12, null, s9, 0, s7
	flat_load_dword v11, v[11:12]
.LBB407_344:
	s_or_b32 exec_lo, exec_lo, s8
	v_lshrrev_b32_e32 v1, 3, v30
	v_lshrrev_b32_e32 v12, 3, v29
	v_and_b32_e32 v13, 28, v28
	v_lshrrev_b32_e32 v14, 3, v27
	v_lshrrev_b32_e32 v16, 3, v26
	v_and_b32_e32 v1, 60, v1
	v_and_b32_e32 v15, 0x7c, v12
	v_add_nc_u32_e32 v12, v13, v20
	v_lshrrev_b32_e32 v17, 3, v25
	v_and_b32_e32 v14, 0x7c, v14
	v_add_nc_u32_e32 v1, v1, v20
	v_add_nc_u32_e32 v13, v15, v20
	v_lshrrev_b32_e32 v15, 3, v24
	v_add_nc_u32_e32 v19, v22, v21
	ds_write_b32 v12, v4
	s_waitcnt vmcnt(0) lgkmcnt(1)
	ds_write_b32 v1, v5 offset:1024
	ds_write_b32 v13, v6 offset:2048
	v_lshrrev_b32_e32 v4, 3, v23
	v_and_b32_e32 v5, 0xfc, v16
	v_and_b32_e32 v6, 0xfc, v17
	;; [unrolled: 1-line block ×3, first 2 shown]
	v_add_nc_u32_e32 v14, v14, v20
	v_and_b32_e32 v4, 0xfc, v4
	v_add_nc_u32_e32 v15, v5, v20
	v_add_nc_u32_e32 v16, v6, v20
	v_add_nc_u32_e32 v17, v17, v20
	ds_write_b32 v14, v7 offset:3072
	v_add_nc_u32_e32 v18, v4, v20
	ds_write_b32 v15, v8 offset:4096
	ds_write_b32 v16, v9 offset:5120
	;; [unrolled: 1-line block ×3, first 2 shown]
	v_mov_b32_e32 v22, 0
	ds_write_b32 v18, v11 offset:7168
	s_waitcnt lgkmcnt(0)
	s_waitcnt_vscnt null, 0x0
	s_barrier
	buffer_gl0_inv
	ds_read2_b32 v[8:9], v19 offset1:1
	ds_read2_b32 v[10:11], v19 offset0:2 offset1:3
	ds_read2_b32 v[4:5], v19 offset0:4 offset1:5
	ds_read2_b32 v[6:7], v19 offset0:6 offset1:7
	s_waitcnt lgkmcnt(0)
	s_barrier
	buffer_gl0_inv
	s_load_dword s7, s[10:11], 0xc
	s_waitcnt lgkmcnt(0)
	s_lshr_b32 s8, s7, 16
	s_cmp_lt_u32 s6, s12
	v_mad_u32_u24 v2, v2, s8, v3
	s_cselect_b32 s6, 12, 18
	s_add_u32 s6, s10, s6
	s_addc_u32 s7, s11, 0
	global_load_ushort v22, v22, s[6:7]
	s_waitcnt vmcnt(0)
	v_mul_lo_u32 v2, v2, v22
	v_add_lshl_u32 v2, v2, v0, 3
	v_sub_nc_u32_e64 v3, s17, v2 clamp
	v_cmp_lt_u32_e64 s6, 1, v3
	s_and_saveexec_b32 s8, s6
	s_cbranch_execz .LBB407_352
; %bb.345:
	v_lshrrev_b32_e32 v22, 31, v9
	v_lshrrev_b32_e32 v23, 31, v8
	v_cmp_lt_i32_e64 s7, v9, v8
	v_add_nc_u32_e32 v22, v9, v22
	v_add_nc_u32_e32 v23, v8, v23
	v_cndmask_b32_e64 v24, 0, 1, s7
	v_and_b32_e32 v22, -2, v22
	v_and_b32_e32 v23, -2, v23
	v_sub_nc_u32_e32 v22, v9, v22
	v_sub_nc_u32_e32 v23, v8, v23
	v_cmp_eq_u32_e64 s7, 0, v22
	v_cndmask_b32_e64 v25, 0, 1, s7
	v_cmp_eq_u32_e64 s7, v22, v23
	v_cndmask_b32_e64 v22, v25, v24, s7
	v_and_b32_e32 v22, 1, v22
	v_cmp_eq_u32_e64 s7, 1, v22
	v_mov_b32_e32 v22, v9
	s_and_saveexec_b32 s9, s7
; %bb.346:
	v_mov_b32_e32 v22, v8
	v_mov_b32_e32 v8, v9
; %bb.347:
	s_or_b32 exec_lo, exec_lo, s9
	v_mov_b32_e32 v9, v22
	s_or_b32 exec_lo, exec_lo, s8
	v_cmp_lt_u32_e64 s7, 3, v3
	s_and_saveexec_b32 s9, s7
	s_cbranch_execnz .LBB407_353
.LBB407_348:
	s_or_b32 exec_lo, exec_lo, s9
	v_cmp_lt_u32_e64 s8, 5, v3
	s_and_saveexec_b32 s10, s8
	s_cbranch_execz .LBB407_356
.LBB407_349:
	v_lshrrev_b32_e32 v22, 31, v5
	v_lshrrev_b32_e32 v23, 31, v4
	v_cmp_lt_i32_e64 s9, v5, v4
	v_add_nc_u32_e32 v22, v5, v22
	v_add_nc_u32_e32 v23, v4, v23
	v_cndmask_b32_e64 v24, 0, 1, s9
	v_and_b32_e32 v22, -2, v22
	v_and_b32_e32 v23, -2, v23
	v_sub_nc_u32_e32 v22, v5, v22
	v_sub_nc_u32_e32 v23, v4, v23
	v_cmp_eq_u32_e64 s9, 0, v22
	v_cndmask_b32_e64 v25, 0, 1, s9
	v_cmp_eq_u32_e64 s9, v22, v23
	v_cndmask_b32_e64 v22, v25, v24, s9
	v_and_b32_e32 v22, 1, v22
	v_cmp_eq_u32_e64 s9, 1, v22
	v_mov_b32_e32 v22, v5
	s_and_saveexec_b32 s11, s9
; %bb.350:
	v_mov_b32_e32 v22, v4
	v_mov_b32_e32 v4, v5
; %bb.351:
	s_or_b32 exec_lo, exec_lo, s11
	v_mov_b32_e32 v5, v22
	s_or_b32 exec_lo, exec_lo, s10
	v_cmp_lt_u32_e64 s9, 7, v3
	s_and_saveexec_b32 s11, s9
	s_cbranch_execz .LBB407_360
	s_branch .LBB407_357
.LBB407_352:
	s_or_b32 exec_lo, exec_lo, s8
	v_cmp_lt_u32_e64 s7, 3, v3
	s_and_saveexec_b32 s9, s7
	s_cbranch_execz .LBB407_348
.LBB407_353:
	v_lshrrev_b32_e32 v22, 31, v11
	v_lshrrev_b32_e32 v23, 31, v10
	v_cmp_lt_i32_e64 s8, v11, v10
	v_add_nc_u32_e32 v22, v11, v22
	v_add_nc_u32_e32 v23, v10, v23
	v_cndmask_b32_e64 v24, 0, 1, s8
	v_and_b32_e32 v22, -2, v22
	v_and_b32_e32 v23, -2, v23
	v_sub_nc_u32_e32 v22, v11, v22
	v_sub_nc_u32_e32 v23, v10, v23
	v_cmp_eq_u32_e64 s8, 0, v22
	v_cndmask_b32_e64 v25, 0, 1, s8
	v_cmp_eq_u32_e64 s8, v22, v23
	v_cndmask_b32_e64 v22, v25, v24, s8
	v_and_b32_e32 v22, 1, v22
	v_cmp_eq_u32_e64 s8, 1, v22
	v_mov_b32_e32 v22, v11
	s_and_saveexec_b32 s10, s8
; %bb.354:
	v_mov_b32_e32 v22, v10
	v_mov_b32_e32 v10, v11
; %bb.355:
	s_or_b32 exec_lo, exec_lo, s10
	v_mov_b32_e32 v11, v22
	s_or_b32 exec_lo, exec_lo, s9
	v_cmp_lt_u32_e64 s8, 5, v3
	s_and_saveexec_b32 s10, s8
	s_cbranch_execnz .LBB407_349
.LBB407_356:
	s_or_b32 exec_lo, exec_lo, s10
	v_cmp_lt_u32_e64 s9, 7, v3
	s_and_saveexec_b32 s11, s9
	s_cbranch_execz .LBB407_360
.LBB407_357:
	v_lshrrev_b32_e32 v22, 31, v7
	v_lshrrev_b32_e32 v23, 31, v6
	v_cmp_lt_i32_e64 s10, v7, v6
	v_add_nc_u32_e32 v22, v7, v22
	v_add_nc_u32_e32 v23, v6, v23
	v_cndmask_b32_e64 v24, 0, 1, s10
	v_and_b32_e32 v22, -2, v22
	v_and_b32_e32 v23, -2, v23
	v_sub_nc_u32_e32 v22, v7, v22
	v_sub_nc_u32_e32 v23, v6, v23
	v_cmp_eq_u32_e64 s10, 0, v22
	v_cndmask_b32_e64 v25, 0, 1, s10
	v_cmp_eq_u32_e64 s10, v22, v23
	v_cndmask_b32_e64 v22, v25, v24, s10
	v_and_b32_e32 v22, 1, v22
	v_cmp_eq_u32_e64 s10, 1, v22
	v_mov_b32_e32 v22, v7
	s_and_saveexec_b32 s12, s10
; %bb.358:
	v_mov_b32_e32 v22, v6
	v_mov_b32_e32 v6, v7
; %bb.359:
	s_or_b32 exec_lo, exec_lo, s12
	v_mov_b32_e32 v7, v22
.LBB407_360:
	s_or_b32 exec_lo, exec_lo, s11
	v_cmp_lt_u32_e64 s10, 2, v3
	s_and_saveexec_b32 s11, s10
	s_xor_b32 s12, exec_lo, s11
	s_cbranch_execz .LBB407_408
; %bb.361:
	v_lshrrev_b32_e32 v22, 31, v10
	v_lshrrev_b32_e32 v23, 31, v9
	v_cmp_lt_i32_e64 s11, v10, v9
	v_add_nc_u32_e32 v22, v10, v22
	v_add_nc_u32_e32 v23, v9, v23
	v_cndmask_b32_e64 v24, 0, 1, s11
	v_and_b32_e32 v22, -2, v22
	v_and_b32_e32 v23, -2, v23
	v_sub_nc_u32_e32 v22, v10, v22
	v_sub_nc_u32_e32 v23, v9, v23
	v_cmp_eq_u32_e64 s11, 0, v22
	v_cndmask_b32_e64 v25, 0, 1, s11
	v_cmp_eq_u32_e64 s11, v22, v23
	v_cndmask_b32_e64 v22, v25, v24, s11
	v_and_b32_e32 v22, 1, v22
	v_cmp_eq_u32_e64 s11, 1, v22
	v_mov_b32_e32 v22, v10
	s_and_saveexec_b32 s13, s11
; %bb.362:
	v_mov_b32_e32 v22, v9
	v_mov_b32_e32 v9, v10
; %bb.363:
	s_or_b32 exec_lo, exec_lo, s13
	v_mov_b32_e32 v10, v22
	s_or_b32 exec_lo, exec_lo, s12
	v_cmp_lt_u32_e64 s11, 4, v3
	s_and_saveexec_b32 s13, s11
	s_cbranch_execnz .LBB407_409
.LBB407_364:
	s_or_b32 exec_lo, exec_lo, s13
	v_cmp_lt_u32_e64 s12, 6, v3
	s_and_saveexec_b32 s18, s12
	s_cbranch_execz .LBB407_412
.LBB407_365:
	v_lshrrev_b32_e32 v3, 31, v6
	v_lshrrev_b32_e32 v22, 31, v5
	v_cmp_lt_i32_e64 s13, v6, v5
	v_add_nc_u32_e32 v3, v6, v3
	v_add_nc_u32_e32 v22, v5, v22
	v_cndmask_b32_e64 v23, 0, 1, s13
	v_and_b32_e32 v3, -2, v3
	v_and_b32_e32 v22, -2, v22
	v_sub_nc_u32_e32 v3, v6, v3
	v_sub_nc_u32_e32 v22, v5, v22
	v_cmp_eq_u32_e64 s13, 0, v3
	v_cndmask_b32_e64 v24, 0, 1, s13
	v_cmp_eq_u32_e64 s13, v3, v22
	v_cndmask_b32_e64 v3, v24, v23, s13
	v_and_b32_e32 v3, 1, v3
	v_cmp_eq_u32_e64 s13, 1, v3
	v_mov_b32_e32 v3, v6
	s_and_saveexec_b32 s19, s13
; %bb.366:
	v_mov_b32_e32 v3, v5
	v_mov_b32_e32 v5, v6
; %bb.367:
	s_or_b32 exec_lo, exec_lo, s19
	v_mov_b32_e32 v6, v3
	s_or_b32 exec_lo, exec_lo, s18
	s_and_saveexec_b32 s18, s6
	s_cbranch_execnz .LBB407_413
.LBB407_368:
	s_or_b32 exec_lo, exec_lo, s18
	s_and_saveexec_b32 s18, s7
	s_cbranch_execz .LBB407_416
.LBB407_369:
	v_lshrrev_b32_e32 v3, 31, v11
	v_lshrrev_b32_e32 v22, 31, v10
	v_cmp_lt_i32_e64 s13, v11, v10
	v_add_nc_u32_e32 v3, v11, v3
	v_add_nc_u32_e32 v22, v10, v22
	v_cndmask_b32_e64 v23, 0, 1, s13
	v_and_b32_e32 v3, -2, v3
	v_and_b32_e32 v22, -2, v22
	v_sub_nc_u32_e32 v3, v11, v3
	v_sub_nc_u32_e32 v22, v10, v22
	v_cmp_eq_u32_e64 s13, 0, v3
	v_cndmask_b32_e64 v24, 0, 1, s13
	v_cmp_eq_u32_e64 s13, v3, v22
	v_cndmask_b32_e64 v3, v24, v23, s13
	v_and_b32_e32 v3, 1, v3
	v_cmp_eq_u32_e64 s13, 1, v3
	v_mov_b32_e32 v3, v11
	s_and_saveexec_b32 s19, s13
; %bb.370:
	v_mov_b32_e32 v3, v10
	v_mov_b32_e32 v10, v11
; %bb.371:
	s_or_b32 exec_lo, exec_lo, s19
	v_mov_b32_e32 v11, v3
	s_or_b32 exec_lo, exec_lo, s18
	s_and_saveexec_b32 s18, s8
	s_cbranch_execnz .LBB407_417
.LBB407_372:
	s_or_b32 exec_lo, exec_lo, s18
	s_and_saveexec_b32 s18, s9
	s_cbranch_execz .LBB407_420
.LBB407_373:
	v_lshrrev_b32_e32 v3, 31, v7
	v_lshrrev_b32_e32 v22, 31, v6
	v_cmp_lt_i32_e64 s13, v7, v6
	v_add_nc_u32_e32 v3, v7, v3
	v_add_nc_u32_e32 v22, v6, v22
	v_cndmask_b32_e64 v23, 0, 1, s13
	v_and_b32_e32 v3, -2, v3
	v_and_b32_e32 v22, -2, v22
	v_sub_nc_u32_e32 v3, v7, v3
	v_sub_nc_u32_e32 v22, v6, v22
	v_cmp_eq_u32_e64 s13, 0, v3
	v_cndmask_b32_e64 v24, 0, 1, s13
	v_cmp_eq_u32_e64 s13, v3, v22
	v_cndmask_b32_e64 v3, v24, v23, s13
	v_and_b32_e32 v3, 1, v3
	v_cmp_eq_u32_e64 s13, 1, v3
	v_mov_b32_e32 v3, v7
	s_and_saveexec_b32 s19, s13
; %bb.374:
	v_mov_b32_e32 v3, v6
	v_mov_b32_e32 v6, v7
; %bb.375:
	s_or_b32 exec_lo, exec_lo, s19
	v_mov_b32_e32 v7, v3
	s_or_b32 exec_lo, exec_lo, s18
	s_and_saveexec_b32 s18, s10
	s_cbranch_execnz .LBB407_421
.LBB407_376:
	s_or_b32 exec_lo, exec_lo, s18
	s_and_saveexec_b32 s18, s11
	s_cbranch_execz .LBB407_424
.LBB407_377:
	v_lshrrev_b32_e32 v3, 31, v4
	v_lshrrev_b32_e32 v22, 31, v11
	v_cmp_lt_i32_e64 s13, v4, v11
	v_add_nc_u32_e32 v3, v4, v3
	v_add_nc_u32_e32 v22, v11, v22
	v_cndmask_b32_e64 v23, 0, 1, s13
	v_and_b32_e32 v3, -2, v3
	v_and_b32_e32 v22, -2, v22
	v_sub_nc_u32_e32 v3, v4, v3
	v_sub_nc_u32_e32 v22, v11, v22
	v_cmp_eq_u32_e64 s13, 0, v3
	v_cndmask_b32_e64 v24, 0, 1, s13
	v_cmp_eq_u32_e64 s13, v3, v22
	v_cndmask_b32_e64 v3, v24, v23, s13
	v_and_b32_e32 v3, 1, v3
	v_cmp_eq_u32_e64 s13, 1, v3
	v_mov_b32_e32 v3, v4
	s_and_saveexec_b32 s19, s13
; %bb.378:
	v_mov_b32_e32 v3, v11
	v_mov_b32_e32 v11, v4
; %bb.379:
	s_or_b32 exec_lo, exec_lo, s19
	v_mov_b32_e32 v4, v3
	s_or_b32 exec_lo, exec_lo, s18
	s_and_saveexec_b32 s18, s12
	s_cbranch_execnz .LBB407_425
.LBB407_380:
	s_or_b32 exec_lo, exec_lo, s18
	s_and_saveexec_b32 s18, s6
	s_cbranch_execz .LBB407_428
.LBB407_381:
	v_lshrrev_b32_e32 v3, 31, v9
	v_lshrrev_b32_e32 v22, 31, v8
	v_cmp_lt_i32_e64 s13, v9, v8
	v_add_nc_u32_e32 v3, v9, v3
	v_add_nc_u32_e32 v22, v8, v22
	v_cndmask_b32_e64 v23, 0, 1, s13
	v_and_b32_e32 v3, -2, v3
	v_and_b32_e32 v22, -2, v22
	v_sub_nc_u32_e32 v3, v9, v3
	v_sub_nc_u32_e32 v22, v8, v22
	v_cmp_eq_u32_e64 s13, 0, v3
	v_cndmask_b32_e64 v24, 0, 1, s13
	v_cmp_eq_u32_e64 s13, v3, v22
	v_cndmask_b32_e64 v3, v24, v23, s13
	v_and_b32_e32 v3, 1, v3
	v_cmp_eq_u32_e64 s13, 1, v3
	v_mov_b32_e32 v3, v9
	s_and_saveexec_b32 s19, s13
; %bb.382:
	v_mov_b32_e32 v3, v8
	v_mov_b32_e32 v8, v9
; %bb.383:
	s_or_b32 exec_lo, exec_lo, s19
	v_mov_b32_e32 v9, v3
	s_or_b32 exec_lo, exec_lo, s18
	s_and_saveexec_b32 s18, s7
	s_cbranch_execnz .LBB407_429
.LBB407_384:
	s_or_b32 exec_lo, exec_lo, s18
	s_and_saveexec_b32 s18, s8
	s_cbranch_execz .LBB407_432
.LBB407_385:
	v_lshrrev_b32_e32 v3, 31, v5
	v_lshrrev_b32_e32 v22, 31, v4
	v_cmp_lt_i32_e64 s13, v5, v4
	v_add_nc_u32_e32 v3, v5, v3
	v_add_nc_u32_e32 v22, v4, v22
	v_cndmask_b32_e64 v23, 0, 1, s13
	v_and_b32_e32 v3, -2, v3
	v_and_b32_e32 v22, -2, v22
	v_sub_nc_u32_e32 v3, v5, v3
	v_sub_nc_u32_e32 v22, v4, v22
	v_cmp_eq_u32_e64 s13, 0, v3
	v_cndmask_b32_e64 v24, 0, 1, s13
	v_cmp_eq_u32_e64 s13, v3, v22
	v_cndmask_b32_e64 v3, v24, v23, s13
	v_and_b32_e32 v3, 1, v3
	v_cmp_eq_u32_e64 s13, 1, v3
	v_mov_b32_e32 v3, v5
	s_and_saveexec_b32 s19, s13
; %bb.386:
	v_mov_b32_e32 v3, v4
	v_mov_b32_e32 v4, v5
; %bb.387:
	s_or_b32 exec_lo, exec_lo, s19
	v_mov_b32_e32 v5, v3
	s_or_b32 exec_lo, exec_lo, s18
	s_and_saveexec_b32 s18, s9
	s_cbranch_execnz .LBB407_433
.LBB407_388:
	s_or_b32 exec_lo, exec_lo, s18
	s_and_saveexec_b32 s18, s10
	s_cbranch_execz .LBB407_436
.LBB407_389:
	v_lshrrev_b32_e32 v3, 31, v10
	v_lshrrev_b32_e32 v22, 31, v9
	v_cmp_lt_i32_e64 s13, v10, v9
	v_add_nc_u32_e32 v3, v10, v3
	v_add_nc_u32_e32 v22, v9, v22
	v_cndmask_b32_e64 v23, 0, 1, s13
	v_and_b32_e32 v3, -2, v3
	v_and_b32_e32 v22, -2, v22
	v_sub_nc_u32_e32 v3, v10, v3
	v_sub_nc_u32_e32 v22, v9, v22
	v_cmp_eq_u32_e64 s13, 0, v3
	v_cndmask_b32_e64 v24, 0, 1, s13
	v_cmp_eq_u32_e64 s13, v3, v22
	v_cndmask_b32_e64 v3, v24, v23, s13
	v_and_b32_e32 v3, 1, v3
	v_cmp_eq_u32_e64 s13, 1, v3
	v_mov_b32_e32 v3, v10
	s_and_saveexec_b32 s19, s13
; %bb.390:
	v_mov_b32_e32 v3, v9
	v_mov_b32_e32 v9, v10
; %bb.391:
	s_or_b32 exec_lo, exec_lo, s19
	v_mov_b32_e32 v10, v3
	s_or_b32 exec_lo, exec_lo, s18
	s_and_saveexec_b32 s18, s11
	s_cbranch_execnz .LBB407_437
.LBB407_392:
	s_or_b32 exec_lo, exec_lo, s18
	s_and_saveexec_b32 s18, s12
	s_cbranch_execz .LBB407_440
.LBB407_393:
	v_lshrrev_b32_e32 v3, 31, v6
	v_lshrrev_b32_e32 v22, 31, v5
	v_cmp_lt_i32_e64 s13, v6, v5
	v_add_nc_u32_e32 v3, v6, v3
	v_add_nc_u32_e32 v22, v5, v22
	v_cndmask_b32_e64 v23, 0, 1, s13
	v_and_b32_e32 v3, -2, v3
	v_and_b32_e32 v22, -2, v22
	v_sub_nc_u32_e32 v3, v6, v3
	v_sub_nc_u32_e32 v22, v5, v22
	v_cmp_eq_u32_e64 s13, 0, v3
	v_cndmask_b32_e64 v24, 0, 1, s13
	v_cmp_eq_u32_e64 s13, v3, v22
	v_cndmask_b32_e64 v3, v24, v23, s13
	v_and_b32_e32 v3, 1, v3
	v_cmp_eq_u32_e64 s13, 1, v3
	v_mov_b32_e32 v3, v6
	s_and_saveexec_b32 s19, s13
; %bb.394:
	v_mov_b32_e32 v3, v5
	v_mov_b32_e32 v5, v6
; %bb.395:
	s_or_b32 exec_lo, exec_lo, s19
	v_mov_b32_e32 v6, v3
	s_or_b32 exec_lo, exec_lo, s18
	s_and_saveexec_b32 s13, s6
	s_cbranch_execnz .LBB407_441
.LBB407_396:
	s_or_b32 exec_lo, exec_lo, s13
	s_and_saveexec_b32 s13, s7
	s_cbranch_execz .LBB407_444
.LBB407_397:
	v_lshrrev_b32_e32 v3, 31, v11
	v_lshrrev_b32_e32 v22, 31, v10
	v_cmp_lt_i32_e64 s6, v11, v10
	v_add_nc_u32_e32 v3, v11, v3
	v_add_nc_u32_e32 v22, v10, v22
	v_cndmask_b32_e64 v23, 0, 1, s6
	v_and_b32_e32 v3, -2, v3
	v_and_b32_e32 v22, -2, v22
	v_sub_nc_u32_e32 v3, v11, v3
	v_sub_nc_u32_e32 v22, v10, v22
	v_cmp_eq_u32_e64 s6, 0, v3
	v_cndmask_b32_e64 v24, 0, 1, s6
	v_cmp_eq_u32_e64 s6, v3, v22
	v_cndmask_b32_e64 v3, v24, v23, s6
	v_and_b32_e32 v3, 1, v3
	v_cmp_eq_u32_e64 s6, 1, v3
	v_mov_b32_e32 v3, v11
	s_and_saveexec_b32 s7, s6
; %bb.398:
	v_mov_b32_e32 v3, v10
	v_mov_b32_e32 v10, v11
; %bb.399:
	s_or_b32 exec_lo, exec_lo, s7
	v_mov_b32_e32 v11, v3
	s_or_b32 exec_lo, exec_lo, s13
	s_and_saveexec_b32 s7, s8
	s_cbranch_execnz .LBB407_445
.LBB407_400:
	s_or_b32 exec_lo, exec_lo, s7
	s_and_saveexec_b32 s7, s9
	s_cbranch_execz .LBB407_448
.LBB407_401:
	v_lshrrev_b32_e32 v3, 31, v7
	v_lshrrev_b32_e32 v22, 31, v6
	v_cmp_lt_i32_e64 s6, v7, v6
	v_add_nc_u32_e32 v3, v7, v3
	v_add_nc_u32_e32 v22, v6, v22
	v_cndmask_b32_e64 v23, 0, 1, s6
	v_and_b32_e32 v3, -2, v3
	v_and_b32_e32 v22, -2, v22
	v_sub_nc_u32_e32 v3, v7, v3
	v_sub_nc_u32_e32 v22, v6, v22
	v_cmp_eq_u32_e64 s6, 0, v3
	v_cndmask_b32_e64 v24, 0, 1, s6
	v_cmp_eq_u32_e64 s6, v3, v22
	v_cndmask_b32_e64 v3, v24, v23, s6
	v_and_b32_e32 v3, 1, v3
	v_cmp_eq_u32_e64 s6, 1, v3
	v_mov_b32_e32 v3, v7
	s_and_saveexec_b32 s8, s6
; %bb.402:
	v_mov_b32_e32 v3, v6
	v_mov_b32_e32 v6, v7
; %bb.403:
	s_or_b32 exec_lo, exec_lo, s8
	v_mov_b32_e32 v7, v3
	s_or_b32 exec_lo, exec_lo, s7
	s_and_saveexec_b32 s7, s10
	s_cbranch_execnz .LBB407_449
.LBB407_404:
	s_or_b32 exec_lo, exec_lo, s7
	s_and_saveexec_b32 s7, s11
	s_cbranch_execz .LBB407_452
.LBB407_405:
	v_lshrrev_b32_e32 v3, 31, v4
	v_lshrrev_b32_e32 v22, 31, v11
	v_cmp_lt_i32_e64 s6, v4, v11
	v_add_nc_u32_e32 v3, v4, v3
	v_add_nc_u32_e32 v22, v11, v22
	v_cndmask_b32_e64 v23, 0, 1, s6
	v_and_b32_e32 v3, -2, v3
	v_and_b32_e32 v22, -2, v22
	v_sub_nc_u32_e32 v3, v4, v3
	v_sub_nc_u32_e32 v22, v11, v22
	v_cmp_eq_u32_e64 s6, 0, v3
	v_cndmask_b32_e64 v24, 0, 1, s6
	v_cmp_eq_u32_e64 s6, v3, v22
	v_cndmask_b32_e64 v3, v24, v23, s6
	v_and_b32_e32 v3, 1, v3
	v_cmp_eq_u32_e64 s6, 1, v3
	v_mov_b32_e32 v3, v4
	s_and_saveexec_b32 s8, s6
; %bb.406:
	v_mov_b32_e32 v3, v11
	v_mov_b32_e32 v11, v4
; %bb.407:
	s_or_b32 exec_lo, exec_lo, s8
	v_mov_b32_e32 v4, v3
	s_or_b32 exec_lo, exec_lo, s7
	s_and_saveexec_b32 s7, s12
	s_cbranch_execz .LBB407_456
	s_branch .LBB407_453
.LBB407_408:
	s_or_b32 exec_lo, exec_lo, s12
	v_cmp_lt_u32_e64 s11, 4, v3
	s_and_saveexec_b32 s13, s11
	s_cbranch_execz .LBB407_364
.LBB407_409:
	v_lshrrev_b32_e32 v22, 31, v4
	v_lshrrev_b32_e32 v23, 31, v11
	v_cmp_lt_i32_e64 s12, v4, v11
	v_add_nc_u32_e32 v22, v4, v22
	v_add_nc_u32_e32 v23, v11, v23
	v_cndmask_b32_e64 v24, 0, 1, s12
	v_and_b32_e32 v22, -2, v22
	v_and_b32_e32 v23, -2, v23
	v_sub_nc_u32_e32 v22, v4, v22
	v_sub_nc_u32_e32 v23, v11, v23
	v_cmp_eq_u32_e64 s12, 0, v22
	v_cndmask_b32_e64 v25, 0, 1, s12
	v_cmp_eq_u32_e64 s12, v22, v23
	v_cndmask_b32_e64 v22, v25, v24, s12
	v_and_b32_e32 v22, 1, v22
	v_cmp_eq_u32_e64 s12, 1, v22
	v_mov_b32_e32 v22, v4
	s_and_saveexec_b32 s18, s12
; %bb.410:
	v_mov_b32_e32 v22, v11
	v_mov_b32_e32 v11, v4
; %bb.411:
	s_or_b32 exec_lo, exec_lo, s18
	v_mov_b32_e32 v4, v22
	s_or_b32 exec_lo, exec_lo, s13
	v_cmp_lt_u32_e64 s12, 6, v3
	s_and_saveexec_b32 s18, s12
	s_cbranch_execnz .LBB407_365
.LBB407_412:
	s_or_b32 exec_lo, exec_lo, s18
	s_and_saveexec_b32 s18, s6
	s_cbranch_execz .LBB407_368
.LBB407_413:
	v_lshrrev_b32_e32 v3, 31, v9
	v_lshrrev_b32_e32 v22, 31, v8
	v_cmp_lt_i32_e64 s13, v9, v8
	v_add_nc_u32_e32 v3, v9, v3
	v_add_nc_u32_e32 v22, v8, v22
	v_cndmask_b32_e64 v23, 0, 1, s13
	v_and_b32_e32 v3, -2, v3
	v_and_b32_e32 v22, -2, v22
	v_sub_nc_u32_e32 v3, v9, v3
	v_sub_nc_u32_e32 v22, v8, v22
	v_cmp_eq_u32_e64 s13, 0, v3
	v_cndmask_b32_e64 v24, 0, 1, s13
	v_cmp_eq_u32_e64 s13, v3, v22
	v_cndmask_b32_e64 v3, v24, v23, s13
	v_and_b32_e32 v3, 1, v3
	v_cmp_eq_u32_e64 s13, 1, v3
	v_mov_b32_e32 v3, v9
	s_and_saveexec_b32 s19, s13
; %bb.414:
	v_mov_b32_e32 v3, v8
	v_mov_b32_e32 v8, v9
; %bb.415:
	s_or_b32 exec_lo, exec_lo, s19
	v_mov_b32_e32 v9, v3
	s_or_b32 exec_lo, exec_lo, s18
	s_and_saveexec_b32 s18, s7
	s_cbranch_execnz .LBB407_369
.LBB407_416:
	s_or_b32 exec_lo, exec_lo, s18
	s_and_saveexec_b32 s18, s8
	s_cbranch_execz .LBB407_372
.LBB407_417:
	v_lshrrev_b32_e32 v3, 31, v5
	v_lshrrev_b32_e32 v22, 31, v4
	v_cmp_lt_i32_e64 s13, v5, v4
	v_add_nc_u32_e32 v3, v5, v3
	v_add_nc_u32_e32 v22, v4, v22
	v_cndmask_b32_e64 v23, 0, 1, s13
	v_and_b32_e32 v3, -2, v3
	v_and_b32_e32 v22, -2, v22
	v_sub_nc_u32_e32 v3, v5, v3
	v_sub_nc_u32_e32 v22, v4, v22
	v_cmp_eq_u32_e64 s13, 0, v3
	v_cndmask_b32_e64 v24, 0, 1, s13
	v_cmp_eq_u32_e64 s13, v3, v22
	v_cndmask_b32_e64 v3, v24, v23, s13
	v_and_b32_e32 v3, 1, v3
	v_cmp_eq_u32_e64 s13, 1, v3
	v_mov_b32_e32 v3, v5
	s_and_saveexec_b32 s19, s13
; %bb.418:
	v_mov_b32_e32 v3, v4
	v_mov_b32_e32 v4, v5
; %bb.419:
	s_or_b32 exec_lo, exec_lo, s19
	v_mov_b32_e32 v5, v3
	s_or_b32 exec_lo, exec_lo, s18
	s_and_saveexec_b32 s18, s9
	s_cbranch_execnz .LBB407_373
.LBB407_420:
	s_or_b32 exec_lo, exec_lo, s18
	s_and_saveexec_b32 s18, s10
	s_cbranch_execz .LBB407_376
.LBB407_421:
	v_lshrrev_b32_e32 v3, 31, v10
	v_lshrrev_b32_e32 v22, 31, v9
	v_cmp_lt_i32_e64 s13, v10, v9
	v_add_nc_u32_e32 v3, v10, v3
	v_add_nc_u32_e32 v22, v9, v22
	v_cndmask_b32_e64 v23, 0, 1, s13
	v_and_b32_e32 v3, -2, v3
	v_and_b32_e32 v22, -2, v22
	v_sub_nc_u32_e32 v3, v10, v3
	v_sub_nc_u32_e32 v22, v9, v22
	v_cmp_eq_u32_e64 s13, 0, v3
	v_cndmask_b32_e64 v24, 0, 1, s13
	v_cmp_eq_u32_e64 s13, v3, v22
	v_cndmask_b32_e64 v3, v24, v23, s13
	v_and_b32_e32 v3, 1, v3
	v_cmp_eq_u32_e64 s13, 1, v3
	v_mov_b32_e32 v3, v10
	s_and_saveexec_b32 s19, s13
; %bb.422:
	v_mov_b32_e32 v3, v9
	v_mov_b32_e32 v9, v10
; %bb.423:
	s_or_b32 exec_lo, exec_lo, s19
	v_mov_b32_e32 v10, v3
	s_or_b32 exec_lo, exec_lo, s18
	s_and_saveexec_b32 s18, s11
	s_cbranch_execnz .LBB407_377
.LBB407_424:
	s_or_b32 exec_lo, exec_lo, s18
	s_and_saveexec_b32 s18, s12
	s_cbranch_execz .LBB407_380
.LBB407_425:
	v_lshrrev_b32_e32 v3, 31, v6
	v_lshrrev_b32_e32 v22, 31, v5
	v_cmp_lt_i32_e64 s13, v6, v5
	v_add_nc_u32_e32 v3, v6, v3
	v_add_nc_u32_e32 v22, v5, v22
	v_cndmask_b32_e64 v23, 0, 1, s13
	v_and_b32_e32 v3, -2, v3
	v_and_b32_e32 v22, -2, v22
	v_sub_nc_u32_e32 v3, v6, v3
	v_sub_nc_u32_e32 v22, v5, v22
	v_cmp_eq_u32_e64 s13, 0, v3
	v_cndmask_b32_e64 v24, 0, 1, s13
	v_cmp_eq_u32_e64 s13, v3, v22
	v_cndmask_b32_e64 v3, v24, v23, s13
	v_and_b32_e32 v3, 1, v3
	v_cmp_eq_u32_e64 s13, 1, v3
	v_mov_b32_e32 v3, v6
	s_and_saveexec_b32 s19, s13
; %bb.426:
	v_mov_b32_e32 v3, v5
	v_mov_b32_e32 v5, v6
; %bb.427:
	s_or_b32 exec_lo, exec_lo, s19
	v_mov_b32_e32 v6, v3
	s_or_b32 exec_lo, exec_lo, s18
	s_and_saveexec_b32 s18, s6
	s_cbranch_execnz .LBB407_381
.LBB407_428:
	s_or_b32 exec_lo, exec_lo, s18
	s_and_saveexec_b32 s18, s7
	s_cbranch_execz .LBB407_384
.LBB407_429:
	v_lshrrev_b32_e32 v3, 31, v11
	v_lshrrev_b32_e32 v22, 31, v10
	v_cmp_lt_i32_e64 s13, v11, v10
	v_add_nc_u32_e32 v3, v11, v3
	v_add_nc_u32_e32 v22, v10, v22
	v_cndmask_b32_e64 v23, 0, 1, s13
	v_and_b32_e32 v3, -2, v3
	v_and_b32_e32 v22, -2, v22
	v_sub_nc_u32_e32 v3, v11, v3
	v_sub_nc_u32_e32 v22, v10, v22
	v_cmp_eq_u32_e64 s13, 0, v3
	v_cndmask_b32_e64 v24, 0, 1, s13
	v_cmp_eq_u32_e64 s13, v3, v22
	v_cndmask_b32_e64 v3, v24, v23, s13
	v_and_b32_e32 v3, 1, v3
	v_cmp_eq_u32_e64 s13, 1, v3
	v_mov_b32_e32 v3, v11
	s_and_saveexec_b32 s19, s13
; %bb.430:
	v_mov_b32_e32 v3, v10
	v_mov_b32_e32 v10, v11
; %bb.431:
	s_or_b32 exec_lo, exec_lo, s19
	v_mov_b32_e32 v11, v3
	s_or_b32 exec_lo, exec_lo, s18
	s_and_saveexec_b32 s18, s8
	s_cbranch_execnz .LBB407_385
.LBB407_432:
	s_or_b32 exec_lo, exec_lo, s18
	s_and_saveexec_b32 s18, s9
	s_cbranch_execz .LBB407_388
.LBB407_433:
	v_lshrrev_b32_e32 v3, 31, v7
	v_lshrrev_b32_e32 v22, 31, v6
	v_cmp_lt_i32_e64 s13, v7, v6
	v_add_nc_u32_e32 v3, v7, v3
	v_add_nc_u32_e32 v22, v6, v22
	v_cndmask_b32_e64 v23, 0, 1, s13
	v_and_b32_e32 v3, -2, v3
	v_and_b32_e32 v22, -2, v22
	v_sub_nc_u32_e32 v3, v7, v3
	v_sub_nc_u32_e32 v22, v6, v22
	v_cmp_eq_u32_e64 s13, 0, v3
	v_cndmask_b32_e64 v24, 0, 1, s13
	v_cmp_eq_u32_e64 s13, v3, v22
	v_cndmask_b32_e64 v3, v24, v23, s13
	v_and_b32_e32 v3, 1, v3
	v_cmp_eq_u32_e64 s13, 1, v3
	v_mov_b32_e32 v3, v7
	s_and_saveexec_b32 s19, s13
; %bb.434:
	v_mov_b32_e32 v3, v6
	v_mov_b32_e32 v6, v7
; %bb.435:
	s_or_b32 exec_lo, exec_lo, s19
	v_mov_b32_e32 v7, v3
	s_or_b32 exec_lo, exec_lo, s18
	s_and_saveexec_b32 s18, s10
	s_cbranch_execnz .LBB407_389
.LBB407_436:
	s_or_b32 exec_lo, exec_lo, s18
	s_and_saveexec_b32 s18, s11
	s_cbranch_execz .LBB407_392
.LBB407_437:
	v_lshrrev_b32_e32 v3, 31, v4
	v_lshrrev_b32_e32 v22, 31, v11
	v_cmp_lt_i32_e64 s13, v4, v11
	v_add_nc_u32_e32 v3, v4, v3
	v_add_nc_u32_e32 v22, v11, v22
	v_cndmask_b32_e64 v23, 0, 1, s13
	v_and_b32_e32 v3, -2, v3
	v_and_b32_e32 v22, -2, v22
	v_sub_nc_u32_e32 v3, v4, v3
	v_sub_nc_u32_e32 v22, v11, v22
	v_cmp_eq_u32_e64 s13, 0, v3
	v_cndmask_b32_e64 v24, 0, 1, s13
	v_cmp_eq_u32_e64 s13, v3, v22
	v_cndmask_b32_e64 v3, v24, v23, s13
	v_and_b32_e32 v3, 1, v3
	v_cmp_eq_u32_e64 s13, 1, v3
	v_mov_b32_e32 v3, v4
	s_and_saveexec_b32 s19, s13
; %bb.438:
	v_mov_b32_e32 v3, v11
	v_mov_b32_e32 v11, v4
; %bb.439:
	s_or_b32 exec_lo, exec_lo, s19
	v_mov_b32_e32 v4, v3
	s_or_b32 exec_lo, exec_lo, s18
	s_and_saveexec_b32 s18, s12
	s_cbranch_execnz .LBB407_393
.LBB407_440:
	s_or_b32 exec_lo, exec_lo, s18
	s_and_saveexec_b32 s13, s6
	s_cbranch_execz .LBB407_396
.LBB407_441:
	v_lshrrev_b32_e32 v3, 31, v9
	v_lshrrev_b32_e32 v22, 31, v8
	v_cmp_lt_i32_e64 s6, v9, v8
	v_add_nc_u32_e32 v3, v9, v3
	v_add_nc_u32_e32 v22, v8, v22
	v_cndmask_b32_e64 v23, 0, 1, s6
	v_and_b32_e32 v3, -2, v3
	v_and_b32_e32 v22, -2, v22
	v_sub_nc_u32_e32 v3, v9, v3
	v_sub_nc_u32_e32 v22, v8, v22
	v_cmp_eq_u32_e64 s6, 0, v3
	v_cndmask_b32_e64 v24, 0, 1, s6
	v_cmp_eq_u32_e64 s6, v3, v22
	v_cndmask_b32_e64 v3, v24, v23, s6
	v_and_b32_e32 v3, 1, v3
	v_cmp_eq_u32_e64 s6, 1, v3
	v_mov_b32_e32 v3, v9
	s_and_saveexec_b32 s18, s6
; %bb.442:
	v_mov_b32_e32 v3, v8
	v_mov_b32_e32 v8, v9
; %bb.443:
	s_or_b32 exec_lo, exec_lo, s18
	v_mov_b32_e32 v9, v3
	s_or_b32 exec_lo, exec_lo, s13
	s_and_saveexec_b32 s13, s7
	s_cbranch_execnz .LBB407_397
.LBB407_444:
	s_or_b32 exec_lo, exec_lo, s13
	s_and_saveexec_b32 s7, s8
	s_cbranch_execz .LBB407_400
.LBB407_445:
	v_lshrrev_b32_e32 v3, 31, v5
	v_lshrrev_b32_e32 v22, 31, v4
	v_cmp_lt_i32_e64 s6, v5, v4
	v_add_nc_u32_e32 v3, v5, v3
	v_add_nc_u32_e32 v22, v4, v22
	v_cndmask_b32_e64 v23, 0, 1, s6
	v_and_b32_e32 v3, -2, v3
	v_and_b32_e32 v22, -2, v22
	v_sub_nc_u32_e32 v3, v5, v3
	v_sub_nc_u32_e32 v22, v4, v22
	v_cmp_eq_u32_e64 s6, 0, v3
	v_cndmask_b32_e64 v24, 0, 1, s6
	v_cmp_eq_u32_e64 s6, v3, v22
	v_cndmask_b32_e64 v3, v24, v23, s6
	v_and_b32_e32 v3, 1, v3
	v_cmp_eq_u32_e64 s6, 1, v3
	v_mov_b32_e32 v3, v5
	s_and_saveexec_b32 s8, s6
; %bb.446:
	v_mov_b32_e32 v3, v4
	v_mov_b32_e32 v4, v5
; %bb.447:
	s_or_b32 exec_lo, exec_lo, s8
	v_mov_b32_e32 v5, v3
	s_or_b32 exec_lo, exec_lo, s7
	s_and_saveexec_b32 s7, s9
	s_cbranch_execnz .LBB407_401
.LBB407_448:
	s_or_b32 exec_lo, exec_lo, s7
	s_and_saveexec_b32 s7, s10
	s_cbranch_execz .LBB407_404
.LBB407_449:
	v_lshrrev_b32_e32 v3, 31, v10
	v_lshrrev_b32_e32 v22, 31, v9
	v_cmp_lt_i32_e64 s6, v10, v9
	v_add_nc_u32_e32 v3, v10, v3
	v_add_nc_u32_e32 v22, v9, v22
	v_cndmask_b32_e64 v23, 0, 1, s6
	v_and_b32_e32 v3, -2, v3
	v_and_b32_e32 v22, -2, v22
	v_sub_nc_u32_e32 v3, v10, v3
	v_sub_nc_u32_e32 v22, v9, v22
	v_cmp_eq_u32_e64 s6, 0, v3
	v_cndmask_b32_e64 v24, 0, 1, s6
	v_cmp_eq_u32_e64 s6, v3, v22
	v_cndmask_b32_e64 v3, v24, v23, s6
	v_and_b32_e32 v3, 1, v3
	v_cmp_eq_u32_e64 s6, 1, v3
	v_mov_b32_e32 v3, v10
	s_and_saveexec_b32 s8, s6
; %bb.450:
	v_mov_b32_e32 v3, v9
	v_mov_b32_e32 v9, v10
; %bb.451:
	s_or_b32 exec_lo, exec_lo, s8
	v_mov_b32_e32 v10, v3
	s_or_b32 exec_lo, exec_lo, s7
	s_and_saveexec_b32 s7, s11
	s_cbranch_execnz .LBB407_405
.LBB407_452:
	s_or_b32 exec_lo, exec_lo, s7
	s_and_saveexec_b32 s7, s12
	s_cbranch_execz .LBB407_456
.LBB407_453:
	v_lshrrev_b32_e32 v3, 31, v6
	v_lshrrev_b32_e32 v22, 31, v5
	v_cmp_lt_i32_e64 s6, v6, v5
	v_add_nc_u32_e32 v3, v6, v3
	v_add_nc_u32_e32 v22, v5, v22
	v_cndmask_b32_e64 v23, 0, 1, s6
	v_and_b32_e32 v3, -2, v3
	v_and_b32_e32 v22, -2, v22
	v_sub_nc_u32_e32 v3, v6, v3
	v_sub_nc_u32_e32 v22, v5, v22
	v_cmp_eq_u32_e64 s6, 0, v3
	v_cndmask_b32_e64 v24, 0, 1, s6
	v_cmp_eq_u32_e64 s6, v3, v22
	v_cndmask_b32_e64 v3, v24, v23, s6
	v_and_b32_e32 v3, 1, v3
	v_cmp_eq_u32_e64 s6, 1, v3
	v_mov_b32_e32 v3, v6
	s_and_saveexec_b32 s8, s6
; %bb.454:
	v_mov_b32_e32 v3, v5
	v_mov_b32_e32 v5, v6
; %bb.455:
	s_or_b32 exec_lo, exec_lo, s8
	v_mov_b32_e32 v6, v3
.LBB407_456:
	s_or_b32 exec_lo, exec_lo, s7
	v_mbcnt_lo_u32_b32 v23, -1, 0
	v_and_b32_e32 v2, 0xffffff00, v2
	s_mov_b32 s7, 0
	s_mov_b32 s8, exec_lo
	v_lshlrev_b32_e32 v22, 3, v23
	v_sub_nc_u32_e64 v3, s17, v2 clamp
	v_lshlrev_b32_e32 v2, 2, v2
	v_lshlrev_b32_e32 v23, 5, v23
	v_or_b32_e32 v24, 8, v22
	v_and_b32_e32 v26, 8, v22
	v_and_b32_e32 v28, 0xf0, v22
	v_or_b32_e32 v31, v2, v23
	ds_write_b128 v31, v[8:11]
	ds_write_b128 v31, v[4:7] offset:16
	v_min_u32_e32 v24, v3, v24
	v_min_u32_e32 v29, v3, v26
	; wave barrier
	v_add_nc_u32_e32 v25, 8, v24
	v_sub_nc_u32_e32 v27, v24, v28
	v_min_u32_e32 v25, v3, v25
	v_min_u32_e32 v30, v29, v27
	v_lshl_or_b32 v27, v28, 2, v2
	v_sub_nc_u32_e32 v26, v25, v24
	v_sub_nc_u32_e64 v26, v29, v26 clamp
	v_cmpx_lt_u32_e64 v26, v30
	s_cbranch_execz .LBB407_460
; %bb.457:
	v_lshlrev_b32_e32 v31, 2, v24
	v_lshlrev_b32_e32 v32, 2, v29
	v_add3_u32 v31, v2, v31, v32
	s_inst_prefetch 0x1
	.p2align	6
.LBB407_458:                            ; =>This Inner Loop Header: Depth=1
	v_add_nc_u32_e32 v32, v30, v26
	v_lshrrev_b32_e32 v32, 1, v32
	v_not_b32_e32 v33, v32
	v_lshl_add_u32 v34, v32, 2, v27
	v_lshl_add_u32 v33, v33, 2, v31
	ds_read_b32 v34, v34
	ds_read_b32 v33, v33
	s_waitcnt lgkmcnt(1)
	v_lshrrev_b32_e32 v36, 31, v34
	s_waitcnt lgkmcnt(0)
	v_lshrrev_b32_e32 v35, 31, v33
	v_cmp_lt_i32_e64 s6, v33, v34
	v_add_nc_u32_e32 v36, v34, v36
	v_add_nc_u32_e32 v35, v33, v35
	v_and_b32_e32 v36, -2, v36
	v_and_b32_e32 v35, -2, v35
	v_sub_nc_u32_e32 v34, v34, v36
	v_sub_nc_u32_e32 v35, v33, v35
	v_cndmask_b32_e64 v33, 0, 1, s6
	v_cmp_eq_u32_e64 s6, 0, v35
	v_cndmask_b32_e64 v36, 0, 1, s6
	v_cmp_eq_u32_e64 s6, v35, v34
	v_add_nc_u32_e32 v34, 1, v32
	v_cndmask_b32_e64 v33, v36, v33, s6
	v_and_b32_e32 v33, 1, v33
	v_cmp_eq_u32_e64 s6, 1, v33
	v_cndmask_b32_e64 v30, v30, v32, s6
	v_cndmask_b32_e64 v26, v34, v26, s6
	v_cmp_ge_u32_e64 s6, v26, v30
	s_or_b32 s7, s6, s7
	s_andn2_b32 exec_lo, exec_lo, s7
	s_cbranch_execnz .LBB407_458
; %bb.459:
	s_inst_prefetch 0x2
	s_or_b32 exec_lo, exec_lo, s7
.LBB407_460:
	s_or_b32 exec_lo, exec_lo, s8
	v_add_nc_u32_e32 v29, v24, v29
	v_add_nc_u32_e32 v28, v26, v28
	v_sub_nc_u32_e32 v29, v29, v26
	v_cmp_le_u32_e64 s6, v28, v24
	v_cmp_le_u32_e64 s7, v29, v25
	s_or_b32 s6, s6, s7
	s_and_saveexec_b32 s8, s6
	s_cbranch_execz .LBB407_496
; %bb.461:
	v_cmp_ge_u32_e64 s6, v28, v24
	s_mov_b32 s9, exec_lo
                                        ; implicit-def: $vgpr6
	v_cmpx_lt_u32_e64 v28, v24
; %bb.462:
	v_lshl_add_u32 v4, v26, 2, v27
	ds_read_b32 v6, v4
; %bb.463:
	s_or_b32 exec_lo, exec_lo, s9
	v_cmp_ge_u32_e64 s9, v29, v25
	s_mov_b32 s10, exec_lo
                                        ; implicit-def: $vgpr8
	v_cmpx_lt_u32_e64 v29, v25
; %bb.464:
	v_lshl_add_u32 v4, v29, 2, v2
	ds_read_b32 v8, v4
; %bb.465:
	s_or_b32 exec_lo, exec_lo, s10
	s_nor_b32 s6, s6, s9
	s_and_saveexec_b32 s7, s6
	s_cbranch_execz .LBB407_467
; %bb.466:
	s_waitcnt lgkmcnt(0)
	v_lshrrev_b32_e32 v4, 31, v8
	v_lshrrev_b32_e32 v5, 31, v6
	v_cmp_ge_i32_e64 s6, v8, v6
	s_andn2_b32 s9, s9, exec_lo
	v_add_nc_u32_e32 v4, v8, v4
	v_add_nc_u32_e32 v5, v6, v5
	v_cndmask_b32_e64 v7, 0, 1, s6
	v_and_b32_e32 v4, -2, v4
	v_and_b32_e32 v5, -2, v5
	v_sub_nc_u32_e32 v4, v8, v4
	v_sub_nc_u32_e32 v5, v6, v5
	v_cmp_ne_u32_e64 s6, 0, v4
	v_cndmask_b32_e64 v9, 0, 1, s6
	v_cmp_eq_u32_e64 s6, v4, v5
	v_cndmask_b32_e64 v4, v9, v7, s6
	v_and_b32_e32 v4, 1, v4
	v_cmp_eq_u32_e64 s6, 1, v4
	s_and_b32 s6, s6, exec_lo
	s_or_b32 s9, s9, s6
.LBB407_467:
	s_or_b32 exec_lo, exec_lo, s7
	v_cndmask_b32_e64 v4, v29, v28, s9
	v_cndmask_b32_e64 v5, v25, v24, s9
	s_mov_b32 s10, -1
	s_mov_b32 s7, -1
	s_mov_b32 s11, exec_lo
	v_add_nc_u32_e32 v7, 1, v4
	v_add_nc_u32_e32 v4, -1, v5
	v_cndmask_b32_e64 v5, v28, v7, s9
	v_min_u32_e32 v4, v7, v4
	v_lshl_add_u32 v4, v4, 2, v2
	ds_read_b32 v10, v4
	v_cndmask_b32_e64 v4, v7, v29, s9
	s_waitcnt lgkmcnt(0)
	v_cndmask_b32_e64 v9, v10, v8, s9
	v_cndmask_b32_e64 v26, v6, v10, s9
	v_cmpx_lt_u32_e64 v4, v25
	s_cbranch_execz .LBB407_471
; %bb.468:
	s_mov_b32 s12, 0
	s_mov_b32 s7, exec_lo
	v_cmpx_lt_u32_e64 v5, v24
	s_cbranch_execz .LBB407_470
; %bb.469:
	v_lshrrev_b32_e32 v7, 31, v9
	v_lshrrev_b32_e32 v10, 31, v26
	v_cmp_ge_i32_e64 s6, v9, v26
	v_add_nc_u32_e32 v7, v9, v7
	v_add_nc_u32_e32 v10, v26, v10
	v_cndmask_b32_e64 v11, 0, 1, s6
	v_and_b32_e32 v7, -2, v7
	v_and_b32_e32 v10, -2, v10
	v_sub_nc_u32_e32 v7, v9, v7
	v_sub_nc_u32_e32 v10, v26, v10
	v_cmp_ne_u32_e64 s6, 0, v7
	v_cndmask_b32_e64 v27, 0, 1, s6
	v_cmp_eq_u32_e64 s6, v7, v10
	v_cndmask_b32_e64 v7, v27, v11, s6
	v_and_b32_e32 v7, 1, v7
	v_cmp_eq_u32_e64 s6, 1, v7
	s_and_b32 s12, s6, exec_lo
.LBB407_470:
	s_or_b32 exec_lo, exec_lo, s7
	s_orn2_b32 s7, s12, exec_lo
.LBB407_471:
	s_or_b32 exec_lo, exec_lo, s11
	v_cndmask_b32_e64 v7, v4, v5, s7
	v_cndmask_b32_e64 v10, v25, v24, s7
	s_mov_b32 s11, exec_lo
	v_add_nc_u32_e32 v7, 1, v7
	v_add_nc_u32_e32 v10, -1, v10
	v_cndmask_b32_e64 v4, v7, v4, s7
	v_min_u32_e32 v10, v7, v10
	v_cndmask_b32_e64 v5, v5, v7, s7
	v_lshl_add_u32 v10, v10, 2, v2
	ds_read_b32 v11, v10
	s_waitcnt lgkmcnt(0)
	v_cndmask_b32_e64 v10, v11, v9, s7
	v_cndmask_b32_e64 v27, v26, v11, s7
	v_cmpx_lt_u32_e64 v4, v25
	s_cbranch_execz .LBB407_475
; %bb.472:
	s_mov_b32 s12, 0
	s_mov_b32 s10, exec_lo
	v_cmpx_lt_u32_e64 v5, v24
	s_cbranch_execz .LBB407_474
; %bb.473:
	v_lshrrev_b32_e32 v7, 31, v10
	v_lshrrev_b32_e32 v11, 31, v27
	v_cmp_ge_i32_e64 s6, v10, v27
	v_add_nc_u32_e32 v7, v10, v7
	v_add_nc_u32_e32 v11, v27, v11
	v_cndmask_b32_e64 v28, 0, 1, s6
	v_and_b32_e32 v7, -2, v7
	v_and_b32_e32 v11, -2, v11
	v_sub_nc_u32_e32 v7, v10, v7
	v_sub_nc_u32_e32 v11, v27, v11
	v_cmp_ne_u32_e64 s6, 0, v7
	v_cndmask_b32_e64 v29, 0, 1, s6
	v_cmp_eq_u32_e64 s6, v7, v11
	v_cndmask_b32_e64 v7, v29, v28, s6
	v_and_b32_e32 v7, 1, v7
	v_cmp_eq_u32_e64 s6, 1, v7
	s_and_b32 s12, s6, exec_lo
.LBB407_474:
	s_or_b32 exec_lo, exec_lo, s10
	s_orn2_b32 s10, s12, exec_lo
.LBB407_475:
	s_or_b32 exec_lo, exec_lo, s11
	v_cndmask_b32_e64 v7, v4, v5, s10
	v_cndmask_b32_e64 v11, v25, v24, s10
	s_mov_b32 s12, -1
	s_mov_b32 s11, -1
	s_mov_b32 s13, exec_lo
	v_add_nc_u32_e32 v7, 1, v7
	v_add_nc_u32_e32 v11, -1, v11
	v_cndmask_b32_e64 v4, v7, v4, s10
	v_min_u32_e32 v11, v7, v11
	v_cndmask_b32_e64 v5, v5, v7, s10
	v_lshl_add_u32 v11, v11, 2, v2
	ds_read_b32 v28, v11
	s_waitcnt lgkmcnt(0)
	v_cndmask_b32_e64 v11, v28, v10, s10
	v_cndmask_b32_e64 v28, v27, v28, s10
	v_cmpx_lt_u32_e64 v4, v25
	s_cbranch_execz .LBB407_479
; %bb.476:
	s_mov_b32 s18, 0
	s_mov_b32 s11, exec_lo
	v_cmpx_lt_u32_e64 v5, v24
	s_cbranch_execz .LBB407_478
; %bb.477:
	v_lshrrev_b32_e32 v7, 31, v11
	v_lshrrev_b32_e32 v29, 31, v28
	v_cmp_ge_i32_e64 s6, v11, v28
	v_add_nc_u32_e32 v7, v11, v7
	v_add_nc_u32_e32 v29, v28, v29
	v_cndmask_b32_e64 v30, 0, 1, s6
	v_and_b32_e32 v7, -2, v7
	v_and_b32_e32 v29, -2, v29
	v_sub_nc_u32_e32 v7, v11, v7
	v_sub_nc_u32_e32 v29, v28, v29
	v_cmp_ne_u32_e64 s6, 0, v7
	v_cndmask_b32_e64 v31, 0, 1, s6
	v_cmp_eq_u32_e64 s6, v7, v29
	v_cndmask_b32_e64 v7, v31, v30, s6
	v_and_b32_e32 v7, 1, v7
	v_cmp_eq_u32_e64 s6, 1, v7
	s_and_b32 s18, s6, exec_lo
.LBB407_478:
	s_or_b32 exec_lo, exec_lo, s11
	s_orn2_b32 s11, s18, exec_lo
.LBB407_479:
	s_or_b32 exec_lo, exec_lo, s13
	v_cndmask_b32_e64 v7, v4, v5, s11
	v_cndmask_b32_e64 v29, v25, v24, s11
	s_mov_b32 s13, exec_lo
	v_add_nc_u32_e32 v30, 1, v7
	v_add_nc_u32_e32 v7, -1, v29
	v_cndmask_b32_e64 v5, v5, v30, s11
	v_min_u32_e32 v7, v30, v7
	v_lshl_add_u32 v7, v7, 2, v2
	ds_read_b32 v29, v7
	v_cndmask_b32_e64 v7, v30, v4, s11
	s_waitcnt lgkmcnt(0)
	v_cndmask_b32_e64 v4, v29, v11, s11
	v_cndmask_b32_e64 v29, v28, v29, s11
	v_cmpx_lt_u32_e64 v7, v25
	s_cbranch_execz .LBB407_483
; %bb.480:
	s_mov_b32 s18, 0
	s_mov_b32 s12, exec_lo
	v_cmpx_lt_u32_e64 v5, v24
	s_cbranch_execz .LBB407_482
; %bb.481:
	v_lshrrev_b32_e32 v30, 31, v4
	v_lshrrev_b32_e32 v31, 31, v29
	v_cmp_ge_i32_e64 s6, v4, v29
	v_add_nc_u32_e32 v30, v4, v30
	v_add_nc_u32_e32 v31, v29, v31
	v_cndmask_b32_e64 v32, 0, 1, s6
	v_and_b32_e32 v30, -2, v30
	v_and_b32_e32 v31, -2, v31
	v_sub_nc_u32_e32 v30, v4, v30
	v_sub_nc_u32_e32 v31, v29, v31
	v_cmp_ne_u32_e64 s6, 0, v30
	v_cndmask_b32_e64 v33, 0, 1, s6
	v_cmp_eq_u32_e64 s6, v30, v31
	v_cndmask_b32_e64 v30, v33, v32, s6
	v_and_b32_e32 v30, 1, v30
	v_cmp_eq_u32_e64 s6, 1, v30
	s_and_b32 s18, s6, exec_lo
.LBB407_482:
	s_or_b32 exec_lo, exec_lo, s12
	s_orn2_b32 s12, s18, exec_lo
.LBB407_483:
	s_or_b32 exec_lo, exec_lo, s13
	v_cndmask_b32_e64 v30, v7, v5, s12
	v_cndmask_b32_e64 v31, v25, v24, s12
	s_mov_b32 s13, -1
	s_mov_b32 s18, -1
	s_mov_b32 s19, exec_lo
	v_add_nc_u32_e32 v30, 1, v30
	v_add_nc_u32_e32 v31, -1, v31
	v_cndmask_b32_e64 v7, v30, v7, s12
	v_min_u32_e32 v31, v30, v31
	v_lshl_add_u32 v31, v31, 2, v2
	ds_read_b32 v32, v31
	v_cndmask_b32_e64 v31, v5, v30, s12
	s_waitcnt lgkmcnt(0)
	v_cndmask_b32_e64 v5, v32, v4, s12
	v_cndmask_b32_e64 v30, v29, v32, s12
	v_cmpx_lt_u32_e64 v7, v25
	s_cbranch_execz .LBB407_487
; %bb.484:
	s_mov_b32 s20, 0
	s_mov_b32 s18, exec_lo
	v_cmpx_lt_u32_e64 v31, v24
	s_cbranch_execz .LBB407_486
; %bb.485:
	v_lshrrev_b32_e32 v32, 31, v5
	v_lshrrev_b32_e32 v33, 31, v30
	v_cmp_ge_i32_e64 s6, v5, v30
	v_add_nc_u32_e32 v32, v5, v32
	v_add_nc_u32_e32 v33, v30, v33
	v_cndmask_b32_e64 v34, 0, 1, s6
	v_and_b32_e32 v32, -2, v32
	v_and_b32_e32 v33, -2, v33
	v_sub_nc_u32_e32 v32, v5, v32
	v_sub_nc_u32_e32 v33, v30, v33
	v_cmp_ne_u32_e64 s6, 0, v32
	v_cndmask_b32_e64 v35, 0, 1, s6
	v_cmp_eq_u32_e64 s6, v32, v33
	v_cndmask_b32_e64 v32, v35, v34, s6
	v_and_b32_e32 v32, 1, v32
	v_cmp_eq_u32_e64 s6, 1, v32
	s_and_b32 s20, s6, exec_lo
.LBB407_486:
	s_or_b32 exec_lo, exec_lo, s18
	s_orn2_b32 s18, s20, exec_lo
.LBB407_487:
	s_or_b32 exec_lo, exec_lo, s19
	v_cndmask_b32_e64 v32, v7, v31, s18
	v_cndmask_b32_e64 v33, v25, v24, s18
	s_mov_b32 s19, exec_lo
	v_add_nc_u32_e32 v32, 1, v32
	v_add_nc_u32_e32 v33, -1, v33
	v_cndmask_b32_e64 v7, v32, v7, s18
	v_min_u32_e32 v33, v32, v33
	v_lshl_add_u32 v33, v33, 2, v2
	ds_read_b32 v34, v33
	v_cndmask_b32_e64 v33, v31, v32, s18
	s_waitcnt lgkmcnt(0)
	v_cndmask_b32_e64 v31, v34, v5, s18
	v_cndmask_b32_e64 v32, v30, v34, s18
	v_cmpx_lt_u32_e64 v7, v25
	s_cbranch_execz .LBB407_491
; %bb.488:
	s_mov_b32 s20, 0
	s_mov_b32 s13, exec_lo
	v_cmpx_lt_u32_e64 v33, v24
	s_cbranch_execz .LBB407_490
; %bb.489:
	v_lshrrev_b32_e32 v34, 31, v31
	v_lshrrev_b32_e32 v35, 31, v32
	v_cmp_ge_i32_e64 s6, v31, v32
	v_add_nc_u32_e32 v34, v31, v34
	v_add_nc_u32_e32 v35, v32, v35
	v_cndmask_b32_e64 v36, 0, 1, s6
	v_and_b32_e32 v34, -2, v34
	v_and_b32_e32 v35, -2, v35
	v_sub_nc_u32_e32 v34, v31, v34
	v_sub_nc_u32_e32 v35, v32, v35
	v_cmp_ne_u32_e64 s6, 0, v34
	v_cndmask_b32_e64 v37, 0, 1, s6
	v_cmp_eq_u32_e64 s6, v34, v35
	v_cndmask_b32_e64 v34, v37, v36, s6
	v_and_b32_e32 v34, 1, v34
	v_cmp_eq_u32_e64 s6, 1, v34
	s_and_b32 s20, s6, exec_lo
.LBB407_490:
	s_or_b32 exec_lo, exec_lo, s13
	s_orn2_b32 s13, s20, exec_lo
.LBB407_491:
	s_or_b32 exec_lo, exec_lo, s19
	v_cndmask_b32_e64 v34, v7, v33, s13
	v_cndmask_b32_e64 v35, v25, v24, s13
	s_mov_b32 s19, exec_lo
	v_add_nc_u32_e32 v34, 1, v34
	v_add_nc_u32_e32 v35, -1, v35
	v_cndmask_b32_e64 v36, v34, v7, s13
	v_min_u32_e32 v35, v34, v35
	v_lshl_add_u32 v35, v35, 2, v2
	ds_read_b32 v35, v35
	s_waitcnt lgkmcnt(0)
	v_cndmask_b32_e64 v7, v32, v35, s13
	v_cmpx_lt_u32_e64 v36, v25
	s_cbranch_execz .LBB407_495
; %bb.492:
	v_cndmask_b32_e64 v33, v33, v34, s13
	v_cndmask_b32_e64 v25, v35, v31, s13
	s_mov_b32 s20, exec_lo
	v_cmpx_lt_u32_e64 v33, v24
	s_cbranch_execz .LBB407_494
; %bb.493:
	v_lshrrev_b32_e32 v24, 31, v25
	v_lshrrev_b32_e32 v33, 31, v7
	v_cmp_ge_i32_e64 s6, v25, v7
	v_add_nc_u32_e32 v24, v25, v24
	v_add_nc_u32_e32 v33, v7, v33
	v_cndmask_b32_e64 v34, 0, 1, s6
	v_and_b32_e32 v24, -2, v24
	v_and_b32_e32 v33, -2, v33
	v_sub_nc_u32_e32 v24, v25, v24
	v_sub_nc_u32_e32 v33, v7, v33
	v_cmp_ne_u32_e64 s6, 0, v24
	v_cndmask_b32_e64 v35, 0, 1, s6
	v_cmp_eq_u32_e64 s6, v24, v33
	v_cndmask_b32_e64 v24, v35, v34, s6
	v_and_b32_e32 v24, 1, v24
	v_cmp_eq_u32_e64 s6, 1, v24
	v_cndmask_b32_e64 v25, v25, v7, s6
.LBB407_494:
	s_or_b32 exec_lo, exec_lo, s20
	v_mov_b32_e32 v7, v25
.LBB407_495:
	s_or_b32 exec_lo, exec_lo, s19
	v_cndmask_b32_e64 v5, v5, v30, s18
	v_cndmask_b32_e64 v4, v4, v29, s12
	;; [unrolled: 1-line block ×7, first 2 shown]
.LBB407_496:
	s_or_b32 exec_lo, exec_lo, s8
	v_and_b32_e32 v28, 0xe0, v22
	v_and_b32_e32 v26, 24, v22
	v_add_nc_u32_e32 v23, v2, v23
	s_mov_b32 s7, exec_lo
	v_or_b32_e32 v24, 16, v28
	v_min_u32_e32 v29, v3, v26
	; wave barrier
	ds_write_b128 v23, v[8:11]
	ds_write_b128 v23, v[4:7] offset:16
	v_min_u32_e32 v24, v3, v24
	; wave barrier
	v_add_nc_u32_e32 v25, 16, v24
	v_sub_nc_u32_e32 v27, v24, v28
	v_min_u32_e32 v25, v3, v25
	v_min_u32_e32 v30, v29, v27
	v_lshl_add_u32 v27, v28, 2, v2
	v_sub_nc_u32_e32 v26, v25, v24
	v_sub_nc_u32_e64 v26, v29, v26 clamp
	v_cmpx_lt_u32_e64 v26, v30
	s_cbranch_execz .LBB407_500
; %bb.497:
	v_lshlrev_b32_e32 v31, 2, v24
	v_lshlrev_b32_e32 v32, 2, v29
	s_mov_b32 s8, 0
	v_add3_u32 v31, v2, v31, v32
	s_inst_prefetch 0x1
	.p2align	6
.LBB407_498:                            ; =>This Inner Loop Header: Depth=1
	v_add_nc_u32_e32 v32, v30, v26
	v_lshrrev_b32_e32 v32, 1, v32
	v_not_b32_e32 v33, v32
	v_lshl_add_u32 v34, v32, 2, v27
	v_lshl_add_u32 v33, v33, 2, v31
	ds_read_b32 v34, v34
	ds_read_b32 v33, v33
	s_waitcnt lgkmcnt(1)
	v_lshrrev_b32_e32 v36, 31, v34
	s_waitcnt lgkmcnt(0)
	v_lshrrev_b32_e32 v35, 31, v33
	v_cmp_lt_i32_e64 s6, v33, v34
	v_add_nc_u32_e32 v36, v34, v36
	v_add_nc_u32_e32 v35, v33, v35
	v_and_b32_e32 v36, -2, v36
	v_and_b32_e32 v35, -2, v35
	v_sub_nc_u32_e32 v34, v34, v36
	v_sub_nc_u32_e32 v35, v33, v35
	v_cndmask_b32_e64 v33, 0, 1, s6
	v_cmp_eq_u32_e64 s6, 0, v35
	v_cndmask_b32_e64 v36, 0, 1, s6
	v_cmp_eq_u32_e64 s6, v35, v34
	v_add_nc_u32_e32 v34, 1, v32
	v_cndmask_b32_e64 v33, v36, v33, s6
	v_and_b32_e32 v33, 1, v33
	v_cmp_eq_u32_e64 s6, 1, v33
	v_cndmask_b32_e64 v30, v30, v32, s6
	v_cndmask_b32_e64 v26, v34, v26, s6
	v_cmp_ge_u32_e64 s6, v26, v30
	s_or_b32 s8, s6, s8
	s_andn2_b32 exec_lo, exec_lo, s8
	s_cbranch_execnz .LBB407_498
; %bb.499:
	s_inst_prefetch 0x2
	s_or_b32 exec_lo, exec_lo, s8
.LBB407_500:
	s_or_b32 exec_lo, exec_lo, s7
	v_add_nc_u32_e32 v29, v24, v29
	v_add_nc_u32_e32 v28, v26, v28
	v_sub_nc_u32_e32 v29, v29, v26
	v_cmp_le_u32_e64 s6, v28, v24
	v_cmp_le_u32_e64 s7, v29, v25
	s_or_b32 s6, s6, s7
	s_and_saveexec_b32 s8, s6
	s_cbranch_execz .LBB407_536
; %bb.501:
	v_cmp_ge_u32_e64 s6, v28, v24
	s_mov_b32 s9, exec_lo
                                        ; implicit-def: $vgpr6
	v_cmpx_lt_u32_e64 v28, v24
; %bb.502:
	v_lshl_add_u32 v4, v26, 2, v27
	ds_read_b32 v6, v4
; %bb.503:
	s_or_b32 exec_lo, exec_lo, s9
	v_cmp_ge_u32_e64 s9, v29, v25
	s_mov_b32 s10, exec_lo
                                        ; implicit-def: $vgpr8
	v_cmpx_lt_u32_e64 v29, v25
; %bb.504:
	v_lshl_add_u32 v4, v29, 2, v2
	ds_read_b32 v8, v4
; %bb.505:
	s_or_b32 exec_lo, exec_lo, s10
	s_nor_b32 s6, s6, s9
	s_and_saveexec_b32 s7, s6
	s_cbranch_execz .LBB407_507
; %bb.506:
	s_waitcnt lgkmcnt(0)
	v_lshrrev_b32_e32 v4, 31, v8
	v_lshrrev_b32_e32 v5, 31, v6
	v_cmp_ge_i32_e64 s6, v8, v6
	s_andn2_b32 s9, s9, exec_lo
	v_add_nc_u32_e32 v4, v8, v4
	v_add_nc_u32_e32 v5, v6, v5
	v_cndmask_b32_e64 v7, 0, 1, s6
	v_and_b32_e32 v4, -2, v4
	v_and_b32_e32 v5, -2, v5
	v_sub_nc_u32_e32 v4, v8, v4
	v_sub_nc_u32_e32 v5, v6, v5
	v_cmp_ne_u32_e64 s6, 0, v4
	v_cndmask_b32_e64 v9, 0, 1, s6
	v_cmp_eq_u32_e64 s6, v4, v5
	v_cndmask_b32_e64 v4, v9, v7, s6
	v_and_b32_e32 v4, 1, v4
	v_cmp_eq_u32_e64 s6, 1, v4
	s_and_b32 s6, s6, exec_lo
	s_or_b32 s9, s9, s6
.LBB407_507:
	s_or_b32 exec_lo, exec_lo, s7
	v_cndmask_b32_e64 v4, v29, v28, s9
	v_cndmask_b32_e64 v5, v25, v24, s9
	s_mov_b32 s10, -1
	s_mov_b32 s7, -1
	s_mov_b32 s11, exec_lo
	v_add_nc_u32_e32 v7, 1, v4
	v_add_nc_u32_e32 v4, -1, v5
	v_cndmask_b32_e64 v5, v28, v7, s9
	v_min_u32_e32 v4, v7, v4
	v_lshl_add_u32 v4, v4, 2, v2
	ds_read_b32 v10, v4
	v_cndmask_b32_e64 v4, v7, v29, s9
	s_waitcnt lgkmcnt(0)
	v_cndmask_b32_e64 v9, v10, v8, s9
	v_cndmask_b32_e64 v26, v6, v10, s9
	v_cmpx_lt_u32_e64 v4, v25
	s_cbranch_execz .LBB407_511
; %bb.508:
	s_mov_b32 s12, 0
	s_mov_b32 s7, exec_lo
	v_cmpx_lt_u32_e64 v5, v24
	s_cbranch_execz .LBB407_510
; %bb.509:
	v_lshrrev_b32_e32 v7, 31, v9
	v_lshrrev_b32_e32 v10, 31, v26
	v_cmp_ge_i32_e64 s6, v9, v26
	v_add_nc_u32_e32 v7, v9, v7
	v_add_nc_u32_e32 v10, v26, v10
	v_cndmask_b32_e64 v11, 0, 1, s6
	v_and_b32_e32 v7, -2, v7
	v_and_b32_e32 v10, -2, v10
	v_sub_nc_u32_e32 v7, v9, v7
	v_sub_nc_u32_e32 v10, v26, v10
	v_cmp_ne_u32_e64 s6, 0, v7
	v_cndmask_b32_e64 v27, 0, 1, s6
	v_cmp_eq_u32_e64 s6, v7, v10
	v_cndmask_b32_e64 v7, v27, v11, s6
	v_and_b32_e32 v7, 1, v7
	v_cmp_eq_u32_e64 s6, 1, v7
	s_and_b32 s12, s6, exec_lo
.LBB407_510:
	s_or_b32 exec_lo, exec_lo, s7
	s_orn2_b32 s7, s12, exec_lo
.LBB407_511:
	s_or_b32 exec_lo, exec_lo, s11
	v_cndmask_b32_e64 v7, v4, v5, s7
	v_cndmask_b32_e64 v10, v25, v24, s7
	s_mov_b32 s11, exec_lo
	v_add_nc_u32_e32 v7, 1, v7
	v_add_nc_u32_e32 v10, -1, v10
	v_cndmask_b32_e64 v4, v7, v4, s7
	v_min_u32_e32 v10, v7, v10
	v_cndmask_b32_e64 v5, v5, v7, s7
	v_lshl_add_u32 v10, v10, 2, v2
	ds_read_b32 v11, v10
	s_waitcnt lgkmcnt(0)
	v_cndmask_b32_e64 v10, v11, v9, s7
	v_cndmask_b32_e64 v27, v26, v11, s7
	v_cmpx_lt_u32_e64 v4, v25
	s_cbranch_execz .LBB407_515
; %bb.512:
	s_mov_b32 s12, 0
	s_mov_b32 s10, exec_lo
	v_cmpx_lt_u32_e64 v5, v24
	s_cbranch_execz .LBB407_514
; %bb.513:
	v_lshrrev_b32_e32 v7, 31, v10
	v_lshrrev_b32_e32 v11, 31, v27
	v_cmp_ge_i32_e64 s6, v10, v27
	v_add_nc_u32_e32 v7, v10, v7
	v_add_nc_u32_e32 v11, v27, v11
	v_cndmask_b32_e64 v28, 0, 1, s6
	v_and_b32_e32 v7, -2, v7
	v_and_b32_e32 v11, -2, v11
	v_sub_nc_u32_e32 v7, v10, v7
	v_sub_nc_u32_e32 v11, v27, v11
	v_cmp_ne_u32_e64 s6, 0, v7
	v_cndmask_b32_e64 v29, 0, 1, s6
	v_cmp_eq_u32_e64 s6, v7, v11
	v_cndmask_b32_e64 v7, v29, v28, s6
	v_and_b32_e32 v7, 1, v7
	v_cmp_eq_u32_e64 s6, 1, v7
	s_and_b32 s12, s6, exec_lo
.LBB407_514:
	s_or_b32 exec_lo, exec_lo, s10
	s_orn2_b32 s10, s12, exec_lo
.LBB407_515:
	s_or_b32 exec_lo, exec_lo, s11
	v_cndmask_b32_e64 v7, v4, v5, s10
	v_cndmask_b32_e64 v11, v25, v24, s10
	s_mov_b32 s12, -1
	s_mov_b32 s11, -1
	s_mov_b32 s13, exec_lo
	v_add_nc_u32_e32 v7, 1, v7
	v_add_nc_u32_e32 v11, -1, v11
	v_cndmask_b32_e64 v4, v7, v4, s10
	v_min_u32_e32 v11, v7, v11
	v_cndmask_b32_e64 v5, v5, v7, s10
	v_lshl_add_u32 v11, v11, 2, v2
	ds_read_b32 v28, v11
	s_waitcnt lgkmcnt(0)
	v_cndmask_b32_e64 v11, v28, v10, s10
	v_cndmask_b32_e64 v28, v27, v28, s10
	v_cmpx_lt_u32_e64 v4, v25
	s_cbranch_execz .LBB407_519
; %bb.516:
	s_mov_b32 s18, 0
	s_mov_b32 s11, exec_lo
	v_cmpx_lt_u32_e64 v5, v24
	s_cbranch_execz .LBB407_518
; %bb.517:
	v_lshrrev_b32_e32 v7, 31, v11
	v_lshrrev_b32_e32 v29, 31, v28
	v_cmp_ge_i32_e64 s6, v11, v28
	v_add_nc_u32_e32 v7, v11, v7
	v_add_nc_u32_e32 v29, v28, v29
	v_cndmask_b32_e64 v30, 0, 1, s6
	v_and_b32_e32 v7, -2, v7
	v_and_b32_e32 v29, -2, v29
	v_sub_nc_u32_e32 v7, v11, v7
	v_sub_nc_u32_e32 v29, v28, v29
	v_cmp_ne_u32_e64 s6, 0, v7
	v_cndmask_b32_e64 v31, 0, 1, s6
	v_cmp_eq_u32_e64 s6, v7, v29
	v_cndmask_b32_e64 v7, v31, v30, s6
	v_and_b32_e32 v7, 1, v7
	v_cmp_eq_u32_e64 s6, 1, v7
	s_and_b32 s18, s6, exec_lo
.LBB407_518:
	s_or_b32 exec_lo, exec_lo, s11
	s_orn2_b32 s11, s18, exec_lo
.LBB407_519:
	s_or_b32 exec_lo, exec_lo, s13
	v_cndmask_b32_e64 v7, v4, v5, s11
	v_cndmask_b32_e64 v29, v25, v24, s11
	s_mov_b32 s13, exec_lo
	v_add_nc_u32_e32 v30, 1, v7
	v_add_nc_u32_e32 v7, -1, v29
	v_cndmask_b32_e64 v5, v5, v30, s11
	v_min_u32_e32 v7, v30, v7
	v_lshl_add_u32 v7, v7, 2, v2
	ds_read_b32 v29, v7
	v_cndmask_b32_e64 v7, v30, v4, s11
	s_waitcnt lgkmcnt(0)
	v_cndmask_b32_e64 v4, v29, v11, s11
	v_cndmask_b32_e64 v29, v28, v29, s11
	v_cmpx_lt_u32_e64 v7, v25
	s_cbranch_execz .LBB407_523
; %bb.520:
	s_mov_b32 s18, 0
	s_mov_b32 s12, exec_lo
	v_cmpx_lt_u32_e64 v5, v24
	s_cbranch_execz .LBB407_522
; %bb.521:
	v_lshrrev_b32_e32 v30, 31, v4
	v_lshrrev_b32_e32 v31, 31, v29
	v_cmp_ge_i32_e64 s6, v4, v29
	v_add_nc_u32_e32 v30, v4, v30
	v_add_nc_u32_e32 v31, v29, v31
	v_cndmask_b32_e64 v32, 0, 1, s6
	v_and_b32_e32 v30, -2, v30
	v_and_b32_e32 v31, -2, v31
	v_sub_nc_u32_e32 v30, v4, v30
	v_sub_nc_u32_e32 v31, v29, v31
	v_cmp_ne_u32_e64 s6, 0, v30
	v_cndmask_b32_e64 v33, 0, 1, s6
	v_cmp_eq_u32_e64 s6, v30, v31
	v_cndmask_b32_e64 v30, v33, v32, s6
	v_and_b32_e32 v30, 1, v30
	v_cmp_eq_u32_e64 s6, 1, v30
	s_and_b32 s18, s6, exec_lo
.LBB407_522:
	s_or_b32 exec_lo, exec_lo, s12
	s_orn2_b32 s12, s18, exec_lo
.LBB407_523:
	s_or_b32 exec_lo, exec_lo, s13
	v_cndmask_b32_e64 v30, v7, v5, s12
	v_cndmask_b32_e64 v31, v25, v24, s12
	s_mov_b32 s13, -1
	s_mov_b32 s18, -1
	s_mov_b32 s19, exec_lo
	v_add_nc_u32_e32 v30, 1, v30
	v_add_nc_u32_e32 v31, -1, v31
	v_cndmask_b32_e64 v7, v30, v7, s12
	v_min_u32_e32 v31, v30, v31
	v_lshl_add_u32 v31, v31, 2, v2
	ds_read_b32 v32, v31
	v_cndmask_b32_e64 v31, v5, v30, s12
	s_waitcnt lgkmcnt(0)
	v_cndmask_b32_e64 v5, v32, v4, s12
	v_cndmask_b32_e64 v30, v29, v32, s12
	v_cmpx_lt_u32_e64 v7, v25
	s_cbranch_execz .LBB407_527
; %bb.524:
	s_mov_b32 s20, 0
	s_mov_b32 s18, exec_lo
	v_cmpx_lt_u32_e64 v31, v24
	s_cbranch_execz .LBB407_526
; %bb.525:
	v_lshrrev_b32_e32 v32, 31, v5
	v_lshrrev_b32_e32 v33, 31, v30
	v_cmp_ge_i32_e64 s6, v5, v30
	v_add_nc_u32_e32 v32, v5, v32
	v_add_nc_u32_e32 v33, v30, v33
	v_cndmask_b32_e64 v34, 0, 1, s6
	v_and_b32_e32 v32, -2, v32
	v_and_b32_e32 v33, -2, v33
	v_sub_nc_u32_e32 v32, v5, v32
	v_sub_nc_u32_e32 v33, v30, v33
	v_cmp_ne_u32_e64 s6, 0, v32
	v_cndmask_b32_e64 v35, 0, 1, s6
	v_cmp_eq_u32_e64 s6, v32, v33
	v_cndmask_b32_e64 v32, v35, v34, s6
	v_and_b32_e32 v32, 1, v32
	v_cmp_eq_u32_e64 s6, 1, v32
	s_and_b32 s20, s6, exec_lo
.LBB407_526:
	s_or_b32 exec_lo, exec_lo, s18
	s_orn2_b32 s18, s20, exec_lo
.LBB407_527:
	s_or_b32 exec_lo, exec_lo, s19
	v_cndmask_b32_e64 v32, v7, v31, s18
	v_cndmask_b32_e64 v33, v25, v24, s18
	s_mov_b32 s19, exec_lo
	v_add_nc_u32_e32 v32, 1, v32
	v_add_nc_u32_e32 v33, -1, v33
	v_cndmask_b32_e64 v7, v32, v7, s18
	v_min_u32_e32 v33, v32, v33
	v_lshl_add_u32 v33, v33, 2, v2
	ds_read_b32 v34, v33
	v_cndmask_b32_e64 v33, v31, v32, s18
	s_waitcnt lgkmcnt(0)
	v_cndmask_b32_e64 v31, v34, v5, s18
	v_cndmask_b32_e64 v32, v30, v34, s18
	v_cmpx_lt_u32_e64 v7, v25
	s_cbranch_execz .LBB407_531
; %bb.528:
	s_mov_b32 s20, 0
	s_mov_b32 s13, exec_lo
	v_cmpx_lt_u32_e64 v33, v24
	s_cbranch_execz .LBB407_530
; %bb.529:
	v_lshrrev_b32_e32 v34, 31, v31
	v_lshrrev_b32_e32 v35, 31, v32
	v_cmp_ge_i32_e64 s6, v31, v32
	v_add_nc_u32_e32 v34, v31, v34
	v_add_nc_u32_e32 v35, v32, v35
	v_cndmask_b32_e64 v36, 0, 1, s6
	v_and_b32_e32 v34, -2, v34
	v_and_b32_e32 v35, -2, v35
	v_sub_nc_u32_e32 v34, v31, v34
	v_sub_nc_u32_e32 v35, v32, v35
	v_cmp_ne_u32_e64 s6, 0, v34
	v_cndmask_b32_e64 v37, 0, 1, s6
	v_cmp_eq_u32_e64 s6, v34, v35
	v_cndmask_b32_e64 v34, v37, v36, s6
	v_and_b32_e32 v34, 1, v34
	v_cmp_eq_u32_e64 s6, 1, v34
	s_and_b32 s20, s6, exec_lo
.LBB407_530:
	s_or_b32 exec_lo, exec_lo, s13
	s_orn2_b32 s13, s20, exec_lo
.LBB407_531:
	s_or_b32 exec_lo, exec_lo, s19
	v_cndmask_b32_e64 v34, v7, v33, s13
	v_cndmask_b32_e64 v35, v25, v24, s13
	s_mov_b32 s19, exec_lo
	v_add_nc_u32_e32 v34, 1, v34
	v_add_nc_u32_e32 v35, -1, v35
	v_cndmask_b32_e64 v36, v34, v7, s13
	v_min_u32_e32 v35, v34, v35
	v_lshl_add_u32 v35, v35, 2, v2
	ds_read_b32 v35, v35
	s_waitcnt lgkmcnt(0)
	v_cndmask_b32_e64 v7, v32, v35, s13
	v_cmpx_lt_u32_e64 v36, v25
	s_cbranch_execz .LBB407_535
; %bb.532:
	v_cndmask_b32_e64 v33, v33, v34, s13
	v_cndmask_b32_e64 v25, v35, v31, s13
	s_mov_b32 s20, exec_lo
	v_cmpx_lt_u32_e64 v33, v24
	s_cbranch_execz .LBB407_534
; %bb.533:
	v_lshrrev_b32_e32 v24, 31, v25
	v_lshrrev_b32_e32 v33, 31, v7
	v_cmp_ge_i32_e64 s6, v25, v7
	v_add_nc_u32_e32 v24, v25, v24
	v_add_nc_u32_e32 v33, v7, v33
	v_cndmask_b32_e64 v34, 0, 1, s6
	v_and_b32_e32 v24, -2, v24
	v_and_b32_e32 v33, -2, v33
	v_sub_nc_u32_e32 v24, v25, v24
	v_sub_nc_u32_e32 v33, v7, v33
	v_cmp_ne_u32_e64 s6, 0, v24
	v_cndmask_b32_e64 v35, 0, 1, s6
	v_cmp_eq_u32_e64 s6, v24, v33
	v_cndmask_b32_e64 v24, v35, v34, s6
	v_and_b32_e32 v24, 1, v24
	v_cmp_eq_u32_e64 s6, 1, v24
	v_cndmask_b32_e64 v25, v25, v7, s6
.LBB407_534:
	s_or_b32 exec_lo, exec_lo, s20
	v_mov_b32_e32 v7, v25
.LBB407_535:
	s_or_b32 exec_lo, exec_lo, s19
	v_cndmask_b32_e64 v5, v5, v30, s18
	v_cndmask_b32_e64 v4, v4, v29, s12
	;; [unrolled: 1-line block ×7, first 2 shown]
.LBB407_536:
	s_or_b32 exec_lo, exec_lo, s8
	v_and_b32_e32 v28, 0xc0, v22
	v_and_b32_e32 v26, 56, v22
	s_mov_b32 s7, exec_lo
	; wave barrier
	v_or_b32_e32 v24, 32, v28
	v_min_u32_e32 v29, v3, v26
	ds_write_b128 v23, v[8:11]
	ds_write_b128 v23, v[4:7] offset:16
	; wave barrier
	v_min_u32_e32 v24, v3, v24
	v_add_nc_u32_e32 v25, 32, v24
	v_sub_nc_u32_e32 v27, v24, v28
	v_min_u32_e32 v25, v3, v25
	v_min_u32_e32 v30, v29, v27
	v_lshl_add_u32 v27, v28, 2, v2
	v_sub_nc_u32_e32 v26, v25, v24
	v_sub_nc_u32_e64 v26, v29, v26 clamp
	v_cmpx_lt_u32_e64 v26, v30
	s_cbranch_execz .LBB407_540
; %bb.537:
	v_lshlrev_b32_e32 v31, 2, v24
	v_lshlrev_b32_e32 v32, 2, v29
	s_mov_b32 s8, 0
	v_add3_u32 v31, v2, v31, v32
	s_inst_prefetch 0x1
	.p2align	6
.LBB407_538:                            ; =>This Inner Loop Header: Depth=1
	v_add_nc_u32_e32 v32, v30, v26
	v_lshrrev_b32_e32 v32, 1, v32
	v_not_b32_e32 v33, v32
	v_lshl_add_u32 v34, v32, 2, v27
	v_lshl_add_u32 v33, v33, 2, v31
	ds_read_b32 v34, v34
	ds_read_b32 v33, v33
	s_waitcnt lgkmcnt(1)
	v_lshrrev_b32_e32 v36, 31, v34
	s_waitcnt lgkmcnt(0)
	v_lshrrev_b32_e32 v35, 31, v33
	v_cmp_lt_i32_e64 s6, v33, v34
	v_add_nc_u32_e32 v36, v34, v36
	v_add_nc_u32_e32 v35, v33, v35
	v_and_b32_e32 v36, -2, v36
	v_and_b32_e32 v35, -2, v35
	v_sub_nc_u32_e32 v34, v34, v36
	v_sub_nc_u32_e32 v35, v33, v35
	v_cndmask_b32_e64 v33, 0, 1, s6
	v_cmp_eq_u32_e64 s6, 0, v35
	v_cndmask_b32_e64 v36, 0, 1, s6
	v_cmp_eq_u32_e64 s6, v35, v34
	v_add_nc_u32_e32 v34, 1, v32
	v_cndmask_b32_e64 v33, v36, v33, s6
	v_and_b32_e32 v33, 1, v33
	v_cmp_eq_u32_e64 s6, 1, v33
	v_cndmask_b32_e64 v30, v30, v32, s6
	v_cndmask_b32_e64 v26, v34, v26, s6
	v_cmp_ge_u32_e64 s6, v26, v30
	s_or_b32 s8, s6, s8
	s_andn2_b32 exec_lo, exec_lo, s8
	s_cbranch_execnz .LBB407_538
; %bb.539:
	s_inst_prefetch 0x2
	s_or_b32 exec_lo, exec_lo, s8
.LBB407_540:
	s_or_b32 exec_lo, exec_lo, s7
	v_add_nc_u32_e32 v29, v24, v29
	v_add_nc_u32_e32 v28, v26, v28
	v_sub_nc_u32_e32 v29, v29, v26
	v_cmp_le_u32_e64 s6, v28, v24
	v_cmp_le_u32_e64 s7, v29, v25
	s_or_b32 s6, s6, s7
	s_and_saveexec_b32 s8, s6
	s_cbranch_execz .LBB407_576
; %bb.541:
	v_cmp_ge_u32_e64 s6, v28, v24
	s_mov_b32 s9, exec_lo
                                        ; implicit-def: $vgpr6
	v_cmpx_lt_u32_e64 v28, v24
; %bb.542:
	v_lshl_add_u32 v4, v26, 2, v27
	ds_read_b32 v6, v4
; %bb.543:
	s_or_b32 exec_lo, exec_lo, s9
	v_cmp_ge_u32_e64 s9, v29, v25
	s_mov_b32 s10, exec_lo
                                        ; implicit-def: $vgpr8
	v_cmpx_lt_u32_e64 v29, v25
; %bb.544:
	v_lshl_add_u32 v4, v29, 2, v2
	ds_read_b32 v8, v4
; %bb.545:
	s_or_b32 exec_lo, exec_lo, s10
	s_nor_b32 s6, s6, s9
	s_and_saveexec_b32 s7, s6
	s_cbranch_execz .LBB407_547
; %bb.546:
	s_waitcnt lgkmcnt(0)
	v_lshrrev_b32_e32 v4, 31, v8
	v_lshrrev_b32_e32 v5, 31, v6
	v_cmp_ge_i32_e64 s6, v8, v6
	s_andn2_b32 s9, s9, exec_lo
	v_add_nc_u32_e32 v4, v8, v4
	v_add_nc_u32_e32 v5, v6, v5
	v_cndmask_b32_e64 v7, 0, 1, s6
	v_and_b32_e32 v4, -2, v4
	v_and_b32_e32 v5, -2, v5
	v_sub_nc_u32_e32 v4, v8, v4
	v_sub_nc_u32_e32 v5, v6, v5
	v_cmp_ne_u32_e64 s6, 0, v4
	v_cndmask_b32_e64 v9, 0, 1, s6
	v_cmp_eq_u32_e64 s6, v4, v5
	v_cndmask_b32_e64 v4, v9, v7, s6
	v_and_b32_e32 v4, 1, v4
	v_cmp_eq_u32_e64 s6, 1, v4
	s_and_b32 s6, s6, exec_lo
	s_or_b32 s9, s9, s6
.LBB407_547:
	s_or_b32 exec_lo, exec_lo, s7
	v_cndmask_b32_e64 v4, v29, v28, s9
	v_cndmask_b32_e64 v5, v25, v24, s9
	s_mov_b32 s10, -1
	s_mov_b32 s7, -1
	s_mov_b32 s11, exec_lo
	v_add_nc_u32_e32 v7, 1, v4
	v_add_nc_u32_e32 v4, -1, v5
	v_cndmask_b32_e64 v5, v28, v7, s9
	v_min_u32_e32 v4, v7, v4
	v_lshl_add_u32 v4, v4, 2, v2
	ds_read_b32 v10, v4
	v_cndmask_b32_e64 v4, v7, v29, s9
	s_waitcnt lgkmcnt(0)
	v_cndmask_b32_e64 v9, v10, v8, s9
	v_cndmask_b32_e64 v26, v6, v10, s9
	v_cmpx_lt_u32_e64 v4, v25
	s_cbranch_execz .LBB407_551
; %bb.548:
	s_mov_b32 s12, 0
	s_mov_b32 s7, exec_lo
	v_cmpx_lt_u32_e64 v5, v24
	s_cbranch_execz .LBB407_550
; %bb.549:
	v_lshrrev_b32_e32 v7, 31, v9
	v_lshrrev_b32_e32 v10, 31, v26
	v_cmp_ge_i32_e64 s6, v9, v26
	v_add_nc_u32_e32 v7, v9, v7
	v_add_nc_u32_e32 v10, v26, v10
	v_cndmask_b32_e64 v11, 0, 1, s6
	v_and_b32_e32 v7, -2, v7
	v_and_b32_e32 v10, -2, v10
	v_sub_nc_u32_e32 v7, v9, v7
	v_sub_nc_u32_e32 v10, v26, v10
	v_cmp_ne_u32_e64 s6, 0, v7
	v_cndmask_b32_e64 v27, 0, 1, s6
	v_cmp_eq_u32_e64 s6, v7, v10
	v_cndmask_b32_e64 v7, v27, v11, s6
	v_and_b32_e32 v7, 1, v7
	v_cmp_eq_u32_e64 s6, 1, v7
	s_and_b32 s12, s6, exec_lo
.LBB407_550:
	s_or_b32 exec_lo, exec_lo, s7
	s_orn2_b32 s7, s12, exec_lo
.LBB407_551:
	s_or_b32 exec_lo, exec_lo, s11
	v_cndmask_b32_e64 v7, v4, v5, s7
	v_cndmask_b32_e64 v10, v25, v24, s7
	s_mov_b32 s11, exec_lo
	v_add_nc_u32_e32 v7, 1, v7
	v_add_nc_u32_e32 v10, -1, v10
	v_cndmask_b32_e64 v4, v7, v4, s7
	v_min_u32_e32 v10, v7, v10
	v_cndmask_b32_e64 v5, v5, v7, s7
	v_lshl_add_u32 v10, v10, 2, v2
	ds_read_b32 v11, v10
	s_waitcnt lgkmcnt(0)
	v_cndmask_b32_e64 v10, v11, v9, s7
	v_cndmask_b32_e64 v27, v26, v11, s7
	v_cmpx_lt_u32_e64 v4, v25
	s_cbranch_execz .LBB407_555
; %bb.552:
	s_mov_b32 s12, 0
	s_mov_b32 s10, exec_lo
	v_cmpx_lt_u32_e64 v5, v24
	s_cbranch_execz .LBB407_554
; %bb.553:
	v_lshrrev_b32_e32 v7, 31, v10
	v_lshrrev_b32_e32 v11, 31, v27
	v_cmp_ge_i32_e64 s6, v10, v27
	v_add_nc_u32_e32 v7, v10, v7
	v_add_nc_u32_e32 v11, v27, v11
	v_cndmask_b32_e64 v28, 0, 1, s6
	v_and_b32_e32 v7, -2, v7
	v_and_b32_e32 v11, -2, v11
	v_sub_nc_u32_e32 v7, v10, v7
	v_sub_nc_u32_e32 v11, v27, v11
	v_cmp_ne_u32_e64 s6, 0, v7
	v_cndmask_b32_e64 v29, 0, 1, s6
	v_cmp_eq_u32_e64 s6, v7, v11
	v_cndmask_b32_e64 v7, v29, v28, s6
	v_and_b32_e32 v7, 1, v7
	v_cmp_eq_u32_e64 s6, 1, v7
	s_and_b32 s12, s6, exec_lo
.LBB407_554:
	s_or_b32 exec_lo, exec_lo, s10
	s_orn2_b32 s10, s12, exec_lo
.LBB407_555:
	s_or_b32 exec_lo, exec_lo, s11
	v_cndmask_b32_e64 v7, v4, v5, s10
	v_cndmask_b32_e64 v11, v25, v24, s10
	s_mov_b32 s12, -1
	s_mov_b32 s11, -1
	s_mov_b32 s13, exec_lo
	v_add_nc_u32_e32 v7, 1, v7
	v_add_nc_u32_e32 v11, -1, v11
	v_cndmask_b32_e64 v4, v7, v4, s10
	v_min_u32_e32 v11, v7, v11
	v_cndmask_b32_e64 v5, v5, v7, s10
	v_lshl_add_u32 v11, v11, 2, v2
	ds_read_b32 v28, v11
	s_waitcnt lgkmcnt(0)
	v_cndmask_b32_e64 v11, v28, v10, s10
	v_cndmask_b32_e64 v28, v27, v28, s10
	v_cmpx_lt_u32_e64 v4, v25
	s_cbranch_execz .LBB407_559
; %bb.556:
	s_mov_b32 s18, 0
	s_mov_b32 s11, exec_lo
	v_cmpx_lt_u32_e64 v5, v24
	s_cbranch_execz .LBB407_558
; %bb.557:
	v_lshrrev_b32_e32 v7, 31, v11
	v_lshrrev_b32_e32 v29, 31, v28
	v_cmp_ge_i32_e64 s6, v11, v28
	v_add_nc_u32_e32 v7, v11, v7
	v_add_nc_u32_e32 v29, v28, v29
	v_cndmask_b32_e64 v30, 0, 1, s6
	v_and_b32_e32 v7, -2, v7
	v_and_b32_e32 v29, -2, v29
	v_sub_nc_u32_e32 v7, v11, v7
	v_sub_nc_u32_e32 v29, v28, v29
	v_cmp_ne_u32_e64 s6, 0, v7
	v_cndmask_b32_e64 v31, 0, 1, s6
	v_cmp_eq_u32_e64 s6, v7, v29
	v_cndmask_b32_e64 v7, v31, v30, s6
	v_and_b32_e32 v7, 1, v7
	v_cmp_eq_u32_e64 s6, 1, v7
	s_and_b32 s18, s6, exec_lo
.LBB407_558:
	s_or_b32 exec_lo, exec_lo, s11
	s_orn2_b32 s11, s18, exec_lo
.LBB407_559:
	s_or_b32 exec_lo, exec_lo, s13
	v_cndmask_b32_e64 v7, v4, v5, s11
	v_cndmask_b32_e64 v29, v25, v24, s11
	s_mov_b32 s13, exec_lo
	v_add_nc_u32_e32 v30, 1, v7
	v_add_nc_u32_e32 v7, -1, v29
	v_cndmask_b32_e64 v5, v5, v30, s11
	v_min_u32_e32 v7, v30, v7
	v_lshl_add_u32 v7, v7, 2, v2
	ds_read_b32 v29, v7
	v_cndmask_b32_e64 v7, v30, v4, s11
	s_waitcnt lgkmcnt(0)
	v_cndmask_b32_e64 v4, v29, v11, s11
	v_cndmask_b32_e64 v29, v28, v29, s11
	v_cmpx_lt_u32_e64 v7, v25
	s_cbranch_execz .LBB407_563
; %bb.560:
	s_mov_b32 s18, 0
	s_mov_b32 s12, exec_lo
	v_cmpx_lt_u32_e64 v5, v24
	s_cbranch_execz .LBB407_562
; %bb.561:
	v_lshrrev_b32_e32 v30, 31, v4
	v_lshrrev_b32_e32 v31, 31, v29
	v_cmp_ge_i32_e64 s6, v4, v29
	v_add_nc_u32_e32 v30, v4, v30
	v_add_nc_u32_e32 v31, v29, v31
	v_cndmask_b32_e64 v32, 0, 1, s6
	v_and_b32_e32 v30, -2, v30
	v_and_b32_e32 v31, -2, v31
	v_sub_nc_u32_e32 v30, v4, v30
	v_sub_nc_u32_e32 v31, v29, v31
	v_cmp_ne_u32_e64 s6, 0, v30
	v_cndmask_b32_e64 v33, 0, 1, s6
	v_cmp_eq_u32_e64 s6, v30, v31
	v_cndmask_b32_e64 v30, v33, v32, s6
	v_and_b32_e32 v30, 1, v30
	v_cmp_eq_u32_e64 s6, 1, v30
	s_and_b32 s18, s6, exec_lo
.LBB407_562:
	s_or_b32 exec_lo, exec_lo, s12
	s_orn2_b32 s12, s18, exec_lo
.LBB407_563:
	s_or_b32 exec_lo, exec_lo, s13
	v_cndmask_b32_e64 v30, v7, v5, s12
	v_cndmask_b32_e64 v31, v25, v24, s12
	s_mov_b32 s13, -1
	s_mov_b32 s18, -1
	s_mov_b32 s19, exec_lo
	v_add_nc_u32_e32 v30, 1, v30
	v_add_nc_u32_e32 v31, -1, v31
	v_cndmask_b32_e64 v7, v30, v7, s12
	v_min_u32_e32 v31, v30, v31
	v_lshl_add_u32 v31, v31, 2, v2
	ds_read_b32 v32, v31
	v_cndmask_b32_e64 v31, v5, v30, s12
	s_waitcnt lgkmcnt(0)
	v_cndmask_b32_e64 v5, v32, v4, s12
	v_cndmask_b32_e64 v30, v29, v32, s12
	v_cmpx_lt_u32_e64 v7, v25
	s_cbranch_execz .LBB407_567
; %bb.564:
	s_mov_b32 s20, 0
	s_mov_b32 s18, exec_lo
	v_cmpx_lt_u32_e64 v31, v24
	s_cbranch_execz .LBB407_566
; %bb.565:
	v_lshrrev_b32_e32 v32, 31, v5
	v_lshrrev_b32_e32 v33, 31, v30
	v_cmp_ge_i32_e64 s6, v5, v30
	v_add_nc_u32_e32 v32, v5, v32
	v_add_nc_u32_e32 v33, v30, v33
	v_cndmask_b32_e64 v34, 0, 1, s6
	v_and_b32_e32 v32, -2, v32
	v_and_b32_e32 v33, -2, v33
	v_sub_nc_u32_e32 v32, v5, v32
	v_sub_nc_u32_e32 v33, v30, v33
	v_cmp_ne_u32_e64 s6, 0, v32
	v_cndmask_b32_e64 v35, 0, 1, s6
	v_cmp_eq_u32_e64 s6, v32, v33
	v_cndmask_b32_e64 v32, v35, v34, s6
	v_and_b32_e32 v32, 1, v32
	v_cmp_eq_u32_e64 s6, 1, v32
	s_and_b32 s20, s6, exec_lo
.LBB407_566:
	s_or_b32 exec_lo, exec_lo, s18
	s_orn2_b32 s18, s20, exec_lo
.LBB407_567:
	s_or_b32 exec_lo, exec_lo, s19
	v_cndmask_b32_e64 v32, v7, v31, s18
	v_cndmask_b32_e64 v33, v25, v24, s18
	s_mov_b32 s19, exec_lo
	v_add_nc_u32_e32 v32, 1, v32
	v_add_nc_u32_e32 v33, -1, v33
	v_cndmask_b32_e64 v7, v32, v7, s18
	v_min_u32_e32 v33, v32, v33
	v_lshl_add_u32 v33, v33, 2, v2
	ds_read_b32 v34, v33
	v_cndmask_b32_e64 v33, v31, v32, s18
	s_waitcnt lgkmcnt(0)
	v_cndmask_b32_e64 v31, v34, v5, s18
	v_cndmask_b32_e64 v32, v30, v34, s18
	v_cmpx_lt_u32_e64 v7, v25
	s_cbranch_execz .LBB407_571
; %bb.568:
	s_mov_b32 s20, 0
	s_mov_b32 s13, exec_lo
	v_cmpx_lt_u32_e64 v33, v24
	s_cbranch_execz .LBB407_570
; %bb.569:
	v_lshrrev_b32_e32 v34, 31, v31
	v_lshrrev_b32_e32 v35, 31, v32
	v_cmp_ge_i32_e64 s6, v31, v32
	v_add_nc_u32_e32 v34, v31, v34
	v_add_nc_u32_e32 v35, v32, v35
	v_cndmask_b32_e64 v36, 0, 1, s6
	v_and_b32_e32 v34, -2, v34
	v_and_b32_e32 v35, -2, v35
	v_sub_nc_u32_e32 v34, v31, v34
	v_sub_nc_u32_e32 v35, v32, v35
	v_cmp_ne_u32_e64 s6, 0, v34
	v_cndmask_b32_e64 v37, 0, 1, s6
	v_cmp_eq_u32_e64 s6, v34, v35
	v_cndmask_b32_e64 v34, v37, v36, s6
	v_and_b32_e32 v34, 1, v34
	v_cmp_eq_u32_e64 s6, 1, v34
	s_and_b32 s20, s6, exec_lo
.LBB407_570:
	s_or_b32 exec_lo, exec_lo, s13
	s_orn2_b32 s13, s20, exec_lo
.LBB407_571:
	s_or_b32 exec_lo, exec_lo, s19
	v_cndmask_b32_e64 v34, v7, v33, s13
	v_cndmask_b32_e64 v35, v25, v24, s13
	s_mov_b32 s19, exec_lo
	v_add_nc_u32_e32 v34, 1, v34
	v_add_nc_u32_e32 v35, -1, v35
	v_cndmask_b32_e64 v36, v34, v7, s13
	v_min_u32_e32 v35, v34, v35
	v_lshl_add_u32 v35, v35, 2, v2
	ds_read_b32 v35, v35
	s_waitcnt lgkmcnt(0)
	v_cndmask_b32_e64 v7, v32, v35, s13
	v_cmpx_lt_u32_e64 v36, v25
	s_cbranch_execz .LBB407_575
; %bb.572:
	v_cndmask_b32_e64 v33, v33, v34, s13
	v_cndmask_b32_e64 v25, v35, v31, s13
	s_mov_b32 s20, exec_lo
	v_cmpx_lt_u32_e64 v33, v24
	s_cbranch_execz .LBB407_574
; %bb.573:
	v_lshrrev_b32_e32 v24, 31, v25
	v_lshrrev_b32_e32 v33, 31, v7
	v_cmp_ge_i32_e64 s6, v25, v7
	v_add_nc_u32_e32 v24, v25, v24
	v_add_nc_u32_e32 v33, v7, v33
	v_cndmask_b32_e64 v34, 0, 1, s6
	v_and_b32_e32 v24, -2, v24
	v_and_b32_e32 v33, -2, v33
	v_sub_nc_u32_e32 v24, v25, v24
	v_sub_nc_u32_e32 v33, v7, v33
	v_cmp_ne_u32_e64 s6, 0, v24
	v_cndmask_b32_e64 v35, 0, 1, s6
	v_cmp_eq_u32_e64 s6, v24, v33
	v_cndmask_b32_e64 v24, v35, v34, s6
	v_and_b32_e32 v24, 1, v24
	v_cmp_eq_u32_e64 s6, 1, v24
	v_cndmask_b32_e64 v25, v25, v7, s6
.LBB407_574:
	s_or_b32 exec_lo, exec_lo, s20
	v_mov_b32_e32 v7, v25
.LBB407_575:
	s_or_b32 exec_lo, exec_lo, s19
	v_cndmask_b32_e64 v5, v5, v30, s18
	v_cndmask_b32_e64 v4, v4, v29, s12
	;; [unrolled: 1-line block ×7, first 2 shown]
.LBB407_576:
	s_or_b32 exec_lo, exec_lo, s8
	v_and_b32_e32 v27, 0x80, v22
	v_and_b32_e32 v26, 0x78, v22
	s_mov_b32 s7, exec_lo
	; wave barrier
	v_or_b32_e32 v24, 64, v27
	ds_write_b128 v23, v[8:11]
	ds_write_b128 v23, v[4:7] offset:16
	; wave barrier
	v_min_u32_e32 v24, v3, v24
	v_add_nc_u32_e32 v25, 64, v24
	v_min_u32_e32 v22, v3, v25
	v_min_u32_e32 v3, v3, v26
	v_sub_nc_u32_e32 v26, v24, v27
	v_sub_nc_u32_e32 v25, v22, v24
	v_min_u32_e32 v28, v3, v26
	v_lshl_add_u32 v26, v27, 2, v2
	v_sub_nc_u32_e64 v25, v3, v25 clamp
	v_cmpx_lt_u32_e64 v25, v28
	s_cbranch_execz .LBB407_580
; %bb.577:
	v_lshlrev_b32_e32 v23, 2, v24
	v_lshlrev_b32_e32 v29, 2, v3
	s_mov_b32 s8, 0
	v_add3_u32 v23, v2, v23, v29
	s_inst_prefetch 0x1
	.p2align	6
.LBB407_578:                            ; =>This Inner Loop Header: Depth=1
	v_add_nc_u32_e32 v29, v28, v25
	v_lshrrev_b32_e32 v29, 1, v29
	v_not_b32_e32 v30, v29
	v_lshl_add_u32 v31, v29, 2, v26
	v_lshl_add_u32 v30, v30, 2, v23
	ds_read_b32 v31, v31
	ds_read_b32 v30, v30
	s_waitcnt lgkmcnt(1)
	v_lshrrev_b32_e32 v33, 31, v31
	s_waitcnt lgkmcnt(0)
	v_lshrrev_b32_e32 v32, 31, v30
	v_cmp_lt_i32_e64 s6, v30, v31
	v_add_nc_u32_e32 v33, v31, v33
	v_add_nc_u32_e32 v32, v30, v32
	v_and_b32_e32 v33, -2, v33
	v_and_b32_e32 v32, -2, v32
	v_sub_nc_u32_e32 v31, v31, v33
	v_sub_nc_u32_e32 v32, v30, v32
	v_cndmask_b32_e64 v30, 0, 1, s6
	v_cmp_eq_u32_e64 s6, 0, v32
	v_cndmask_b32_e64 v33, 0, 1, s6
	v_cmp_eq_u32_e64 s6, v32, v31
	v_add_nc_u32_e32 v31, 1, v29
	v_cndmask_b32_e64 v30, v33, v30, s6
	v_and_b32_e32 v30, 1, v30
	v_cmp_eq_u32_e64 s6, 1, v30
	v_cndmask_b32_e64 v28, v28, v29, s6
	v_cndmask_b32_e64 v25, v31, v25, s6
	v_cmp_ge_u32_e64 s6, v25, v28
	s_or_b32 s8, s6, s8
	s_andn2_b32 exec_lo, exec_lo, s8
	s_cbranch_execnz .LBB407_578
; %bb.579:
	s_inst_prefetch 0x2
	s_or_b32 exec_lo, exec_lo, s8
.LBB407_580:
	s_or_b32 exec_lo, exec_lo, s7
	v_add_nc_u32_e32 v3, v24, v3
	v_add_nc_u32_e32 v23, v25, v27
	v_sub_nc_u32_e32 v27, v3, v25
	v_cmp_le_u32_e64 s6, v23, v24
	v_cmp_le_u32_e64 s7, v27, v22
	s_or_b32 s6, s6, s7
	s_and_saveexec_b32 s8, s6
	s_cbranch_execz .LBB407_616
; %bb.581:
	v_cmp_ge_u32_e64 s6, v23, v24
	s_mov_b32 s9, exec_lo
                                        ; implicit-def: $vgpr3
	v_cmpx_lt_u32_e64 v23, v24
; %bb.582:
	v_lshl_add_u32 v3, v25, 2, v26
	ds_read_b32 v3, v3
; %bb.583:
	s_or_b32 exec_lo, exec_lo, s9
	v_cmp_ge_u32_e64 s9, v27, v22
	s_mov_b32 s10, exec_lo
                                        ; implicit-def: $vgpr6
	v_cmpx_lt_u32_e64 v27, v22
; %bb.584:
	v_lshl_add_u32 v4, v27, 2, v2
	ds_read_b32 v6, v4
; %bb.585:
	s_or_b32 exec_lo, exec_lo, s10
	s_nor_b32 s6, s6, s9
	s_and_saveexec_b32 s7, s6
	s_cbranch_execz .LBB407_587
; %bb.586:
	s_waitcnt lgkmcnt(0)
	v_lshrrev_b32_e32 v4, 31, v6
	v_lshrrev_b32_e32 v5, 31, v3
	v_cmp_ge_i32_e64 s6, v6, v3
	s_andn2_b32 s9, s9, exec_lo
	v_add_nc_u32_e32 v4, v6, v4
	v_add_nc_u32_e32 v5, v3, v5
	v_cndmask_b32_e64 v7, 0, 1, s6
	v_and_b32_e32 v4, -2, v4
	v_and_b32_e32 v5, -2, v5
	v_sub_nc_u32_e32 v4, v6, v4
	v_sub_nc_u32_e32 v5, v3, v5
	v_cmp_ne_u32_e64 s6, 0, v4
	v_cndmask_b32_e64 v8, 0, 1, s6
	v_cmp_eq_u32_e64 s6, v4, v5
	v_cndmask_b32_e64 v4, v8, v7, s6
	v_and_b32_e32 v4, 1, v4
	v_cmp_eq_u32_e64 s6, 1, v4
	s_and_b32 s6, s6, exec_lo
	s_or_b32 s9, s9, s6
.LBB407_587:
	s_or_b32 exec_lo, exec_lo, s7
	v_cndmask_b32_e64 v4, v27, v23, s9
	v_cndmask_b32_e64 v5, v22, v24, s9
	s_mov_b32 s10, -1
	s_mov_b32 s7, -1
	s_mov_b32 s11, exec_lo
	v_add_nc_u32_e32 v7, 1, v4
	v_add_nc_u32_e32 v4, -1, v5
	v_cndmask_b32_e64 v5, v23, v7, s9
	v_min_u32_e32 v4, v7, v4
	v_lshl_add_u32 v4, v4, 2, v2
	ds_read_b32 v9, v4
	v_cndmask_b32_e64 v4, v7, v27, s9
	s_waitcnt lgkmcnt(0)
	v_cndmask_b32_e64 v8, v9, v6, s9
	v_cndmask_b32_e64 v9, v3, v9, s9
	v_cmpx_lt_u32_e64 v4, v22
	s_cbranch_execz .LBB407_591
; %bb.588:
	s_mov_b32 s12, 0
	s_mov_b32 s7, exec_lo
	v_cmpx_lt_u32_e64 v5, v24
	s_cbranch_execz .LBB407_590
; %bb.589:
	v_lshrrev_b32_e32 v7, 31, v8
	v_lshrrev_b32_e32 v10, 31, v9
	v_cmp_ge_i32_e64 s6, v8, v9
	v_add_nc_u32_e32 v7, v8, v7
	v_add_nc_u32_e32 v10, v9, v10
	v_cndmask_b32_e64 v11, 0, 1, s6
	v_and_b32_e32 v7, -2, v7
	v_and_b32_e32 v10, -2, v10
	v_sub_nc_u32_e32 v7, v8, v7
	v_sub_nc_u32_e32 v10, v9, v10
	v_cmp_ne_u32_e64 s6, 0, v7
	v_cndmask_b32_e64 v23, 0, 1, s6
	v_cmp_eq_u32_e64 s6, v7, v10
	v_cndmask_b32_e64 v7, v23, v11, s6
	v_and_b32_e32 v7, 1, v7
	v_cmp_eq_u32_e64 s6, 1, v7
	s_and_b32 s12, s6, exec_lo
.LBB407_590:
	s_or_b32 exec_lo, exec_lo, s7
	s_orn2_b32 s7, s12, exec_lo
.LBB407_591:
	s_or_b32 exec_lo, exec_lo, s11
	v_cndmask_b32_e64 v7, v4, v5, s7
	v_cndmask_b32_e64 v10, v22, v24, s7
	s_mov_b32 s11, exec_lo
	v_add_nc_u32_e32 v7, 1, v7
	v_add_nc_u32_e32 v10, -1, v10
	v_cndmask_b32_e64 v4, v7, v4, s7
	v_min_u32_e32 v10, v7, v10
	v_cndmask_b32_e64 v5, v5, v7, s7
	v_lshl_add_u32 v10, v10, 2, v2
	ds_read_b32 v11, v10
	s_waitcnt lgkmcnt(0)
	v_cndmask_b32_e64 v10, v11, v8, s7
	v_cndmask_b32_e64 v23, v9, v11, s7
	v_cmpx_lt_u32_e64 v4, v22
	s_cbranch_execz .LBB407_595
; %bb.592:
	s_mov_b32 s12, 0
	s_mov_b32 s10, exec_lo
	v_cmpx_lt_u32_e64 v5, v24
	s_cbranch_execz .LBB407_594
; %bb.593:
	v_lshrrev_b32_e32 v7, 31, v10
	v_lshrrev_b32_e32 v11, 31, v23
	v_cmp_ge_i32_e64 s6, v10, v23
	v_add_nc_u32_e32 v7, v10, v7
	v_add_nc_u32_e32 v11, v23, v11
	v_cndmask_b32_e64 v25, 0, 1, s6
	v_and_b32_e32 v7, -2, v7
	v_and_b32_e32 v11, -2, v11
	v_sub_nc_u32_e32 v7, v10, v7
	v_sub_nc_u32_e32 v11, v23, v11
	v_cmp_ne_u32_e64 s6, 0, v7
	v_cndmask_b32_e64 v26, 0, 1, s6
	v_cmp_eq_u32_e64 s6, v7, v11
	v_cndmask_b32_e64 v7, v26, v25, s6
	v_and_b32_e32 v7, 1, v7
	v_cmp_eq_u32_e64 s6, 1, v7
	s_and_b32 s12, s6, exec_lo
.LBB407_594:
	s_or_b32 exec_lo, exec_lo, s10
	s_orn2_b32 s10, s12, exec_lo
.LBB407_595:
	s_or_b32 exec_lo, exec_lo, s11
	v_cndmask_b32_e64 v7, v4, v5, s10
	v_cndmask_b32_e64 v11, v22, v24, s10
	s_mov_b32 s12, -1
	s_mov_b32 s11, -1
	s_mov_b32 s13, exec_lo
	v_add_nc_u32_e32 v7, 1, v7
	v_add_nc_u32_e32 v11, -1, v11
	v_cndmask_b32_e64 v4, v7, v4, s10
	v_min_u32_e32 v11, v7, v11
	v_cndmask_b32_e64 v5, v5, v7, s10
	v_lshl_add_u32 v11, v11, 2, v2
	ds_read_b32 v25, v11
	s_waitcnt lgkmcnt(0)
	v_cndmask_b32_e64 v11, v25, v10, s10
	v_cndmask_b32_e64 v25, v23, v25, s10
	v_cmpx_lt_u32_e64 v4, v22
	s_cbranch_execz .LBB407_599
; %bb.596:
	s_mov_b32 s18, 0
	s_mov_b32 s11, exec_lo
	v_cmpx_lt_u32_e64 v5, v24
	s_cbranch_execz .LBB407_598
; %bb.597:
	v_lshrrev_b32_e32 v7, 31, v11
	v_lshrrev_b32_e32 v26, 31, v25
	v_cmp_ge_i32_e64 s6, v11, v25
	v_add_nc_u32_e32 v7, v11, v7
	v_add_nc_u32_e32 v26, v25, v26
	v_cndmask_b32_e64 v27, 0, 1, s6
	v_and_b32_e32 v7, -2, v7
	v_and_b32_e32 v26, -2, v26
	v_sub_nc_u32_e32 v7, v11, v7
	v_sub_nc_u32_e32 v26, v25, v26
	v_cmp_ne_u32_e64 s6, 0, v7
	v_cndmask_b32_e64 v28, 0, 1, s6
	v_cmp_eq_u32_e64 s6, v7, v26
	v_cndmask_b32_e64 v7, v28, v27, s6
	v_and_b32_e32 v7, 1, v7
	v_cmp_eq_u32_e64 s6, 1, v7
	s_and_b32 s18, s6, exec_lo
.LBB407_598:
	s_or_b32 exec_lo, exec_lo, s11
	s_orn2_b32 s11, s18, exec_lo
.LBB407_599:
	s_or_b32 exec_lo, exec_lo, s13
	v_cndmask_b32_e64 v7, v4, v5, s11
	v_cndmask_b32_e64 v26, v22, v24, s11
	s_mov_b32 s13, exec_lo
	v_add_nc_u32_e32 v27, 1, v7
	v_add_nc_u32_e32 v7, -1, v26
	v_cndmask_b32_e64 v5, v5, v27, s11
	v_min_u32_e32 v7, v27, v7
	v_lshl_add_u32 v7, v7, 2, v2
	ds_read_b32 v26, v7
	v_cndmask_b32_e64 v7, v27, v4, s11
	s_waitcnt lgkmcnt(0)
	v_cndmask_b32_e64 v4, v26, v11, s11
	v_cndmask_b32_e64 v26, v25, v26, s11
	v_cmpx_lt_u32_e64 v7, v22
	s_cbranch_execz .LBB407_603
; %bb.600:
	s_mov_b32 s18, 0
	s_mov_b32 s12, exec_lo
	v_cmpx_lt_u32_e64 v5, v24
	s_cbranch_execz .LBB407_602
; %bb.601:
	v_lshrrev_b32_e32 v27, 31, v4
	v_lshrrev_b32_e32 v28, 31, v26
	v_cmp_ge_i32_e64 s6, v4, v26
	v_add_nc_u32_e32 v27, v4, v27
	v_add_nc_u32_e32 v28, v26, v28
	v_cndmask_b32_e64 v29, 0, 1, s6
	v_and_b32_e32 v27, -2, v27
	v_and_b32_e32 v28, -2, v28
	v_sub_nc_u32_e32 v27, v4, v27
	v_sub_nc_u32_e32 v28, v26, v28
	v_cmp_ne_u32_e64 s6, 0, v27
	v_cndmask_b32_e64 v30, 0, 1, s6
	v_cmp_eq_u32_e64 s6, v27, v28
	v_cndmask_b32_e64 v27, v30, v29, s6
	v_and_b32_e32 v27, 1, v27
	v_cmp_eq_u32_e64 s6, 1, v27
	s_and_b32 s18, s6, exec_lo
.LBB407_602:
	s_or_b32 exec_lo, exec_lo, s12
	s_orn2_b32 s12, s18, exec_lo
.LBB407_603:
	s_or_b32 exec_lo, exec_lo, s13
	v_cndmask_b32_e64 v27, v7, v5, s12
	v_cndmask_b32_e64 v28, v22, v24, s12
	s_mov_b32 s13, -1
	s_mov_b32 s18, -1
	s_mov_b32 s19, exec_lo
	v_add_nc_u32_e32 v27, 1, v27
	v_add_nc_u32_e32 v28, -1, v28
	v_cndmask_b32_e64 v7, v27, v7, s12
	v_min_u32_e32 v28, v27, v28
	v_lshl_add_u32 v28, v28, 2, v2
	ds_read_b32 v29, v28
	v_cndmask_b32_e64 v28, v5, v27, s12
	s_waitcnt lgkmcnt(0)
	v_cndmask_b32_e64 v5, v29, v4, s12
	v_cndmask_b32_e64 v27, v26, v29, s12
	v_cmpx_lt_u32_e64 v7, v22
	s_cbranch_execz .LBB407_607
; %bb.604:
	s_mov_b32 s20, 0
	s_mov_b32 s18, exec_lo
	v_cmpx_lt_u32_e64 v28, v24
	s_cbranch_execz .LBB407_606
; %bb.605:
	v_lshrrev_b32_e32 v29, 31, v5
	v_lshrrev_b32_e32 v30, 31, v27
	v_cmp_ge_i32_e64 s6, v5, v27
	v_add_nc_u32_e32 v29, v5, v29
	v_add_nc_u32_e32 v30, v27, v30
	v_cndmask_b32_e64 v31, 0, 1, s6
	v_and_b32_e32 v29, -2, v29
	v_and_b32_e32 v30, -2, v30
	v_sub_nc_u32_e32 v29, v5, v29
	v_sub_nc_u32_e32 v30, v27, v30
	v_cmp_ne_u32_e64 s6, 0, v29
	v_cndmask_b32_e64 v32, 0, 1, s6
	v_cmp_eq_u32_e64 s6, v29, v30
	v_cndmask_b32_e64 v29, v32, v31, s6
	v_and_b32_e32 v29, 1, v29
	v_cmp_eq_u32_e64 s6, 1, v29
	s_and_b32 s20, s6, exec_lo
.LBB407_606:
	s_or_b32 exec_lo, exec_lo, s18
	s_orn2_b32 s18, s20, exec_lo
.LBB407_607:
	s_or_b32 exec_lo, exec_lo, s19
	v_cndmask_b32_e64 v29, v7, v28, s18
	v_cndmask_b32_e64 v30, v22, v24, s18
	s_mov_b32 s19, exec_lo
	v_add_nc_u32_e32 v29, 1, v29
	v_add_nc_u32_e32 v30, -1, v30
	v_cndmask_b32_e64 v7, v29, v7, s18
	v_min_u32_e32 v30, v29, v30
	v_lshl_add_u32 v30, v30, 2, v2
	ds_read_b32 v31, v30
	v_cndmask_b32_e64 v30, v28, v29, s18
	s_waitcnt lgkmcnt(0)
	v_cndmask_b32_e64 v28, v31, v5, s18
	v_cndmask_b32_e64 v29, v27, v31, s18
	v_cmpx_lt_u32_e64 v7, v22
	s_cbranch_execz .LBB407_611
; %bb.608:
	s_mov_b32 s20, 0
	s_mov_b32 s13, exec_lo
	v_cmpx_lt_u32_e64 v30, v24
	s_cbranch_execz .LBB407_610
; %bb.609:
	v_lshrrev_b32_e32 v31, 31, v28
	v_lshrrev_b32_e32 v32, 31, v29
	v_cmp_ge_i32_e64 s6, v28, v29
	v_add_nc_u32_e32 v31, v28, v31
	v_add_nc_u32_e32 v32, v29, v32
	v_cndmask_b32_e64 v33, 0, 1, s6
	v_and_b32_e32 v31, -2, v31
	v_and_b32_e32 v32, -2, v32
	v_sub_nc_u32_e32 v31, v28, v31
	v_sub_nc_u32_e32 v32, v29, v32
	v_cmp_ne_u32_e64 s6, 0, v31
	v_cndmask_b32_e64 v34, 0, 1, s6
	v_cmp_eq_u32_e64 s6, v31, v32
	v_cndmask_b32_e64 v31, v34, v33, s6
	v_and_b32_e32 v31, 1, v31
	v_cmp_eq_u32_e64 s6, 1, v31
	s_and_b32 s20, s6, exec_lo
.LBB407_610:
	s_or_b32 exec_lo, exec_lo, s13
	s_orn2_b32 s13, s20, exec_lo
.LBB407_611:
	s_or_b32 exec_lo, exec_lo, s19
	v_cndmask_b32_e64 v31, v7, v30, s13
	v_cndmask_b32_e64 v32, v22, v24, s13
	s_mov_b32 s19, exec_lo
	v_add_nc_u32_e32 v31, 1, v31
	v_add_nc_u32_e32 v32, -1, v32
	v_min_u32_e32 v32, v31, v32
	v_lshl_add_u32 v2, v32, 2, v2
	v_cndmask_b32_e64 v32, v31, v7, s13
	ds_read_b32 v2, v2
	s_waitcnt lgkmcnt(0)
	v_cndmask_b32_e64 v7, v29, v2, s13
	v_cmpx_lt_u32_e64 v32, v22
	s_cbranch_execz .LBB407_615
; %bb.612:
	v_cndmask_b32_e64 v22, v30, v31, s13
	v_cndmask_b32_e64 v2, v2, v28, s13
	s_mov_b32 s20, exec_lo
	v_cmpx_lt_u32_e64 v22, v24
	s_cbranch_execz .LBB407_614
; %bb.613:
	v_lshrrev_b32_e32 v22, 31, v2
	v_lshrrev_b32_e32 v24, 31, v7
	v_cmp_ge_i32_e64 s6, v2, v7
	v_add_nc_u32_e32 v22, v2, v22
	v_add_nc_u32_e32 v24, v7, v24
	v_cndmask_b32_e64 v30, 0, 1, s6
	v_and_b32_e32 v22, -2, v22
	v_and_b32_e32 v24, -2, v24
	v_sub_nc_u32_e32 v22, v2, v22
	v_sub_nc_u32_e32 v24, v7, v24
	v_cmp_ne_u32_e64 s6, 0, v22
	v_cndmask_b32_e64 v31, 0, 1, s6
	v_cmp_eq_u32_e64 s6, v22, v24
	v_cndmask_b32_e64 v22, v31, v30, s6
	v_and_b32_e32 v22, 1, v22
	v_cmp_eq_u32_e64 s6, 1, v22
	v_cndmask_b32_e64 v2, v2, v7, s6
.LBB407_614:
	s_or_b32 exec_lo, exec_lo, s20
	v_mov_b32_e32 v7, v2
.LBB407_615:
	s_or_b32 exec_lo, exec_lo, s19
	v_cndmask_b32_e64 v5, v5, v27, s18
	v_cndmask_b32_e64 v4, v4, v26, s12
	;; [unrolled: 1-line block ×7, first 2 shown]
.LBB407_616:
	s_or_b32 exec_lo, exec_lo, s8
	s_cmpk_lt_u32 s17, 0x81
	; wave barrier
	s_waitcnt lgkmcnt(0)
	s_barrier
	buffer_gl0_inv
	s_cbranch_scc1 .LBB407_659
; %bb.617:
	v_lshlrev_b32_e32 v2, 3, v0
	s_movk_i32 s8, 0x80
	s_branch .LBB407_621
.LBB407_618:                            ;   in Loop: Header=BB407_621 Depth=1
	s_or_b32 exec_lo, exec_lo, s21
	v_mov_b32_e32 v7, v22
.LBB407_619:                            ;   in Loop: Header=BB407_621 Depth=1
	s_or_b32 exec_lo, exec_lo, s20
	v_cndmask_b32_e64 v5, v5, v27, s19
	v_cndmask_b32_e64 v4, v4, v26, s13
	;; [unrolled: 1-line block ×7, first 2 shown]
.LBB407_620:                            ;   in Loop: Header=BB407_621 Depth=1
	s_or_b32 exec_lo, exec_lo, s9
	s_cmp_lt_u32 s8, s17
	s_barrier
	buffer_gl0_inv
	s_cbranch_scc0 .LBB407_659
.LBB407_621:                            ; =>This Loop Header: Depth=1
                                        ;     Child Loop BB407_623 Depth 2
	s_mov_b32 s6, s8
	s_lshl_b32 s8, s8, 1
	ds_write_b128 v21, v[8:11]
	s_sub_i32 s7, 0, s8
	ds_write_b128 v21, v[4:7] offset:16
	v_and_b32_e32 v25, s7, v2
	s_mov_b32 s7, exec_lo
	s_waitcnt lgkmcnt(0)
	s_barrier
	buffer_gl0_inv
	v_add_nc_u32_e32 v3, s6, v25
	v_min_u32_e32 v3, s17, v3
	v_add_nc_u32_e32 v22, s6, v3
	s_add_i32 s6, s8, -1
	v_sub_nc_u32_e32 v24, v3, v25
	v_and_b32_e32 v23, s6, v2
	v_min_u32_e32 v22, s17, v22
	v_min_u32_e32 v26, s17, v23
	v_sub_nc_u32_e32 v23, v22, v3
	v_min_u32_e32 v27, v26, v24
	v_lshlrev_b32_e32 v24, 2, v25
	v_sub_nc_u32_e64 v23, v26, v23 clamp
	v_cmpx_lt_u32_e64 v23, v27
	s_cbranch_execz .LBB407_625
; %bb.622:                              ;   in Loop: Header=BB407_621 Depth=1
	v_lshlrev_b32_e32 v28, 2, v26
	s_mov_b32 s9, 0
	v_lshl_add_u32 v28, v3, 2, v28
	s_inst_prefetch 0x1
	.p2align	6
.LBB407_623:                            ;   Parent Loop BB407_621 Depth=1
                                        ; =>  This Inner Loop Header: Depth=2
	v_add_nc_u32_e32 v29, v27, v23
	v_lshrrev_b32_e32 v29, 1, v29
	v_not_b32_e32 v30, v29
	v_lshl_add_u32 v31, v29, 2, v24
	v_lshl_add_u32 v30, v30, 2, v28
	ds_read_b32 v31, v31
	ds_read_b32 v30, v30
	s_waitcnt lgkmcnt(1)
	v_lshrrev_b32_e32 v33, 31, v31
	s_waitcnt lgkmcnt(0)
	v_lshrrev_b32_e32 v32, 31, v30
	v_cmp_lt_i32_e64 s6, v30, v31
	v_add_nc_u32_e32 v33, v31, v33
	v_add_nc_u32_e32 v32, v30, v32
	v_and_b32_e32 v33, -2, v33
	v_and_b32_e32 v32, -2, v32
	v_sub_nc_u32_e32 v31, v31, v33
	v_sub_nc_u32_e32 v32, v30, v32
	v_cndmask_b32_e64 v30, 0, 1, s6
	v_cmp_eq_u32_e64 s6, 0, v32
	v_cndmask_b32_e64 v33, 0, 1, s6
	v_cmp_eq_u32_e64 s6, v32, v31
	v_add_nc_u32_e32 v31, 1, v29
	v_cndmask_b32_e64 v30, v33, v30, s6
	v_and_b32_e32 v30, 1, v30
	v_cmp_eq_u32_e64 s6, 1, v30
	v_cndmask_b32_e64 v27, v27, v29, s6
	v_cndmask_b32_e64 v23, v31, v23, s6
	v_cmp_ge_u32_e64 s6, v23, v27
	s_or_b32 s9, s6, s9
	s_andn2_b32 exec_lo, exec_lo, s9
	s_cbranch_execnz .LBB407_623
; %bb.624:                              ;   in Loop: Header=BB407_621 Depth=1
	s_inst_prefetch 0x2
	s_or_b32 exec_lo, exec_lo, s9
.LBB407_625:                            ;   in Loop: Header=BB407_621 Depth=1
	s_or_b32 exec_lo, exec_lo, s7
	v_sub_nc_u32_e32 v26, v26, v23
	v_add_nc_u32_e32 v25, v23, v25
	v_add_nc_u32_e32 v26, v26, v3
	v_cmp_le_u32_e64 s6, v25, v3
	v_cmp_le_u32_e64 s7, v26, v22
	s_or_b32 s6, s6, s7
	s_and_saveexec_b32 s9, s6
	s_cbranch_execz .LBB407_620
; %bb.626:                              ;   in Loop: Header=BB407_621 Depth=1
	v_cmp_ge_u32_e64 s6, v25, v3
	s_mov_b32 s10, exec_lo
                                        ; implicit-def: $vgpr6
	v_cmpx_lt_u32_e64 v25, v3
; %bb.627:                              ;   in Loop: Header=BB407_621 Depth=1
	v_lshl_add_u32 v4, v23, 2, v24
	ds_read_b32 v6, v4
; %bb.628:                              ;   in Loop: Header=BB407_621 Depth=1
	s_or_b32 exec_lo, exec_lo, s10
	v_cmp_ge_u32_e64 s10, v26, v22
	s_mov_b32 s11, exec_lo
                                        ; implicit-def: $vgpr8
	v_cmpx_lt_u32_e64 v26, v22
; %bb.629:                              ;   in Loop: Header=BB407_621 Depth=1
	v_lshlrev_b32_e32 v4, 2, v26
	ds_read_b32 v8, v4
; %bb.630:                              ;   in Loop: Header=BB407_621 Depth=1
	s_or_b32 exec_lo, exec_lo, s11
	s_nor_b32 s6, s6, s10
	s_and_saveexec_b32 s7, s6
	s_cbranch_execz .LBB407_632
; %bb.631:                              ;   in Loop: Header=BB407_621 Depth=1
	s_waitcnt lgkmcnt(0)
	v_lshrrev_b32_e32 v4, 31, v8
	v_lshrrev_b32_e32 v5, 31, v6
	v_cmp_ge_i32_e64 s6, v8, v6
	s_andn2_b32 s10, s10, exec_lo
	v_add_nc_u32_e32 v4, v8, v4
	v_add_nc_u32_e32 v5, v6, v5
	v_cndmask_b32_e64 v7, 0, 1, s6
	v_and_b32_e32 v4, -2, v4
	v_and_b32_e32 v5, -2, v5
	v_sub_nc_u32_e32 v4, v8, v4
	v_sub_nc_u32_e32 v5, v6, v5
	v_cmp_ne_u32_e64 s6, 0, v4
	v_cndmask_b32_e64 v9, 0, 1, s6
	v_cmp_eq_u32_e64 s6, v4, v5
	v_cndmask_b32_e64 v4, v9, v7, s6
	v_and_b32_e32 v4, 1, v4
	v_cmp_eq_u32_e64 s6, 1, v4
	s_and_b32 s6, s6, exec_lo
	s_or_b32 s10, s10, s6
.LBB407_632:                            ;   in Loop: Header=BB407_621 Depth=1
	s_or_b32 exec_lo, exec_lo, s7
	v_cndmask_b32_e64 v4, v26, v25, s10
	v_cndmask_b32_e64 v5, v22, v3, s10
	s_mov_b32 s11, -1
	s_mov_b32 s7, -1
	s_mov_b32 s12, exec_lo
	v_add_nc_u32_e32 v7, 1, v4
	v_add_nc_u32_e32 v4, -1, v5
	v_cndmask_b32_e64 v5, v25, v7, s10
	v_min_u32_e32 v4, v7, v4
	v_lshlrev_b32_e32 v4, 2, v4
	ds_read_b32 v10, v4
	v_cndmask_b32_e64 v4, v7, v26, s10
	s_waitcnt lgkmcnt(0)
	v_cndmask_b32_e64 v9, v10, v8, s10
	v_cndmask_b32_e64 v23, v6, v10, s10
	v_cmpx_lt_u32_e64 v4, v22
	s_cbranch_execz .LBB407_636
; %bb.633:                              ;   in Loop: Header=BB407_621 Depth=1
	s_mov_b32 s13, 0
	s_mov_b32 s7, exec_lo
	v_cmpx_lt_u32_e64 v5, v3
	s_cbranch_execz .LBB407_635
; %bb.634:                              ;   in Loop: Header=BB407_621 Depth=1
	v_lshrrev_b32_e32 v7, 31, v9
	v_lshrrev_b32_e32 v10, 31, v23
	v_cmp_ge_i32_e64 s6, v9, v23
	v_add_nc_u32_e32 v7, v9, v7
	v_add_nc_u32_e32 v10, v23, v10
	v_cndmask_b32_e64 v11, 0, 1, s6
	v_and_b32_e32 v7, -2, v7
	v_and_b32_e32 v10, -2, v10
	v_sub_nc_u32_e32 v7, v9, v7
	v_sub_nc_u32_e32 v10, v23, v10
	v_cmp_ne_u32_e64 s6, 0, v7
	v_cndmask_b32_e64 v24, 0, 1, s6
	v_cmp_eq_u32_e64 s6, v7, v10
	v_cndmask_b32_e64 v7, v24, v11, s6
	v_and_b32_e32 v7, 1, v7
	v_cmp_eq_u32_e64 s6, 1, v7
	s_and_b32 s13, s6, exec_lo
.LBB407_635:                            ;   in Loop: Header=BB407_621 Depth=1
	s_or_b32 exec_lo, exec_lo, s7
	s_orn2_b32 s7, s13, exec_lo
.LBB407_636:                            ;   in Loop: Header=BB407_621 Depth=1
	s_or_b32 exec_lo, exec_lo, s12
	v_cndmask_b32_e64 v7, v4, v5, s7
	v_cndmask_b32_e64 v10, v22, v3, s7
	s_mov_b32 s12, exec_lo
	v_add_nc_u32_e32 v7, 1, v7
	v_add_nc_u32_e32 v10, -1, v10
	v_cndmask_b32_e64 v4, v7, v4, s7
	v_min_u32_e32 v10, v7, v10
	v_cndmask_b32_e64 v5, v5, v7, s7
	v_lshlrev_b32_e32 v10, 2, v10
	ds_read_b32 v11, v10
	s_waitcnt lgkmcnt(0)
	v_cndmask_b32_e64 v10, v11, v9, s7
	v_cndmask_b32_e64 v24, v23, v11, s7
	v_cmpx_lt_u32_e64 v4, v22
	s_cbranch_execz .LBB407_640
; %bb.637:                              ;   in Loop: Header=BB407_621 Depth=1
	s_mov_b32 s13, 0
	s_mov_b32 s11, exec_lo
	v_cmpx_lt_u32_e64 v5, v3
	s_cbranch_execz .LBB407_639
; %bb.638:                              ;   in Loop: Header=BB407_621 Depth=1
	v_lshrrev_b32_e32 v7, 31, v10
	v_lshrrev_b32_e32 v11, 31, v24
	v_cmp_ge_i32_e64 s6, v10, v24
	v_add_nc_u32_e32 v7, v10, v7
	v_add_nc_u32_e32 v11, v24, v11
	v_cndmask_b32_e64 v25, 0, 1, s6
	v_and_b32_e32 v7, -2, v7
	v_and_b32_e32 v11, -2, v11
	v_sub_nc_u32_e32 v7, v10, v7
	v_sub_nc_u32_e32 v11, v24, v11
	v_cmp_ne_u32_e64 s6, 0, v7
	v_cndmask_b32_e64 v26, 0, 1, s6
	v_cmp_eq_u32_e64 s6, v7, v11
	v_cndmask_b32_e64 v7, v26, v25, s6
	v_and_b32_e32 v7, 1, v7
	v_cmp_eq_u32_e64 s6, 1, v7
	s_and_b32 s13, s6, exec_lo
.LBB407_639:                            ;   in Loop: Header=BB407_621 Depth=1
	s_or_b32 exec_lo, exec_lo, s11
	s_orn2_b32 s11, s13, exec_lo
.LBB407_640:                            ;   in Loop: Header=BB407_621 Depth=1
	s_or_b32 exec_lo, exec_lo, s12
	v_cndmask_b32_e64 v7, v4, v5, s11
	v_cndmask_b32_e64 v11, v22, v3, s11
	s_mov_b32 s13, -1
	s_mov_b32 s12, -1
	s_mov_b32 s18, exec_lo
	v_add_nc_u32_e32 v7, 1, v7
	v_add_nc_u32_e32 v11, -1, v11
	v_cndmask_b32_e64 v4, v7, v4, s11
	v_min_u32_e32 v11, v7, v11
	v_cndmask_b32_e64 v5, v5, v7, s11
	v_lshlrev_b32_e32 v11, 2, v11
	ds_read_b32 v25, v11
	s_waitcnt lgkmcnt(0)
	v_cndmask_b32_e64 v11, v25, v10, s11
	v_cndmask_b32_e64 v25, v24, v25, s11
	v_cmpx_lt_u32_e64 v4, v22
	s_cbranch_execz .LBB407_644
; %bb.641:                              ;   in Loop: Header=BB407_621 Depth=1
	s_mov_b32 s19, 0
	s_mov_b32 s12, exec_lo
	v_cmpx_lt_u32_e64 v5, v3
	s_cbranch_execz .LBB407_643
; %bb.642:                              ;   in Loop: Header=BB407_621 Depth=1
	v_lshrrev_b32_e32 v7, 31, v11
	v_lshrrev_b32_e32 v26, 31, v25
	v_cmp_ge_i32_e64 s6, v11, v25
	v_add_nc_u32_e32 v7, v11, v7
	v_add_nc_u32_e32 v26, v25, v26
	v_cndmask_b32_e64 v27, 0, 1, s6
	v_and_b32_e32 v7, -2, v7
	v_and_b32_e32 v26, -2, v26
	v_sub_nc_u32_e32 v7, v11, v7
	v_sub_nc_u32_e32 v26, v25, v26
	v_cmp_ne_u32_e64 s6, 0, v7
	v_cndmask_b32_e64 v28, 0, 1, s6
	v_cmp_eq_u32_e64 s6, v7, v26
	v_cndmask_b32_e64 v7, v28, v27, s6
	v_and_b32_e32 v7, 1, v7
	v_cmp_eq_u32_e64 s6, 1, v7
	s_and_b32 s19, s6, exec_lo
.LBB407_643:                            ;   in Loop: Header=BB407_621 Depth=1
	s_or_b32 exec_lo, exec_lo, s12
	s_orn2_b32 s12, s19, exec_lo
.LBB407_644:                            ;   in Loop: Header=BB407_621 Depth=1
	s_or_b32 exec_lo, exec_lo, s18
	v_cndmask_b32_e64 v7, v4, v5, s12
	v_cndmask_b32_e64 v26, v22, v3, s12
	s_mov_b32 s18, exec_lo
	v_add_nc_u32_e32 v27, 1, v7
	v_add_nc_u32_e32 v7, -1, v26
	v_cndmask_b32_e64 v5, v5, v27, s12
	v_min_u32_e32 v7, v27, v7
	v_lshlrev_b32_e32 v7, 2, v7
	ds_read_b32 v26, v7
	v_cndmask_b32_e64 v7, v27, v4, s12
	s_waitcnt lgkmcnt(0)
	v_cndmask_b32_e64 v4, v26, v11, s12
	v_cndmask_b32_e64 v26, v25, v26, s12
	v_cmpx_lt_u32_e64 v7, v22
	s_cbranch_execz .LBB407_648
; %bb.645:                              ;   in Loop: Header=BB407_621 Depth=1
	s_mov_b32 s19, 0
	s_mov_b32 s13, exec_lo
	v_cmpx_lt_u32_e64 v5, v3
	s_cbranch_execz .LBB407_647
; %bb.646:                              ;   in Loop: Header=BB407_621 Depth=1
	v_lshrrev_b32_e32 v27, 31, v4
	v_lshrrev_b32_e32 v28, 31, v26
	v_cmp_ge_i32_e64 s6, v4, v26
	v_add_nc_u32_e32 v27, v4, v27
	v_add_nc_u32_e32 v28, v26, v28
	v_cndmask_b32_e64 v29, 0, 1, s6
	v_and_b32_e32 v27, -2, v27
	v_and_b32_e32 v28, -2, v28
	v_sub_nc_u32_e32 v27, v4, v27
	v_sub_nc_u32_e32 v28, v26, v28
	v_cmp_ne_u32_e64 s6, 0, v27
	v_cndmask_b32_e64 v30, 0, 1, s6
	v_cmp_eq_u32_e64 s6, v27, v28
	v_cndmask_b32_e64 v27, v30, v29, s6
	v_and_b32_e32 v27, 1, v27
	v_cmp_eq_u32_e64 s6, 1, v27
	s_and_b32 s19, s6, exec_lo
.LBB407_647:                            ;   in Loop: Header=BB407_621 Depth=1
	s_or_b32 exec_lo, exec_lo, s13
	s_orn2_b32 s13, s19, exec_lo
.LBB407_648:                            ;   in Loop: Header=BB407_621 Depth=1
	s_or_b32 exec_lo, exec_lo, s18
	v_cndmask_b32_e64 v27, v7, v5, s13
	v_cndmask_b32_e64 v28, v22, v3, s13
	s_mov_b32 s18, -1
	s_mov_b32 s19, -1
	s_mov_b32 s20, exec_lo
	v_add_nc_u32_e32 v27, 1, v27
	v_add_nc_u32_e32 v28, -1, v28
	v_cndmask_b32_e64 v7, v27, v7, s13
	v_min_u32_e32 v28, v27, v28
	v_lshlrev_b32_e32 v28, 2, v28
	ds_read_b32 v29, v28
	v_cndmask_b32_e64 v28, v5, v27, s13
	s_waitcnt lgkmcnt(0)
	v_cndmask_b32_e64 v5, v29, v4, s13
	v_cndmask_b32_e64 v27, v26, v29, s13
	v_cmpx_lt_u32_e64 v7, v22
	s_cbranch_execz .LBB407_652
; %bb.649:                              ;   in Loop: Header=BB407_621 Depth=1
	s_mov_b32 s21, 0
	s_mov_b32 s19, exec_lo
	v_cmpx_lt_u32_e64 v28, v3
	s_cbranch_execz .LBB407_651
; %bb.650:                              ;   in Loop: Header=BB407_621 Depth=1
	v_lshrrev_b32_e32 v29, 31, v5
	v_lshrrev_b32_e32 v30, 31, v27
	v_cmp_ge_i32_e64 s6, v5, v27
	v_add_nc_u32_e32 v29, v5, v29
	v_add_nc_u32_e32 v30, v27, v30
	v_cndmask_b32_e64 v31, 0, 1, s6
	v_and_b32_e32 v29, -2, v29
	v_and_b32_e32 v30, -2, v30
	v_sub_nc_u32_e32 v29, v5, v29
	v_sub_nc_u32_e32 v30, v27, v30
	v_cmp_ne_u32_e64 s6, 0, v29
	v_cndmask_b32_e64 v32, 0, 1, s6
	v_cmp_eq_u32_e64 s6, v29, v30
	v_cndmask_b32_e64 v29, v32, v31, s6
	v_and_b32_e32 v29, 1, v29
	v_cmp_eq_u32_e64 s6, 1, v29
	s_and_b32 s21, s6, exec_lo
.LBB407_651:                            ;   in Loop: Header=BB407_621 Depth=1
	s_or_b32 exec_lo, exec_lo, s19
	s_orn2_b32 s19, s21, exec_lo
.LBB407_652:                            ;   in Loop: Header=BB407_621 Depth=1
	s_or_b32 exec_lo, exec_lo, s20
	v_cndmask_b32_e64 v29, v7, v28, s19
	v_cndmask_b32_e64 v30, v22, v3, s19
	s_mov_b32 s20, exec_lo
	v_add_nc_u32_e32 v29, 1, v29
	v_add_nc_u32_e32 v30, -1, v30
	v_cndmask_b32_e64 v7, v29, v7, s19
	v_min_u32_e32 v30, v29, v30
	v_lshlrev_b32_e32 v30, 2, v30
	ds_read_b32 v31, v30
	v_cndmask_b32_e64 v30, v28, v29, s19
	s_waitcnt lgkmcnt(0)
	v_cndmask_b32_e64 v28, v31, v5, s19
	v_cndmask_b32_e64 v29, v27, v31, s19
	v_cmpx_lt_u32_e64 v7, v22
	s_cbranch_execz .LBB407_656
; %bb.653:                              ;   in Loop: Header=BB407_621 Depth=1
	s_mov_b32 s21, 0
	s_mov_b32 s18, exec_lo
	v_cmpx_lt_u32_e64 v30, v3
	s_cbranch_execz .LBB407_655
; %bb.654:                              ;   in Loop: Header=BB407_621 Depth=1
	v_lshrrev_b32_e32 v31, 31, v28
	v_lshrrev_b32_e32 v32, 31, v29
	v_cmp_ge_i32_e64 s6, v28, v29
	v_add_nc_u32_e32 v31, v28, v31
	v_add_nc_u32_e32 v32, v29, v32
	v_cndmask_b32_e64 v33, 0, 1, s6
	v_and_b32_e32 v31, -2, v31
	v_and_b32_e32 v32, -2, v32
	v_sub_nc_u32_e32 v31, v28, v31
	v_sub_nc_u32_e32 v32, v29, v32
	v_cmp_ne_u32_e64 s6, 0, v31
	v_cndmask_b32_e64 v34, 0, 1, s6
	v_cmp_eq_u32_e64 s6, v31, v32
	v_cndmask_b32_e64 v31, v34, v33, s6
	v_and_b32_e32 v31, 1, v31
	v_cmp_eq_u32_e64 s6, 1, v31
	s_and_b32 s21, s6, exec_lo
.LBB407_655:                            ;   in Loop: Header=BB407_621 Depth=1
	s_or_b32 exec_lo, exec_lo, s18
	s_orn2_b32 s18, s21, exec_lo
.LBB407_656:                            ;   in Loop: Header=BB407_621 Depth=1
	s_or_b32 exec_lo, exec_lo, s20
	v_cndmask_b32_e64 v31, v7, v30, s18
	v_cndmask_b32_e64 v32, v22, v3, s18
	s_mov_b32 s20, exec_lo
	v_add_nc_u32_e32 v31, 1, v31
	v_add_nc_u32_e32 v32, -1, v32
	v_cndmask_b32_e64 v33, v31, v7, s18
	v_min_u32_e32 v32, v31, v32
	v_lshlrev_b32_e32 v32, 2, v32
	ds_read_b32 v32, v32
	s_waitcnt lgkmcnt(0)
	v_cndmask_b32_e64 v7, v29, v32, s18
	v_cmpx_lt_u32_e64 v33, v22
	s_cbranch_execz .LBB407_619
; %bb.657:                              ;   in Loop: Header=BB407_621 Depth=1
	v_cndmask_b32_e64 v30, v30, v31, s18
	v_cndmask_b32_e64 v22, v32, v28, s18
	s_mov_b32 s21, exec_lo
	v_cmpx_lt_u32_e64 v30, v3
	s_cbranch_execz .LBB407_618
; %bb.658:                              ;   in Loop: Header=BB407_621 Depth=1
	v_lshrrev_b32_e32 v3, 31, v22
	v_lshrrev_b32_e32 v30, 31, v7
	v_cmp_ge_i32_e64 s6, v22, v7
	v_add_nc_u32_e32 v3, v22, v3
	v_add_nc_u32_e32 v30, v7, v30
	v_cndmask_b32_e64 v31, 0, 1, s6
	v_and_b32_e32 v3, -2, v3
	v_and_b32_e32 v30, -2, v30
	v_sub_nc_u32_e32 v3, v22, v3
	v_sub_nc_u32_e32 v30, v7, v30
	v_cmp_ne_u32_e64 s6, 0, v3
	v_cndmask_b32_e64 v32, 0, 1, s6
	v_cmp_eq_u32_e64 s6, v3, v30
	v_cndmask_b32_e64 v3, v32, v31, s6
	v_and_b32_e32 v3, 1, v3
	v_cmp_eq_u32_e64 s6, 1, v3
	v_cndmask_b32_e64 v22, v22, v7, s6
	s_branch .LBB407_618
.LBB407_659:
	s_barrier
	buffer_gl0_inv
	ds_write2_b32 v19, v8, v9 offset1:1
	ds_write2_b32 v19, v10, v11 offset0:2 offset1:3
	ds_write2_b32 v19, v4, v5 offset0:4 offset1:5
	;; [unrolled: 1-line block ×3, first 2 shown]
	s_waitcnt lgkmcnt(0)
	s_barrier
	buffer_gl0_inv
	ds_read_b32 v10, v1 offset:1024
	ds_read_b32 v9, v13 offset:2048
	;; [unrolled: 1-line block ×7, first 2 shown]
	v_add_co_u32 v2, s6, s14, v20
	v_mov_b32_e32 v1, 0
	v_add_co_ci_u32_e64 v3, null, s15, 0, s6
	s_and_saveexec_b32 s6, vcc_lo
	s_cbranch_execz .LBB407_671
; %bb.660:
	ds_read_b32 v11, v12
	s_waitcnt lgkmcnt(0)
	flat_store_dword v[2:3], v11
	s_or_b32 exec_lo, exec_lo, s6
	s_and_saveexec_b32 s6, s0
	s_cbranch_execnz .LBB407_672
.LBB407_661:
	s_or_b32 exec_lo, exec_lo, s6
	s_and_saveexec_b32 s0, s1
	s_cbranch_execz .LBB407_673
.LBB407_662:
	s_waitcnt lgkmcnt(6)
	v_add_co_u32 v10, vcc_lo, 0x800, v2
	v_add_co_ci_u32_e64 v11, null, 0, v3, vcc_lo
	s_waitcnt lgkmcnt(5)
	flat_store_dword v[10:11], v9
	s_or_b32 exec_lo, exec_lo, s0
	s_and_saveexec_b32 s0, s2
	s_cbranch_execnz .LBB407_674
.LBB407_663:
	s_or_b32 exec_lo, exec_lo, s0
	s_and_saveexec_b32 s0, s3
	s_cbranch_execz .LBB407_675
.LBB407_664:
	s_waitcnt lgkmcnt(4)
	v_add_co_u32 v8, vcc_lo, 0x1000, v2
	v_add_co_ci_u32_e64 v9, null, 0, v3, vcc_lo
	s_waitcnt lgkmcnt(3)
	flat_store_dword v[8:9], v7
	s_or_b32 exec_lo, exec_lo, s0
	s_and_saveexec_b32 s0, s4
	s_cbranch_execnz .LBB407_676
.LBB407_665:
	s_or_b32 exec_lo, exec_lo, s0
	s_and_saveexec_b32 s0, s5
	s_cbranch_execz .LBB407_667
.LBB407_666:
	v_add_co_u32 v2, vcc_lo, 0x1800, v2
	v_add_co_ci_u32_e64 v3, null, 0, v3, vcc_lo
	s_waitcnt lgkmcnt(1)
	flat_store_dword v[2:3], v5
.LBB407_667:
	s_or_b32 exec_lo, exec_lo, s0
.LBB407_668:
	s_and_saveexec_b32 s0, s16
	s_cbranch_execz .LBB407_670
; %bb.669:
	v_lshlrev_b64 v[0:1], 2, v[0:1]
	v_add_co_u32 v0, vcc_lo, s14, v0
	v_add_co_ci_u32_e64 v1, null, s15, v1, vcc_lo
	v_add_co_u32 v0, vcc_lo, 0x1800, v0
	v_add_co_ci_u32_e64 v1, null, 0, v1, vcc_lo
	s_waitcnt lgkmcnt(0)
	flat_store_dword v[0:1], v4 offset:1024
.LBB407_670:
	s_endpgm
.LBB407_671:
	s_or_b32 exec_lo, exec_lo, s6
	s_and_saveexec_b32 s6, s0
	s_cbranch_execz .LBB407_661
.LBB407_672:
	s_waitcnt lgkmcnt(6)
	flat_store_dword v[2:3], v10 offset:1024
	s_or_b32 exec_lo, exec_lo, s6
	s_and_saveexec_b32 s0, s1
	s_cbranch_execnz .LBB407_662
.LBB407_673:
	s_or_b32 exec_lo, exec_lo, s0
	s_and_saveexec_b32 s0, s2
	s_cbranch_execz .LBB407_663
.LBB407_674:
	s_waitcnt lgkmcnt(5)
	v_add_co_u32 v9, vcc_lo, 0x800, v2
	v_add_co_ci_u32_e64 v10, null, 0, v3, vcc_lo
	s_waitcnt lgkmcnt(4)
	flat_store_dword v[9:10], v8 offset:1024
	s_or_b32 exec_lo, exec_lo, s0
	s_and_saveexec_b32 s0, s3
	s_cbranch_execnz .LBB407_664
.LBB407_675:
	s_or_b32 exec_lo, exec_lo, s0
	s_and_saveexec_b32 s0, s4
	s_cbranch_execz .LBB407_665
.LBB407_676:
	s_waitcnt lgkmcnt(3)
	v_add_co_u32 v7, vcc_lo, 0x1000, v2
	v_add_co_ci_u32_e64 v8, null, 0, v3, vcc_lo
	s_waitcnt lgkmcnt(2)
	flat_store_dword v[7:8], v6 offset:1024
	s_or_b32 exec_lo, exec_lo, s0
	s_and_saveexec_b32 s0, s5
	s_cbranch_execnz .LBB407_666
	s_branch .LBB407_667
	.section	.rodata,"a",@progbits
	.p2align	6, 0x0
	.amdhsa_kernel _ZN7rocprim17ROCPRIM_400000_NS6detail17trampoline_kernelINS0_14default_configENS1_37merge_sort_block_sort_config_selectorIiNS0_10empty_typeEEEZNS1_21merge_sort_block_sortIS3_N6thrust23THRUST_200600_302600_NS6detail15normal_iteratorINS9_10device_ptrIiEEEESE_PS5_SF_17evens_before_oddsEE10hipError_tT0_T1_T2_T3_mRjT4_P12ihipStream_tbNS1_7vsmem_tEEUlT_E_NS1_11comp_targetILNS1_3genE8ELNS1_11target_archE1030ELNS1_3gpuE2ELNS1_3repE0EEENS1_30default_config_static_selectorELNS0_4arch9wavefront6targetE0EEEvSJ_
		.amdhsa_group_segment_fixed_size 8448
		.amdhsa_private_segment_fixed_size 0
		.amdhsa_kernarg_size 320
		.amdhsa_user_sgpr_count 6
		.amdhsa_user_sgpr_private_segment_buffer 1
		.amdhsa_user_sgpr_dispatch_ptr 0
		.amdhsa_user_sgpr_queue_ptr 0
		.amdhsa_user_sgpr_kernarg_segment_ptr 1
		.amdhsa_user_sgpr_dispatch_id 0
		.amdhsa_user_sgpr_flat_scratch_init 0
		.amdhsa_user_sgpr_private_segment_size 0
		.amdhsa_wavefront_size32 1
		.amdhsa_uses_dynamic_stack 0
		.amdhsa_system_sgpr_private_segment_wavefront_offset 0
		.amdhsa_system_sgpr_workgroup_id_x 1
		.amdhsa_system_sgpr_workgroup_id_y 1
		.amdhsa_system_sgpr_workgroup_id_z 1
		.amdhsa_system_sgpr_workgroup_info 0
		.amdhsa_system_vgpr_workitem_id 2
		.amdhsa_next_free_vgpr 50
		.amdhsa_next_free_sgpr 22
		.amdhsa_reserve_vcc 1
		.amdhsa_reserve_flat_scratch 1
		.amdhsa_float_round_mode_32 0
		.amdhsa_float_round_mode_16_64 0
		.amdhsa_float_denorm_mode_32 3
		.amdhsa_float_denorm_mode_16_64 3
		.amdhsa_dx10_clamp 1
		.amdhsa_ieee_mode 1
		.amdhsa_fp16_overflow 0
		.amdhsa_workgroup_processor_mode 1
		.amdhsa_memory_ordered 1
		.amdhsa_forward_progress 1
		.amdhsa_shared_vgpr_count 0
		.amdhsa_exception_fp_ieee_invalid_op 0
		.amdhsa_exception_fp_denorm_src 0
		.amdhsa_exception_fp_ieee_div_zero 0
		.amdhsa_exception_fp_ieee_overflow 0
		.amdhsa_exception_fp_ieee_underflow 0
		.amdhsa_exception_fp_ieee_inexact 0
		.amdhsa_exception_int_div_zero 0
	.end_amdhsa_kernel
	.section	.text._ZN7rocprim17ROCPRIM_400000_NS6detail17trampoline_kernelINS0_14default_configENS1_37merge_sort_block_sort_config_selectorIiNS0_10empty_typeEEEZNS1_21merge_sort_block_sortIS3_N6thrust23THRUST_200600_302600_NS6detail15normal_iteratorINS9_10device_ptrIiEEEESE_PS5_SF_17evens_before_oddsEE10hipError_tT0_T1_T2_T3_mRjT4_P12ihipStream_tbNS1_7vsmem_tEEUlT_E_NS1_11comp_targetILNS1_3genE8ELNS1_11target_archE1030ELNS1_3gpuE2ELNS1_3repE0EEENS1_30default_config_static_selectorELNS0_4arch9wavefront6targetE0EEEvSJ_,"axG",@progbits,_ZN7rocprim17ROCPRIM_400000_NS6detail17trampoline_kernelINS0_14default_configENS1_37merge_sort_block_sort_config_selectorIiNS0_10empty_typeEEEZNS1_21merge_sort_block_sortIS3_N6thrust23THRUST_200600_302600_NS6detail15normal_iteratorINS9_10device_ptrIiEEEESE_PS5_SF_17evens_before_oddsEE10hipError_tT0_T1_T2_T3_mRjT4_P12ihipStream_tbNS1_7vsmem_tEEUlT_E_NS1_11comp_targetILNS1_3genE8ELNS1_11target_archE1030ELNS1_3gpuE2ELNS1_3repE0EEENS1_30default_config_static_selectorELNS0_4arch9wavefront6targetE0EEEvSJ_,comdat
.Lfunc_end407:
	.size	_ZN7rocprim17ROCPRIM_400000_NS6detail17trampoline_kernelINS0_14default_configENS1_37merge_sort_block_sort_config_selectorIiNS0_10empty_typeEEEZNS1_21merge_sort_block_sortIS3_N6thrust23THRUST_200600_302600_NS6detail15normal_iteratorINS9_10device_ptrIiEEEESE_PS5_SF_17evens_before_oddsEE10hipError_tT0_T1_T2_T3_mRjT4_P12ihipStream_tbNS1_7vsmem_tEEUlT_E_NS1_11comp_targetILNS1_3genE8ELNS1_11target_archE1030ELNS1_3gpuE2ELNS1_3repE0EEENS1_30default_config_static_selectorELNS0_4arch9wavefront6targetE0EEEvSJ_, .Lfunc_end407-_ZN7rocprim17ROCPRIM_400000_NS6detail17trampoline_kernelINS0_14default_configENS1_37merge_sort_block_sort_config_selectorIiNS0_10empty_typeEEEZNS1_21merge_sort_block_sortIS3_N6thrust23THRUST_200600_302600_NS6detail15normal_iteratorINS9_10device_ptrIiEEEESE_PS5_SF_17evens_before_oddsEE10hipError_tT0_T1_T2_T3_mRjT4_P12ihipStream_tbNS1_7vsmem_tEEUlT_E_NS1_11comp_targetILNS1_3genE8ELNS1_11target_archE1030ELNS1_3gpuE2ELNS1_3repE0EEENS1_30default_config_static_selectorELNS0_4arch9wavefront6targetE0EEEvSJ_
                                        ; -- End function
	.set _ZN7rocprim17ROCPRIM_400000_NS6detail17trampoline_kernelINS0_14default_configENS1_37merge_sort_block_sort_config_selectorIiNS0_10empty_typeEEEZNS1_21merge_sort_block_sortIS3_N6thrust23THRUST_200600_302600_NS6detail15normal_iteratorINS9_10device_ptrIiEEEESE_PS5_SF_17evens_before_oddsEE10hipError_tT0_T1_T2_T3_mRjT4_P12ihipStream_tbNS1_7vsmem_tEEUlT_E_NS1_11comp_targetILNS1_3genE8ELNS1_11target_archE1030ELNS1_3gpuE2ELNS1_3repE0EEENS1_30default_config_static_selectorELNS0_4arch9wavefront6targetE0EEEvSJ_.num_vgpr, 50
	.set _ZN7rocprim17ROCPRIM_400000_NS6detail17trampoline_kernelINS0_14default_configENS1_37merge_sort_block_sort_config_selectorIiNS0_10empty_typeEEEZNS1_21merge_sort_block_sortIS3_N6thrust23THRUST_200600_302600_NS6detail15normal_iteratorINS9_10device_ptrIiEEEESE_PS5_SF_17evens_before_oddsEE10hipError_tT0_T1_T2_T3_mRjT4_P12ihipStream_tbNS1_7vsmem_tEEUlT_E_NS1_11comp_targetILNS1_3genE8ELNS1_11target_archE1030ELNS1_3gpuE2ELNS1_3repE0EEENS1_30default_config_static_selectorELNS0_4arch9wavefront6targetE0EEEvSJ_.num_agpr, 0
	.set _ZN7rocprim17ROCPRIM_400000_NS6detail17trampoline_kernelINS0_14default_configENS1_37merge_sort_block_sort_config_selectorIiNS0_10empty_typeEEEZNS1_21merge_sort_block_sortIS3_N6thrust23THRUST_200600_302600_NS6detail15normal_iteratorINS9_10device_ptrIiEEEESE_PS5_SF_17evens_before_oddsEE10hipError_tT0_T1_T2_T3_mRjT4_P12ihipStream_tbNS1_7vsmem_tEEUlT_E_NS1_11comp_targetILNS1_3genE8ELNS1_11target_archE1030ELNS1_3gpuE2ELNS1_3repE0EEENS1_30default_config_static_selectorELNS0_4arch9wavefront6targetE0EEEvSJ_.numbered_sgpr, 22
	.set _ZN7rocprim17ROCPRIM_400000_NS6detail17trampoline_kernelINS0_14default_configENS1_37merge_sort_block_sort_config_selectorIiNS0_10empty_typeEEEZNS1_21merge_sort_block_sortIS3_N6thrust23THRUST_200600_302600_NS6detail15normal_iteratorINS9_10device_ptrIiEEEESE_PS5_SF_17evens_before_oddsEE10hipError_tT0_T1_T2_T3_mRjT4_P12ihipStream_tbNS1_7vsmem_tEEUlT_E_NS1_11comp_targetILNS1_3genE8ELNS1_11target_archE1030ELNS1_3gpuE2ELNS1_3repE0EEENS1_30default_config_static_selectorELNS0_4arch9wavefront6targetE0EEEvSJ_.num_named_barrier, 0
	.set _ZN7rocprim17ROCPRIM_400000_NS6detail17trampoline_kernelINS0_14default_configENS1_37merge_sort_block_sort_config_selectorIiNS0_10empty_typeEEEZNS1_21merge_sort_block_sortIS3_N6thrust23THRUST_200600_302600_NS6detail15normal_iteratorINS9_10device_ptrIiEEEESE_PS5_SF_17evens_before_oddsEE10hipError_tT0_T1_T2_T3_mRjT4_P12ihipStream_tbNS1_7vsmem_tEEUlT_E_NS1_11comp_targetILNS1_3genE8ELNS1_11target_archE1030ELNS1_3gpuE2ELNS1_3repE0EEENS1_30default_config_static_selectorELNS0_4arch9wavefront6targetE0EEEvSJ_.private_seg_size, 0
	.set _ZN7rocprim17ROCPRIM_400000_NS6detail17trampoline_kernelINS0_14default_configENS1_37merge_sort_block_sort_config_selectorIiNS0_10empty_typeEEEZNS1_21merge_sort_block_sortIS3_N6thrust23THRUST_200600_302600_NS6detail15normal_iteratorINS9_10device_ptrIiEEEESE_PS5_SF_17evens_before_oddsEE10hipError_tT0_T1_T2_T3_mRjT4_P12ihipStream_tbNS1_7vsmem_tEEUlT_E_NS1_11comp_targetILNS1_3genE8ELNS1_11target_archE1030ELNS1_3gpuE2ELNS1_3repE0EEENS1_30default_config_static_selectorELNS0_4arch9wavefront6targetE0EEEvSJ_.uses_vcc, 1
	.set _ZN7rocprim17ROCPRIM_400000_NS6detail17trampoline_kernelINS0_14default_configENS1_37merge_sort_block_sort_config_selectorIiNS0_10empty_typeEEEZNS1_21merge_sort_block_sortIS3_N6thrust23THRUST_200600_302600_NS6detail15normal_iteratorINS9_10device_ptrIiEEEESE_PS5_SF_17evens_before_oddsEE10hipError_tT0_T1_T2_T3_mRjT4_P12ihipStream_tbNS1_7vsmem_tEEUlT_E_NS1_11comp_targetILNS1_3genE8ELNS1_11target_archE1030ELNS1_3gpuE2ELNS1_3repE0EEENS1_30default_config_static_selectorELNS0_4arch9wavefront6targetE0EEEvSJ_.uses_flat_scratch, 1
	.set _ZN7rocprim17ROCPRIM_400000_NS6detail17trampoline_kernelINS0_14default_configENS1_37merge_sort_block_sort_config_selectorIiNS0_10empty_typeEEEZNS1_21merge_sort_block_sortIS3_N6thrust23THRUST_200600_302600_NS6detail15normal_iteratorINS9_10device_ptrIiEEEESE_PS5_SF_17evens_before_oddsEE10hipError_tT0_T1_T2_T3_mRjT4_P12ihipStream_tbNS1_7vsmem_tEEUlT_E_NS1_11comp_targetILNS1_3genE8ELNS1_11target_archE1030ELNS1_3gpuE2ELNS1_3repE0EEENS1_30default_config_static_selectorELNS0_4arch9wavefront6targetE0EEEvSJ_.has_dyn_sized_stack, 0
	.set _ZN7rocprim17ROCPRIM_400000_NS6detail17trampoline_kernelINS0_14default_configENS1_37merge_sort_block_sort_config_selectorIiNS0_10empty_typeEEEZNS1_21merge_sort_block_sortIS3_N6thrust23THRUST_200600_302600_NS6detail15normal_iteratorINS9_10device_ptrIiEEEESE_PS5_SF_17evens_before_oddsEE10hipError_tT0_T1_T2_T3_mRjT4_P12ihipStream_tbNS1_7vsmem_tEEUlT_E_NS1_11comp_targetILNS1_3genE8ELNS1_11target_archE1030ELNS1_3gpuE2ELNS1_3repE0EEENS1_30default_config_static_selectorELNS0_4arch9wavefront6targetE0EEEvSJ_.has_recursion, 0
	.set _ZN7rocprim17ROCPRIM_400000_NS6detail17trampoline_kernelINS0_14default_configENS1_37merge_sort_block_sort_config_selectorIiNS0_10empty_typeEEEZNS1_21merge_sort_block_sortIS3_N6thrust23THRUST_200600_302600_NS6detail15normal_iteratorINS9_10device_ptrIiEEEESE_PS5_SF_17evens_before_oddsEE10hipError_tT0_T1_T2_T3_mRjT4_P12ihipStream_tbNS1_7vsmem_tEEUlT_E_NS1_11comp_targetILNS1_3genE8ELNS1_11target_archE1030ELNS1_3gpuE2ELNS1_3repE0EEENS1_30default_config_static_selectorELNS0_4arch9wavefront6targetE0EEEvSJ_.has_indirect_call, 0
	.section	.AMDGPU.csdata,"",@progbits
; Kernel info:
; codeLenInByte = 36804
; TotalNumSgprs: 24
; NumVgprs: 50
; ScratchSize: 0
; MemoryBound: 0
; FloatMode: 240
; IeeeMode: 1
; LDSByteSize: 8448 bytes/workgroup (compile time only)
; SGPRBlocks: 0
; VGPRBlocks: 6
; NumSGPRsForWavesPerEU: 24
; NumVGPRsForWavesPerEU: 50
; Occupancy: 16
; WaveLimiterHint : 1
; COMPUTE_PGM_RSRC2:SCRATCH_EN: 0
; COMPUTE_PGM_RSRC2:USER_SGPR: 6
; COMPUTE_PGM_RSRC2:TRAP_HANDLER: 0
; COMPUTE_PGM_RSRC2:TGID_X_EN: 1
; COMPUTE_PGM_RSRC2:TGID_Y_EN: 1
; COMPUTE_PGM_RSRC2:TGID_Z_EN: 1
; COMPUTE_PGM_RSRC2:TIDIG_COMP_CNT: 2
	.section	.text._ZN7rocprim17ROCPRIM_400000_NS6detail17trampoline_kernelINS0_14default_configENS1_38merge_sort_block_merge_config_selectorIiNS0_10empty_typeEEEZZNS1_27merge_sort_block_merge_implIS3_N6thrust23THRUST_200600_302600_NS6detail15normal_iteratorINS9_10device_ptrIiEEEEPS5_m17evens_before_oddsEE10hipError_tT0_T1_T2_jT3_P12ihipStream_tbPNSt15iterator_traitsISI_E10value_typeEPNSO_ISJ_E10value_typeEPSK_NS1_7vsmem_tEENKUlT_SI_SJ_SK_E_clIPiSE_SF_SF_EESH_SX_SI_SJ_SK_EUlSX_E_NS1_11comp_targetILNS1_3genE0ELNS1_11target_archE4294967295ELNS1_3gpuE0ELNS1_3repE0EEENS1_48merge_mergepath_partition_config_static_selectorELNS0_4arch9wavefront6targetE0EEEvSJ_,"axG",@progbits,_ZN7rocprim17ROCPRIM_400000_NS6detail17trampoline_kernelINS0_14default_configENS1_38merge_sort_block_merge_config_selectorIiNS0_10empty_typeEEEZZNS1_27merge_sort_block_merge_implIS3_N6thrust23THRUST_200600_302600_NS6detail15normal_iteratorINS9_10device_ptrIiEEEEPS5_m17evens_before_oddsEE10hipError_tT0_T1_T2_jT3_P12ihipStream_tbPNSt15iterator_traitsISI_E10value_typeEPNSO_ISJ_E10value_typeEPSK_NS1_7vsmem_tEENKUlT_SI_SJ_SK_E_clIPiSE_SF_SF_EESH_SX_SI_SJ_SK_EUlSX_E_NS1_11comp_targetILNS1_3genE0ELNS1_11target_archE4294967295ELNS1_3gpuE0ELNS1_3repE0EEENS1_48merge_mergepath_partition_config_static_selectorELNS0_4arch9wavefront6targetE0EEEvSJ_,comdat
	.protected	_ZN7rocprim17ROCPRIM_400000_NS6detail17trampoline_kernelINS0_14default_configENS1_38merge_sort_block_merge_config_selectorIiNS0_10empty_typeEEEZZNS1_27merge_sort_block_merge_implIS3_N6thrust23THRUST_200600_302600_NS6detail15normal_iteratorINS9_10device_ptrIiEEEEPS5_m17evens_before_oddsEE10hipError_tT0_T1_T2_jT3_P12ihipStream_tbPNSt15iterator_traitsISI_E10value_typeEPNSO_ISJ_E10value_typeEPSK_NS1_7vsmem_tEENKUlT_SI_SJ_SK_E_clIPiSE_SF_SF_EESH_SX_SI_SJ_SK_EUlSX_E_NS1_11comp_targetILNS1_3genE0ELNS1_11target_archE4294967295ELNS1_3gpuE0ELNS1_3repE0EEENS1_48merge_mergepath_partition_config_static_selectorELNS0_4arch9wavefront6targetE0EEEvSJ_ ; -- Begin function _ZN7rocprim17ROCPRIM_400000_NS6detail17trampoline_kernelINS0_14default_configENS1_38merge_sort_block_merge_config_selectorIiNS0_10empty_typeEEEZZNS1_27merge_sort_block_merge_implIS3_N6thrust23THRUST_200600_302600_NS6detail15normal_iteratorINS9_10device_ptrIiEEEEPS5_m17evens_before_oddsEE10hipError_tT0_T1_T2_jT3_P12ihipStream_tbPNSt15iterator_traitsISI_E10value_typeEPNSO_ISJ_E10value_typeEPSK_NS1_7vsmem_tEENKUlT_SI_SJ_SK_E_clIPiSE_SF_SF_EESH_SX_SI_SJ_SK_EUlSX_E_NS1_11comp_targetILNS1_3genE0ELNS1_11target_archE4294967295ELNS1_3gpuE0ELNS1_3repE0EEENS1_48merge_mergepath_partition_config_static_selectorELNS0_4arch9wavefront6targetE0EEEvSJ_
	.globl	_ZN7rocprim17ROCPRIM_400000_NS6detail17trampoline_kernelINS0_14default_configENS1_38merge_sort_block_merge_config_selectorIiNS0_10empty_typeEEEZZNS1_27merge_sort_block_merge_implIS3_N6thrust23THRUST_200600_302600_NS6detail15normal_iteratorINS9_10device_ptrIiEEEEPS5_m17evens_before_oddsEE10hipError_tT0_T1_T2_jT3_P12ihipStream_tbPNSt15iterator_traitsISI_E10value_typeEPNSO_ISJ_E10value_typeEPSK_NS1_7vsmem_tEENKUlT_SI_SJ_SK_E_clIPiSE_SF_SF_EESH_SX_SI_SJ_SK_EUlSX_E_NS1_11comp_targetILNS1_3genE0ELNS1_11target_archE4294967295ELNS1_3gpuE0ELNS1_3repE0EEENS1_48merge_mergepath_partition_config_static_selectorELNS0_4arch9wavefront6targetE0EEEvSJ_
	.p2align	8
	.type	_ZN7rocprim17ROCPRIM_400000_NS6detail17trampoline_kernelINS0_14default_configENS1_38merge_sort_block_merge_config_selectorIiNS0_10empty_typeEEEZZNS1_27merge_sort_block_merge_implIS3_N6thrust23THRUST_200600_302600_NS6detail15normal_iteratorINS9_10device_ptrIiEEEEPS5_m17evens_before_oddsEE10hipError_tT0_T1_T2_jT3_P12ihipStream_tbPNSt15iterator_traitsISI_E10value_typeEPNSO_ISJ_E10value_typeEPSK_NS1_7vsmem_tEENKUlT_SI_SJ_SK_E_clIPiSE_SF_SF_EESH_SX_SI_SJ_SK_EUlSX_E_NS1_11comp_targetILNS1_3genE0ELNS1_11target_archE4294967295ELNS1_3gpuE0ELNS1_3repE0EEENS1_48merge_mergepath_partition_config_static_selectorELNS0_4arch9wavefront6targetE0EEEvSJ_,@function
_ZN7rocprim17ROCPRIM_400000_NS6detail17trampoline_kernelINS0_14default_configENS1_38merge_sort_block_merge_config_selectorIiNS0_10empty_typeEEEZZNS1_27merge_sort_block_merge_implIS3_N6thrust23THRUST_200600_302600_NS6detail15normal_iteratorINS9_10device_ptrIiEEEEPS5_m17evens_before_oddsEE10hipError_tT0_T1_T2_jT3_P12ihipStream_tbPNSt15iterator_traitsISI_E10value_typeEPNSO_ISJ_E10value_typeEPSK_NS1_7vsmem_tEENKUlT_SI_SJ_SK_E_clIPiSE_SF_SF_EESH_SX_SI_SJ_SK_EUlSX_E_NS1_11comp_targetILNS1_3genE0ELNS1_11target_archE4294967295ELNS1_3gpuE0ELNS1_3repE0EEENS1_48merge_mergepath_partition_config_static_selectorELNS0_4arch9wavefront6targetE0EEEvSJ_: ; @_ZN7rocprim17ROCPRIM_400000_NS6detail17trampoline_kernelINS0_14default_configENS1_38merge_sort_block_merge_config_selectorIiNS0_10empty_typeEEEZZNS1_27merge_sort_block_merge_implIS3_N6thrust23THRUST_200600_302600_NS6detail15normal_iteratorINS9_10device_ptrIiEEEEPS5_m17evens_before_oddsEE10hipError_tT0_T1_T2_jT3_P12ihipStream_tbPNSt15iterator_traitsISI_E10value_typeEPNSO_ISJ_E10value_typeEPSK_NS1_7vsmem_tEENKUlT_SI_SJ_SK_E_clIPiSE_SF_SF_EESH_SX_SI_SJ_SK_EUlSX_E_NS1_11comp_targetILNS1_3genE0ELNS1_11target_archE4294967295ELNS1_3gpuE0ELNS1_3repE0EEENS1_48merge_mergepath_partition_config_static_selectorELNS0_4arch9wavefront6targetE0EEEvSJ_
; %bb.0:
	.section	.rodata,"a",@progbits
	.p2align	6, 0x0
	.amdhsa_kernel _ZN7rocprim17ROCPRIM_400000_NS6detail17trampoline_kernelINS0_14default_configENS1_38merge_sort_block_merge_config_selectorIiNS0_10empty_typeEEEZZNS1_27merge_sort_block_merge_implIS3_N6thrust23THRUST_200600_302600_NS6detail15normal_iteratorINS9_10device_ptrIiEEEEPS5_m17evens_before_oddsEE10hipError_tT0_T1_T2_jT3_P12ihipStream_tbPNSt15iterator_traitsISI_E10value_typeEPNSO_ISJ_E10value_typeEPSK_NS1_7vsmem_tEENKUlT_SI_SJ_SK_E_clIPiSE_SF_SF_EESH_SX_SI_SJ_SK_EUlSX_E_NS1_11comp_targetILNS1_3genE0ELNS1_11target_archE4294967295ELNS1_3gpuE0ELNS1_3repE0EEENS1_48merge_mergepath_partition_config_static_selectorELNS0_4arch9wavefront6targetE0EEEvSJ_
		.amdhsa_group_segment_fixed_size 0
		.amdhsa_private_segment_fixed_size 0
		.amdhsa_kernarg_size 48
		.amdhsa_user_sgpr_count 6
		.amdhsa_user_sgpr_private_segment_buffer 1
		.amdhsa_user_sgpr_dispatch_ptr 0
		.amdhsa_user_sgpr_queue_ptr 0
		.amdhsa_user_sgpr_kernarg_segment_ptr 1
		.amdhsa_user_sgpr_dispatch_id 0
		.amdhsa_user_sgpr_flat_scratch_init 0
		.amdhsa_user_sgpr_private_segment_size 0
		.amdhsa_wavefront_size32 1
		.amdhsa_uses_dynamic_stack 0
		.amdhsa_system_sgpr_private_segment_wavefront_offset 0
		.amdhsa_system_sgpr_workgroup_id_x 1
		.amdhsa_system_sgpr_workgroup_id_y 0
		.amdhsa_system_sgpr_workgroup_id_z 0
		.amdhsa_system_sgpr_workgroup_info 0
		.amdhsa_system_vgpr_workitem_id 0
		.amdhsa_next_free_vgpr 1
		.amdhsa_next_free_sgpr 1
		.amdhsa_reserve_vcc 0
		.amdhsa_reserve_flat_scratch 0
		.amdhsa_float_round_mode_32 0
		.amdhsa_float_round_mode_16_64 0
		.amdhsa_float_denorm_mode_32 3
		.amdhsa_float_denorm_mode_16_64 3
		.amdhsa_dx10_clamp 1
		.amdhsa_ieee_mode 1
		.amdhsa_fp16_overflow 0
		.amdhsa_workgroup_processor_mode 1
		.amdhsa_memory_ordered 1
		.amdhsa_forward_progress 1
		.amdhsa_shared_vgpr_count 0
		.amdhsa_exception_fp_ieee_invalid_op 0
		.amdhsa_exception_fp_denorm_src 0
		.amdhsa_exception_fp_ieee_div_zero 0
		.amdhsa_exception_fp_ieee_overflow 0
		.amdhsa_exception_fp_ieee_underflow 0
		.amdhsa_exception_fp_ieee_inexact 0
		.amdhsa_exception_int_div_zero 0
	.end_amdhsa_kernel
	.section	.text._ZN7rocprim17ROCPRIM_400000_NS6detail17trampoline_kernelINS0_14default_configENS1_38merge_sort_block_merge_config_selectorIiNS0_10empty_typeEEEZZNS1_27merge_sort_block_merge_implIS3_N6thrust23THRUST_200600_302600_NS6detail15normal_iteratorINS9_10device_ptrIiEEEEPS5_m17evens_before_oddsEE10hipError_tT0_T1_T2_jT3_P12ihipStream_tbPNSt15iterator_traitsISI_E10value_typeEPNSO_ISJ_E10value_typeEPSK_NS1_7vsmem_tEENKUlT_SI_SJ_SK_E_clIPiSE_SF_SF_EESH_SX_SI_SJ_SK_EUlSX_E_NS1_11comp_targetILNS1_3genE0ELNS1_11target_archE4294967295ELNS1_3gpuE0ELNS1_3repE0EEENS1_48merge_mergepath_partition_config_static_selectorELNS0_4arch9wavefront6targetE0EEEvSJ_,"axG",@progbits,_ZN7rocprim17ROCPRIM_400000_NS6detail17trampoline_kernelINS0_14default_configENS1_38merge_sort_block_merge_config_selectorIiNS0_10empty_typeEEEZZNS1_27merge_sort_block_merge_implIS3_N6thrust23THRUST_200600_302600_NS6detail15normal_iteratorINS9_10device_ptrIiEEEEPS5_m17evens_before_oddsEE10hipError_tT0_T1_T2_jT3_P12ihipStream_tbPNSt15iterator_traitsISI_E10value_typeEPNSO_ISJ_E10value_typeEPSK_NS1_7vsmem_tEENKUlT_SI_SJ_SK_E_clIPiSE_SF_SF_EESH_SX_SI_SJ_SK_EUlSX_E_NS1_11comp_targetILNS1_3genE0ELNS1_11target_archE4294967295ELNS1_3gpuE0ELNS1_3repE0EEENS1_48merge_mergepath_partition_config_static_selectorELNS0_4arch9wavefront6targetE0EEEvSJ_,comdat
.Lfunc_end408:
	.size	_ZN7rocprim17ROCPRIM_400000_NS6detail17trampoline_kernelINS0_14default_configENS1_38merge_sort_block_merge_config_selectorIiNS0_10empty_typeEEEZZNS1_27merge_sort_block_merge_implIS3_N6thrust23THRUST_200600_302600_NS6detail15normal_iteratorINS9_10device_ptrIiEEEEPS5_m17evens_before_oddsEE10hipError_tT0_T1_T2_jT3_P12ihipStream_tbPNSt15iterator_traitsISI_E10value_typeEPNSO_ISJ_E10value_typeEPSK_NS1_7vsmem_tEENKUlT_SI_SJ_SK_E_clIPiSE_SF_SF_EESH_SX_SI_SJ_SK_EUlSX_E_NS1_11comp_targetILNS1_3genE0ELNS1_11target_archE4294967295ELNS1_3gpuE0ELNS1_3repE0EEENS1_48merge_mergepath_partition_config_static_selectorELNS0_4arch9wavefront6targetE0EEEvSJ_, .Lfunc_end408-_ZN7rocprim17ROCPRIM_400000_NS6detail17trampoline_kernelINS0_14default_configENS1_38merge_sort_block_merge_config_selectorIiNS0_10empty_typeEEEZZNS1_27merge_sort_block_merge_implIS3_N6thrust23THRUST_200600_302600_NS6detail15normal_iteratorINS9_10device_ptrIiEEEEPS5_m17evens_before_oddsEE10hipError_tT0_T1_T2_jT3_P12ihipStream_tbPNSt15iterator_traitsISI_E10value_typeEPNSO_ISJ_E10value_typeEPSK_NS1_7vsmem_tEENKUlT_SI_SJ_SK_E_clIPiSE_SF_SF_EESH_SX_SI_SJ_SK_EUlSX_E_NS1_11comp_targetILNS1_3genE0ELNS1_11target_archE4294967295ELNS1_3gpuE0ELNS1_3repE0EEENS1_48merge_mergepath_partition_config_static_selectorELNS0_4arch9wavefront6targetE0EEEvSJ_
                                        ; -- End function
	.set _ZN7rocprim17ROCPRIM_400000_NS6detail17trampoline_kernelINS0_14default_configENS1_38merge_sort_block_merge_config_selectorIiNS0_10empty_typeEEEZZNS1_27merge_sort_block_merge_implIS3_N6thrust23THRUST_200600_302600_NS6detail15normal_iteratorINS9_10device_ptrIiEEEEPS5_m17evens_before_oddsEE10hipError_tT0_T1_T2_jT3_P12ihipStream_tbPNSt15iterator_traitsISI_E10value_typeEPNSO_ISJ_E10value_typeEPSK_NS1_7vsmem_tEENKUlT_SI_SJ_SK_E_clIPiSE_SF_SF_EESH_SX_SI_SJ_SK_EUlSX_E_NS1_11comp_targetILNS1_3genE0ELNS1_11target_archE4294967295ELNS1_3gpuE0ELNS1_3repE0EEENS1_48merge_mergepath_partition_config_static_selectorELNS0_4arch9wavefront6targetE0EEEvSJ_.num_vgpr, 0
	.set _ZN7rocprim17ROCPRIM_400000_NS6detail17trampoline_kernelINS0_14default_configENS1_38merge_sort_block_merge_config_selectorIiNS0_10empty_typeEEEZZNS1_27merge_sort_block_merge_implIS3_N6thrust23THRUST_200600_302600_NS6detail15normal_iteratorINS9_10device_ptrIiEEEEPS5_m17evens_before_oddsEE10hipError_tT0_T1_T2_jT3_P12ihipStream_tbPNSt15iterator_traitsISI_E10value_typeEPNSO_ISJ_E10value_typeEPSK_NS1_7vsmem_tEENKUlT_SI_SJ_SK_E_clIPiSE_SF_SF_EESH_SX_SI_SJ_SK_EUlSX_E_NS1_11comp_targetILNS1_3genE0ELNS1_11target_archE4294967295ELNS1_3gpuE0ELNS1_3repE0EEENS1_48merge_mergepath_partition_config_static_selectorELNS0_4arch9wavefront6targetE0EEEvSJ_.num_agpr, 0
	.set _ZN7rocprim17ROCPRIM_400000_NS6detail17trampoline_kernelINS0_14default_configENS1_38merge_sort_block_merge_config_selectorIiNS0_10empty_typeEEEZZNS1_27merge_sort_block_merge_implIS3_N6thrust23THRUST_200600_302600_NS6detail15normal_iteratorINS9_10device_ptrIiEEEEPS5_m17evens_before_oddsEE10hipError_tT0_T1_T2_jT3_P12ihipStream_tbPNSt15iterator_traitsISI_E10value_typeEPNSO_ISJ_E10value_typeEPSK_NS1_7vsmem_tEENKUlT_SI_SJ_SK_E_clIPiSE_SF_SF_EESH_SX_SI_SJ_SK_EUlSX_E_NS1_11comp_targetILNS1_3genE0ELNS1_11target_archE4294967295ELNS1_3gpuE0ELNS1_3repE0EEENS1_48merge_mergepath_partition_config_static_selectorELNS0_4arch9wavefront6targetE0EEEvSJ_.numbered_sgpr, 0
	.set _ZN7rocprim17ROCPRIM_400000_NS6detail17trampoline_kernelINS0_14default_configENS1_38merge_sort_block_merge_config_selectorIiNS0_10empty_typeEEEZZNS1_27merge_sort_block_merge_implIS3_N6thrust23THRUST_200600_302600_NS6detail15normal_iteratorINS9_10device_ptrIiEEEEPS5_m17evens_before_oddsEE10hipError_tT0_T1_T2_jT3_P12ihipStream_tbPNSt15iterator_traitsISI_E10value_typeEPNSO_ISJ_E10value_typeEPSK_NS1_7vsmem_tEENKUlT_SI_SJ_SK_E_clIPiSE_SF_SF_EESH_SX_SI_SJ_SK_EUlSX_E_NS1_11comp_targetILNS1_3genE0ELNS1_11target_archE4294967295ELNS1_3gpuE0ELNS1_3repE0EEENS1_48merge_mergepath_partition_config_static_selectorELNS0_4arch9wavefront6targetE0EEEvSJ_.num_named_barrier, 0
	.set _ZN7rocprim17ROCPRIM_400000_NS6detail17trampoline_kernelINS0_14default_configENS1_38merge_sort_block_merge_config_selectorIiNS0_10empty_typeEEEZZNS1_27merge_sort_block_merge_implIS3_N6thrust23THRUST_200600_302600_NS6detail15normal_iteratorINS9_10device_ptrIiEEEEPS5_m17evens_before_oddsEE10hipError_tT0_T1_T2_jT3_P12ihipStream_tbPNSt15iterator_traitsISI_E10value_typeEPNSO_ISJ_E10value_typeEPSK_NS1_7vsmem_tEENKUlT_SI_SJ_SK_E_clIPiSE_SF_SF_EESH_SX_SI_SJ_SK_EUlSX_E_NS1_11comp_targetILNS1_3genE0ELNS1_11target_archE4294967295ELNS1_3gpuE0ELNS1_3repE0EEENS1_48merge_mergepath_partition_config_static_selectorELNS0_4arch9wavefront6targetE0EEEvSJ_.private_seg_size, 0
	.set _ZN7rocprim17ROCPRIM_400000_NS6detail17trampoline_kernelINS0_14default_configENS1_38merge_sort_block_merge_config_selectorIiNS0_10empty_typeEEEZZNS1_27merge_sort_block_merge_implIS3_N6thrust23THRUST_200600_302600_NS6detail15normal_iteratorINS9_10device_ptrIiEEEEPS5_m17evens_before_oddsEE10hipError_tT0_T1_T2_jT3_P12ihipStream_tbPNSt15iterator_traitsISI_E10value_typeEPNSO_ISJ_E10value_typeEPSK_NS1_7vsmem_tEENKUlT_SI_SJ_SK_E_clIPiSE_SF_SF_EESH_SX_SI_SJ_SK_EUlSX_E_NS1_11comp_targetILNS1_3genE0ELNS1_11target_archE4294967295ELNS1_3gpuE0ELNS1_3repE0EEENS1_48merge_mergepath_partition_config_static_selectorELNS0_4arch9wavefront6targetE0EEEvSJ_.uses_vcc, 0
	.set _ZN7rocprim17ROCPRIM_400000_NS6detail17trampoline_kernelINS0_14default_configENS1_38merge_sort_block_merge_config_selectorIiNS0_10empty_typeEEEZZNS1_27merge_sort_block_merge_implIS3_N6thrust23THRUST_200600_302600_NS6detail15normal_iteratorINS9_10device_ptrIiEEEEPS5_m17evens_before_oddsEE10hipError_tT0_T1_T2_jT3_P12ihipStream_tbPNSt15iterator_traitsISI_E10value_typeEPNSO_ISJ_E10value_typeEPSK_NS1_7vsmem_tEENKUlT_SI_SJ_SK_E_clIPiSE_SF_SF_EESH_SX_SI_SJ_SK_EUlSX_E_NS1_11comp_targetILNS1_3genE0ELNS1_11target_archE4294967295ELNS1_3gpuE0ELNS1_3repE0EEENS1_48merge_mergepath_partition_config_static_selectorELNS0_4arch9wavefront6targetE0EEEvSJ_.uses_flat_scratch, 0
	.set _ZN7rocprim17ROCPRIM_400000_NS6detail17trampoline_kernelINS0_14default_configENS1_38merge_sort_block_merge_config_selectorIiNS0_10empty_typeEEEZZNS1_27merge_sort_block_merge_implIS3_N6thrust23THRUST_200600_302600_NS6detail15normal_iteratorINS9_10device_ptrIiEEEEPS5_m17evens_before_oddsEE10hipError_tT0_T1_T2_jT3_P12ihipStream_tbPNSt15iterator_traitsISI_E10value_typeEPNSO_ISJ_E10value_typeEPSK_NS1_7vsmem_tEENKUlT_SI_SJ_SK_E_clIPiSE_SF_SF_EESH_SX_SI_SJ_SK_EUlSX_E_NS1_11comp_targetILNS1_3genE0ELNS1_11target_archE4294967295ELNS1_3gpuE0ELNS1_3repE0EEENS1_48merge_mergepath_partition_config_static_selectorELNS0_4arch9wavefront6targetE0EEEvSJ_.has_dyn_sized_stack, 0
	.set _ZN7rocprim17ROCPRIM_400000_NS6detail17trampoline_kernelINS0_14default_configENS1_38merge_sort_block_merge_config_selectorIiNS0_10empty_typeEEEZZNS1_27merge_sort_block_merge_implIS3_N6thrust23THRUST_200600_302600_NS6detail15normal_iteratorINS9_10device_ptrIiEEEEPS5_m17evens_before_oddsEE10hipError_tT0_T1_T2_jT3_P12ihipStream_tbPNSt15iterator_traitsISI_E10value_typeEPNSO_ISJ_E10value_typeEPSK_NS1_7vsmem_tEENKUlT_SI_SJ_SK_E_clIPiSE_SF_SF_EESH_SX_SI_SJ_SK_EUlSX_E_NS1_11comp_targetILNS1_3genE0ELNS1_11target_archE4294967295ELNS1_3gpuE0ELNS1_3repE0EEENS1_48merge_mergepath_partition_config_static_selectorELNS0_4arch9wavefront6targetE0EEEvSJ_.has_recursion, 0
	.set _ZN7rocprim17ROCPRIM_400000_NS6detail17trampoline_kernelINS0_14default_configENS1_38merge_sort_block_merge_config_selectorIiNS0_10empty_typeEEEZZNS1_27merge_sort_block_merge_implIS3_N6thrust23THRUST_200600_302600_NS6detail15normal_iteratorINS9_10device_ptrIiEEEEPS5_m17evens_before_oddsEE10hipError_tT0_T1_T2_jT3_P12ihipStream_tbPNSt15iterator_traitsISI_E10value_typeEPNSO_ISJ_E10value_typeEPSK_NS1_7vsmem_tEENKUlT_SI_SJ_SK_E_clIPiSE_SF_SF_EESH_SX_SI_SJ_SK_EUlSX_E_NS1_11comp_targetILNS1_3genE0ELNS1_11target_archE4294967295ELNS1_3gpuE0ELNS1_3repE0EEENS1_48merge_mergepath_partition_config_static_selectorELNS0_4arch9wavefront6targetE0EEEvSJ_.has_indirect_call, 0
	.section	.AMDGPU.csdata,"",@progbits
; Kernel info:
; codeLenInByte = 0
; TotalNumSgprs: 0
; NumVgprs: 0
; ScratchSize: 0
; MemoryBound: 0
; FloatMode: 240
; IeeeMode: 1
; LDSByteSize: 0 bytes/workgroup (compile time only)
; SGPRBlocks: 0
; VGPRBlocks: 0
; NumSGPRsForWavesPerEU: 1
; NumVGPRsForWavesPerEU: 1
; Occupancy: 16
; WaveLimiterHint : 0
; COMPUTE_PGM_RSRC2:SCRATCH_EN: 0
; COMPUTE_PGM_RSRC2:USER_SGPR: 6
; COMPUTE_PGM_RSRC2:TRAP_HANDLER: 0
; COMPUTE_PGM_RSRC2:TGID_X_EN: 1
; COMPUTE_PGM_RSRC2:TGID_Y_EN: 0
; COMPUTE_PGM_RSRC2:TGID_Z_EN: 0
; COMPUTE_PGM_RSRC2:TIDIG_COMP_CNT: 0
	.section	.text._ZN7rocprim17ROCPRIM_400000_NS6detail17trampoline_kernelINS0_14default_configENS1_38merge_sort_block_merge_config_selectorIiNS0_10empty_typeEEEZZNS1_27merge_sort_block_merge_implIS3_N6thrust23THRUST_200600_302600_NS6detail15normal_iteratorINS9_10device_ptrIiEEEEPS5_m17evens_before_oddsEE10hipError_tT0_T1_T2_jT3_P12ihipStream_tbPNSt15iterator_traitsISI_E10value_typeEPNSO_ISJ_E10value_typeEPSK_NS1_7vsmem_tEENKUlT_SI_SJ_SK_E_clIPiSE_SF_SF_EESH_SX_SI_SJ_SK_EUlSX_E_NS1_11comp_targetILNS1_3genE10ELNS1_11target_archE1201ELNS1_3gpuE5ELNS1_3repE0EEENS1_48merge_mergepath_partition_config_static_selectorELNS0_4arch9wavefront6targetE0EEEvSJ_,"axG",@progbits,_ZN7rocprim17ROCPRIM_400000_NS6detail17trampoline_kernelINS0_14default_configENS1_38merge_sort_block_merge_config_selectorIiNS0_10empty_typeEEEZZNS1_27merge_sort_block_merge_implIS3_N6thrust23THRUST_200600_302600_NS6detail15normal_iteratorINS9_10device_ptrIiEEEEPS5_m17evens_before_oddsEE10hipError_tT0_T1_T2_jT3_P12ihipStream_tbPNSt15iterator_traitsISI_E10value_typeEPNSO_ISJ_E10value_typeEPSK_NS1_7vsmem_tEENKUlT_SI_SJ_SK_E_clIPiSE_SF_SF_EESH_SX_SI_SJ_SK_EUlSX_E_NS1_11comp_targetILNS1_3genE10ELNS1_11target_archE1201ELNS1_3gpuE5ELNS1_3repE0EEENS1_48merge_mergepath_partition_config_static_selectorELNS0_4arch9wavefront6targetE0EEEvSJ_,comdat
	.protected	_ZN7rocprim17ROCPRIM_400000_NS6detail17trampoline_kernelINS0_14default_configENS1_38merge_sort_block_merge_config_selectorIiNS0_10empty_typeEEEZZNS1_27merge_sort_block_merge_implIS3_N6thrust23THRUST_200600_302600_NS6detail15normal_iteratorINS9_10device_ptrIiEEEEPS5_m17evens_before_oddsEE10hipError_tT0_T1_T2_jT3_P12ihipStream_tbPNSt15iterator_traitsISI_E10value_typeEPNSO_ISJ_E10value_typeEPSK_NS1_7vsmem_tEENKUlT_SI_SJ_SK_E_clIPiSE_SF_SF_EESH_SX_SI_SJ_SK_EUlSX_E_NS1_11comp_targetILNS1_3genE10ELNS1_11target_archE1201ELNS1_3gpuE5ELNS1_3repE0EEENS1_48merge_mergepath_partition_config_static_selectorELNS0_4arch9wavefront6targetE0EEEvSJ_ ; -- Begin function _ZN7rocprim17ROCPRIM_400000_NS6detail17trampoline_kernelINS0_14default_configENS1_38merge_sort_block_merge_config_selectorIiNS0_10empty_typeEEEZZNS1_27merge_sort_block_merge_implIS3_N6thrust23THRUST_200600_302600_NS6detail15normal_iteratorINS9_10device_ptrIiEEEEPS5_m17evens_before_oddsEE10hipError_tT0_T1_T2_jT3_P12ihipStream_tbPNSt15iterator_traitsISI_E10value_typeEPNSO_ISJ_E10value_typeEPSK_NS1_7vsmem_tEENKUlT_SI_SJ_SK_E_clIPiSE_SF_SF_EESH_SX_SI_SJ_SK_EUlSX_E_NS1_11comp_targetILNS1_3genE10ELNS1_11target_archE1201ELNS1_3gpuE5ELNS1_3repE0EEENS1_48merge_mergepath_partition_config_static_selectorELNS0_4arch9wavefront6targetE0EEEvSJ_
	.globl	_ZN7rocprim17ROCPRIM_400000_NS6detail17trampoline_kernelINS0_14default_configENS1_38merge_sort_block_merge_config_selectorIiNS0_10empty_typeEEEZZNS1_27merge_sort_block_merge_implIS3_N6thrust23THRUST_200600_302600_NS6detail15normal_iteratorINS9_10device_ptrIiEEEEPS5_m17evens_before_oddsEE10hipError_tT0_T1_T2_jT3_P12ihipStream_tbPNSt15iterator_traitsISI_E10value_typeEPNSO_ISJ_E10value_typeEPSK_NS1_7vsmem_tEENKUlT_SI_SJ_SK_E_clIPiSE_SF_SF_EESH_SX_SI_SJ_SK_EUlSX_E_NS1_11comp_targetILNS1_3genE10ELNS1_11target_archE1201ELNS1_3gpuE5ELNS1_3repE0EEENS1_48merge_mergepath_partition_config_static_selectorELNS0_4arch9wavefront6targetE0EEEvSJ_
	.p2align	8
	.type	_ZN7rocprim17ROCPRIM_400000_NS6detail17trampoline_kernelINS0_14default_configENS1_38merge_sort_block_merge_config_selectorIiNS0_10empty_typeEEEZZNS1_27merge_sort_block_merge_implIS3_N6thrust23THRUST_200600_302600_NS6detail15normal_iteratorINS9_10device_ptrIiEEEEPS5_m17evens_before_oddsEE10hipError_tT0_T1_T2_jT3_P12ihipStream_tbPNSt15iterator_traitsISI_E10value_typeEPNSO_ISJ_E10value_typeEPSK_NS1_7vsmem_tEENKUlT_SI_SJ_SK_E_clIPiSE_SF_SF_EESH_SX_SI_SJ_SK_EUlSX_E_NS1_11comp_targetILNS1_3genE10ELNS1_11target_archE1201ELNS1_3gpuE5ELNS1_3repE0EEENS1_48merge_mergepath_partition_config_static_selectorELNS0_4arch9wavefront6targetE0EEEvSJ_,@function
_ZN7rocprim17ROCPRIM_400000_NS6detail17trampoline_kernelINS0_14default_configENS1_38merge_sort_block_merge_config_selectorIiNS0_10empty_typeEEEZZNS1_27merge_sort_block_merge_implIS3_N6thrust23THRUST_200600_302600_NS6detail15normal_iteratorINS9_10device_ptrIiEEEEPS5_m17evens_before_oddsEE10hipError_tT0_T1_T2_jT3_P12ihipStream_tbPNSt15iterator_traitsISI_E10value_typeEPNSO_ISJ_E10value_typeEPSK_NS1_7vsmem_tEENKUlT_SI_SJ_SK_E_clIPiSE_SF_SF_EESH_SX_SI_SJ_SK_EUlSX_E_NS1_11comp_targetILNS1_3genE10ELNS1_11target_archE1201ELNS1_3gpuE5ELNS1_3repE0EEENS1_48merge_mergepath_partition_config_static_selectorELNS0_4arch9wavefront6targetE0EEEvSJ_: ; @_ZN7rocprim17ROCPRIM_400000_NS6detail17trampoline_kernelINS0_14default_configENS1_38merge_sort_block_merge_config_selectorIiNS0_10empty_typeEEEZZNS1_27merge_sort_block_merge_implIS3_N6thrust23THRUST_200600_302600_NS6detail15normal_iteratorINS9_10device_ptrIiEEEEPS5_m17evens_before_oddsEE10hipError_tT0_T1_T2_jT3_P12ihipStream_tbPNSt15iterator_traitsISI_E10value_typeEPNSO_ISJ_E10value_typeEPSK_NS1_7vsmem_tEENKUlT_SI_SJ_SK_E_clIPiSE_SF_SF_EESH_SX_SI_SJ_SK_EUlSX_E_NS1_11comp_targetILNS1_3genE10ELNS1_11target_archE1201ELNS1_3gpuE5ELNS1_3repE0EEENS1_48merge_mergepath_partition_config_static_selectorELNS0_4arch9wavefront6targetE0EEEvSJ_
; %bb.0:
	.section	.rodata,"a",@progbits
	.p2align	6, 0x0
	.amdhsa_kernel _ZN7rocprim17ROCPRIM_400000_NS6detail17trampoline_kernelINS0_14default_configENS1_38merge_sort_block_merge_config_selectorIiNS0_10empty_typeEEEZZNS1_27merge_sort_block_merge_implIS3_N6thrust23THRUST_200600_302600_NS6detail15normal_iteratorINS9_10device_ptrIiEEEEPS5_m17evens_before_oddsEE10hipError_tT0_T1_T2_jT3_P12ihipStream_tbPNSt15iterator_traitsISI_E10value_typeEPNSO_ISJ_E10value_typeEPSK_NS1_7vsmem_tEENKUlT_SI_SJ_SK_E_clIPiSE_SF_SF_EESH_SX_SI_SJ_SK_EUlSX_E_NS1_11comp_targetILNS1_3genE10ELNS1_11target_archE1201ELNS1_3gpuE5ELNS1_3repE0EEENS1_48merge_mergepath_partition_config_static_selectorELNS0_4arch9wavefront6targetE0EEEvSJ_
		.amdhsa_group_segment_fixed_size 0
		.amdhsa_private_segment_fixed_size 0
		.amdhsa_kernarg_size 48
		.amdhsa_user_sgpr_count 6
		.amdhsa_user_sgpr_private_segment_buffer 1
		.amdhsa_user_sgpr_dispatch_ptr 0
		.amdhsa_user_sgpr_queue_ptr 0
		.amdhsa_user_sgpr_kernarg_segment_ptr 1
		.amdhsa_user_sgpr_dispatch_id 0
		.amdhsa_user_sgpr_flat_scratch_init 0
		.amdhsa_user_sgpr_private_segment_size 0
		.amdhsa_wavefront_size32 1
		.amdhsa_uses_dynamic_stack 0
		.amdhsa_system_sgpr_private_segment_wavefront_offset 0
		.amdhsa_system_sgpr_workgroup_id_x 1
		.amdhsa_system_sgpr_workgroup_id_y 0
		.amdhsa_system_sgpr_workgroup_id_z 0
		.amdhsa_system_sgpr_workgroup_info 0
		.amdhsa_system_vgpr_workitem_id 0
		.amdhsa_next_free_vgpr 1
		.amdhsa_next_free_sgpr 1
		.amdhsa_reserve_vcc 0
		.amdhsa_reserve_flat_scratch 0
		.amdhsa_float_round_mode_32 0
		.amdhsa_float_round_mode_16_64 0
		.amdhsa_float_denorm_mode_32 3
		.amdhsa_float_denorm_mode_16_64 3
		.amdhsa_dx10_clamp 1
		.amdhsa_ieee_mode 1
		.amdhsa_fp16_overflow 0
		.amdhsa_workgroup_processor_mode 1
		.amdhsa_memory_ordered 1
		.amdhsa_forward_progress 1
		.amdhsa_shared_vgpr_count 0
		.amdhsa_exception_fp_ieee_invalid_op 0
		.amdhsa_exception_fp_denorm_src 0
		.amdhsa_exception_fp_ieee_div_zero 0
		.amdhsa_exception_fp_ieee_overflow 0
		.amdhsa_exception_fp_ieee_underflow 0
		.amdhsa_exception_fp_ieee_inexact 0
		.amdhsa_exception_int_div_zero 0
	.end_amdhsa_kernel
	.section	.text._ZN7rocprim17ROCPRIM_400000_NS6detail17trampoline_kernelINS0_14default_configENS1_38merge_sort_block_merge_config_selectorIiNS0_10empty_typeEEEZZNS1_27merge_sort_block_merge_implIS3_N6thrust23THRUST_200600_302600_NS6detail15normal_iteratorINS9_10device_ptrIiEEEEPS5_m17evens_before_oddsEE10hipError_tT0_T1_T2_jT3_P12ihipStream_tbPNSt15iterator_traitsISI_E10value_typeEPNSO_ISJ_E10value_typeEPSK_NS1_7vsmem_tEENKUlT_SI_SJ_SK_E_clIPiSE_SF_SF_EESH_SX_SI_SJ_SK_EUlSX_E_NS1_11comp_targetILNS1_3genE10ELNS1_11target_archE1201ELNS1_3gpuE5ELNS1_3repE0EEENS1_48merge_mergepath_partition_config_static_selectorELNS0_4arch9wavefront6targetE0EEEvSJ_,"axG",@progbits,_ZN7rocprim17ROCPRIM_400000_NS6detail17trampoline_kernelINS0_14default_configENS1_38merge_sort_block_merge_config_selectorIiNS0_10empty_typeEEEZZNS1_27merge_sort_block_merge_implIS3_N6thrust23THRUST_200600_302600_NS6detail15normal_iteratorINS9_10device_ptrIiEEEEPS5_m17evens_before_oddsEE10hipError_tT0_T1_T2_jT3_P12ihipStream_tbPNSt15iterator_traitsISI_E10value_typeEPNSO_ISJ_E10value_typeEPSK_NS1_7vsmem_tEENKUlT_SI_SJ_SK_E_clIPiSE_SF_SF_EESH_SX_SI_SJ_SK_EUlSX_E_NS1_11comp_targetILNS1_3genE10ELNS1_11target_archE1201ELNS1_3gpuE5ELNS1_3repE0EEENS1_48merge_mergepath_partition_config_static_selectorELNS0_4arch9wavefront6targetE0EEEvSJ_,comdat
.Lfunc_end409:
	.size	_ZN7rocprim17ROCPRIM_400000_NS6detail17trampoline_kernelINS0_14default_configENS1_38merge_sort_block_merge_config_selectorIiNS0_10empty_typeEEEZZNS1_27merge_sort_block_merge_implIS3_N6thrust23THRUST_200600_302600_NS6detail15normal_iteratorINS9_10device_ptrIiEEEEPS5_m17evens_before_oddsEE10hipError_tT0_T1_T2_jT3_P12ihipStream_tbPNSt15iterator_traitsISI_E10value_typeEPNSO_ISJ_E10value_typeEPSK_NS1_7vsmem_tEENKUlT_SI_SJ_SK_E_clIPiSE_SF_SF_EESH_SX_SI_SJ_SK_EUlSX_E_NS1_11comp_targetILNS1_3genE10ELNS1_11target_archE1201ELNS1_3gpuE5ELNS1_3repE0EEENS1_48merge_mergepath_partition_config_static_selectorELNS0_4arch9wavefront6targetE0EEEvSJ_, .Lfunc_end409-_ZN7rocprim17ROCPRIM_400000_NS6detail17trampoline_kernelINS0_14default_configENS1_38merge_sort_block_merge_config_selectorIiNS0_10empty_typeEEEZZNS1_27merge_sort_block_merge_implIS3_N6thrust23THRUST_200600_302600_NS6detail15normal_iteratorINS9_10device_ptrIiEEEEPS5_m17evens_before_oddsEE10hipError_tT0_T1_T2_jT3_P12ihipStream_tbPNSt15iterator_traitsISI_E10value_typeEPNSO_ISJ_E10value_typeEPSK_NS1_7vsmem_tEENKUlT_SI_SJ_SK_E_clIPiSE_SF_SF_EESH_SX_SI_SJ_SK_EUlSX_E_NS1_11comp_targetILNS1_3genE10ELNS1_11target_archE1201ELNS1_3gpuE5ELNS1_3repE0EEENS1_48merge_mergepath_partition_config_static_selectorELNS0_4arch9wavefront6targetE0EEEvSJ_
                                        ; -- End function
	.set _ZN7rocprim17ROCPRIM_400000_NS6detail17trampoline_kernelINS0_14default_configENS1_38merge_sort_block_merge_config_selectorIiNS0_10empty_typeEEEZZNS1_27merge_sort_block_merge_implIS3_N6thrust23THRUST_200600_302600_NS6detail15normal_iteratorINS9_10device_ptrIiEEEEPS5_m17evens_before_oddsEE10hipError_tT0_T1_T2_jT3_P12ihipStream_tbPNSt15iterator_traitsISI_E10value_typeEPNSO_ISJ_E10value_typeEPSK_NS1_7vsmem_tEENKUlT_SI_SJ_SK_E_clIPiSE_SF_SF_EESH_SX_SI_SJ_SK_EUlSX_E_NS1_11comp_targetILNS1_3genE10ELNS1_11target_archE1201ELNS1_3gpuE5ELNS1_3repE0EEENS1_48merge_mergepath_partition_config_static_selectorELNS0_4arch9wavefront6targetE0EEEvSJ_.num_vgpr, 0
	.set _ZN7rocprim17ROCPRIM_400000_NS6detail17trampoline_kernelINS0_14default_configENS1_38merge_sort_block_merge_config_selectorIiNS0_10empty_typeEEEZZNS1_27merge_sort_block_merge_implIS3_N6thrust23THRUST_200600_302600_NS6detail15normal_iteratorINS9_10device_ptrIiEEEEPS5_m17evens_before_oddsEE10hipError_tT0_T1_T2_jT3_P12ihipStream_tbPNSt15iterator_traitsISI_E10value_typeEPNSO_ISJ_E10value_typeEPSK_NS1_7vsmem_tEENKUlT_SI_SJ_SK_E_clIPiSE_SF_SF_EESH_SX_SI_SJ_SK_EUlSX_E_NS1_11comp_targetILNS1_3genE10ELNS1_11target_archE1201ELNS1_3gpuE5ELNS1_3repE0EEENS1_48merge_mergepath_partition_config_static_selectorELNS0_4arch9wavefront6targetE0EEEvSJ_.num_agpr, 0
	.set _ZN7rocprim17ROCPRIM_400000_NS6detail17trampoline_kernelINS0_14default_configENS1_38merge_sort_block_merge_config_selectorIiNS0_10empty_typeEEEZZNS1_27merge_sort_block_merge_implIS3_N6thrust23THRUST_200600_302600_NS6detail15normal_iteratorINS9_10device_ptrIiEEEEPS5_m17evens_before_oddsEE10hipError_tT0_T1_T2_jT3_P12ihipStream_tbPNSt15iterator_traitsISI_E10value_typeEPNSO_ISJ_E10value_typeEPSK_NS1_7vsmem_tEENKUlT_SI_SJ_SK_E_clIPiSE_SF_SF_EESH_SX_SI_SJ_SK_EUlSX_E_NS1_11comp_targetILNS1_3genE10ELNS1_11target_archE1201ELNS1_3gpuE5ELNS1_3repE0EEENS1_48merge_mergepath_partition_config_static_selectorELNS0_4arch9wavefront6targetE0EEEvSJ_.numbered_sgpr, 0
	.set _ZN7rocprim17ROCPRIM_400000_NS6detail17trampoline_kernelINS0_14default_configENS1_38merge_sort_block_merge_config_selectorIiNS0_10empty_typeEEEZZNS1_27merge_sort_block_merge_implIS3_N6thrust23THRUST_200600_302600_NS6detail15normal_iteratorINS9_10device_ptrIiEEEEPS5_m17evens_before_oddsEE10hipError_tT0_T1_T2_jT3_P12ihipStream_tbPNSt15iterator_traitsISI_E10value_typeEPNSO_ISJ_E10value_typeEPSK_NS1_7vsmem_tEENKUlT_SI_SJ_SK_E_clIPiSE_SF_SF_EESH_SX_SI_SJ_SK_EUlSX_E_NS1_11comp_targetILNS1_3genE10ELNS1_11target_archE1201ELNS1_3gpuE5ELNS1_3repE0EEENS1_48merge_mergepath_partition_config_static_selectorELNS0_4arch9wavefront6targetE0EEEvSJ_.num_named_barrier, 0
	.set _ZN7rocprim17ROCPRIM_400000_NS6detail17trampoline_kernelINS0_14default_configENS1_38merge_sort_block_merge_config_selectorIiNS0_10empty_typeEEEZZNS1_27merge_sort_block_merge_implIS3_N6thrust23THRUST_200600_302600_NS6detail15normal_iteratorINS9_10device_ptrIiEEEEPS5_m17evens_before_oddsEE10hipError_tT0_T1_T2_jT3_P12ihipStream_tbPNSt15iterator_traitsISI_E10value_typeEPNSO_ISJ_E10value_typeEPSK_NS1_7vsmem_tEENKUlT_SI_SJ_SK_E_clIPiSE_SF_SF_EESH_SX_SI_SJ_SK_EUlSX_E_NS1_11comp_targetILNS1_3genE10ELNS1_11target_archE1201ELNS1_3gpuE5ELNS1_3repE0EEENS1_48merge_mergepath_partition_config_static_selectorELNS0_4arch9wavefront6targetE0EEEvSJ_.private_seg_size, 0
	.set _ZN7rocprim17ROCPRIM_400000_NS6detail17trampoline_kernelINS0_14default_configENS1_38merge_sort_block_merge_config_selectorIiNS0_10empty_typeEEEZZNS1_27merge_sort_block_merge_implIS3_N6thrust23THRUST_200600_302600_NS6detail15normal_iteratorINS9_10device_ptrIiEEEEPS5_m17evens_before_oddsEE10hipError_tT0_T1_T2_jT3_P12ihipStream_tbPNSt15iterator_traitsISI_E10value_typeEPNSO_ISJ_E10value_typeEPSK_NS1_7vsmem_tEENKUlT_SI_SJ_SK_E_clIPiSE_SF_SF_EESH_SX_SI_SJ_SK_EUlSX_E_NS1_11comp_targetILNS1_3genE10ELNS1_11target_archE1201ELNS1_3gpuE5ELNS1_3repE0EEENS1_48merge_mergepath_partition_config_static_selectorELNS0_4arch9wavefront6targetE0EEEvSJ_.uses_vcc, 0
	.set _ZN7rocprim17ROCPRIM_400000_NS6detail17trampoline_kernelINS0_14default_configENS1_38merge_sort_block_merge_config_selectorIiNS0_10empty_typeEEEZZNS1_27merge_sort_block_merge_implIS3_N6thrust23THRUST_200600_302600_NS6detail15normal_iteratorINS9_10device_ptrIiEEEEPS5_m17evens_before_oddsEE10hipError_tT0_T1_T2_jT3_P12ihipStream_tbPNSt15iterator_traitsISI_E10value_typeEPNSO_ISJ_E10value_typeEPSK_NS1_7vsmem_tEENKUlT_SI_SJ_SK_E_clIPiSE_SF_SF_EESH_SX_SI_SJ_SK_EUlSX_E_NS1_11comp_targetILNS1_3genE10ELNS1_11target_archE1201ELNS1_3gpuE5ELNS1_3repE0EEENS1_48merge_mergepath_partition_config_static_selectorELNS0_4arch9wavefront6targetE0EEEvSJ_.uses_flat_scratch, 0
	.set _ZN7rocprim17ROCPRIM_400000_NS6detail17trampoline_kernelINS0_14default_configENS1_38merge_sort_block_merge_config_selectorIiNS0_10empty_typeEEEZZNS1_27merge_sort_block_merge_implIS3_N6thrust23THRUST_200600_302600_NS6detail15normal_iteratorINS9_10device_ptrIiEEEEPS5_m17evens_before_oddsEE10hipError_tT0_T1_T2_jT3_P12ihipStream_tbPNSt15iterator_traitsISI_E10value_typeEPNSO_ISJ_E10value_typeEPSK_NS1_7vsmem_tEENKUlT_SI_SJ_SK_E_clIPiSE_SF_SF_EESH_SX_SI_SJ_SK_EUlSX_E_NS1_11comp_targetILNS1_3genE10ELNS1_11target_archE1201ELNS1_3gpuE5ELNS1_3repE0EEENS1_48merge_mergepath_partition_config_static_selectorELNS0_4arch9wavefront6targetE0EEEvSJ_.has_dyn_sized_stack, 0
	.set _ZN7rocprim17ROCPRIM_400000_NS6detail17trampoline_kernelINS0_14default_configENS1_38merge_sort_block_merge_config_selectorIiNS0_10empty_typeEEEZZNS1_27merge_sort_block_merge_implIS3_N6thrust23THRUST_200600_302600_NS6detail15normal_iteratorINS9_10device_ptrIiEEEEPS5_m17evens_before_oddsEE10hipError_tT0_T1_T2_jT3_P12ihipStream_tbPNSt15iterator_traitsISI_E10value_typeEPNSO_ISJ_E10value_typeEPSK_NS1_7vsmem_tEENKUlT_SI_SJ_SK_E_clIPiSE_SF_SF_EESH_SX_SI_SJ_SK_EUlSX_E_NS1_11comp_targetILNS1_3genE10ELNS1_11target_archE1201ELNS1_3gpuE5ELNS1_3repE0EEENS1_48merge_mergepath_partition_config_static_selectorELNS0_4arch9wavefront6targetE0EEEvSJ_.has_recursion, 0
	.set _ZN7rocprim17ROCPRIM_400000_NS6detail17trampoline_kernelINS0_14default_configENS1_38merge_sort_block_merge_config_selectorIiNS0_10empty_typeEEEZZNS1_27merge_sort_block_merge_implIS3_N6thrust23THRUST_200600_302600_NS6detail15normal_iteratorINS9_10device_ptrIiEEEEPS5_m17evens_before_oddsEE10hipError_tT0_T1_T2_jT3_P12ihipStream_tbPNSt15iterator_traitsISI_E10value_typeEPNSO_ISJ_E10value_typeEPSK_NS1_7vsmem_tEENKUlT_SI_SJ_SK_E_clIPiSE_SF_SF_EESH_SX_SI_SJ_SK_EUlSX_E_NS1_11comp_targetILNS1_3genE10ELNS1_11target_archE1201ELNS1_3gpuE5ELNS1_3repE0EEENS1_48merge_mergepath_partition_config_static_selectorELNS0_4arch9wavefront6targetE0EEEvSJ_.has_indirect_call, 0
	.section	.AMDGPU.csdata,"",@progbits
; Kernel info:
; codeLenInByte = 0
; TotalNumSgprs: 0
; NumVgprs: 0
; ScratchSize: 0
; MemoryBound: 0
; FloatMode: 240
; IeeeMode: 1
; LDSByteSize: 0 bytes/workgroup (compile time only)
; SGPRBlocks: 0
; VGPRBlocks: 0
; NumSGPRsForWavesPerEU: 1
; NumVGPRsForWavesPerEU: 1
; Occupancy: 16
; WaveLimiterHint : 0
; COMPUTE_PGM_RSRC2:SCRATCH_EN: 0
; COMPUTE_PGM_RSRC2:USER_SGPR: 6
; COMPUTE_PGM_RSRC2:TRAP_HANDLER: 0
; COMPUTE_PGM_RSRC2:TGID_X_EN: 1
; COMPUTE_PGM_RSRC2:TGID_Y_EN: 0
; COMPUTE_PGM_RSRC2:TGID_Z_EN: 0
; COMPUTE_PGM_RSRC2:TIDIG_COMP_CNT: 0
	.section	.text._ZN7rocprim17ROCPRIM_400000_NS6detail17trampoline_kernelINS0_14default_configENS1_38merge_sort_block_merge_config_selectorIiNS0_10empty_typeEEEZZNS1_27merge_sort_block_merge_implIS3_N6thrust23THRUST_200600_302600_NS6detail15normal_iteratorINS9_10device_ptrIiEEEEPS5_m17evens_before_oddsEE10hipError_tT0_T1_T2_jT3_P12ihipStream_tbPNSt15iterator_traitsISI_E10value_typeEPNSO_ISJ_E10value_typeEPSK_NS1_7vsmem_tEENKUlT_SI_SJ_SK_E_clIPiSE_SF_SF_EESH_SX_SI_SJ_SK_EUlSX_E_NS1_11comp_targetILNS1_3genE5ELNS1_11target_archE942ELNS1_3gpuE9ELNS1_3repE0EEENS1_48merge_mergepath_partition_config_static_selectorELNS0_4arch9wavefront6targetE0EEEvSJ_,"axG",@progbits,_ZN7rocprim17ROCPRIM_400000_NS6detail17trampoline_kernelINS0_14default_configENS1_38merge_sort_block_merge_config_selectorIiNS0_10empty_typeEEEZZNS1_27merge_sort_block_merge_implIS3_N6thrust23THRUST_200600_302600_NS6detail15normal_iteratorINS9_10device_ptrIiEEEEPS5_m17evens_before_oddsEE10hipError_tT0_T1_T2_jT3_P12ihipStream_tbPNSt15iterator_traitsISI_E10value_typeEPNSO_ISJ_E10value_typeEPSK_NS1_7vsmem_tEENKUlT_SI_SJ_SK_E_clIPiSE_SF_SF_EESH_SX_SI_SJ_SK_EUlSX_E_NS1_11comp_targetILNS1_3genE5ELNS1_11target_archE942ELNS1_3gpuE9ELNS1_3repE0EEENS1_48merge_mergepath_partition_config_static_selectorELNS0_4arch9wavefront6targetE0EEEvSJ_,comdat
	.protected	_ZN7rocprim17ROCPRIM_400000_NS6detail17trampoline_kernelINS0_14default_configENS1_38merge_sort_block_merge_config_selectorIiNS0_10empty_typeEEEZZNS1_27merge_sort_block_merge_implIS3_N6thrust23THRUST_200600_302600_NS6detail15normal_iteratorINS9_10device_ptrIiEEEEPS5_m17evens_before_oddsEE10hipError_tT0_T1_T2_jT3_P12ihipStream_tbPNSt15iterator_traitsISI_E10value_typeEPNSO_ISJ_E10value_typeEPSK_NS1_7vsmem_tEENKUlT_SI_SJ_SK_E_clIPiSE_SF_SF_EESH_SX_SI_SJ_SK_EUlSX_E_NS1_11comp_targetILNS1_3genE5ELNS1_11target_archE942ELNS1_3gpuE9ELNS1_3repE0EEENS1_48merge_mergepath_partition_config_static_selectorELNS0_4arch9wavefront6targetE0EEEvSJ_ ; -- Begin function _ZN7rocprim17ROCPRIM_400000_NS6detail17trampoline_kernelINS0_14default_configENS1_38merge_sort_block_merge_config_selectorIiNS0_10empty_typeEEEZZNS1_27merge_sort_block_merge_implIS3_N6thrust23THRUST_200600_302600_NS6detail15normal_iteratorINS9_10device_ptrIiEEEEPS5_m17evens_before_oddsEE10hipError_tT0_T1_T2_jT3_P12ihipStream_tbPNSt15iterator_traitsISI_E10value_typeEPNSO_ISJ_E10value_typeEPSK_NS1_7vsmem_tEENKUlT_SI_SJ_SK_E_clIPiSE_SF_SF_EESH_SX_SI_SJ_SK_EUlSX_E_NS1_11comp_targetILNS1_3genE5ELNS1_11target_archE942ELNS1_3gpuE9ELNS1_3repE0EEENS1_48merge_mergepath_partition_config_static_selectorELNS0_4arch9wavefront6targetE0EEEvSJ_
	.globl	_ZN7rocprim17ROCPRIM_400000_NS6detail17trampoline_kernelINS0_14default_configENS1_38merge_sort_block_merge_config_selectorIiNS0_10empty_typeEEEZZNS1_27merge_sort_block_merge_implIS3_N6thrust23THRUST_200600_302600_NS6detail15normal_iteratorINS9_10device_ptrIiEEEEPS5_m17evens_before_oddsEE10hipError_tT0_T1_T2_jT3_P12ihipStream_tbPNSt15iterator_traitsISI_E10value_typeEPNSO_ISJ_E10value_typeEPSK_NS1_7vsmem_tEENKUlT_SI_SJ_SK_E_clIPiSE_SF_SF_EESH_SX_SI_SJ_SK_EUlSX_E_NS1_11comp_targetILNS1_3genE5ELNS1_11target_archE942ELNS1_3gpuE9ELNS1_3repE0EEENS1_48merge_mergepath_partition_config_static_selectorELNS0_4arch9wavefront6targetE0EEEvSJ_
	.p2align	8
	.type	_ZN7rocprim17ROCPRIM_400000_NS6detail17trampoline_kernelINS0_14default_configENS1_38merge_sort_block_merge_config_selectorIiNS0_10empty_typeEEEZZNS1_27merge_sort_block_merge_implIS3_N6thrust23THRUST_200600_302600_NS6detail15normal_iteratorINS9_10device_ptrIiEEEEPS5_m17evens_before_oddsEE10hipError_tT0_T1_T2_jT3_P12ihipStream_tbPNSt15iterator_traitsISI_E10value_typeEPNSO_ISJ_E10value_typeEPSK_NS1_7vsmem_tEENKUlT_SI_SJ_SK_E_clIPiSE_SF_SF_EESH_SX_SI_SJ_SK_EUlSX_E_NS1_11comp_targetILNS1_3genE5ELNS1_11target_archE942ELNS1_3gpuE9ELNS1_3repE0EEENS1_48merge_mergepath_partition_config_static_selectorELNS0_4arch9wavefront6targetE0EEEvSJ_,@function
_ZN7rocprim17ROCPRIM_400000_NS6detail17trampoline_kernelINS0_14default_configENS1_38merge_sort_block_merge_config_selectorIiNS0_10empty_typeEEEZZNS1_27merge_sort_block_merge_implIS3_N6thrust23THRUST_200600_302600_NS6detail15normal_iteratorINS9_10device_ptrIiEEEEPS5_m17evens_before_oddsEE10hipError_tT0_T1_T2_jT3_P12ihipStream_tbPNSt15iterator_traitsISI_E10value_typeEPNSO_ISJ_E10value_typeEPSK_NS1_7vsmem_tEENKUlT_SI_SJ_SK_E_clIPiSE_SF_SF_EESH_SX_SI_SJ_SK_EUlSX_E_NS1_11comp_targetILNS1_3genE5ELNS1_11target_archE942ELNS1_3gpuE9ELNS1_3repE0EEENS1_48merge_mergepath_partition_config_static_selectorELNS0_4arch9wavefront6targetE0EEEvSJ_: ; @_ZN7rocprim17ROCPRIM_400000_NS6detail17trampoline_kernelINS0_14default_configENS1_38merge_sort_block_merge_config_selectorIiNS0_10empty_typeEEEZZNS1_27merge_sort_block_merge_implIS3_N6thrust23THRUST_200600_302600_NS6detail15normal_iteratorINS9_10device_ptrIiEEEEPS5_m17evens_before_oddsEE10hipError_tT0_T1_T2_jT3_P12ihipStream_tbPNSt15iterator_traitsISI_E10value_typeEPNSO_ISJ_E10value_typeEPSK_NS1_7vsmem_tEENKUlT_SI_SJ_SK_E_clIPiSE_SF_SF_EESH_SX_SI_SJ_SK_EUlSX_E_NS1_11comp_targetILNS1_3genE5ELNS1_11target_archE942ELNS1_3gpuE9ELNS1_3repE0EEENS1_48merge_mergepath_partition_config_static_selectorELNS0_4arch9wavefront6targetE0EEEvSJ_
; %bb.0:
	.section	.rodata,"a",@progbits
	.p2align	6, 0x0
	.amdhsa_kernel _ZN7rocprim17ROCPRIM_400000_NS6detail17trampoline_kernelINS0_14default_configENS1_38merge_sort_block_merge_config_selectorIiNS0_10empty_typeEEEZZNS1_27merge_sort_block_merge_implIS3_N6thrust23THRUST_200600_302600_NS6detail15normal_iteratorINS9_10device_ptrIiEEEEPS5_m17evens_before_oddsEE10hipError_tT0_T1_T2_jT3_P12ihipStream_tbPNSt15iterator_traitsISI_E10value_typeEPNSO_ISJ_E10value_typeEPSK_NS1_7vsmem_tEENKUlT_SI_SJ_SK_E_clIPiSE_SF_SF_EESH_SX_SI_SJ_SK_EUlSX_E_NS1_11comp_targetILNS1_3genE5ELNS1_11target_archE942ELNS1_3gpuE9ELNS1_3repE0EEENS1_48merge_mergepath_partition_config_static_selectorELNS0_4arch9wavefront6targetE0EEEvSJ_
		.amdhsa_group_segment_fixed_size 0
		.amdhsa_private_segment_fixed_size 0
		.amdhsa_kernarg_size 48
		.amdhsa_user_sgpr_count 6
		.amdhsa_user_sgpr_private_segment_buffer 1
		.amdhsa_user_sgpr_dispatch_ptr 0
		.amdhsa_user_sgpr_queue_ptr 0
		.amdhsa_user_sgpr_kernarg_segment_ptr 1
		.amdhsa_user_sgpr_dispatch_id 0
		.amdhsa_user_sgpr_flat_scratch_init 0
		.amdhsa_user_sgpr_private_segment_size 0
		.amdhsa_wavefront_size32 1
		.amdhsa_uses_dynamic_stack 0
		.amdhsa_system_sgpr_private_segment_wavefront_offset 0
		.amdhsa_system_sgpr_workgroup_id_x 1
		.amdhsa_system_sgpr_workgroup_id_y 0
		.amdhsa_system_sgpr_workgroup_id_z 0
		.amdhsa_system_sgpr_workgroup_info 0
		.amdhsa_system_vgpr_workitem_id 0
		.amdhsa_next_free_vgpr 1
		.amdhsa_next_free_sgpr 1
		.amdhsa_reserve_vcc 0
		.amdhsa_reserve_flat_scratch 0
		.amdhsa_float_round_mode_32 0
		.amdhsa_float_round_mode_16_64 0
		.amdhsa_float_denorm_mode_32 3
		.amdhsa_float_denorm_mode_16_64 3
		.amdhsa_dx10_clamp 1
		.amdhsa_ieee_mode 1
		.amdhsa_fp16_overflow 0
		.amdhsa_workgroup_processor_mode 1
		.amdhsa_memory_ordered 1
		.amdhsa_forward_progress 1
		.amdhsa_shared_vgpr_count 0
		.amdhsa_exception_fp_ieee_invalid_op 0
		.amdhsa_exception_fp_denorm_src 0
		.amdhsa_exception_fp_ieee_div_zero 0
		.amdhsa_exception_fp_ieee_overflow 0
		.amdhsa_exception_fp_ieee_underflow 0
		.amdhsa_exception_fp_ieee_inexact 0
		.amdhsa_exception_int_div_zero 0
	.end_amdhsa_kernel
	.section	.text._ZN7rocprim17ROCPRIM_400000_NS6detail17trampoline_kernelINS0_14default_configENS1_38merge_sort_block_merge_config_selectorIiNS0_10empty_typeEEEZZNS1_27merge_sort_block_merge_implIS3_N6thrust23THRUST_200600_302600_NS6detail15normal_iteratorINS9_10device_ptrIiEEEEPS5_m17evens_before_oddsEE10hipError_tT0_T1_T2_jT3_P12ihipStream_tbPNSt15iterator_traitsISI_E10value_typeEPNSO_ISJ_E10value_typeEPSK_NS1_7vsmem_tEENKUlT_SI_SJ_SK_E_clIPiSE_SF_SF_EESH_SX_SI_SJ_SK_EUlSX_E_NS1_11comp_targetILNS1_3genE5ELNS1_11target_archE942ELNS1_3gpuE9ELNS1_3repE0EEENS1_48merge_mergepath_partition_config_static_selectorELNS0_4arch9wavefront6targetE0EEEvSJ_,"axG",@progbits,_ZN7rocprim17ROCPRIM_400000_NS6detail17trampoline_kernelINS0_14default_configENS1_38merge_sort_block_merge_config_selectorIiNS0_10empty_typeEEEZZNS1_27merge_sort_block_merge_implIS3_N6thrust23THRUST_200600_302600_NS6detail15normal_iteratorINS9_10device_ptrIiEEEEPS5_m17evens_before_oddsEE10hipError_tT0_T1_T2_jT3_P12ihipStream_tbPNSt15iterator_traitsISI_E10value_typeEPNSO_ISJ_E10value_typeEPSK_NS1_7vsmem_tEENKUlT_SI_SJ_SK_E_clIPiSE_SF_SF_EESH_SX_SI_SJ_SK_EUlSX_E_NS1_11comp_targetILNS1_3genE5ELNS1_11target_archE942ELNS1_3gpuE9ELNS1_3repE0EEENS1_48merge_mergepath_partition_config_static_selectorELNS0_4arch9wavefront6targetE0EEEvSJ_,comdat
.Lfunc_end410:
	.size	_ZN7rocprim17ROCPRIM_400000_NS6detail17trampoline_kernelINS0_14default_configENS1_38merge_sort_block_merge_config_selectorIiNS0_10empty_typeEEEZZNS1_27merge_sort_block_merge_implIS3_N6thrust23THRUST_200600_302600_NS6detail15normal_iteratorINS9_10device_ptrIiEEEEPS5_m17evens_before_oddsEE10hipError_tT0_T1_T2_jT3_P12ihipStream_tbPNSt15iterator_traitsISI_E10value_typeEPNSO_ISJ_E10value_typeEPSK_NS1_7vsmem_tEENKUlT_SI_SJ_SK_E_clIPiSE_SF_SF_EESH_SX_SI_SJ_SK_EUlSX_E_NS1_11comp_targetILNS1_3genE5ELNS1_11target_archE942ELNS1_3gpuE9ELNS1_3repE0EEENS1_48merge_mergepath_partition_config_static_selectorELNS0_4arch9wavefront6targetE0EEEvSJ_, .Lfunc_end410-_ZN7rocprim17ROCPRIM_400000_NS6detail17trampoline_kernelINS0_14default_configENS1_38merge_sort_block_merge_config_selectorIiNS0_10empty_typeEEEZZNS1_27merge_sort_block_merge_implIS3_N6thrust23THRUST_200600_302600_NS6detail15normal_iteratorINS9_10device_ptrIiEEEEPS5_m17evens_before_oddsEE10hipError_tT0_T1_T2_jT3_P12ihipStream_tbPNSt15iterator_traitsISI_E10value_typeEPNSO_ISJ_E10value_typeEPSK_NS1_7vsmem_tEENKUlT_SI_SJ_SK_E_clIPiSE_SF_SF_EESH_SX_SI_SJ_SK_EUlSX_E_NS1_11comp_targetILNS1_3genE5ELNS1_11target_archE942ELNS1_3gpuE9ELNS1_3repE0EEENS1_48merge_mergepath_partition_config_static_selectorELNS0_4arch9wavefront6targetE0EEEvSJ_
                                        ; -- End function
	.set _ZN7rocprim17ROCPRIM_400000_NS6detail17trampoline_kernelINS0_14default_configENS1_38merge_sort_block_merge_config_selectorIiNS0_10empty_typeEEEZZNS1_27merge_sort_block_merge_implIS3_N6thrust23THRUST_200600_302600_NS6detail15normal_iteratorINS9_10device_ptrIiEEEEPS5_m17evens_before_oddsEE10hipError_tT0_T1_T2_jT3_P12ihipStream_tbPNSt15iterator_traitsISI_E10value_typeEPNSO_ISJ_E10value_typeEPSK_NS1_7vsmem_tEENKUlT_SI_SJ_SK_E_clIPiSE_SF_SF_EESH_SX_SI_SJ_SK_EUlSX_E_NS1_11comp_targetILNS1_3genE5ELNS1_11target_archE942ELNS1_3gpuE9ELNS1_3repE0EEENS1_48merge_mergepath_partition_config_static_selectorELNS0_4arch9wavefront6targetE0EEEvSJ_.num_vgpr, 0
	.set _ZN7rocprim17ROCPRIM_400000_NS6detail17trampoline_kernelINS0_14default_configENS1_38merge_sort_block_merge_config_selectorIiNS0_10empty_typeEEEZZNS1_27merge_sort_block_merge_implIS3_N6thrust23THRUST_200600_302600_NS6detail15normal_iteratorINS9_10device_ptrIiEEEEPS5_m17evens_before_oddsEE10hipError_tT0_T1_T2_jT3_P12ihipStream_tbPNSt15iterator_traitsISI_E10value_typeEPNSO_ISJ_E10value_typeEPSK_NS1_7vsmem_tEENKUlT_SI_SJ_SK_E_clIPiSE_SF_SF_EESH_SX_SI_SJ_SK_EUlSX_E_NS1_11comp_targetILNS1_3genE5ELNS1_11target_archE942ELNS1_3gpuE9ELNS1_3repE0EEENS1_48merge_mergepath_partition_config_static_selectorELNS0_4arch9wavefront6targetE0EEEvSJ_.num_agpr, 0
	.set _ZN7rocprim17ROCPRIM_400000_NS6detail17trampoline_kernelINS0_14default_configENS1_38merge_sort_block_merge_config_selectorIiNS0_10empty_typeEEEZZNS1_27merge_sort_block_merge_implIS3_N6thrust23THRUST_200600_302600_NS6detail15normal_iteratorINS9_10device_ptrIiEEEEPS5_m17evens_before_oddsEE10hipError_tT0_T1_T2_jT3_P12ihipStream_tbPNSt15iterator_traitsISI_E10value_typeEPNSO_ISJ_E10value_typeEPSK_NS1_7vsmem_tEENKUlT_SI_SJ_SK_E_clIPiSE_SF_SF_EESH_SX_SI_SJ_SK_EUlSX_E_NS1_11comp_targetILNS1_3genE5ELNS1_11target_archE942ELNS1_3gpuE9ELNS1_3repE0EEENS1_48merge_mergepath_partition_config_static_selectorELNS0_4arch9wavefront6targetE0EEEvSJ_.numbered_sgpr, 0
	.set _ZN7rocprim17ROCPRIM_400000_NS6detail17trampoline_kernelINS0_14default_configENS1_38merge_sort_block_merge_config_selectorIiNS0_10empty_typeEEEZZNS1_27merge_sort_block_merge_implIS3_N6thrust23THRUST_200600_302600_NS6detail15normal_iteratorINS9_10device_ptrIiEEEEPS5_m17evens_before_oddsEE10hipError_tT0_T1_T2_jT3_P12ihipStream_tbPNSt15iterator_traitsISI_E10value_typeEPNSO_ISJ_E10value_typeEPSK_NS1_7vsmem_tEENKUlT_SI_SJ_SK_E_clIPiSE_SF_SF_EESH_SX_SI_SJ_SK_EUlSX_E_NS1_11comp_targetILNS1_3genE5ELNS1_11target_archE942ELNS1_3gpuE9ELNS1_3repE0EEENS1_48merge_mergepath_partition_config_static_selectorELNS0_4arch9wavefront6targetE0EEEvSJ_.num_named_barrier, 0
	.set _ZN7rocprim17ROCPRIM_400000_NS6detail17trampoline_kernelINS0_14default_configENS1_38merge_sort_block_merge_config_selectorIiNS0_10empty_typeEEEZZNS1_27merge_sort_block_merge_implIS3_N6thrust23THRUST_200600_302600_NS6detail15normal_iteratorINS9_10device_ptrIiEEEEPS5_m17evens_before_oddsEE10hipError_tT0_T1_T2_jT3_P12ihipStream_tbPNSt15iterator_traitsISI_E10value_typeEPNSO_ISJ_E10value_typeEPSK_NS1_7vsmem_tEENKUlT_SI_SJ_SK_E_clIPiSE_SF_SF_EESH_SX_SI_SJ_SK_EUlSX_E_NS1_11comp_targetILNS1_3genE5ELNS1_11target_archE942ELNS1_3gpuE9ELNS1_3repE0EEENS1_48merge_mergepath_partition_config_static_selectorELNS0_4arch9wavefront6targetE0EEEvSJ_.private_seg_size, 0
	.set _ZN7rocprim17ROCPRIM_400000_NS6detail17trampoline_kernelINS0_14default_configENS1_38merge_sort_block_merge_config_selectorIiNS0_10empty_typeEEEZZNS1_27merge_sort_block_merge_implIS3_N6thrust23THRUST_200600_302600_NS6detail15normal_iteratorINS9_10device_ptrIiEEEEPS5_m17evens_before_oddsEE10hipError_tT0_T1_T2_jT3_P12ihipStream_tbPNSt15iterator_traitsISI_E10value_typeEPNSO_ISJ_E10value_typeEPSK_NS1_7vsmem_tEENKUlT_SI_SJ_SK_E_clIPiSE_SF_SF_EESH_SX_SI_SJ_SK_EUlSX_E_NS1_11comp_targetILNS1_3genE5ELNS1_11target_archE942ELNS1_3gpuE9ELNS1_3repE0EEENS1_48merge_mergepath_partition_config_static_selectorELNS0_4arch9wavefront6targetE0EEEvSJ_.uses_vcc, 0
	.set _ZN7rocprim17ROCPRIM_400000_NS6detail17trampoline_kernelINS0_14default_configENS1_38merge_sort_block_merge_config_selectorIiNS0_10empty_typeEEEZZNS1_27merge_sort_block_merge_implIS3_N6thrust23THRUST_200600_302600_NS6detail15normal_iteratorINS9_10device_ptrIiEEEEPS5_m17evens_before_oddsEE10hipError_tT0_T1_T2_jT3_P12ihipStream_tbPNSt15iterator_traitsISI_E10value_typeEPNSO_ISJ_E10value_typeEPSK_NS1_7vsmem_tEENKUlT_SI_SJ_SK_E_clIPiSE_SF_SF_EESH_SX_SI_SJ_SK_EUlSX_E_NS1_11comp_targetILNS1_3genE5ELNS1_11target_archE942ELNS1_3gpuE9ELNS1_3repE0EEENS1_48merge_mergepath_partition_config_static_selectorELNS0_4arch9wavefront6targetE0EEEvSJ_.uses_flat_scratch, 0
	.set _ZN7rocprim17ROCPRIM_400000_NS6detail17trampoline_kernelINS0_14default_configENS1_38merge_sort_block_merge_config_selectorIiNS0_10empty_typeEEEZZNS1_27merge_sort_block_merge_implIS3_N6thrust23THRUST_200600_302600_NS6detail15normal_iteratorINS9_10device_ptrIiEEEEPS5_m17evens_before_oddsEE10hipError_tT0_T1_T2_jT3_P12ihipStream_tbPNSt15iterator_traitsISI_E10value_typeEPNSO_ISJ_E10value_typeEPSK_NS1_7vsmem_tEENKUlT_SI_SJ_SK_E_clIPiSE_SF_SF_EESH_SX_SI_SJ_SK_EUlSX_E_NS1_11comp_targetILNS1_3genE5ELNS1_11target_archE942ELNS1_3gpuE9ELNS1_3repE0EEENS1_48merge_mergepath_partition_config_static_selectorELNS0_4arch9wavefront6targetE0EEEvSJ_.has_dyn_sized_stack, 0
	.set _ZN7rocprim17ROCPRIM_400000_NS6detail17trampoline_kernelINS0_14default_configENS1_38merge_sort_block_merge_config_selectorIiNS0_10empty_typeEEEZZNS1_27merge_sort_block_merge_implIS3_N6thrust23THRUST_200600_302600_NS6detail15normal_iteratorINS9_10device_ptrIiEEEEPS5_m17evens_before_oddsEE10hipError_tT0_T1_T2_jT3_P12ihipStream_tbPNSt15iterator_traitsISI_E10value_typeEPNSO_ISJ_E10value_typeEPSK_NS1_7vsmem_tEENKUlT_SI_SJ_SK_E_clIPiSE_SF_SF_EESH_SX_SI_SJ_SK_EUlSX_E_NS1_11comp_targetILNS1_3genE5ELNS1_11target_archE942ELNS1_3gpuE9ELNS1_3repE0EEENS1_48merge_mergepath_partition_config_static_selectorELNS0_4arch9wavefront6targetE0EEEvSJ_.has_recursion, 0
	.set _ZN7rocprim17ROCPRIM_400000_NS6detail17trampoline_kernelINS0_14default_configENS1_38merge_sort_block_merge_config_selectorIiNS0_10empty_typeEEEZZNS1_27merge_sort_block_merge_implIS3_N6thrust23THRUST_200600_302600_NS6detail15normal_iteratorINS9_10device_ptrIiEEEEPS5_m17evens_before_oddsEE10hipError_tT0_T1_T2_jT3_P12ihipStream_tbPNSt15iterator_traitsISI_E10value_typeEPNSO_ISJ_E10value_typeEPSK_NS1_7vsmem_tEENKUlT_SI_SJ_SK_E_clIPiSE_SF_SF_EESH_SX_SI_SJ_SK_EUlSX_E_NS1_11comp_targetILNS1_3genE5ELNS1_11target_archE942ELNS1_3gpuE9ELNS1_3repE0EEENS1_48merge_mergepath_partition_config_static_selectorELNS0_4arch9wavefront6targetE0EEEvSJ_.has_indirect_call, 0
	.section	.AMDGPU.csdata,"",@progbits
; Kernel info:
; codeLenInByte = 0
; TotalNumSgprs: 0
; NumVgprs: 0
; ScratchSize: 0
; MemoryBound: 0
; FloatMode: 240
; IeeeMode: 1
; LDSByteSize: 0 bytes/workgroup (compile time only)
; SGPRBlocks: 0
; VGPRBlocks: 0
; NumSGPRsForWavesPerEU: 1
; NumVGPRsForWavesPerEU: 1
; Occupancy: 16
; WaveLimiterHint : 0
; COMPUTE_PGM_RSRC2:SCRATCH_EN: 0
; COMPUTE_PGM_RSRC2:USER_SGPR: 6
; COMPUTE_PGM_RSRC2:TRAP_HANDLER: 0
; COMPUTE_PGM_RSRC2:TGID_X_EN: 1
; COMPUTE_PGM_RSRC2:TGID_Y_EN: 0
; COMPUTE_PGM_RSRC2:TGID_Z_EN: 0
; COMPUTE_PGM_RSRC2:TIDIG_COMP_CNT: 0
	.section	.text._ZN7rocprim17ROCPRIM_400000_NS6detail17trampoline_kernelINS0_14default_configENS1_38merge_sort_block_merge_config_selectorIiNS0_10empty_typeEEEZZNS1_27merge_sort_block_merge_implIS3_N6thrust23THRUST_200600_302600_NS6detail15normal_iteratorINS9_10device_ptrIiEEEEPS5_m17evens_before_oddsEE10hipError_tT0_T1_T2_jT3_P12ihipStream_tbPNSt15iterator_traitsISI_E10value_typeEPNSO_ISJ_E10value_typeEPSK_NS1_7vsmem_tEENKUlT_SI_SJ_SK_E_clIPiSE_SF_SF_EESH_SX_SI_SJ_SK_EUlSX_E_NS1_11comp_targetILNS1_3genE4ELNS1_11target_archE910ELNS1_3gpuE8ELNS1_3repE0EEENS1_48merge_mergepath_partition_config_static_selectorELNS0_4arch9wavefront6targetE0EEEvSJ_,"axG",@progbits,_ZN7rocprim17ROCPRIM_400000_NS6detail17trampoline_kernelINS0_14default_configENS1_38merge_sort_block_merge_config_selectorIiNS0_10empty_typeEEEZZNS1_27merge_sort_block_merge_implIS3_N6thrust23THRUST_200600_302600_NS6detail15normal_iteratorINS9_10device_ptrIiEEEEPS5_m17evens_before_oddsEE10hipError_tT0_T1_T2_jT3_P12ihipStream_tbPNSt15iterator_traitsISI_E10value_typeEPNSO_ISJ_E10value_typeEPSK_NS1_7vsmem_tEENKUlT_SI_SJ_SK_E_clIPiSE_SF_SF_EESH_SX_SI_SJ_SK_EUlSX_E_NS1_11comp_targetILNS1_3genE4ELNS1_11target_archE910ELNS1_3gpuE8ELNS1_3repE0EEENS1_48merge_mergepath_partition_config_static_selectorELNS0_4arch9wavefront6targetE0EEEvSJ_,comdat
	.protected	_ZN7rocprim17ROCPRIM_400000_NS6detail17trampoline_kernelINS0_14default_configENS1_38merge_sort_block_merge_config_selectorIiNS0_10empty_typeEEEZZNS1_27merge_sort_block_merge_implIS3_N6thrust23THRUST_200600_302600_NS6detail15normal_iteratorINS9_10device_ptrIiEEEEPS5_m17evens_before_oddsEE10hipError_tT0_T1_T2_jT3_P12ihipStream_tbPNSt15iterator_traitsISI_E10value_typeEPNSO_ISJ_E10value_typeEPSK_NS1_7vsmem_tEENKUlT_SI_SJ_SK_E_clIPiSE_SF_SF_EESH_SX_SI_SJ_SK_EUlSX_E_NS1_11comp_targetILNS1_3genE4ELNS1_11target_archE910ELNS1_3gpuE8ELNS1_3repE0EEENS1_48merge_mergepath_partition_config_static_selectorELNS0_4arch9wavefront6targetE0EEEvSJ_ ; -- Begin function _ZN7rocprim17ROCPRIM_400000_NS6detail17trampoline_kernelINS0_14default_configENS1_38merge_sort_block_merge_config_selectorIiNS0_10empty_typeEEEZZNS1_27merge_sort_block_merge_implIS3_N6thrust23THRUST_200600_302600_NS6detail15normal_iteratorINS9_10device_ptrIiEEEEPS5_m17evens_before_oddsEE10hipError_tT0_T1_T2_jT3_P12ihipStream_tbPNSt15iterator_traitsISI_E10value_typeEPNSO_ISJ_E10value_typeEPSK_NS1_7vsmem_tEENKUlT_SI_SJ_SK_E_clIPiSE_SF_SF_EESH_SX_SI_SJ_SK_EUlSX_E_NS1_11comp_targetILNS1_3genE4ELNS1_11target_archE910ELNS1_3gpuE8ELNS1_3repE0EEENS1_48merge_mergepath_partition_config_static_selectorELNS0_4arch9wavefront6targetE0EEEvSJ_
	.globl	_ZN7rocprim17ROCPRIM_400000_NS6detail17trampoline_kernelINS0_14default_configENS1_38merge_sort_block_merge_config_selectorIiNS0_10empty_typeEEEZZNS1_27merge_sort_block_merge_implIS3_N6thrust23THRUST_200600_302600_NS6detail15normal_iteratorINS9_10device_ptrIiEEEEPS5_m17evens_before_oddsEE10hipError_tT0_T1_T2_jT3_P12ihipStream_tbPNSt15iterator_traitsISI_E10value_typeEPNSO_ISJ_E10value_typeEPSK_NS1_7vsmem_tEENKUlT_SI_SJ_SK_E_clIPiSE_SF_SF_EESH_SX_SI_SJ_SK_EUlSX_E_NS1_11comp_targetILNS1_3genE4ELNS1_11target_archE910ELNS1_3gpuE8ELNS1_3repE0EEENS1_48merge_mergepath_partition_config_static_selectorELNS0_4arch9wavefront6targetE0EEEvSJ_
	.p2align	8
	.type	_ZN7rocprim17ROCPRIM_400000_NS6detail17trampoline_kernelINS0_14default_configENS1_38merge_sort_block_merge_config_selectorIiNS0_10empty_typeEEEZZNS1_27merge_sort_block_merge_implIS3_N6thrust23THRUST_200600_302600_NS6detail15normal_iteratorINS9_10device_ptrIiEEEEPS5_m17evens_before_oddsEE10hipError_tT0_T1_T2_jT3_P12ihipStream_tbPNSt15iterator_traitsISI_E10value_typeEPNSO_ISJ_E10value_typeEPSK_NS1_7vsmem_tEENKUlT_SI_SJ_SK_E_clIPiSE_SF_SF_EESH_SX_SI_SJ_SK_EUlSX_E_NS1_11comp_targetILNS1_3genE4ELNS1_11target_archE910ELNS1_3gpuE8ELNS1_3repE0EEENS1_48merge_mergepath_partition_config_static_selectorELNS0_4arch9wavefront6targetE0EEEvSJ_,@function
_ZN7rocprim17ROCPRIM_400000_NS6detail17trampoline_kernelINS0_14default_configENS1_38merge_sort_block_merge_config_selectorIiNS0_10empty_typeEEEZZNS1_27merge_sort_block_merge_implIS3_N6thrust23THRUST_200600_302600_NS6detail15normal_iteratorINS9_10device_ptrIiEEEEPS5_m17evens_before_oddsEE10hipError_tT0_T1_T2_jT3_P12ihipStream_tbPNSt15iterator_traitsISI_E10value_typeEPNSO_ISJ_E10value_typeEPSK_NS1_7vsmem_tEENKUlT_SI_SJ_SK_E_clIPiSE_SF_SF_EESH_SX_SI_SJ_SK_EUlSX_E_NS1_11comp_targetILNS1_3genE4ELNS1_11target_archE910ELNS1_3gpuE8ELNS1_3repE0EEENS1_48merge_mergepath_partition_config_static_selectorELNS0_4arch9wavefront6targetE0EEEvSJ_: ; @_ZN7rocprim17ROCPRIM_400000_NS6detail17trampoline_kernelINS0_14default_configENS1_38merge_sort_block_merge_config_selectorIiNS0_10empty_typeEEEZZNS1_27merge_sort_block_merge_implIS3_N6thrust23THRUST_200600_302600_NS6detail15normal_iteratorINS9_10device_ptrIiEEEEPS5_m17evens_before_oddsEE10hipError_tT0_T1_T2_jT3_P12ihipStream_tbPNSt15iterator_traitsISI_E10value_typeEPNSO_ISJ_E10value_typeEPSK_NS1_7vsmem_tEENKUlT_SI_SJ_SK_E_clIPiSE_SF_SF_EESH_SX_SI_SJ_SK_EUlSX_E_NS1_11comp_targetILNS1_3genE4ELNS1_11target_archE910ELNS1_3gpuE8ELNS1_3repE0EEENS1_48merge_mergepath_partition_config_static_selectorELNS0_4arch9wavefront6targetE0EEEvSJ_
; %bb.0:
	.section	.rodata,"a",@progbits
	.p2align	6, 0x0
	.amdhsa_kernel _ZN7rocprim17ROCPRIM_400000_NS6detail17trampoline_kernelINS0_14default_configENS1_38merge_sort_block_merge_config_selectorIiNS0_10empty_typeEEEZZNS1_27merge_sort_block_merge_implIS3_N6thrust23THRUST_200600_302600_NS6detail15normal_iteratorINS9_10device_ptrIiEEEEPS5_m17evens_before_oddsEE10hipError_tT0_T1_T2_jT3_P12ihipStream_tbPNSt15iterator_traitsISI_E10value_typeEPNSO_ISJ_E10value_typeEPSK_NS1_7vsmem_tEENKUlT_SI_SJ_SK_E_clIPiSE_SF_SF_EESH_SX_SI_SJ_SK_EUlSX_E_NS1_11comp_targetILNS1_3genE4ELNS1_11target_archE910ELNS1_3gpuE8ELNS1_3repE0EEENS1_48merge_mergepath_partition_config_static_selectorELNS0_4arch9wavefront6targetE0EEEvSJ_
		.amdhsa_group_segment_fixed_size 0
		.amdhsa_private_segment_fixed_size 0
		.amdhsa_kernarg_size 48
		.amdhsa_user_sgpr_count 6
		.amdhsa_user_sgpr_private_segment_buffer 1
		.amdhsa_user_sgpr_dispatch_ptr 0
		.amdhsa_user_sgpr_queue_ptr 0
		.amdhsa_user_sgpr_kernarg_segment_ptr 1
		.amdhsa_user_sgpr_dispatch_id 0
		.amdhsa_user_sgpr_flat_scratch_init 0
		.amdhsa_user_sgpr_private_segment_size 0
		.amdhsa_wavefront_size32 1
		.amdhsa_uses_dynamic_stack 0
		.amdhsa_system_sgpr_private_segment_wavefront_offset 0
		.amdhsa_system_sgpr_workgroup_id_x 1
		.amdhsa_system_sgpr_workgroup_id_y 0
		.amdhsa_system_sgpr_workgroup_id_z 0
		.amdhsa_system_sgpr_workgroup_info 0
		.amdhsa_system_vgpr_workitem_id 0
		.amdhsa_next_free_vgpr 1
		.amdhsa_next_free_sgpr 1
		.amdhsa_reserve_vcc 0
		.amdhsa_reserve_flat_scratch 0
		.amdhsa_float_round_mode_32 0
		.amdhsa_float_round_mode_16_64 0
		.amdhsa_float_denorm_mode_32 3
		.amdhsa_float_denorm_mode_16_64 3
		.amdhsa_dx10_clamp 1
		.amdhsa_ieee_mode 1
		.amdhsa_fp16_overflow 0
		.amdhsa_workgroup_processor_mode 1
		.amdhsa_memory_ordered 1
		.amdhsa_forward_progress 1
		.amdhsa_shared_vgpr_count 0
		.amdhsa_exception_fp_ieee_invalid_op 0
		.amdhsa_exception_fp_denorm_src 0
		.amdhsa_exception_fp_ieee_div_zero 0
		.amdhsa_exception_fp_ieee_overflow 0
		.amdhsa_exception_fp_ieee_underflow 0
		.amdhsa_exception_fp_ieee_inexact 0
		.amdhsa_exception_int_div_zero 0
	.end_amdhsa_kernel
	.section	.text._ZN7rocprim17ROCPRIM_400000_NS6detail17trampoline_kernelINS0_14default_configENS1_38merge_sort_block_merge_config_selectorIiNS0_10empty_typeEEEZZNS1_27merge_sort_block_merge_implIS3_N6thrust23THRUST_200600_302600_NS6detail15normal_iteratorINS9_10device_ptrIiEEEEPS5_m17evens_before_oddsEE10hipError_tT0_T1_T2_jT3_P12ihipStream_tbPNSt15iterator_traitsISI_E10value_typeEPNSO_ISJ_E10value_typeEPSK_NS1_7vsmem_tEENKUlT_SI_SJ_SK_E_clIPiSE_SF_SF_EESH_SX_SI_SJ_SK_EUlSX_E_NS1_11comp_targetILNS1_3genE4ELNS1_11target_archE910ELNS1_3gpuE8ELNS1_3repE0EEENS1_48merge_mergepath_partition_config_static_selectorELNS0_4arch9wavefront6targetE0EEEvSJ_,"axG",@progbits,_ZN7rocprim17ROCPRIM_400000_NS6detail17trampoline_kernelINS0_14default_configENS1_38merge_sort_block_merge_config_selectorIiNS0_10empty_typeEEEZZNS1_27merge_sort_block_merge_implIS3_N6thrust23THRUST_200600_302600_NS6detail15normal_iteratorINS9_10device_ptrIiEEEEPS5_m17evens_before_oddsEE10hipError_tT0_T1_T2_jT3_P12ihipStream_tbPNSt15iterator_traitsISI_E10value_typeEPNSO_ISJ_E10value_typeEPSK_NS1_7vsmem_tEENKUlT_SI_SJ_SK_E_clIPiSE_SF_SF_EESH_SX_SI_SJ_SK_EUlSX_E_NS1_11comp_targetILNS1_3genE4ELNS1_11target_archE910ELNS1_3gpuE8ELNS1_3repE0EEENS1_48merge_mergepath_partition_config_static_selectorELNS0_4arch9wavefront6targetE0EEEvSJ_,comdat
.Lfunc_end411:
	.size	_ZN7rocprim17ROCPRIM_400000_NS6detail17trampoline_kernelINS0_14default_configENS1_38merge_sort_block_merge_config_selectorIiNS0_10empty_typeEEEZZNS1_27merge_sort_block_merge_implIS3_N6thrust23THRUST_200600_302600_NS6detail15normal_iteratorINS9_10device_ptrIiEEEEPS5_m17evens_before_oddsEE10hipError_tT0_T1_T2_jT3_P12ihipStream_tbPNSt15iterator_traitsISI_E10value_typeEPNSO_ISJ_E10value_typeEPSK_NS1_7vsmem_tEENKUlT_SI_SJ_SK_E_clIPiSE_SF_SF_EESH_SX_SI_SJ_SK_EUlSX_E_NS1_11comp_targetILNS1_3genE4ELNS1_11target_archE910ELNS1_3gpuE8ELNS1_3repE0EEENS1_48merge_mergepath_partition_config_static_selectorELNS0_4arch9wavefront6targetE0EEEvSJ_, .Lfunc_end411-_ZN7rocprim17ROCPRIM_400000_NS6detail17trampoline_kernelINS0_14default_configENS1_38merge_sort_block_merge_config_selectorIiNS0_10empty_typeEEEZZNS1_27merge_sort_block_merge_implIS3_N6thrust23THRUST_200600_302600_NS6detail15normal_iteratorINS9_10device_ptrIiEEEEPS5_m17evens_before_oddsEE10hipError_tT0_T1_T2_jT3_P12ihipStream_tbPNSt15iterator_traitsISI_E10value_typeEPNSO_ISJ_E10value_typeEPSK_NS1_7vsmem_tEENKUlT_SI_SJ_SK_E_clIPiSE_SF_SF_EESH_SX_SI_SJ_SK_EUlSX_E_NS1_11comp_targetILNS1_3genE4ELNS1_11target_archE910ELNS1_3gpuE8ELNS1_3repE0EEENS1_48merge_mergepath_partition_config_static_selectorELNS0_4arch9wavefront6targetE0EEEvSJ_
                                        ; -- End function
	.set _ZN7rocprim17ROCPRIM_400000_NS6detail17trampoline_kernelINS0_14default_configENS1_38merge_sort_block_merge_config_selectorIiNS0_10empty_typeEEEZZNS1_27merge_sort_block_merge_implIS3_N6thrust23THRUST_200600_302600_NS6detail15normal_iteratorINS9_10device_ptrIiEEEEPS5_m17evens_before_oddsEE10hipError_tT0_T1_T2_jT3_P12ihipStream_tbPNSt15iterator_traitsISI_E10value_typeEPNSO_ISJ_E10value_typeEPSK_NS1_7vsmem_tEENKUlT_SI_SJ_SK_E_clIPiSE_SF_SF_EESH_SX_SI_SJ_SK_EUlSX_E_NS1_11comp_targetILNS1_3genE4ELNS1_11target_archE910ELNS1_3gpuE8ELNS1_3repE0EEENS1_48merge_mergepath_partition_config_static_selectorELNS0_4arch9wavefront6targetE0EEEvSJ_.num_vgpr, 0
	.set _ZN7rocprim17ROCPRIM_400000_NS6detail17trampoline_kernelINS0_14default_configENS1_38merge_sort_block_merge_config_selectorIiNS0_10empty_typeEEEZZNS1_27merge_sort_block_merge_implIS3_N6thrust23THRUST_200600_302600_NS6detail15normal_iteratorINS9_10device_ptrIiEEEEPS5_m17evens_before_oddsEE10hipError_tT0_T1_T2_jT3_P12ihipStream_tbPNSt15iterator_traitsISI_E10value_typeEPNSO_ISJ_E10value_typeEPSK_NS1_7vsmem_tEENKUlT_SI_SJ_SK_E_clIPiSE_SF_SF_EESH_SX_SI_SJ_SK_EUlSX_E_NS1_11comp_targetILNS1_3genE4ELNS1_11target_archE910ELNS1_3gpuE8ELNS1_3repE0EEENS1_48merge_mergepath_partition_config_static_selectorELNS0_4arch9wavefront6targetE0EEEvSJ_.num_agpr, 0
	.set _ZN7rocprim17ROCPRIM_400000_NS6detail17trampoline_kernelINS0_14default_configENS1_38merge_sort_block_merge_config_selectorIiNS0_10empty_typeEEEZZNS1_27merge_sort_block_merge_implIS3_N6thrust23THRUST_200600_302600_NS6detail15normal_iteratorINS9_10device_ptrIiEEEEPS5_m17evens_before_oddsEE10hipError_tT0_T1_T2_jT3_P12ihipStream_tbPNSt15iterator_traitsISI_E10value_typeEPNSO_ISJ_E10value_typeEPSK_NS1_7vsmem_tEENKUlT_SI_SJ_SK_E_clIPiSE_SF_SF_EESH_SX_SI_SJ_SK_EUlSX_E_NS1_11comp_targetILNS1_3genE4ELNS1_11target_archE910ELNS1_3gpuE8ELNS1_3repE0EEENS1_48merge_mergepath_partition_config_static_selectorELNS0_4arch9wavefront6targetE0EEEvSJ_.numbered_sgpr, 0
	.set _ZN7rocprim17ROCPRIM_400000_NS6detail17trampoline_kernelINS0_14default_configENS1_38merge_sort_block_merge_config_selectorIiNS0_10empty_typeEEEZZNS1_27merge_sort_block_merge_implIS3_N6thrust23THRUST_200600_302600_NS6detail15normal_iteratorINS9_10device_ptrIiEEEEPS5_m17evens_before_oddsEE10hipError_tT0_T1_T2_jT3_P12ihipStream_tbPNSt15iterator_traitsISI_E10value_typeEPNSO_ISJ_E10value_typeEPSK_NS1_7vsmem_tEENKUlT_SI_SJ_SK_E_clIPiSE_SF_SF_EESH_SX_SI_SJ_SK_EUlSX_E_NS1_11comp_targetILNS1_3genE4ELNS1_11target_archE910ELNS1_3gpuE8ELNS1_3repE0EEENS1_48merge_mergepath_partition_config_static_selectorELNS0_4arch9wavefront6targetE0EEEvSJ_.num_named_barrier, 0
	.set _ZN7rocprim17ROCPRIM_400000_NS6detail17trampoline_kernelINS0_14default_configENS1_38merge_sort_block_merge_config_selectorIiNS0_10empty_typeEEEZZNS1_27merge_sort_block_merge_implIS3_N6thrust23THRUST_200600_302600_NS6detail15normal_iteratorINS9_10device_ptrIiEEEEPS5_m17evens_before_oddsEE10hipError_tT0_T1_T2_jT3_P12ihipStream_tbPNSt15iterator_traitsISI_E10value_typeEPNSO_ISJ_E10value_typeEPSK_NS1_7vsmem_tEENKUlT_SI_SJ_SK_E_clIPiSE_SF_SF_EESH_SX_SI_SJ_SK_EUlSX_E_NS1_11comp_targetILNS1_3genE4ELNS1_11target_archE910ELNS1_3gpuE8ELNS1_3repE0EEENS1_48merge_mergepath_partition_config_static_selectorELNS0_4arch9wavefront6targetE0EEEvSJ_.private_seg_size, 0
	.set _ZN7rocprim17ROCPRIM_400000_NS6detail17trampoline_kernelINS0_14default_configENS1_38merge_sort_block_merge_config_selectorIiNS0_10empty_typeEEEZZNS1_27merge_sort_block_merge_implIS3_N6thrust23THRUST_200600_302600_NS6detail15normal_iteratorINS9_10device_ptrIiEEEEPS5_m17evens_before_oddsEE10hipError_tT0_T1_T2_jT3_P12ihipStream_tbPNSt15iterator_traitsISI_E10value_typeEPNSO_ISJ_E10value_typeEPSK_NS1_7vsmem_tEENKUlT_SI_SJ_SK_E_clIPiSE_SF_SF_EESH_SX_SI_SJ_SK_EUlSX_E_NS1_11comp_targetILNS1_3genE4ELNS1_11target_archE910ELNS1_3gpuE8ELNS1_3repE0EEENS1_48merge_mergepath_partition_config_static_selectorELNS0_4arch9wavefront6targetE0EEEvSJ_.uses_vcc, 0
	.set _ZN7rocprim17ROCPRIM_400000_NS6detail17trampoline_kernelINS0_14default_configENS1_38merge_sort_block_merge_config_selectorIiNS0_10empty_typeEEEZZNS1_27merge_sort_block_merge_implIS3_N6thrust23THRUST_200600_302600_NS6detail15normal_iteratorINS9_10device_ptrIiEEEEPS5_m17evens_before_oddsEE10hipError_tT0_T1_T2_jT3_P12ihipStream_tbPNSt15iterator_traitsISI_E10value_typeEPNSO_ISJ_E10value_typeEPSK_NS1_7vsmem_tEENKUlT_SI_SJ_SK_E_clIPiSE_SF_SF_EESH_SX_SI_SJ_SK_EUlSX_E_NS1_11comp_targetILNS1_3genE4ELNS1_11target_archE910ELNS1_3gpuE8ELNS1_3repE0EEENS1_48merge_mergepath_partition_config_static_selectorELNS0_4arch9wavefront6targetE0EEEvSJ_.uses_flat_scratch, 0
	.set _ZN7rocprim17ROCPRIM_400000_NS6detail17trampoline_kernelINS0_14default_configENS1_38merge_sort_block_merge_config_selectorIiNS0_10empty_typeEEEZZNS1_27merge_sort_block_merge_implIS3_N6thrust23THRUST_200600_302600_NS6detail15normal_iteratorINS9_10device_ptrIiEEEEPS5_m17evens_before_oddsEE10hipError_tT0_T1_T2_jT3_P12ihipStream_tbPNSt15iterator_traitsISI_E10value_typeEPNSO_ISJ_E10value_typeEPSK_NS1_7vsmem_tEENKUlT_SI_SJ_SK_E_clIPiSE_SF_SF_EESH_SX_SI_SJ_SK_EUlSX_E_NS1_11comp_targetILNS1_3genE4ELNS1_11target_archE910ELNS1_3gpuE8ELNS1_3repE0EEENS1_48merge_mergepath_partition_config_static_selectorELNS0_4arch9wavefront6targetE0EEEvSJ_.has_dyn_sized_stack, 0
	.set _ZN7rocprim17ROCPRIM_400000_NS6detail17trampoline_kernelINS0_14default_configENS1_38merge_sort_block_merge_config_selectorIiNS0_10empty_typeEEEZZNS1_27merge_sort_block_merge_implIS3_N6thrust23THRUST_200600_302600_NS6detail15normal_iteratorINS9_10device_ptrIiEEEEPS5_m17evens_before_oddsEE10hipError_tT0_T1_T2_jT3_P12ihipStream_tbPNSt15iterator_traitsISI_E10value_typeEPNSO_ISJ_E10value_typeEPSK_NS1_7vsmem_tEENKUlT_SI_SJ_SK_E_clIPiSE_SF_SF_EESH_SX_SI_SJ_SK_EUlSX_E_NS1_11comp_targetILNS1_3genE4ELNS1_11target_archE910ELNS1_3gpuE8ELNS1_3repE0EEENS1_48merge_mergepath_partition_config_static_selectorELNS0_4arch9wavefront6targetE0EEEvSJ_.has_recursion, 0
	.set _ZN7rocprim17ROCPRIM_400000_NS6detail17trampoline_kernelINS0_14default_configENS1_38merge_sort_block_merge_config_selectorIiNS0_10empty_typeEEEZZNS1_27merge_sort_block_merge_implIS3_N6thrust23THRUST_200600_302600_NS6detail15normal_iteratorINS9_10device_ptrIiEEEEPS5_m17evens_before_oddsEE10hipError_tT0_T1_T2_jT3_P12ihipStream_tbPNSt15iterator_traitsISI_E10value_typeEPNSO_ISJ_E10value_typeEPSK_NS1_7vsmem_tEENKUlT_SI_SJ_SK_E_clIPiSE_SF_SF_EESH_SX_SI_SJ_SK_EUlSX_E_NS1_11comp_targetILNS1_3genE4ELNS1_11target_archE910ELNS1_3gpuE8ELNS1_3repE0EEENS1_48merge_mergepath_partition_config_static_selectorELNS0_4arch9wavefront6targetE0EEEvSJ_.has_indirect_call, 0
	.section	.AMDGPU.csdata,"",@progbits
; Kernel info:
; codeLenInByte = 0
; TotalNumSgprs: 0
; NumVgprs: 0
; ScratchSize: 0
; MemoryBound: 0
; FloatMode: 240
; IeeeMode: 1
; LDSByteSize: 0 bytes/workgroup (compile time only)
; SGPRBlocks: 0
; VGPRBlocks: 0
; NumSGPRsForWavesPerEU: 1
; NumVGPRsForWavesPerEU: 1
; Occupancy: 16
; WaveLimiterHint : 0
; COMPUTE_PGM_RSRC2:SCRATCH_EN: 0
; COMPUTE_PGM_RSRC2:USER_SGPR: 6
; COMPUTE_PGM_RSRC2:TRAP_HANDLER: 0
; COMPUTE_PGM_RSRC2:TGID_X_EN: 1
; COMPUTE_PGM_RSRC2:TGID_Y_EN: 0
; COMPUTE_PGM_RSRC2:TGID_Z_EN: 0
; COMPUTE_PGM_RSRC2:TIDIG_COMP_CNT: 0
	.section	.text._ZN7rocprim17ROCPRIM_400000_NS6detail17trampoline_kernelINS0_14default_configENS1_38merge_sort_block_merge_config_selectorIiNS0_10empty_typeEEEZZNS1_27merge_sort_block_merge_implIS3_N6thrust23THRUST_200600_302600_NS6detail15normal_iteratorINS9_10device_ptrIiEEEEPS5_m17evens_before_oddsEE10hipError_tT0_T1_T2_jT3_P12ihipStream_tbPNSt15iterator_traitsISI_E10value_typeEPNSO_ISJ_E10value_typeEPSK_NS1_7vsmem_tEENKUlT_SI_SJ_SK_E_clIPiSE_SF_SF_EESH_SX_SI_SJ_SK_EUlSX_E_NS1_11comp_targetILNS1_3genE3ELNS1_11target_archE908ELNS1_3gpuE7ELNS1_3repE0EEENS1_48merge_mergepath_partition_config_static_selectorELNS0_4arch9wavefront6targetE0EEEvSJ_,"axG",@progbits,_ZN7rocprim17ROCPRIM_400000_NS6detail17trampoline_kernelINS0_14default_configENS1_38merge_sort_block_merge_config_selectorIiNS0_10empty_typeEEEZZNS1_27merge_sort_block_merge_implIS3_N6thrust23THRUST_200600_302600_NS6detail15normal_iteratorINS9_10device_ptrIiEEEEPS5_m17evens_before_oddsEE10hipError_tT0_T1_T2_jT3_P12ihipStream_tbPNSt15iterator_traitsISI_E10value_typeEPNSO_ISJ_E10value_typeEPSK_NS1_7vsmem_tEENKUlT_SI_SJ_SK_E_clIPiSE_SF_SF_EESH_SX_SI_SJ_SK_EUlSX_E_NS1_11comp_targetILNS1_3genE3ELNS1_11target_archE908ELNS1_3gpuE7ELNS1_3repE0EEENS1_48merge_mergepath_partition_config_static_selectorELNS0_4arch9wavefront6targetE0EEEvSJ_,comdat
	.protected	_ZN7rocprim17ROCPRIM_400000_NS6detail17trampoline_kernelINS0_14default_configENS1_38merge_sort_block_merge_config_selectorIiNS0_10empty_typeEEEZZNS1_27merge_sort_block_merge_implIS3_N6thrust23THRUST_200600_302600_NS6detail15normal_iteratorINS9_10device_ptrIiEEEEPS5_m17evens_before_oddsEE10hipError_tT0_T1_T2_jT3_P12ihipStream_tbPNSt15iterator_traitsISI_E10value_typeEPNSO_ISJ_E10value_typeEPSK_NS1_7vsmem_tEENKUlT_SI_SJ_SK_E_clIPiSE_SF_SF_EESH_SX_SI_SJ_SK_EUlSX_E_NS1_11comp_targetILNS1_3genE3ELNS1_11target_archE908ELNS1_3gpuE7ELNS1_3repE0EEENS1_48merge_mergepath_partition_config_static_selectorELNS0_4arch9wavefront6targetE0EEEvSJ_ ; -- Begin function _ZN7rocprim17ROCPRIM_400000_NS6detail17trampoline_kernelINS0_14default_configENS1_38merge_sort_block_merge_config_selectorIiNS0_10empty_typeEEEZZNS1_27merge_sort_block_merge_implIS3_N6thrust23THRUST_200600_302600_NS6detail15normal_iteratorINS9_10device_ptrIiEEEEPS5_m17evens_before_oddsEE10hipError_tT0_T1_T2_jT3_P12ihipStream_tbPNSt15iterator_traitsISI_E10value_typeEPNSO_ISJ_E10value_typeEPSK_NS1_7vsmem_tEENKUlT_SI_SJ_SK_E_clIPiSE_SF_SF_EESH_SX_SI_SJ_SK_EUlSX_E_NS1_11comp_targetILNS1_3genE3ELNS1_11target_archE908ELNS1_3gpuE7ELNS1_3repE0EEENS1_48merge_mergepath_partition_config_static_selectorELNS0_4arch9wavefront6targetE0EEEvSJ_
	.globl	_ZN7rocprim17ROCPRIM_400000_NS6detail17trampoline_kernelINS0_14default_configENS1_38merge_sort_block_merge_config_selectorIiNS0_10empty_typeEEEZZNS1_27merge_sort_block_merge_implIS3_N6thrust23THRUST_200600_302600_NS6detail15normal_iteratorINS9_10device_ptrIiEEEEPS5_m17evens_before_oddsEE10hipError_tT0_T1_T2_jT3_P12ihipStream_tbPNSt15iterator_traitsISI_E10value_typeEPNSO_ISJ_E10value_typeEPSK_NS1_7vsmem_tEENKUlT_SI_SJ_SK_E_clIPiSE_SF_SF_EESH_SX_SI_SJ_SK_EUlSX_E_NS1_11comp_targetILNS1_3genE3ELNS1_11target_archE908ELNS1_3gpuE7ELNS1_3repE0EEENS1_48merge_mergepath_partition_config_static_selectorELNS0_4arch9wavefront6targetE0EEEvSJ_
	.p2align	8
	.type	_ZN7rocprim17ROCPRIM_400000_NS6detail17trampoline_kernelINS0_14default_configENS1_38merge_sort_block_merge_config_selectorIiNS0_10empty_typeEEEZZNS1_27merge_sort_block_merge_implIS3_N6thrust23THRUST_200600_302600_NS6detail15normal_iteratorINS9_10device_ptrIiEEEEPS5_m17evens_before_oddsEE10hipError_tT0_T1_T2_jT3_P12ihipStream_tbPNSt15iterator_traitsISI_E10value_typeEPNSO_ISJ_E10value_typeEPSK_NS1_7vsmem_tEENKUlT_SI_SJ_SK_E_clIPiSE_SF_SF_EESH_SX_SI_SJ_SK_EUlSX_E_NS1_11comp_targetILNS1_3genE3ELNS1_11target_archE908ELNS1_3gpuE7ELNS1_3repE0EEENS1_48merge_mergepath_partition_config_static_selectorELNS0_4arch9wavefront6targetE0EEEvSJ_,@function
_ZN7rocprim17ROCPRIM_400000_NS6detail17trampoline_kernelINS0_14default_configENS1_38merge_sort_block_merge_config_selectorIiNS0_10empty_typeEEEZZNS1_27merge_sort_block_merge_implIS3_N6thrust23THRUST_200600_302600_NS6detail15normal_iteratorINS9_10device_ptrIiEEEEPS5_m17evens_before_oddsEE10hipError_tT0_T1_T2_jT3_P12ihipStream_tbPNSt15iterator_traitsISI_E10value_typeEPNSO_ISJ_E10value_typeEPSK_NS1_7vsmem_tEENKUlT_SI_SJ_SK_E_clIPiSE_SF_SF_EESH_SX_SI_SJ_SK_EUlSX_E_NS1_11comp_targetILNS1_3genE3ELNS1_11target_archE908ELNS1_3gpuE7ELNS1_3repE0EEENS1_48merge_mergepath_partition_config_static_selectorELNS0_4arch9wavefront6targetE0EEEvSJ_: ; @_ZN7rocprim17ROCPRIM_400000_NS6detail17trampoline_kernelINS0_14default_configENS1_38merge_sort_block_merge_config_selectorIiNS0_10empty_typeEEEZZNS1_27merge_sort_block_merge_implIS3_N6thrust23THRUST_200600_302600_NS6detail15normal_iteratorINS9_10device_ptrIiEEEEPS5_m17evens_before_oddsEE10hipError_tT0_T1_T2_jT3_P12ihipStream_tbPNSt15iterator_traitsISI_E10value_typeEPNSO_ISJ_E10value_typeEPSK_NS1_7vsmem_tEENKUlT_SI_SJ_SK_E_clIPiSE_SF_SF_EESH_SX_SI_SJ_SK_EUlSX_E_NS1_11comp_targetILNS1_3genE3ELNS1_11target_archE908ELNS1_3gpuE7ELNS1_3repE0EEENS1_48merge_mergepath_partition_config_static_selectorELNS0_4arch9wavefront6targetE0EEEvSJ_
; %bb.0:
	.section	.rodata,"a",@progbits
	.p2align	6, 0x0
	.amdhsa_kernel _ZN7rocprim17ROCPRIM_400000_NS6detail17trampoline_kernelINS0_14default_configENS1_38merge_sort_block_merge_config_selectorIiNS0_10empty_typeEEEZZNS1_27merge_sort_block_merge_implIS3_N6thrust23THRUST_200600_302600_NS6detail15normal_iteratorINS9_10device_ptrIiEEEEPS5_m17evens_before_oddsEE10hipError_tT0_T1_T2_jT3_P12ihipStream_tbPNSt15iterator_traitsISI_E10value_typeEPNSO_ISJ_E10value_typeEPSK_NS1_7vsmem_tEENKUlT_SI_SJ_SK_E_clIPiSE_SF_SF_EESH_SX_SI_SJ_SK_EUlSX_E_NS1_11comp_targetILNS1_3genE3ELNS1_11target_archE908ELNS1_3gpuE7ELNS1_3repE0EEENS1_48merge_mergepath_partition_config_static_selectorELNS0_4arch9wavefront6targetE0EEEvSJ_
		.amdhsa_group_segment_fixed_size 0
		.amdhsa_private_segment_fixed_size 0
		.amdhsa_kernarg_size 48
		.amdhsa_user_sgpr_count 6
		.amdhsa_user_sgpr_private_segment_buffer 1
		.amdhsa_user_sgpr_dispatch_ptr 0
		.amdhsa_user_sgpr_queue_ptr 0
		.amdhsa_user_sgpr_kernarg_segment_ptr 1
		.amdhsa_user_sgpr_dispatch_id 0
		.amdhsa_user_sgpr_flat_scratch_init 0
		.amdhsa_user_sgpr_private_segment_size 0
		.amdhsa_wavefront_size32 1
		.amdhsa_uses_dynamic_stack 0
		.amdhsa_system_sgpr_private_segment_wavefront_offset 0
		.amdhsa_system_sgpr_workgroup_id_x 1
		.amdhsa_system_sgpr_workgroup_id_y 0
		.amdhsa_system_sgpr_workgroup_id_z 0
		.amdhsa_system_sgpr_workgroup_info 0
		.amdhsa_system_vgpr_workitem_id 0
		.amdhsa_next_free_vgpr 1
		.amdhsa_next_free_sgpr 1
		.amdhsa_reserve_vcc 0
		.amdhsa_reserve_flat_scratch 0
		.amdhsa_float_round_mode_32 0
		.amdhsa_float_round_mode_16_64 0
		.amdhsa_float_denorm_mode_32 3
		.amdhsa_float_denorm_mode_16_64 3
		.amdhsa_dx10_clamp 1
		.amdhsa_ieee_mode 1
		.amdhsa_fp16_overflow 0
		.amdhsa_workgroup_processor_mode 1
		.amdhsa_memory_ordered 1
		.amdhsa_forward_progress 1
		.amdhsa_shared_vgpr_count 0
		.amdhsa_exception_fp_ieee_invalid_op 0
		.amdhsa_exception_fp_denorm_src 0
		.amdhsa_exception_fp_ieee_div_zero 0
		.amdhsa_exception_fp_ieee_overflow 0
		.amdhsa_exception_fp_ieee_underflow 0
		.amdhsa_exception_fp_ieee_inexact 0
		.amdhsa_exception_int_div_zero 0
	.end_amdhsa_kernel
	.section	.text._ZN7rocprim17ROCPRIM_400000_NS6detail17trampoline_kernelINS0_14default_configENS1_38merge_sort_block_merge_config_selectorIiNS0_10empty_typeEEEZZNS1_27merge_sort_block_merge_implIS3_N6thrust23THRUST_200600_302600_NS6detail15normal_iteratorINS9_10device_ptrIiEEEEPS5_m17evens_before_oddsEE10hipError_tT0_T1_T2_jT3_P12ihipStream_tbPNSt15iterator_traitsISI_E10value_typeEPNSO_ISJ_E10value_typeEPSK_NS1_7vsmem_tEENKUlT_SI_SJ_SK_E_clIPiSE_SF_SF_EESH_SX_SI_SJ_SK_EUlSX_E_NS1_11comp_targetILNS1_3genE3ELNS1_11target_archE908ELNS1_3gpuE7ELNS1_3repE0EEENS1_48merge_mergepath_partition_config_static_selectorELNS0_4arch9wavefront6targetE0EEEvSJ_,"axG",@progbits,_ZN7rocprim17ROCPRIM_400000_NS6detail17trampoline_kernelINS0_14default_configENS1_38merge_sort_block_merge_config_selectorIiNS0_10empty_typeEEEZZNS1_27merge_sort_block_merge_implIS3_N6thrust23THRUST_200600_302600_NS6detail15normal_iteratorINS9_10device_ptrIiEEEEPS5_m17evens_before_oddsEE10hipError_tT0_T1_T2_jT3_P12ihipStream_tbPNSt15iterator_traitsISI_E10value_typeEPNSO_ISJ_E10value_typeEPSK_NS1_7vsmem_tEENKUlT_SI_SJ_SK_E_clIPiSE_SF_SF_EESH_SX_SI_SJ_SK_EUlSX_E_NS1_11comp_targetILNS1_3genE3ELNS1_11target_archE908ELNS1_3gpuE7ELNS1_3repE0EEENS1_48merge_mergepath_partition_config_static_selectorELNS0_4arch9wavefront6targetE0EEEvSJ_,comdat
.Lfunc_end412:
	.size	_ZN7rocprim17ROCPRIM_400000_NS6detail17trampoline_kernelINS0_14default_configENS1_38merge_sort_block_merge_config_selectorIiNS0_10empty_typeEEEZZNS1_27merge_sort_block_merge_implIS3_N6thrust23THRUST_200600_302600_NS6detail15normal_iteratorINS9_10device_ptrIiEEEEPS5_m17evens_before_oddsEE10hipError_tT0_T1_T2_jT3_P12ihipStream_tbPNSt15iterator_traitsISI_E10value_typeEPNSO_ISJ_E10value_typeEPSK_NS1_7vsmem_tEENKUlT_SI_SJ_SK_E_clIPiSE_SF_SF_EESH_SX_SI_SJ_SK_EUlSX_E_NS1_11comp_targetILNS1_3genE3ELNS1_11target_archE908ELNS1_3gpuE7ELNS1_3repE0EEENS1_48merge_mergepath_partition_config_static_selectorELNS0_4arch9wavefront6targetE0EEEvSJ_, .Lfunc_end412-_ZN7rocprim17ROCPRIM_400000_NS6detail17trampoline_kernelINS0_14default_configENS1_38merge_sort_block_merge_config_selectorIiNS0_10empty_typeEEEZZNS1_27merge_sort_block_merge_implIS3_N6thrust23THRUST_200600_302600_NS6detail15normal_iteratorINS9_10device_ptrIiEEEEPS5_m17evens_before_oddsEE10hipError_tT0_T1_T2_jT3_P12ihipStream_tbPNSt15iterator_traitsISI_E10value_typeEPNSO_ISJ_E10value_typeEPSK_NS1_7vsmem_tEENKUlT_SI_SJ_SK_E_clIPiSE_SF_SF_EESH_SX_SI_SJ_SK_EUlSX_E_NS1_11comp_targetILNS1_3genE3ELNS1_11target_archE908ELNS1_3gpuE7ELNS1_3repE0EEENS1_48merge_mergepath_partition_config_static_selectorELNS0_4arch9wavefront6targetE0EEEvSJ_
                                        ; -- End function
	.set _ZN7rocprim17ROCPRIM_400000_NS6detail17trampoline_kernelINS0_14default_configENS1_38merge_sort_block_merge_config_selectorIiNS0_10empty_typeEEEZZNS1_27merge_sort_block_merge_implIS3_N6thrust23THRUST_200600_302600_NS6detail15normal_iteratorINS9_10device_ptrIiEEEEPS5_m17evens_before_oddsEE10hipError_tT0_T1_T2_jT3_P12ihipStream_tbPNSt15iterator_traitsISI_E10value_typeEPNSO_ISJ_E10value_typeEPSK_NS1_7vsmem_tEENKUlT_SI_SJ_SK_E_clIPiSE_SF_SF_EESH_SX_SI_SJ_SK_EUlSX_E_NS1_11comp_targetILNS1_3genE3ELNS1_11target_archE908ELNS1_3gpuE7ELNS1_3repE0EEENS1_48merge_mergepath_partition_config_static_selectorELNS0_4arch9wavefront6targetE0EEEvSJ_.num_vgpr, 0
	.set _ZN7rocprim17ROCPRIM_400000_NS6detail17trampoline_kernelINS0_14default_configENS1_38merge_sort_block_merge_config_selectorIiNS0_10empty_typeEEEZZNS1_27merge_sort_block_merge_implIS3_N6thrust23THRUST_200600_302600_NS6detail15normal_iteratorINS9_10device_ptrIiEEEEPS5_m17evens_before_oddsEE10hipError_tT0_T1_T2_jT3_P12ihipStream_tbPNSt15iterator_traitsISI_E10value_typeEPNSO_ISJ_E10value_typeEPSK_NS1_7vsmem_tEENKUlT_SI_SJ_SK_E_clIPiSE_SF_SF_EESH_SX_SI_SJ_SK_EUlSX_E_NS1_11comp_targetILNS1_3genE3ELNS1_11target_archE908ELNS1_3gpuE7ELNS1_3repE0EEENS1_48merge_mergepath_partition_config_static_selectorELNS0_4arch9wavefront6targetE0EEEvSJ_.num_agpr, 0
	.set _ZN7rocprim17ROCPRIM_400000_NS6detail17trampoline_kernelINS0_14default_configENS1_38merge_sort_block_merge_config_selectorIiNS0_10empty_typeEEEZZNS1_27merge_sort_block_merge_implIS3_N6thrust23THRUST_200600_302600_NS6detail15normal_iteratorINS9_10device_ptrIiEEEEPS5_m17evens_before_oddsEE10hipError_tT0_T1_T2_jT3_P12ihipStream_tbPNSt15iterator_traitsISI_E10value_typeEPNSO_ISJ_E10value_typeEPSK_NS1_7vsmem_tEENKUlT_SI_SJ_SK_E_clIPiSE_SF_SF_EESH_SX_SI_SJ_SK_EUlSX_E_NS1_11comp_targetILNS1_3genE3ELNS1_11target_archE908ELNS1_3gpuE7ELNS1_3repE0EEENS1_48merge_mergepath_partition_config_static_selectorELNS0_4arch9wavefront6targetE0EEEvSJ_.numbered_sgpr, 0
	.set _ZN7rocprim17ROCPRIM_400000_NS6detail17trampoline_kernelINS0_14default_configENS1_38merge_sort_block_merge_config_selectorIiNS0_10empty_typeEEEZZNS1_27merge_sort_block_merge_implIS3_N6thrust23THRUST_200600_302600_NS6detail15normal_iteratorINS9_10device_ptrIiEEEEPS5_m17evens_before_oddsEE10hipError_tT0_T1_T2_jT3_P12ihipStream_tbPNSt15iterator_traitsISI_E10value_typeEPNSO_ISJ_E10value_typeEPSK_NS1_7vsmem_tEENKUlT_SI_SJ_SK_E_clIPiSE_SF_SF_EESH_SX_SI_SJ_SK_EUlSX_E_NS1_11comp_targetILNS1_3genE3ELNS1_11target_archE908ELNS1_3gpuE7ELNS1_3repE0EEENS1_48merge_mergepath_partition_config_static_selectorELNS0_4arch9wavefront6targetE0EEEvSJ_.num_named_barrier, 0
	.set _ZN7rocprim17ROCPRIM_400000_NS6detail17trampoline_kernelINS0_14default_configENS1_38merge_sort_block_merge_config_selectorIiNS0_10empty_typeEEEZZNS1_27merge_sort_block_merge_implIS3_N6thrust23THRUST_200600_302600_NS6detail15normal_iteratorINS9_10device_ptrIiEEEEPS5_m17evens_before_oddsEE10hipError_tT0_T1_T2_jT3_P12ihipStream_tbPNSt15iterator_traitsISI_E10value_typeEPNSO_ISJ_E10value_typeEPSK_NS1_7vsmem_tEENKUlT_SI_SJ_SK_E_clIPiSE_SF_SF_EESH_SX_SI_SJ_SK_EUlSX_E_NS1_11comp_targetILNS1_3genE3ELNS1_11target_archE908ELNS1_3gpuE7ELNS1_3repE0EEENS1_48merge_mergepath_partition_config_static_selectorELNS0_4arch9wavefront6targetE0EEEvSJ_.private_seg_size, 0
	.set _ZN7rocprim17ROCPRIM_400000_NS6detail17trampoline_kernelINS0_14default_configENS1_38merge_sort_block_merge_config_selectorIiNS0_10empty_typeEEEZZNS1_27merge_sort_block_merge_implIS3_N6thrust23THRUST_200600_302600_NS6detail15normal_iteratorINS9_10device_ptrIiEEEEPS5_m17evens_before_oddsEE10hipError_tT0_T1_T2_jT3_P12ihipStream_tbPNSt15iterator_traitsISI_E10value_typeEPNSO_ISJ_E10value_typeEPSK_NS1_7vsmem_tEENKUlT_SI_SJ_SK_E_clIPiSE_SF_SF_EESH_SX_SI_SJ_SK_EUlSX_E_NS1_11comp_targetILNS1_3genE3ELNS1_11target_archE908ELNS1_3gpuE7ELNS1_3repE0EEENS1_48merge_mergepath_partition_config_static_selectorELNS0_4arch9wavefront6targetE0EEEvSJ_.uses_vcc, 0
	.set _ZN7rocprim17ROCPRIM_400000_NS6detail17trampoline_kernelINS0_14default_configENS1_38merge_sort_block_merge_config_selectorIiNS0_10empty_typeEEEZZNS1_27merge_sort_block_merge_implIS3_N6thrust23THRUST_200600_302600_NS6detail15normal_iteratorINS9_10device_ptrIiEEEEPS5_m17evens_before_oddsEE10hipError_tT0_T1_T2_jT3_P12ihipStream_tbPNSt15iterator_traitsISI_E10value_typeEPNSO_ISJ_E10value_typeEPSK_NS1_7vsmem_tEENKUlT_SI_SJ_SK_E_clIPiSE_SF_SF_EESH_SX_SI_SJ_SK_EUlSX_E_NS1_11comp_targetILNS1_3genE3ELNS1_11target_archE908ELNS1_3gpuE7ELNS1_3repE0EEENS1_48merge_mergepath_partition_config_static_selectorELNS0_4arch9wavefront6targetE0EEEvSJ_.uses_flat_scratch, 0
	.set _ZN7rocprim17ROCPRIM_400000_NS6detail17trampoline_kernelINS0_14default_configENS1_38merge_sort_block_merge_config_selectorIiNS0_10empty_typeEEEZZNS1_27merge_sort_block_merge_implIS3_N6thrust23THRUST_200600_302600_NS6detail15normal_iteratorINS9_10device_ptrIiEEEEPS5_m17evens_before_oddsEE10hipError_tT0_T1_T2_jT3_P12ihipStream_tbPNSt15iterator_traitsISI_E10value_typeEPNSO_ISJ_E10value_typeEPSK_NS1_7vsmem_tEENKUlT_SI_SJ_SK_E_clIPiSE_SF_SF_EESH_SX_SI_SJ_SK_EUlSX_E_NS1_11comp_targetILNS1_3genE3ELNS1_11target_archE908ELNS1_3gpuE7ELNS1_3repE0EEENS1_48merge_mergepath_partition_config_static_selectorELNS0_4arch9wavefront6targetE0EEEvSJ_.has_dyn_sized_stack, 0
	.set _ZN7rocprim17ROCPRIM_400000_NS6detail17trampoline_kernelINS0_14default_configENS1_38merge_sort_block_merge_config_selectorIiNS0_10empty_typeEEEZZNS1_27merge_sort_block_merge_implIS3_N6thrust23THRUST_200600_302600_NS6detail15normal_iteratorINS9_10device_ptrIiEEEEPS5_m17evens_before_oddsEE10hipError_tT0_T1_T2_jT3_P12ihipStream_tbPNSt15iterator_traitsISI_E10value_typeEPNSO_ISJ_E10value_typeEPSK_NS1_7vsmem_tEENKUlT_SI_SJ_SK_E_clIPiSE_SF_SF_EESH_SX_SI_SJ_SK_EUlSX_E_NS1_11comp_targetILNS1_3genE3ELNS1_11target_archE908ELNS1_3gpuE7ELNS1_3repE0EEENS1_48merge_mergepath_partition_config_static_selectorELNS0_4arch9wavefront6targetE0EEEvSJ_.has_recursion, 0
	.set _ZN7rocprim17ROCPRIM_400000_NS6detail17trampoline_kernelINS0_14default_configENS1_38merge_sort_block_merge_config_selectorIiNS0_10empty_typeEEEZZNS1_27merge_sort_block_merge_implIS3_N6thrust23THRUST_200600_302600_NS6detail15normal_iteratorINS9_10device_ptrIiEEEEPS5_m17evens_before_oddsEE10hipError_tT0_T1_T2_jT3_P12ihipStream_tbPNSt15iterator_traitsISI_E10value_typeEPNSO_ISJ_E10value_typeEPSK_NS1_7vsmem_tEENKUlT_SI_SJ_SK_E_clIPiSE_SF_SF_EESH_SX_SI_SJ_SK_EUlSX_E_NS1_11comp_targetILNS1_3genE3ELNS1_11target_archE908ELNS1_3gpuE7ELNS1_3repE0EEENS1_48merge_mergepath_partition_config_static_selectorELNS0_4arch9wavefront6targetE0EEEvSJ_.has_indirect_call, 0
	.section	.AMDGPU.csdata,"",@progbits
; Kernel info:
; codeLenInByte = 0
; TotalNumSgprs: 0
; NumVgprs: 0
; ScratchSize: 0
; MemoryBound: 0
; FloatMode: 240
; IeeeMode: 1
; LDSByteSize: 0 bytes/workgroup (compile time only)
; SGPRBlocks: 0
; VGPRBlocks: 0
; NumSGPRsForWavesPerEU: 1
; NumVGPRsForWavesPerEU: 1
; Occupancy: 16
; WaveLimiterHint : 0
; COMPUTE_PGM_RSRC2:SCRATCH_EN: 0
; COMPUTE_PGM_RSRC2:USER_SGPR: 6
; COMPUTE_PGM_RSRC2:TRAP_HANDLER: 0
; COMPUTE_PGM_RSRC2:TGID_X_EN: 1
; COMPUTE_PGM_RSRC2:TGID_Y_EN: 0
; COMPUTE_PGM_RSRC2:TGID_Z_EN: 0
; COMPUTE_PGM_RSRC2:TIDIG_COMP_CNT: 0
	.section	.text._ZN7rocprim17ROCPRIM_400000_NS6detail17trampoline_kernelINS0_14default_configENS1_38merge_sort_block_merge_config_selectorIiNS0_10empty_typeEEEZZNS1_27merge_sort_block_merge_implIS3_N6thrust23THRUST_200600_302600_NS6detail15normal_iteratorINS9_10device_ptrIiEEEEPS5_m17evens_before_oddsEE10hipError_tT0_T1_T2_jT3_P12ihipStream_tbPNSt15iterator_traitsISI_E10value_typeEPNSO_ISJ_E10value_typeEPSK_NS1_7vsmem_tEENKUlT_SI_SJ_SK_E_clIPiSE_SF_SF_EESH_SX_SI_SJ_SK_EUlSX_E_NS1_11comp_targetILNS1_3genE2ELNS1_11target_archE906ELNS1_3gpuE6ELNS1_3repE0EEENS1_48merge_mergepath_partition_config_static_selectorELNS0_4arch9wavefront6targetE0EEEvSJ_,"axG",@progbits,_ZN7rocprim17ROCPRIM_400000_NS6detail17trampoline_kernelINS0_14default_configENS1_38merge_sort_block_merge_config_selectorIiNS0_10empty_typeEEEZZNS1_27merge_sort_block_merge_implIS3_N6thrust23THRUST_200600_302600_NS6detail15normal_iteratorINS9_10device_ptrIiEEEEPS5_m17evens_before_oddsEE10hipError_tT0_T1_T2_jT3_P12ihipStream_tbPNSt15iterator_traitsISI_E10value_typeEPNSO_ISJ_E10value_typeEPSK_NS1_7vsmem_tEENKUlT_SI_SJ_SK_E_clIPiSE_SF_SF_EESH_SX_SI_SJ_SK_EUlSX_E_NS1_11comp_targetILNS1_3genE2ELNS1_11target_archE906ELNS1_3gpuE6ELNS1_3repE0EEENS1_48merge_mergepath_partition_config_static_selectorELNS0_4arch9wavefront6targetE0EEEvSJ_,comdat
	.protected	_ZN7rocprim17ROCPRIM_400000_NS6detail17trampoline_kernelINS0_14default_configENS1_38merge_sort_block_merge_config_selectorIiNS0_10empty_typeEEEZZNS1_27merge_sort_block_merge_implIS3_N6thrust23THRUST_200600_302600_NS6detail15normal_iteratorINS9_10device_ptrIiEEEEPS5_m17evens_before_oddsEE10hipError_tT0_T1_T2_jT3_P12ihipStream_tbPNSt15iterator_traitsISI_E10value_typeEPNSO_ISJ_E10value_typeEPSK_NS1_7vsmem_tEENKUlT_SI_SJ_SK_E_clIPiSE_SF_SF_EESH_SX_SI_SJ_SK_EUlSX_E_NS1_11comp_targetILNS1_3genE2ELNS1_11target_archE906ELNS1_3gpuE6ELNS1_3repE0EEENS1_48merge_mergepath_partition_config_static_selectorELNS0_4arch9wavefront6targetE0EEEvSJ_ ; -- Begin function _ZN7rocprim17ROCPRIM_400000_NS6detail17trampoline_kernelINS0_14default_configENS1_38merge_sort_block_merge_config_selectorIiNS0_10empty_typeEEEZZNS1_27merge_sort_block_merge_implIS3_N6thrust23THRUST_200600_302600_NS6detail15normal_iteratorINS9_10device_ptrIiEEEEPS5_m17evens_before_oddsEE10hipError_tT0_T1_T2_jT3_P12ihipStream_tbPNSt15iterator_traitsISI_E10value_typeEPNSO_ISJ_E10value_typeEPSK_NS1_7vsmem_tEENKUlT_SI_SJ_SK_E_clIPiSE_SF_SF_EESH_SX_SI_SJ_SK_EUlSX_E_NS1_11comp_targetILNS1_3genE2ELNS1_11target_archE906ELNS1_3gpuE6ELNS1_3repE0EEENS1_48merge_mergepath_partition_config_static_selectorELNS0_4arch9wavefront6targetE0EEEvSJ_
	.globl	_ZN7rocprim17ROCPRIM_400000_NS6detail17trampoline_kernelINS0_14default_configENS1_38merge_sort_block_merge_config_selectorIiNS0_10empty_typeEEEZZNS1_27merge_sort_block_merge_implIS3_N6thrust23THRUST_200600_302600_NS6detail15normal_iteratorINS9_10device_ptrIiEEEEPS5_m17evens_before_oddsEE10hipError_tT0_T1_T2_jT3_P12ihipStream_tbPNSt15iterator_traitsISI_E10value_typeEPNSO_ISJ_E10value_typeEPSK_NS1_7vsmem_tEENKUlT_SI_SJ_SK_E_clIPiSE_SF_SF_EESH_SX_SI_SJ_SK_EUlSX_E_NS1_11comp_targetILNS1_3genE2ELNS1_11target_archE906ELNS1_3gpuE6ELNS1_3repE0EEENS1_48merge_mergepath_partition_config_static_selectorELNS0_4arch9wavefront6targetE0EEEvSJ_
	.p2align	8
	.type	_ZN7rocprim17ROCPRIM_400000_NS6detail17trampoline_kernelINS0_14default_configENS1_38merge_sort_block_merge_config_selectorIiNS0_10empty_typeEEEZZNS1_27merge_sort_block_merge_implIS3_N6thrust23THRUST_200600_302600_NS6detail15normal_iteratorINS9_10device_ptrIiEEEEPS5_m17evens_before_oddsEE10hipError_tT0_T1_T2_jT3_P12ihipStream_tbPNSt15iterator_traitsISI_E10value_typeEPNSO_ISJ_E10value_typeEPSK_NS1_7vsmem_tEENKUlT_SI_SJ_SK_E_clIPiSE_SF_SF_EESH_SX_SI_SJ_SK_EUlSX_E_NS1_11comp_targetILNS1_3genE2ELNS1_11target_archE906ELNS1_3gpuE6ELNS1_3repE0EEENS1_48merge_mergepath_partition_config_static_selectorELNS0_4arch9wavefront6targetE0EEEvSJ_,@function
_ZN7rocprim17ROCPRIM_400000_NS6detail17trampoline_kernelINS0_14default_configENS1_38merge_sort_block_merge_config_selectorIiNS0_10empty_typeEEEZZNS1_27merge_sort_block_merge_implIS3_N6thrust23THRUST_200600_302600_NS6detail15normal_iteratorINS9_10device_ptrIiEEEEPS5_m17evens_before_oddsEE10hipError_tT0_T1_T2_jT3_P12ihipStream_tbPNSt15iterator_traitsISI_E10value_typeEPNSO_ISJ_E10value_typeEPSK_NS1_7vsmem_tEENKUlT_SI_SJ_SK_E_clIPiSE_SF_SF_EESH_SX_SI_SJ_SK_EUlSX_E_NS1_11comp_targetILNS1_3genE2ELNS1_11target_archE906ELNS1_3gpuE6ELNS1_3repE0EEENS1_48merge_mergepath_partition_config_static_selectorELNS0_4arch9wavefront6targetE0EEEvSJ_: ; @_ZN7rocprim17ROCPRIM_400000_NS6detail17trampoline_kernelINS0_14default_configENS1_38merge_sort_block_merge_config_selectorIiNS0_10empty_typeEEEZZNS1_27merge_sort_block_merge_implIS3_N6thrust23THRUST_200600_302600_NS6detail15normal_iteratorINS9_10device_ptrIiEEEEPS5_m17evens_before_oddsEE10hipError_tT0_T1_T2_jT3_P12ihipStream_tbPNSt15iterator_traitsISI_E10value_typeEPNSO_ISJ_E10value_typeEPSK_NS1_7vsmem_tEENKUlT_SI_SJ_SK_E_clIPiSE_SF_SF_EESH_SX_SI_SJ_SK_EUlSX_E_NS1_11comp_targetILNS1_3genE2ELNS1_11target_archE906ELNS1_3gpuE6ELNS1_3repE0EEENS1_48merge_mergepath_partition_config_static_selectorELNS0_4arch9wavefront6targetE0EEEvSJ_
; %bb.0:
	.section	.rodata,"a",@progbits
	.p2align	6, 0x0
	.amdhsa_kernel _ZN7rocprim17ROCPRIM_400000_NS6detail17trampoline_kernelINS0_14default_configENS1_38merge_sort_block_merge_config_selectorIiNS0_10empty_typeEEEZZNS1_27merge_sort_block_merge_implIS3_N6thrust23THRUST_200600_302600_NS6detail15normal_iteratorINS9_10device_ptrIiEEEEPS5_m17evens_before_oddsEE10hipError_tT0_T1_T2_jT3_P12ihipStream_tbPNSt15iterator_traitsISI_E10value_typeEPNSO_ISJ_E10value_typeEPSK_NS1_7vsmem_tEENKUlT_SI_SJ_SK_E_clIPiSE_SF_SF_EESH_SX_SI_SJ_SK_EUlSX_E_NS1_11comp_targetILNS1_3genE2ELNS1_11target_archE906ELNS1_3gpuE6ELNS1_3repE0EEENS1_48merge_mergepath_partition_config_static_selectorELNS0_4arch9wavefront6targetE0EEEvSJ_
		.amdhsa_group_segment_fixed_size 0
		.amdhsa_private_segment_fixed_size 0
		.amdhsa_kernarg_size 48
		.amdhsa_user_sgpr_count 6
		.amdhsa_user_sgpr_private_segment_buffer 1
		.amdhsa_user_sgpr_dispatch_ptr 0
		.amdhsa_user_sgpr_queue_ptr 0
		.amdhsa_user_sgpr_kernarg_segment_ptr 1
		.amdhsa_user_sgpr_dispatch_id 0
		.amdhsa_user_sgpr_flat_scratch_init 0
		.amdhsa_user_sgpr_private_segment_size 0
		.amdhsa_wavefront_size32 1
		.amdhsa_uses_dynamic_stack 0
		.amdhsa_system_sgpr_private_segment_wavefront_offset 0
		.amdhsa_system_sgpr_workgroup_id_x 1
		.amdhsa_system_sgpr_workgroup_id_y 0
		.amdhsa_system_sgpr_workgroup_id_z 0
		.amdhsa_system_sgpr_workgroup_info 0
		.amdhsa_system_vgpr_workitem_id 0
		.amdhsa_next_free_vgpr 1
		.amdhsa_next_free_sgpr 1
		.amdhsa_reserve_vcc 0
		.amdhsa_reserve_flat_scratch 0
		.amdhsa_float_round_mode_32 0
		.amdhsa_float_round_mode_16_64 0
		.amdhsa_float_denorm_mode_32 3
		.amdhsa_float_denorm_mode_16_64 3
		.amdhsa_dx10_clamp 1
		.amdhsa_ieee_mode 1
		.amdhsa_fp16_overflow 0
		.amdhsa_workgroup_processor_mode 1
		.amdhsa_memory_ordered 1
		.amdhsa_forward_progress 1
		.amdhsa_shared_vgpr_count 0
		.amdhsa_exception_fp_ieee_invalid_op 0
		.amdhsa_exception_fp_denorm_src 0
		.amdhsa_exception_fp_ieee_div_zero 0
		.amdhsa_exception_fp_ieee_overflow 0
		.amdhsa_exception_fp_ieee_underflow 0
		.amdhsa_exception_fp_ieee_inexact 0
		.amdhsa_exception_int_div_zero 0
	.end_amdhsa_kernel
	.section	.text._ZN7rocprim17ROCPRIM_400000_NS6detail17trampoline_kernelINS0_14default_configENS1_38merge_sort_block_merge_config_selectorIiNS0_10empty_typeEEEZZNS1_27merge_sort_block_merge_implIS3_N6thrust23THRUST_200600_302600_NS6detail15normal_iteratorINS9_10device_ptrIiEEEEPS5_m17evens_before_oddsEE10hipError_tT0_T1_T2_jT3_P12ihipStream_tbPNSt15iterator_traitsISI_E10value_typeEPNSO_ISJ_E10value_typeEPSK_NS1_7vsmem_tEENKUlT_SI_SJ_SK_E_clIPiSE_SF_SF_EESH_SX_SI_SJ_SK_EUlSX_E_NS1_11comp_targetILNS1_3genE2ELNS1_11target_archE906ELNS1_3gpuE6ELNS1_3repE0EEENS1_48merge_mergepath_partition_config_static_selectorELNS0_4arch9wavefront6targetE0EEEvSJ_,"axG",@progbits,_ZN7rocprim17ROCPRIM_400000_NS6detail17trampoline_kernelINS0_14default_configENS1_38merge_sort_block_merge_config_selectorIiNS0_10empty_typeEEEZZNS1_27merge_sort_block_merge_implIS3_N6thrust23THRUST_200600_302600_NS6detail15normal_iteratorINS9_10device_ptrIiEEEEPS5_m17evens_before_oddsEE10hipError_tT0_T1_T2_jT3_P12ihipStream_tbPNSt15iterator_traitsISI_E10value_typeEPNSO_ISJ_E10value_typeEPSK_NS1_7vsmem_tEENKUlT_SI_SJ_SK_E_clIPiSE_SF_SF_EESH_SX_SI_SJ_SK_EUlSX_E_NS1_11comp_targetILNS1_3genE2ELNS1_11target_archE906ELNS1_3gpuE6ELNS1_3repE0EEENS1_48merge_mergepath_partition_config_static_selectorELNS0_4arch9wavefront6targetE0EEEvSJ_,comdat
.Lfunc_end413:
	.size	_ZN7rocprim17ROCPRIM_400000_NS6detail17trampoline_kernelINS0_14default_configENS1_38merge_sort_block_merge_config_selectorIiNS0_10empty_typeEEEZZNS1_27merge_sort_block_merge_implIS3_N6thrust23THRUST_200600_302600_NS6detail15normal_iteratorINS9_10device_ptrIiEEEEPS5_m17evens_before_oddsEE10hipError_tT0_T1_T2_jT3_P12ihipStream_tbPNSt15iterator_traitsISI_E10value_typeEPNSO_ISJ_E10value_typeEPSK_NS1_7vsmem_tEENKUlT_SI_SJ_SK_E_clIPiSE_SF_SF_EESH_SX_SI_SJ_SK_EUlSX_E_NS1_11comp_targetILNS1_3genE2ELNS1_11target_archE906ELNS1_3gpuE6ELNS1_3repE0EEENS1_48merge_mergepath_partition_config_static_selectorELNS0_4arch9wavefront6targetE0EEEvSJ_, .Lfunc_end413-_ZN7rocprim17ROCPRIM_400000_NS6detail17trampoline_kernelINS0_14default_configENS1_38merge_sort_block_merge_config_selectorIiNS0_10empty_typeEEEZZNS1_27merge_sort_block_merge_implIS3_N6thrust23THRUST_200600_302600_NS6detail15normal_iteratorINS9_10device_ptrIiEEEEPS5_m17evens_before_oddsEE10hipError_tT0_T1_T2_jT3_P12ihipStream_tbPNSt15iterator_traitsISI_E10value_typeEPNSO_ISJ_E10value_typeEPSK_NS1_7vsmem_tEENKUlT_SI_SJ_SK_E_clIPiSE_SF_SF_EESH_SX_SI_SJ_SK_EUlSX_E_NS1_11comp_targetILNS1_3genE2ELNS1_11target_archE906ELNS1_3gpuE6ELNS1_3repE0EEENS1_48merge_mergepath_partition_config_static_selectorELNS0_4arch9wavefront6targetE0EEEvSJ_
                                        ; -- End function
	.set _ZN7rocprim17ROCPRIM_400000_NS6detail17trampoline_kernelINS0_14default_configENS1_38merge_sort_block_merge_config_selectorIiNS0_10empty_typeEEEZZNS1_27merge_sort_block_merge_implIS3_N6thrust23THRUST_200600_302600_NS6detail15normal_iteratorINS9_10device_ptrIiEEEEPS5_m17evens_before_oddsEE10hipError_tT0_T1_T2_jT3_P12ihipStream_tbPNSt15iterator_traitsISI_E10value_typeEPNSO_ISJ_E10value_typeEPSK_NS1_7vsmem_tEENKUlT_SI_SJ_SK_E_clIPiSE_SF_SF_EESH_SX_SI_SJ_SK_EUlSX_E_NS1_11comp_targetILNS1_3genE2ELNS1_11target_archE906ELNS1_3gpuE6ELNS1_3repE0EEENS1_48merge_mergepath_partition_config_static_selectorELNS0_4arch9wavefront6targetE0EEEvSJ_.num_vgpr, 0
	.set _ZN7rocprim17ROCPRIM_400000_NS6detail17trampoline_kernelINS0_14default_configENS1_38merge_sort_block_merge_config_selectorIiNS0_10empty_typeEEEZZNS1_27merge_sort_block_merge_implIS3_N6thrust23THRUST_200600_302600_NS6detail15normal_iteratorINS9_10device_ptrIiEEEEPS5_m17evens_before_oddsEE10hipError_tT0_T1_T2_jT3_P12ihipStream_tbPNSt15iterator_traitsISI_E10value_typeEPNSO_ISJ_E10value_typeEPSK_NS1_7vsmem_tEENKUlT_SI_SJ_SK_E_clIPiSE_SF_SF_EESH_SX_SI_SJ_SK_EUlSX_E_NS1_11comp_targetILNS1_3genE2ELNS1_11target_archE906ELNS1_3gpuE6ELNS1_3repE0EEENS1_48merge_mergepath_partition_config_static_selectorELNS0_4arch9wavefront6targetE0EEEvSJ_.num_agpr, 0
	.set _ZN7rocprim17ROCPRIM_400000_NS6detail17trampoline_kernelINS0_14default_configENS1_38merge_sort_block_merge_config_selectorIiNS0_10empty_typeEEEZZNS1_27merge_sort_block_merge_implIS3_N6thrust23THRUST_200600_302600_NS6detail15normal_iteratorINS9_10device_ptrIiEEEEPS5_m17evens_before_oddsEE10hipError_tT0_T1_T2_jT3_P12ihipStream_tbPNSt15iterator_traitsISI_E10value_typeEPNSO_ISJ_E10value_typeEPSK_NS1_7vsmem_tEENKUlT_SI_SJ_SK_E_clIPiSE_SF_SF_EESH_SX_SI_SJ_SK_EUlSX_E_NS1_11comp_targetILNS1_3genE2ELNS1_11target_archE906ELNS1_3gpuE6ELNS1_3repE0EEENS1_48merge_mergepath_partition_config_static_selectorELNS0_4arch9wavefront6targetE0EEEvSJ_.numbered_sgpr, 0
	.set _ZN7rocprim17ROCPRIM_400000_NS6detail17trampoline_kernelINS0_14default_configENS1_38merge_sort_block_merge_config_selectorIiNS0_10empty_typeEEEZZNS1_27merge_sort_block_merge_implIS3_N6thrust23THRUST_200600_302600_NS6detail15normal_iteratorINS9_10device_ptrIiEEEEPS5_m17evens_before_oddsEE10hipError_tT0_T1_T2_jT3_P12ihipStream_tbPNSt15iterator_traitsISI_E10value_typeEPNSO_ISJ_E10value_typeEPSK_NS1_7vsmem_tEENKUlT_SI_SJ_SK_E_clIPiSE_SF_SF_EESH_SX_SI_SJ_SK_EUlSX_E_NS1_11comp_targetILNS1_3genE2ELNS1_11target_archE906ELNS1_3gpuE6ELNS1_3repE0EEENS1_48merge_mergepath_partition_config_static_selectorELNS0_4arch9wavefront6targetE0EEEvSJ_.num_named_barrier, 0
	.set _ZN7rocprim17ROCPRIM_400000_NS6detail17trampoline_kernelINS0_14default_configENS1_38merge_sort_block_merge_config_selectorIiNS0_10empty_typeEEEZZNS1_27merge_sort_block_merge_implIS3_N6thrust23THRUST_200600_302600_NS6detail15normal_iteratorINS9_10device_ptrIiEEEEPS5_m17evens_before_oddsEE10hipError_tT0_T1_T2_jT3_P12ihipStream_tbPNSt15iterator_traitsISI_E10value_typeEPNSO_ISJ_E10value_typeEPSK_NS1_7vsmem_tEENKUlT_SI_SJ_SK_E_clIPiSE_SF_SF_EESH_SX_SI_SJ_SK_EUlSX_E_NS1_11comp_targetILNS1_3genE2ELNS1_11target_archE906ELNS1_3gpuE6ELNS1_3repE0EEENS1_48merge_mergepath_partition_config_static_selectorELNS0_4arch9wavefront6targetE0EEEvSJ_.private_seg_size, 0
	.set _ZN7rocprim17ROCPRIM_400000_NS6detail17trampoline_kernelINS0_14default_configENS1_38merge_sort_block_merge_config_selectorIiNS0_10empty_typeEEEZZNS1_27merge_sort_block_merge_implIS3_N6thrust23THRUST_200600_302600_NS6detail15normal_iteratorINS9_10device_ptrIiEEEEPS5_m17evens_before_oddsEE10hipError_tT0_T1_T2_jT3_P12ihipStream_tbPNSt15iterator_traitsISI_E10value_typeEPNSO_ISJ_E10value_typeEPSK_NS1_7vsmem_tEENKUlT_SI_SJ_SK_E_clIPiSE_SF_SF_EESH_SX_SI_SJ_SK_EUlSX_E_NS1_11comp_targetILNS1_3genE2ELNS1_11target_archE906ELNS1_3gpuE6ELNS1_3repE0EEENS1_48merge_mergepath_partition_config_static_selectorELNS0_4arch9wavefront6targetE0EEEvSJ_.uses_vcc, 0
	.set _ZN7rocprim17ROCPRIM_400000_NS6detail17trampoline_kernelINS0_14default_configENS1_38merge_sort_block_merge_config_selectorIiNS0_10empty_typeEEEZZNS1_27merge_sort_block_merge_implIS3_N6thrust23THRUST_200600_302600_NS6detail15normal_iteratorINS9_10device_ptrIiEEEEPS5_m17evens_before_oddsEE10hipError_tT0_T1_T2_jT3_P12ihipStream_tbPNSt15iterator_traitsISI_E10value_typeEPNSO_ISJ_E10value_typeEPSK_NS1_7vsmem_tEENKUlT_SI_SJ_SK_E_clIPiSE_SF_SF_EESH_SX_SI_SJ_SK_EUlSX_E_NS1_11comp_targetILNS1_3genE2ELNS1_11target_archE906ELNS1_3gpuE6ELNS1_3repE0EEENS1_48merge_mergepath_partition_config_static_selectorELNS0_4arch9wavefront6targetE0EEEvSJ_.uses_flat_scratch, 0
	.set _ZN7rocprim17ROCPRIM_400000_NS6detail17trampoline_kernelINS0_14default_configENS1_38merge_sort_block_merge_config_selectorIiNS0_10empty_typeEEEZZNS1_27merge_sort_block_merge_implIS3_N6thrust23THRUST_200600_302600_NS6detail15normal_iteratorINS9_10device_ptrIiEEEEPS5_m17evens_before_oddsEE10hipError_tT0_T1_T2_jT3_P12ihipStream_tbPNSt15iterator_traitsISI_E10value_typeEPNSO_ISJ_E10value_typeEPSK_NS1_7vsmem_tEENKUlT_SI_SJ_SK_E_clIPiSE_SF_SF_EESH_SX_SI_SJ_SK_EUlSX_E_NS1_11comp_targetILNS1_3genE2ELNS1_11target_archE906ELNS1_3gpuE6ELNS1_3repE0EEENS1_48merge_mergepath_partition_config_static_selectorELNS0_4arch9wavefront6targetE0EEEvSJ_.has_dyn_sized_stack, 0
	.set _ZN7rocprim17ROCPRIM_400000_NS6detail17trampoline_kernelINS0_14default_configENS1_38merge_sort_block_merge_config_selectorIiNS0_10empty_typeEEEZZNS1_27merge_sort_block_merge_implIS3_N6thrust23THRUST_200600_302600_NS6detail15normal_iteratorINS9_10device_ptrIiEEEEPS5_m17evens_before_oddsEE10hipError_tT0_T1_T2_jT3_P12ihipStream_tbPNSt15iterator_traitsISI_E10value_typeEPNSO_ISJ_E10value_typeEPSK_NS1_7vsmem_tEENKUlT_SI_SJ_SK_E_clIPiSE_SF_SF_EESH_SX_SI_SJ_SK_EUlSX_E_NS1_11comp_targetILNS1_3genE2ELNS1_11target_archE906ELNS1_3gpuE6ELNS1_3repE0EEENS1_48merge_mergepath_partition_config_static_selectorELNS0_4arch9wavefront6targetE0EEEvSJ_.has_recursion, 0
	.set _ZN7rocprim17ROCPRIM_400000_NS6detail17trampoline_kernelINS0_14default_configENS1_38merge_sort_block_merge_config_selectorIiNS0_10empty_typeEEEZZNS1_27merge_sort_block_merge_implIS3_N6thrust23THRUST_200600_302600_NS6detail15normal_iteratorINS9_10device_ptrIiEEEEPS5_m17evens_before_oddsEE10hipError_tT0_T1_T2_jT3_P12ihipStream_tbPNSt15iterator_traitsISI_E10value_typeEPNSO_ISJ_E10value_typeEPSK_NS1_7vsmem_tEENKUlT_SI_SJ_SK_E_clIPiSE_SF_SF_EESH_SX_SI_SJ_SK_EUlSX_E_NS1_11comp_targetILNS1_3genE2ELNS1_11target_archE906ELNS1_3gpuE6ELNS1_3repE0EEENS1_48merge_mergepath_partition_config_static_selectorELNS0_4arch9wavefront6targetE0EEEvSJ_.has_indirect_call, 0
	.section	.AMDGPU.csdata,"",@progbits
; Kernel info:
; codeLenInByte = 0
; TotalNumSgprs: 0
; NumVgprs: 0
; ScratchSize: 0
; MemoryBound: 0
; FloatMode: 240
; IeeeMode: 1
; LDSByteSize: 0 bytes/workgroup (compile time only)
; SGPRBlocks: 0
; VGPRBlocks: 0
; NumSGPRsForWavesPerEU: 1
; NumVGPRsForWavesPerEU: 1
; Occupancy: 16
; WaveLimiterHint : 0
; COMPUTE_PGM_RSRC2:SCRATCH_EN: 0
; COMPUTE_PGM_RSRC2:USER_SGPR: 6
; COMPUTE_PGM_RSRC2:TRAP_HANDLER: 0
; COMPUTE_PGM_RSRC2:TGID_X_EN: 1
; COMPUTE_PGM_RSRC2:TGID_Y_EN: 0
; COMPUTE_PGM_RSRC2:TGID_Z_EN: 0
; COMPUTE_PGM_RSRC2:TIDIG_COMP_CNT: 0
	.section	.text._ZN7rocprim17ROCPRIM_400000_NS6detail17trampoline_kernelINS0_14default_configENS1_38merge_sort_block_merge_config_selectorIiNS0_10empty_typeEEEZZNS1_27merge_sort_block_merge_implIS3_N6thrust23THRUST_200600_302600_NS6detail15normal_iteratorINS9_10device_ptrIiEEEEPS5_m17evens_before_oddsEE10hipError_tT0_T1_T2_jT3_P12ihipStream_tbPNSt15iterator_traitsISI_E10value_typeEPNSO_ISJ_E10value_typeEPSK_NS1_7vsmem_tEENKUlT_SI_SJ_SK_E_clIPiSE_SF_SF_EESH_SX_SI_SJ_SK_EUlSX_E_NS1_11comp_targetILNS1_3genE9ELNS1_11target_archE1100ELNS1_3gpuE3ELNS1_3repE0EEENS1_48merge_mergepath_partition_config_static_selectorELNS0_4arch9wavefront6targetE0EEEvSJ_,"axG",@progbits,_ZN7rocprim17ROCPRIM_400000_NS6detail17trampoline_kernelINS0_14default_configENS1_38merge_sort_block_merge_config_selectorIiNS0_10empty_typeEEEZZNS1_27merge_sort_block_merge_implIS3_N6thrust23THRUST_200600_302600_NS6detail15normal_iteratorINS9_10device_ptrIiEEEEPS5_m17evens_before_oddsEE10hipError_tT0_T1_T2_jT3_P12ihipStream_tbPNSt15iterator_traitsISI_E10value_typeEPNSO_ISJ_E10value_typeEPSK_NS1_7vsmem_tEENKUlT_SI_SJ_SK_E_clIPiSE_SF_SF_EESH_SX_SI_SJ_SK_EUlSX_E_NS1_11comp_targetILNS1_3genE9ELNS1_11target_archE1100ELNS1_3gpuE3ELNS1_3repE0EEENS1_48merge_mergepath_partition_config_static_selectorELNS0_4arch9wavefront6targetE0EEEvSJ_,comdat
	.protected	_ZN7rocprim17ROCPRIM_400000_NS6detail17trampoline_kernelINS0_14default_configENS1_38merge_sort_block_merge_config_selectorIiNS0_10empty_typeEEEZZNS1_27merge_sort_block_merge_implIS3_N6thrust23THRUST_200600_302600_NS6detail15normal_iteratorINS9_10device_ptrIiEEEEPS5_m17evens_before_oddsEE10hipError_tT0_T1_T2_jT3_P12ihipStream_tbPNSt15iterator_traitsISI_E10value_typeEPNSO_ISJ_E10value_typeEPSK_NS1_7vsmem_tEENKUlT_SI_SJ_SK_E_clIPiSE_SF_SF_EESH_SX_SI_SJ_SK_EUlSX_E_NS1_11comp_targetILNS1_3genE9ELNS1_11target_archE1100ELNS1_3gpuE3ELNS1_3repE0EEENS1_48merge_mergepath_partition_config_static_selectorELNS0_4arch9wavefront6targetE0EEEvSJ_ ; -- Begin function _ZN7rocprim17ROCPRIM_400000_NS6detail17trampoline_kernelINS0_14default_configENS1_38merge_sort_block_merge_config_selectorIiNS0_10empty_typeEEEZZNS1_27merge_sort_block_merge_implIS3_N6thrust23THRUST_200600_302600_NS6detail15normal_iteratorINS9_10device_ptrIiEEEEPS5_m17evens_before_oddsEE10hipError_tT0_T1_T2_jT3_P12ihipStream_tbPNSt15iterator_traitsISI_E10value_typeEPNSO_ISJ_E10value_typeEPSK_NS1_7vsmem_tEENKUlT_SI_SJ_SK_E_clIPiSE_SF_SF_EESH_SX_SI_SJ_SK_EUlSX_E_NS1_11comp_targetILNS1_3genE9ELNS1_11target_archE1100ELNS1_3gpuE3ELNS1_3repE0EEENS1_48merge_mergepath_partition_config_static_selectorELNS0_4arch9wavefront6targetE0EEEvSJ_
	.globl	_ZN7rocprim17ROCPRIM_400000_NS6detail17trampoline_kernelINS0_14default_configENS1_38merge_sort_block_merge_config_selectorIiNS0_10empty_typeEEEZZNS1_27merge_sort_block_merge_implIS3_N6thrust23THRUST_200600_302600_NS6detail15normal_iteratorINS9_10device_ptrIiEEEEPS5_m17evens_before_oddsEE10hipError_tT0_T1_T2_jT3_P12ihipStream_tbPNSt15iterator_traitsISI_E10value_typeEPNSO_ISJ_E10value_typeEPSK_NS1_7vsmem_tEENKUlT_SI_SJ_SK_E_clIPiSE_SF_SF_EESH_SX_SI_SJ_SK_EUlSX_E_NS1_11comp_targetILNS1_3genE9ELNS1_11target_archE1100ELNS1_3gpuE3ELNS1_3repE0EEENS1_48merge_mergepath_partition_config_static_selectorELNS0_4arch9wavefront6targetE0EEEvSJ_
	.p2align	8
	.type	_ZN7rocprim17ROCPRIM_400000_NS6detail17trampoline_kernelINS0_14default_configENS1_38merge_sort_block_merge_config_selectorIiNS0_10empty_typeEEEZZNS1_27merge_sort_block_merge_implIS3_N6thrust23THRUST_200600_302600_NS6detail15normal_iteratorINS9_10device_ptrIiEEEEPS5_m17evens_before_oddsEE10hipError_tT0_T1_T2_jT3_P12ihipStream_tbPNSt15iterator_traitsISI_E10value_typeEPNSO_ISJ_E10value_typeEPSK_NS1_7vsmem_tEENKUlT_SI_SJ_SK_E_clIPiSE_SF_SF_EESH_SX_SI_SJ_SK_EUlSX_E_NS1_11comp_targetILNS1_3genE9ELNS1_11target_archE1100ELNS1_3gpuE3ELNS1_3repE0EEENS1_48merge_mergepath_partition_config_static_selectorELNS0_4arch9wavefront6targetE0EEEvSJ_,@function
_ZN7rocprim17ROCPRIM_400000_NS6detail17trampoline_kernelINS0_14default_configENS1_38merge_sort_block_merge_config_selectorIiNS0_10empty_typeEEEZZNS1_27merge_sort_block_merge_implIS3_N6thrust23THRUST_200600_302600_NS6detail15normal_iteratorINS9_10device_ptrIiEEEEPS5_m17evens_before_oddsEE10hipError_tT0_T1_T2_jT3_P12ihipStream_tbPNSt15iterator_traitsISI_E10value_typeEPNSO_ISJ_E10value_typeEPSK_NS1_7vsmem_tEENKUlT_SI_SJ_SK_E_clIPiSE_SF_SF_EESH_SX_SI_SJ_SK_EUlSX_E_NS1_11comp_targetILNS1_3genE9ELNS1_11target_archE1100ELNS1_3gpuE3ELNS1_3repE0EEENS1_48merge_mergepath_partition_config_static_selectorELNS0_4arch9wavefront6targetE0EEEvSJ_: ; @_ZN7rocprim17ROCPRIM_400000_NS6detail17trampoline_kernelINS0_14default_configENS1_38merge_sort_block_merge_config_selectorIiNS0_10empty_typeEEEZZNS1_27merge_sort_block_merge_implIS3_N6thrust23THRUST_200600_302600_NS6detail15normal_iteratorINS9_10device_ptrIiEEEEPS5_m17evens_before_oddsEE10hipError_tT0_T1_T2_jT3_P12ihipStream_tbPNSt15iterator_traitsISI_E10value_typeEPNSO_ISJ_E10value_typeEPSK_NS1_7vsmem_tEENKUlT_SI_SJ_SK_E_clIPiSE_SF_SF_EESH_SX_SI_SJ_SK_EUlSX_E_NS1_11comp_targetILNS1_3genE9ELNS1_11target_archE1100ELNS1_3gpuE3ELNS1_3repE0EEENS1_48merge_mergepath_partition_config_static_selectorELNS0_4arch9wavefront6targetE0EEEvSJ_
; %bb.0:
	.section	.rodata,"a",@progbits
	.p2align	6, 0x0
	.amdhsa_kernel _ZN7rocprim17ROCPRIM_400000_NS6detail17trampoline_kernelINS0_14default_configENS1_38merge_sort_block_merge_config_selectorIiNS0_10empty_typeEEEZZNS1_27merge_sort_block_merge_implIS3_N6thrust23THRUST_200600_302600_NS6detail15normal_iteratorINS9_10device_ptrIiEEEEPS5_m17evens_before_oddsEE10hipError_tT0_T1_T2_jT3_P12ihipStream_tbPNSt15iterator_traitsISI_E10value_typeEPNSO_ISJ_E10value_typeEPSK_NS1_7vsmem_tEENKUlT_SI_SJ_SK_E_clIPiSE_SF_SF_EESH_SX_SI_SJ_SK_EUlSX_E_NS1_11comp_targetILNS1_3genE9ELNS1_11target_archE1100ELNS1_3gpuE3ELNS1_3repE0EEENS1_48merge_mergepath_partition_config_static_selectorELNS0_4arch9wavefront6targetE0EEEvSJ_
		.amdhsa_group_segment_fixed_size 0
		.amdhsa_private_segment_fixed_size 0
		.amdhsa_kernarg_size 48
		.amdhsa_user_sgpr_count 6
		.amdhsa_user_sgpr_private_segment_buffer 1
		.amdhsa_user_sgpr_dispatch_ptr 0
		.amdhsa_user_sgpr_queue_ptr 0
		.amdhsa_user_sgpr_kernarg_segment_ptr 1
		.amdhsa_user_sgpr_dispatch_id 0
		.amdhsa_user_sgpr_flat_scratch_init 0
		.amdhsa_user_sgpr_private_segment_size 0
		.amdhsa_wavefront_size32 1
		.amdhsa_uses_dynamic_stack 0
		.amdhsa_system_sgpr_private_segment_wavefront_offset 0
		.amdhsa_system_sgpr_workgroup_id_x 1
		.amdhsa_system_sgpr_workgroup_id_y 0
		.amdhsa_system_sgpr_workgroup_id_z 0
		.amdhsa_system_sgpr_workgroup_info 0
		.amdhsa_system_vgpr_workitem_id 0
		.amdhsa_next_free_vgpr 1
		.amdhsa_next_free_sgpr 1
		.amdhsa_reserve_vcc 0
		.amdhsa_reserve_flat_scratch 0
		.amdhsa_float_round_mode_32 0
		.amdhsa_float_round_mode_16_64 0
		.amdhsa_float_denorm_mode_32 3
		.amdhsa_float_denorm_mode_16_64 3
		.amdhsa_dx10_clamp 1
		.amdhsa_ieee_mode 1
		.amdhsa_fp16_overflow 0
		.amdhsa_workgroup_processor_mode 1
		.amdhsa_memory_ordered 1
		.amdhsa_forward_progress 1
		.amdhsa_shared_vgpr_count 0
		.amdhsa_exception_fp_ieee_invalid_op 0
		.amdhsa_exception_fp_denorm_src 0
		.amdhsa_exception_fp_ieee_div_zero 0
		.amdhsa_exception_fp_ieee_overflow 0
		.amdhsa_exception_fp_ieee_underflow 0
		.amdhsa_exception_fp_ieee_inexact 0
		.amdhsa_exception_int_div_zero 0
	.end_amdhsa_kernel
	.section	.text._ZN7rocprim17ROCPRIM_400000_NS6detail17trampoline_kernelINS0_14default_configENS1_38merge_sort_block_merge_config_selectorIiNS0_10empty_typeEEEZZNS1_27merge_sort_block_merge_implIS3_N6thrust23THRUST_200600_302600_NS6detail15normal_iteratorINS9_10device_ptrIiEEEEPS5_m17evens_before_oddsEE10hipError_tT0_T1_T2_jT3_P12ihipStream_tbPNSt15iterator_traitsISI_E10value_typeEPNSO_ISJ_E10value_typeEPSK_NS1_7vsmem_tEENKUlT_SI_SJ_SK_E_clIPiSE_SF_SF_EESH_SX_SI_SJ_SK_EUlSX_E_NS1_11comp_targetILNS1_3genE9ELNS1_11target_archE1100ELNS1_3gpuE3ELNS1_3repE0EEENS1_48merge_mergepath_partition_config_static_selectorELNS0_4arch9wavefront6targetE0EEEvSJ_,"axG",@progbits,_ZN7rocprim17ROCPRIM_400000_NS6detail17trampoline_kernelINS0_14default_configENS1_38merge_sort_block_merge_config_selectorIiNS0_10empty_typeEEEZZNS1_27merge_sort_block_merge_implIS3_N6thrust23THRUST_200600_302600_NS6detail15normal_iteratorINS9_10device_ptrIiEEEEPS5_m17evens_before_oddsEE10hipError_tT0_T1_T2_jT3_P12ihipStream_tbPNSt15iterator_traitsISI_E10value_typeEPNSO_ISJ_E10value_typeEPSK_NS1_7vsmem_tEENKUlT_SI_SJ_SK_E_clIPiSE_SF_SF_EESH_SX_SI_SJ_SK_EUlSX_E_NS1_11comp_targetILNS1_3genE9ELNS1_11target_archE1100ELNS1_3gpuE3ELNS1_3repE0EEENS1_48merge_mergepath_partition_config_static_selectorELNS0_4arch9wavefront6targetE0EEEvSJ_,comdat
.Lfunc_end414:
	.size	_ZN7rocprim17ROCPRIM_400000_NS6detail17trampoline_kernelINS0_14default_configENS1_38merge_sort_block_merge_config_selectorIiNS0_10empty_typeEEEZZNS1_27merge_sort_block_merge_implIS3_N6thrust23THRUST_200600_302600_NS6detail15normal_iteratorINS9_10device_ptrIiEEEEPS5_m17evens_before_oddsEE10hipError_tT0_T1_T2_jT3_P12ihipStream_tbPNSt15iterator_traitsISI_E10value_typeEPNSO_ISJ_E10value_typeEPSK_NS1_7vsmem_tEENKUlT_SI_SJ_SK_E_clIPiSE_SF_SF_EESH_SX_SI_SJ_SK_EUlSX_E_NS1_11comp_targetILNS1_3genE9ELNS1_11target_archE1100ELNS1_3gpuE3ELNS1_3repE0EEENS1_48merge_mergepath_partition_config_static_selectorELNS0_4arch9wavefront6targetE0EEEvSJ_, .Lfunc_end414-_ZN7rocprim17ROCPRIM_400000_NS6detail17trampoline_kernelINS0_14default_configENS1_38merge_sort_block_merge_config_selectorIiNS0_10empty_typeEEEZZNS1_27merge_sort_block_merge_implIS3_N6thrust23THRUST_200600_302600_NS6detail15normal_iteratorINS9_10device_ptrIiEEEEPS5_m17evens_before_oddsEE10hipError_tT0_T1_T2_jT3_P12ihipStream_tbPNSt15iterator_traitsISI_E10value_typeEPNSO_ISJ_E10value_typeEPSK_NS1_7vsmem_tEENKUlT_SI_SJ_SK_E_clIPiSE_SF_SF_EESH_SX_SI_SJ_SK_EUlSX_E_NS1_11comp_targetILNS1_3genE9ELNS1_11target_archE1100ELNS1_3gpuE3ELNS1_3repE0EEENS1_48merge_mergepath_partition_config_static_selectorELNS0_4arch9wavefront6targetE0EEEvSJ_
                                        ; -- End function
	.set _ZN7rocprim17ROCPRIM_400000_NS6detail17trampoline_kernelINS0_14default_configENS1_38merge_sort_block_merge_config_selectorIiNS0_10empty_typeEEEZZNS1_27merge_sort_block_merge_implIS3_N6thrust23THRUST_200600_302600_NS6detail15normal_iteratorINS9_10device_ptrIiEEEEPS5_m17evens_before_oddsEE10hipError_tT0_T1_T2_jT3_P12ihipStream_tbPNSt15iterator_traitsISI_E10value_typeEPNSO_ISJ_E10value_typeEPSK_NS1_7vsmem_tEENKUlT_SI_SJ_SK_E_clIPiSE_SF_SF_EESH_SX_SI_SJ_SK_EUlSX_E_NS1_11comp_targetILNS1_3genE9ELNS1_11target_archE1100ELNS1_3gpuE3ELNS1_3repE0EEENS1_48merge_mergepath_partition_config_static_selectorELNS0_4arch9wavefront6targetE0EEEvSJ_.num_vgpr, 0
	.set _ZN7rocprim17ROCPRIM_400000_NS6detail17trampoline_kernelINS0_14default_configENS1_38merge_sort_block_merge_config_selectorIiNS0_10empty_typeEEEZZNS1_27merge_sort_block_merge_implIS3_N6thrust23THRUST_200600_302600_NS6detail15normal_iteratorINS9_10device_ptrIiEEEEPS5_m17evens_before_oddsEE10hipError_tT0_T1_T2_jT3_P12ihipStream_tbPNSt15iterator_traitsISI_E10value_typeEPNSO_ISJ_E10value_typeEPSK_NS1_7vsmem_tEENKUlT_SI_SJ_SK_E_clIPiSE_SF_SF_EESH_SX_SI_SJ_SK_EUlSX_E_NS1_11comp_targetILNS1_3genE9ELNS1_11target_archE1100ELNS1_3gpuE3ELNS1_3repE0EEENS1_48merge_mergepath_partition_config_static_selectorELNS0_4arch9wavefront6targetE0EEEvSJ_.num_agpr, 0
	.set _ZN7rocprim17ROCPRIM_400000_NS6detail17trampoline_kernelINS0_14default_configENS1_38merge_sort_block_merge_config_selectorIiNS0_10empty_typeEEEZZNS1_27merge_sort_block_merge_implIS3_N6thrust23THRUST_200600_302600_NS6detail15normal_iteratorINS9_10device_ptrIiEEEEPS5_m17evens_before_oddsEE10hipError_tT0_T1_T2_jT3_P12ihipStream_tbPNSt15iterator_traitsISI_E10value_typeEPNSO_ISJ_E10value_typeEPSK_NS1_7vsmem_tEENKUlT_SI_SJ_SK_E_clIPiSE_SF_SF_EESH_SX_SI_SJ_SK_EUlSX_E_NS1_11comp_targetILNS1_3genE9ELNS1_11target_archE1100ELNS1_3gpuE3ELNS1_3repE0EEENS1_48merge_mergepath_partition_config_static_selectorELNS0_4arch9wavefront6targetE0EEEvSJ_.numbered_sgpr, 0
	.set _ZN7rocprim17ROCPRIM_400000_NS6detail17trampoline_kernelINS0_14default_configENS1_38merge_sort_block_merge_config_selectorIiNS0_10empty_typeEEEZZNS1_27merge_sort_block_merge_implIS3_N6thrust23THRUST_200600_302600_NS6detail15normal_iteratorINS9_10device_ptrIiEEEEPS5_m17evens_before_oddsEE10hipError_tT0_T1_T2_jT3_P12ihipStream_tbPNSt15iterator_traitsISI_E10value_typeEPNSO_ISJ_E10value_typeEPSK_NS1_7vsmem_tEENKUlT_SI_SJ_SK_E_clIPiSE_SF_SF_EESH_SX_SI_SJ_SK_EUlSX_E_NS1_11comp_targetILNS1_3genE9ELNS1_11target_archE1100ELNS1_3gpuE3ELNS1_3repE0EEENS1_48merge_mergepath_partition_config_static_selectorELNS0_4arch9wavefront6targetE0EEEvSJ_.num_named_barrier, 0
	.set _ZN7rocprim17ROCPRIM_400000_NS6detail17trampoline_kernelINS0_14default_configENS1_38merge_sort_block_merge_config_selectorIiNS0_10empty_typeEEEZZNS1_27merge_sort_block_merge_implIS3_N6thrust23THRUST_200600_302600_NS6detail15normal_iteratorINS9_10device_ptrIiEEEEPS5_m17evens_before_oddsEE10hipError_tT0_T1_T2_jT3_P12ihipStream_tbPNSt15iterator_traitsISI_E10value_typeEPNSO_ISJ_E10value_typeEPSK_NS1_7vsmem_tEENKUlT_SI_SJ_SK_E_clIPiSE_SF_SF_EESH_SX_SI_SJ_SK_EUlSX_E_NS1_11comp_targetILNS1_3genE9ELNS1_11target_archE1100ELNS1_3gpuE3ELNS1_3repE0EEENS1_48merge_mergepath_partition_config_static_selectorELNS0_4arch9wavefront6targetE0EEEvSJ_.private_seg_size, 0
	.set _ZN7rocprim17ROCPRIM_400000_NS6detail17trampoline_kernelINS0_14default_configENS1_38merge_sort_block_merge_config_selectorIiNS0_10empty_typeEEEZZNS1_27merge_sort_block_merge_implIS3_N6thrust23THRUST_200600_302600_NS6detail15normal_iteratorINS9_10device_ptrIiEEEEPS5_m17evens_before_oddsEE10hipError_tT0_T1_T2_jT3_P12ihipStream_tbPNSt15iterator_traitsISI_E10value_typeEPNSO_ISJ_E10value_typeEPSK_NS1_7vsmem_tEENKUlT_SI_SJ_SK_E_clIPiSE_SF_SF_EESH_SX_SI_SJ_SK_EUlSX_E_NS1_11comp_targetILNS1_3genE9ELNS1_11target_archE1100ELNS1_3gpuE3ELNS1_3repE0EEENS1_48merge_mergepath_partition_config_static_selectorELNS0_4arch9wavefront6targetE0EEEvSJ_.uses_vcc, 0
	.set _ZN7rocprim17ROCPRIM_400000_NS6detail17trampoline_kernelINS0_14default_configENS1_38merge_sort_block_merge_config_selectorIiNS0_10empty_typeEEEZZNS1_27merge_sort_block_merge_implIS3_N6thrust23THRUST_200600_302600_NS6detail15normal_iteratorINS9_10device_ptrIiEEEEPS5_m17evens_before_oddsEE10hipError_tT0_T1_T2_jT3_P12ihipStream_tbPNSt15iterator_traitsISI_E10value_typeEPNSO_ISJ_E10value_typeEPSK_NS1_7vsmem_tEENKUlT_SI_SJ_SK_E_clIPiSE_SF_SF_EESH_SX_SI_SJ_SK_EUlSX_E_NS1_11comp_targetILNS1_3genE9ELNS1_11target_archE1100ELNS1_3gpuE3ELNS1_3repE0EEENS1_48merge_mergepath_partition_config_static_selectorELNS0_4arch9wavefront6targetE0EEEvSJ_.uses_flat_scratch, 0
	.set _ZN7rocprim17ROCPRIM_400000_NS6detail17trampoline_kernelINS0_14default_configENS1_38merge_sort_block_merge_config_selectorIiNS0_10empty_typeEEEZZNS1_27merge_sort_block_merge_implIS3_N6thrust23THRUST_200600_302600_NS6detail15normal_iteratorINS9_10device_ptrIiEEEEPS5_m17evens_before_oddsEE10hipError_tT0_T1_T2_jT3_P12ihipStream_tbPNSt15iterator_traitsISI_E10value_typeEPNSO_ISJ_E10value_typeEPSK_NS1_7vsmem_tEENKUlT_SI_SJ_SK_E_clIPiSE_SF_SF_EESH_SX_SI_SJ_SK_EUlSX_E_NS1_11comp_targetILNS1_3genE9ELNS1_11target_archE1100ELNS1_3gpuE3ELNS1_3repE0EEENS1_48merge_mergepath_partition_config_static_selectorELNS0_4arch9wavefront6targetE0EEEvSJ_.has_dyn_sized_stack, 0
	.set _ZN7rocprim17ROCPRIM_400000_NS6detail17trampoline_kernelINS0_14default_configENS1_38merge_sort_block_merge_config_selectorIiNS0_10empty_typeEEEZZNS1_27merge_sort_block_merge_implIS3_N6thrust23THRUST_200600_302600_NS6detail15normal_iteratorINS9_10device_ptrIiEEEEPS5_m17evens_before_oddsEE10hipError_tT0_T1_T2_jT3_P12ihipStream_tbPNSt15iterator_traitsISI_E10value_typeEPNSO_ISJ_E10value_typeEPSK_NS1_7vsmem_tEENKUlT_SI_SJ_SK_E_clIPiSE_SF_SF_EESH_SX_SI_SJ_SK_EUlSX_E_NS1_11comp_targetILNS1_3genE9ELNS1_11target_archE1100ELNS1_3gpuE3ELNS1_3repE0EEENS1_48merge_mergepath_partition_config_static_selectorELNS0_4arch9wavefront6targetE0EEEvSJ_.has_recursion, 0
	.set _ZN7rocprim17ROCPRIM_400000_NS6detail17trampoline_kernelINS0_14default_configENS1_38merge_sort_block_merge_config_selectorIiNS0_10empty_typeEEEZZNS1_27merge_sort_block_merge_implIS3_N6thrust23THRUST_200600_302600_NS6detail15normal_iteratorINS9_10device_ptrIiEEEEPS5_m17evens_before_oddsEE10hipError_tT0_T1_T2_jT3_P12ihipStream_tbPNSt15iterator_traitsISI_E10value_typeEPNSO_ISJ_E10value_typeEPSK_NS1_7vsmem_tEENKUlT_SI_SJ_SK_E_clIPiSE_SF_SF_EESH_SX_SI_SJ_SK_EUlSX_E_NS1_11comp_targetILNS1_3genE9ELNS1_11target_archE1100ELNS1_3gpuE3ELNS1_3repE0EEENS1_48merge_mergepath_partition_config_static_selectorELNS0_4arch9wavefront6targetE0EEEvSJ_.has_indirect_call, 0
	.section	.AMDGPU.csdata,"",@progbits
; Kernel info:
; codeLenInByte = 0
; TotalNumSgprs: 0
; NumVgprs: 0
; ScratchSize: 0
; MemoryBound: 0
; FloatMode: 240
; IeeeMode: 1
; LDSByteSize: 0 bytes/workgroup (compile time only)
; SGPRBlocks: 0
; VGPRBlocks: 0
; NumSGPRsForWavesPerEU: 1
; NumVGPRsForWavesPerEU: 1
; Occupancy: 16
; WaveLimiterHint : 0
; COMPUTE_PGM_RSRC2:SCRATCH_EN: 0
; COMPUTE_PGM_RSRC2:USER_SGPR: 6
; COMPUTE_PGM_RSRC2:TRAP_HANDLER: 0
; COMPUTE_PGM_RSRC2:TGID_X_EN: 1
; COMPUTE_PGM_RSRC2:TGID_Y_EN: 0
; COMPUTE_PGM_RSRC2:TGID_Z_EN: 0
; COMPUTE_PGM_RSRC2:TIDIG_COMP_CNT: 0
	.section	.text._ZN7rocprim17ROCPRIM_400000_NS6detail17trampoline_kernelINS0_14default_configENS1_38merge_sort_block_merge_config_selectorIiNS0_10empty_typeEEEZZNS1_27merge_sort_block_merge_implIS3_N6thrust23THRUST_200600_302600_NS6detail15normal_iteratorINS9_10device_ptrIiEEEEPS5_m17evens_before_oddsEE10hipError_tT0_T1_T2_jT3_P12ihipStream_tbPNSt15iterator_traitsISI_E10value_typeEPNSO_ISJ_E10value_typeEPSK_NS1_7vsmem_tEENKUlT_SI_SJ_SK_E_clIPiSE_SF_SF_EESH_SX_SI_SJ_SK_EUlSX_E_NS1_11comp_targetILNS1_3genE8ELNS1_11target_archE1030ELNS1_3gpuE2ELNS1_3repE0EEENS1_48merge_mergepath_partition_config_static_selectorELNS0_4arch9wavefront6targetE0EEEvSJ_,"axG",@progbits,_ZN7rocprim17ROCPRIM_400000_NS6detail17trampoline_kernelINS0_14default_configENS1_38merge_sort_block_merge_config_selectorIiNS0_10empty_typeEEEZZNS1_27merge_sort_block_merge_implIS3_N6thrust23THRUST_200600_302600_NS6detail15normal_iteratorINS9_10device_ptrIiEEEEPS5_m17evens_before_oddsEE10hipError_tT0_T1_T2_jT3_P12ihipStream_tbPNSt15iterator_traitsISI_E10value_typeEPNSO_ISJ_E10value_typeEPSK_NS1_7vsmem_tEENKUlT_SI_SJ_SK_E_clIPiSE_SF_SF_EESH_SX_SI_SJ_SK_EUlSX_E_NS1_11comp_targetILNS1_3genE8ELNS1_11target_archE1030ELNS1_3gpuE2ELNS1_3repE0EEENS1_48merge_mergepath_partition_config_static_selectorELNS0_4arch9wavefront6targetE0EEEvSJ_,comdat
	.protected	_ZN7rocprim17ROCPRIM_400000_NS6detail17trampoline_kernelINS0_14default_configENS1_38merge_sort_block_merge_config_selectorIiNS0_10empty_typeEEEZZNS1_27merge_sort_block_merge_implIS3_N6thrust23THRUST_200600_302600_NS6detail15normal_iteratorINS9_10device_ptrIiEEEEPS5_m17evens_before_oddsEE10hipError_tT0_T1_T2_jT3_P12ihipStream_tbPNSt15iterator_traitsISI_E10value_typeEPNSO_ISJ_E10value_typeEPSK_NS1_7vsmem_tEENKUlT_SI_SJ_SK_E_clIPiSE_SF_SF_EESH_SX_SI_SJ_SK_EUlSX_E_NS1_11comp_targetILNS1_3genE8ELNS1_11target_archE1030ELNS1_3gpuE2ELNS1_3repE0EEENS1_48merge_mergepath_partition_config_static_selectorELNS0_4arch9wavefront6targetE0EEEvSJ_ ; -- Begin function _ZN7rocprim17ROCPRIM_400000_NS6detail17trampoline_kernelINS0_14default_configENS1_38merge_sort_block_merge_config_selectorIiNS0_10empty_typeEEEZZNS1_27merge_sort_block_merge_implIS3_N6thrust23THRUST_200600_302600_NS6detail15normal_iteratorINS9_10device_ptrIiEEEEPS5_m17evens_before_oddsEE10hipError_tT0_T1_T2_jT3_P12ihipStream_tbPNSt15iterator_traitsISI_E10value_typeEPNSO_ISJ_E10value_typeEPSK_NS1_7vsmem_tEENKUlT_SI_SJ_SK_E_clIPiSE_SF_SF_EESH_SX_SI_SJ_SK_EUlSX_E_NS1_11comp_targetILNS1_3genE8ELNS1_11target_archE1030ELNS1_3gpuE2ELNS1_3repE0EEENS1_48merge_mergepath_partition_config_static_selectorELNS0_4arch9wavefront6targetE0EEEvSJ_
	.globl	_ZN7rocprim17ROCPRIM_400000_NS6detail17trampoline_kernelINS0_14default_configENS1_38merge_sort_block_merge_config_selectorIiNS0_10empty_typeEEEZZNS1_27merge_sort_block_merge_implIS3_N6thrust23THRUST_200600_302600_NS6detail15normal_iteratorINS9_10device_ptrIiEEEEPS5_m17evens_before_oddsEE10hipError_tT0_T1_T2_jT3_P12ihipStream_tbPNSt15iterator_traitsISI_E10value_typeEPNSO_ISJ_E10value_typeEPSK_NS1_7vsmem_tEENKUlT_SI_SJ_SK_E_clIPiSE_SF_SF_EESH_SX_SI_SJ_SK_EUlSX_E_NS1_11comp_targetILNS1_3genE8ELNS1_11target_archE1030ELNS1_3gpuE2ELNS1_3repE0EEENS1_48merge_mergepath_partition_config_static_selectorELNS0_4arch9wavefront6targetE0EEEvSJ_
	.p2align	8
	.type	_ZN7rocprim17ROCPRIM_400000_NS6detail17trampoline_kernelINS0_14default_configENS1_38merge_sort_block_merge_config_selectorIiNS0_10empty_typeEEEZZNS1_27merge_sort_block_merge_implIS3_N6thrust23THRUST_200600_302600_NS6detail15normal_iteratorINS9_10device_ptrIiEEEEPS5_m17evens_before_oddsEE10hipError_tT0_T1_T2_jT3_P12ihipStream_tbPNSt15iterator_traitsISI_E10value_typeEPNSO_ISJ_E10value_typeEPSK_NS1_7vsmem_tEENKUlT_SI_SJ_SK_E_clIPiSE_SF_SF_EESH_SX_SI_SJ_SK_EUlSX_E_NS1_11comp_targetILNS1_3genE8ELNS1_11target_archE1030ELNS1_3gpuE2ELNS1_3repE0EEENS1_48merge_mergepath_partition_config_static_selectorELNS0_4arch9wavefront6targetE0EEEvSJ_,@function
_ZN7rocprim17ROCPRIM_400000_NS6detail17trampoline_kernelINS0_14default_configENS1_38merge_sort_block_merge_config_selectorIiNS0_10empty_typeEEEZZNS1_27merge_sort_block_merge_implIS3_N6thrust23THRUST_200600_302600_NS6detail15normal_iteratorINS9_10device_ptrIiEEEEPS5_m17evens_before_oddsEE10hipError_tT0_T1_T2_jT3_P12ihipStream_tbPNSt15iterator_traitsISI_E10value_typeEPNSO_ISJ_E10value_typeEPSK_NS1_7vsmem_tEENKUlT_SI_SJ_SK_E_clIPiSE_SF_SF_EESH_SX_SI_SJ_SK_EUlSX_E_NS1_11comp_targetILNS1_3genE8ELNS1_11target_archE1030ELNS1_3gpuE2ELNS1_3repE0EEENS1_48merge_mergepath_partition_config_static_selectorELNS0_4arch9wavefront6targetE0EEEvSJ_: ; @_ZN7rocprim17ROCPRIM_400000_NS6detail17trampoline_kernelINS0_14default_configENS1_38merge_sort_block_merge_config_selectorIiNS0_10empty_typeEEEZZNS1_27merge_sort_block_merge_implIS3_N6thrust23THRUST_200600_302600_NS6detail15normal_iteratorINS9_10device_ptrIiEEEEPS5_m17evens_before_oddsEE10hipError_tT0_T1_T2_jT3_P12ihipStream_tbPNSt15iterator_traitsISI_E10value_typeEPNSO_ISJ_E10value_typeEPSK_NS1_7vsmem_tEENKUlT_SI_SJ_SK_E_clIPiSE_SF_SF_EESH_SX_SI_SJ_SK_EUlSX_E_NS1_11comp_targetILNS1_3genE8ELNS1_11target_archE1030ELNS1_3gpuE2ELNS1_3repE0EEENS1_48merge_mergepath_partition_config_static_selectorELNS0_4arch9wavefront6targetE0EEEvSJ_
; %bb.0:
	s_load_dword s0, s[4:5], 0x0
	v_lshl_or_b32 v0, s6, 7, v0
	s_waitcnt lgkmcnt(0)
	v_cmp_gt_u32_e32 vcc_lo, s0, v0
	s_and_saveexec_b32 s0, vcc_lo
	s_cbranch_execz .LBB415_6
; %bb.1:
	s_load_dwordx4 s[0:3], s[4:5], 0x8
	v_mov_b32_e32 v2, 0
	v_mov_b32_e32 v11, v2
	s_waitcnt lgkmcnt(0)
	s_lshr_b64 s[6:7], s[0:1], 9
	s_and_b32 s6, s6, -2
	s_sub_i32 s7, 0, s6
	s_add_i32 s6, s6, -1
	v_and_b32_e32 v1, s7, v0
	v_and_b32_e32 v10, s6, v0
	v_lshlrev_b64 v[4:5], 10, v[1:2]
	v_add_co_u32 v6, vcc_lo, v4, s0
	v_add_co_ci_u32_e64 v7, null, s1, v5, vcc_lo
	v_cmp_lt_u64_e32 vcc_lo, s[2:3], v[6:7]
	v_cndmask_b32_e64 v8, v6, s2, vcc_lo
	v_cndmask_b32_e64 v9, v7, s3, vcc_lo
	v_add_co_u32 v6, vcc_lo, v8, s0
	v_add_co_ci_u32_e64 v7, null, s1, v9, vcc_lo
	v_cmp_lt_u64_e32 vcc_lo, s[2:3], v[4:5]
	s_mov_b32 s1, 0
	v_cmp_lt_u64_e64 s0, s[2:3], v[6:7]
	v_cndmask_b32_e64 v2, v4, s2, vcc_lo
	v_cndmask_b32_e64 v3, v5, s3, vcc_lo
	v_lshlrev_b64 v[4:5], 10, v[10:11]
	v_cndmask_b32_e64 v12, v6, s2, s0
	v_cndmask_b32_e64 v1, v7, s3, s0
	s_load_dwordx2 s[2:3], s[4:5], 0x28
	v_sub_co_u32 v6, vcc_lo, v12, v2
	v_sub_co_ci_u32_e64 v7, null, v1, v3, vcc_lo
	v_cmp_lt_u64_e32 vcc_lo, v[6:7], v[4:5]
	v_cndmask_b32_e32 v11, v5, v7, vcc_lo
	v_cndmask_b32_e32 v10, v4, v6, vcc_lo
	v_sub_co_u32 v4, vcc_lo, v8, v12
	v_sub_co_ci_u32_e64 v1, null, v9, v1, vcc_lo
	v_add_co_u32 v4, vcc_lo, v10, v4
	v_add_co_ci_u32_e64 v5, null, v11, v1, vcc_lo
	v_sub_co_u32 v6, vcc_lo, v8, v2
	v_sub_co_ci_u32_e64 v7, null, v9, v3, vcc_lo
	v_cmp_gt_u64_e32 vcc_lo, v[4:5], v[10:11]
	v_cmp_lt_u64_e64 s0, v[10:11], v[6:7]
	v_cndmask_b32_e64 v5, v5, 0, vcc_lo
	v_cndmask_b32_e64 v4, v4, 0, vcc_lo
	v_cndmask_b32_e64 v7, v7, v11, s0
	v_cndmask_b32_e64 v6, v6, v10, s0
	s_mov_b32 s0, exec_lo
	v_cmpx_lt_u64_e64 v[4:5], v[6:7]
	s_cbranch_execz .LBB415_5
; %bb.2:
	s_load_dwordx2 s[4:5], s[4:5], 0x18
	v_lshlrev_b64 v[8:9], 2, v[8:9]
	v_lshlrev_b64 v[12:13], 2, v[2:3]
	;; [unrolled: 1-line block ×3, first 2 shown]
	s_waitcnt lgkmcnt(0)
	v_add_co_u32 v14, vcc_lo, s4, v8
	v_add_co_ci_u32_e64 v15, null, s5, v9, vcc_lo
	v_add_co_u32 v1, vcc_lo, s4, v12
	v_add_co_ci_u32_e64 v8, null, s5, v13, vcc_lo
	;; [unrolled: 2-line block ×3, first 2 shown]
.LBB415_3:                              ; =>This Inner Loop Header: Depth=1
	v_add_co_u32 v11, vcc_lo, v6, v4
	v_add_co_ci_u32_e64 v12, null, v7, v5, vcc_lo
	v_lshrrev_b64 v[11:12], 1, v[11:12]
	v_lshlrev_b64 v[13:14], 2, v[11:12]
	v_xor_b32_e32 v15, -4, v13
	v_xor_b32_e32 v16, -1, v14
	v_add_co_u32 v13, vcc_lo, v1, v13
	v_add_co_ci_u32_e64 v14, null, v8, v14, vcc_lo
	v_add_co_u32 v15, vcc_lo, v9, v15
	v_add_co_ci_u32_e64 v16, null, v10, v16, vcc_lo
	s_clause 0x1
	global_load_dword v13, v[13:14], off
	global_load_dword v14, v[15:16], off
	s_waitcnt vmcnt(1)
	v_lshrrev_b32_e32 v15, 31, v13
	s_waitcnt vmcnt(0)
	v_lshrrev_b32_e32 v16, 31, v14
	v_cmp_lt_i32_e32 vcc_lo, v14, v13
	v_add_nc_u32_e32 v15, v13, v15
	v_add_nc_u32_e32 v16, v14, v16
	v_cndmask_b32_e64 v17, 0, 1, vcc_lo
	v_and_b32_e32 v15, -2, v15
	v_and_b32_e32 v16, -2, v16
	v_sub_nc_u32_e32 v13, v13, v15
	v_sub_nc_u32_e32 v14, v14, v16
	v_cmp_eq_u32_e32 vcc_lo, 0, v14
	v_cndmask_b32_e64 v15, 0, 1, vcc_lo
	v_cmp_eq_u32_e32 vcc_lo, v14, v13
	v_cndmask_b32_e32 v13, v15, v17, vcc_lo
	v_add_co_u32 v14, vcc_lo, v11, 1
	v_add_co_ci_u32_e64 v15, null, 0, v12, vcc_lo
	v_and_b32_e32 v13, 1, v13
	v_cmp_eq_u32_e32 vcc_lo, 1, v13
	v_cndmask_b32_e32 v7, v7, v12, vcc_lo
	v_cndmask_b32_e32 v6, v6, v11, vcc_lo
	;; [unrolled: 1-line block ×4, first 2 shown]
	v_cmp_ge_u64_e32 vcc_lo, v[4:5], v[6:7]
	s_or_b32 s1, vcc_lo, s1
	s_andn2_b32 exec_lo, exec_lo, s1
	s_cbranch_execnz .LBB415_3
; %bb.4:
	s_or_b32 exec_lo, exec_lo, s1
.LBB415_5:
	s_or_b32 exec_lo, exec_lo, s0
	v_mov_b32_e32 v1, 0
	v_add_co_u32 v2, vcc_lo, v4, v2
	v_add_co_ci_u32_e64 v3, null, v5, v3, vcc_lo
	v_lshlrev_b64 v[0:1], 3, v[0:1]
	s_waitcnt lgkmcnt(0)
	v_add_co_u32 v0, vcc_lo, s2, v0
	v_add_co_ci_u32_e64 v1, null, s3, v1, vcc_lo
	global_store_dwordx2 v[0:1], v[2:3], off
.LBB415_6:
	s_endpgm
	.section	.rodata,"a",@progbits
	.p2align	6, 0x0
	.amdhsa_kernel _ZN7rocprim17ROCPRIM_400000_NS6detail17trampoline_kernelINS0_14default_configENS1_38merge_sort_block_merge_config_selectorIiNS0_10empty_typeEEEZZNS1_27merge_sort_block_merge_implIS3_N6thrust23THRUST_200600_302600_NS6detail15normal_iteratorINS9_10device_ptrIiEEEEPS5_m17evens_before_oddsEE10hipError_tT0_T1_T2_jT3_P12ihipStream_tbPNSt15iterator_traitsISI_E10value_typeEPNSO_ISJ_E10value_typeEPSK_NS1_7vsmem_tEENKUlT_SI_SJ_SK_E_clIPiSE_SF_SF_EESH_SX_SI_SJ_SK_EUlSX_E_NS1_11comp_targetILNS1_3genE8ELNS1_11target_archE1030ELNS1_3gpuE2ELNS1_3repE0EEENS1_48merge_mergepath_partition_config_static_selectorELNS0_4arch9wavefront6targetE0EEEvSJ_
		.amdhsa_group_segment_fixed_size 0
		.amdhsa_private_segment_fixed_size 0
		.amdhsa_kernarg_size 48
		.amdhsa_user_sgpr_count 6
		.amdhsa_user_sgpr_private_segment_buffer 1
		.amdhsa_user_sgpr_dispatch_ptr 0
		.amdhsa_user_sgpr_queue_ptr 0
		.amdhsa_user_sgpr_kernarg_segment_ptr 1
		.amdhsa_user_sgpr_dispatch_id 0
		.amdhsa_user_sgpr_flat_scratch_init 0
		.amdhsa_user_sgpr_private_segment_size 0
		.amdhsa_wavefront_size32 1
		.amdhsa_uses_dynamic_stack 0
		.amdhsa_system_sgpr_private_segment_wavefront_offset 0
		.amdhsa_system_sgpr_workgroup_id_x 1
		.amdhsa_system_sgpr_workgroup_id_y 0
		.amdhsa_system_sgpr_workgroup_id_z 0
		.amdhsa_system_sgpr_workgroup_info 0
		.amdhsa_system_vgpr_workitem_id 0
		.amdhsa_next_free_vgpr 18
		.amdhsa_next_free_sgpr 8
		.amdhsa_reserve_vcc 1
		.amdhsa_reserve_flat_scratch 0
		.amdhsa_float_round_mode_32 0
		.amdhsa_float_round_mode_16_64 0
		.amdhsa_float_denorm_mode_32 3
		.amdhsa_float_denorm_mode_16_64 3
		.amdhsa_dx10_clamp 1
		.amdhsa_ieee_mode 1
		.amdhsa_fp16_overflow 0
		.amdhsa_workgroup_processor_mode 1
		.amdhsa_memory_ordered 1
		.amdhsa_forward_progress 1
		.amdhsa_shared_vgpr_count 0
		.amdhsa_exception_fp_ieee_invalid_op 0
		.amdhsa_exception_fp_denorm_src 0
		.amdhsa_exception_fp_ieee_div_zero 0
		.amdhsa_exception_fp_ieee_overflow 0
		.amdhsa_exception_fp_ieee_underflow 0
		.amdhsa_exception_fp_ieee_inexact 0
		.amdhsa_exception_int_div_zero 0
	.end_amdhsa_kernel
	.section	.text._ZN7rocprim17ROCPRIM_400000_NS6detail17trampoline_kernelINS0_14default_configENS1_38merge_sort_block_merge_config_selectorIiNS0_10empty_typeEEEZZNS1_27merge_sort_block_merge_implIS3_N6thrust23THRUST_200600_302600_NS6detail15normal_iteratorINS9_10device_ptrIiEEEEPS5_m17evens_before_oddsEE10hipError_tT0_T1_T2_jT3_P12ihipStream_tbPNSt15iterator_traitsISI_E10value_typeEPNSO_ISJ_E10value_typeEPSK_NS1_7vsmem_tEENKUlT_SI_SJ_SK_E_clIPiSE_SF_SF_EESH_SX_SI_SJ_SK_EUlSX_E_NS1_11comp_targetILNS1_3genE8ELNS1_11target_archE1030ELNS1_3gpuE2ELNS1_3repE0EEENS1_48merge_mergepath_partition_config_static_selectorELNS0_4arch9wavefront6targetE0EEEvSJ_,"axG",@progbits,_ZN7rocprim17ROCPRIM_400000_NS6detail17trampoline_kernelINS0_14default_configENS1_38merge_sort_block_merge_config_selectorIiNS0_10empty_typeEEEZZNS1_27merge_sort_block_merge_implIS3_N6thrust23THRUST_200600_302600_NS6detail15normal_iteratorINS9_10device_ptrIiEEEEPS5_m17evens_before_oddsEE10hipError_tT0_T1_T2_jT3_P12ihipStream_tbPNSt15iterator_traitsISI_E10value_typeEPNSO_ISJ_E10value_typeEPSK_NS1_7vsmem_tEENKUlT_SI_SJ_SK_E_clIPiSE_SF_SF_EESH_SX_SI_SJ_SK_EUlSX_E_NS1_11comp_targetILNS1_3genE8ELNS1_11target_archE1030ELNS1_3gpuE2ELNS1_3repE0EEENS1_48merge_mergepath_partition_config_static_selectorELNS0_4arch9wavefront6targetE0EEEvSJ_,comdat
.Lfunc_end415:
	.size	_ZN7rocprim17ROCPRIM_400000_NS6detail17trampoline_kernelINS0_14default_configENS1_38merge_sort_block_merge_config_selectorIiNS0_10empty_typeEEEZZNS1_27merge_sort_block_merge_implIS3_N6thrust23THRUST_200600_302600_NS6detail15normal_iteratorINS9_10device_ptrIiEEEEPS5_m17evens_before_oddsEE10hipError_tT0_T1_T2_jT3_P12ihipStream_tbPNSt15iterator_traitsISI_E10value_typeEPNSO_ISJ_E10value_typeEPSK_NS1_7vsmem_tEENKUlT_SI_SJ_SK_E_clIPiSE_SF_SF_EESH_SX_SI_SJ_SK_EUlSX_E_NS1_11comp_targetILNS1_3genE8ELNS1_11target_archE1030ELNS1_3gpuE2ELNS1_3repE0EEENS1_48merge_mergepath_partition_config_static_selectorELNS0_4arch9wavefront6targetE0EEEvSJ_, .Lfunc_end415-_ZN7rocprim17ROCPRIM_400000_NS6detail17trampoline_kernelINS0_14default_configENS1_38merge_sort_block_merge_config_selectorIiNS0_10empty_typeEEEZZNS1_27merge_sort_block_merge_implIS3_N6thrust23THRUST_200600_302600_NS6detail15normal_iteratorINS9_10device_ptrIiEEEEPS5_m17evens_before_oddsEE10hipError_tT0_T1_T2_jT3_P12ihipStream_tbPNSt15iterator_traitsISI_E10value_typeEPNSO_ISJ_E10value_typeEPSK_NS1_7vsmem_tEENKUlT_SI_SJ_SK_E_clIPiSE_SF_SF_EESH_SX_SI_SJ_SK_EUlSX_E_NS1_11comp_targetILNS1_3genE8ELNS1_11target_archE1030ELNS1_3gpuE2ELNS1_3repE0EEENS1_48merge_mergepath_partition_config_static_selectorELNS0_4arch9wavefront6targetE0EEEvSJ_
                                        ; -- End function
	.set _ZN7rocprim17ROCPRIM_400000_NS6detail17trampoline_kernelINS0_14default_configENS1_38merge_sort_block_merge_config_selectorIiNS0_10empty_typeEEEZZNS1_27merge_sort_block_merge_implIS3_N6thrust23THRUST_200600_302600_NS6detail15normal_iteratorINS9_10device_ptrIiEEEEPS5_m17evens_before_oddsEE10hipError_tT0_T1_T2_jT3_P12ihipStream_tbPNSt15iterator_traitsISI_E10value_typeEPNSO_ISJ_E10value_typeEPSK_NS1_7vsmem_tEENKUlT_SI_SJ_SK_E_clIPiSE_SF_SF_EESH_SX_SI_SJ_SK_EUlSX_E_NS1_11comp_targetILNS1_3genE8ELNS1_11target_archE1030ELNS1_3gpuE2ELNS1_3repE0EEENS1_48merge_mergepath_partition_config_static_selectorELNS0_4arch9wavefront6targetE0EEEvSJ_.num_vgpr, 18
	.set _ZN7rocprim17ROCPRIM_400000_NS6detail17trampoline_kernelINS0_14default_configENS1_38merge_sort_block_merge_config_selectorIiNS0_10empty_typeEEEZZNS1_27merge_sort_block_merge_implIS3_N6thrust23THRUST_200600_302600_NS6detail15normal_iteratorINS9_10device_ptrIiEEEEPS5_m17evens_before_oddsEE10hipError_tT0_T1_T2_jT3_P12ihipStream_tbPNSt15iterator_traitsISI_E10value_typeEPNSO_ISJ_E10value_typeEPSK_NS1_7vsmem_tEENKUlT_SI_SJ_SK_E_clIPiSE_SF_SF_EESH_SX_SI_SJ_SK_EUlSX_E_NS1_11comp_targetILNS1_3genE8ELNS1_11target_archE1030ELNS1_3gpuE2ELNS1_3repE0EEENS1_48merge_mergepath_partition_config_static_selectorELNS0_4arch9wavefront6targetE0EEEvSJ_.num_agpr, 0
	.set _ZN7rocprim17ROCPRIM_400000_NS6detail17trampoline_kernelINS0_14default_configENS1_38merge_sort_block_merge_config_selectorIiNS0_10empty_typeEEEZZNS1_27merge_sort_block_merge_implIS3_N6thrust23THRUST_200600_302600_NS6detail15normal_iteratorINS9_10device_ptrIiEEEEPS5_m17evens_before_oddsEE10hipError_tT0_T1_T2_jT3_P12ihipStream_tbPNSt15iterator_traitsISI_E10value_typeEPNSO_ISJ_E10value_typeEPSK_NS1_7vsmem_tEENKUlT_SI_SJ_SK_E_clIPiSE_SF_SF_EESH_SX_SI_SJ_SK_EUlSX_E_NS1_11comp_targetILNS1_3genE8ELNS1_11target_archE1030ELNS1_3gpuE2ELNS1_3repE0EEENS1_48merge_mergepath_partition_config_static_selectorELNS0_4arch9wavefront6targetE0EEEvSJ_.numbered_sgpr, 8
	.set _ZN7rocprim17ROCPRIM_400000_NS6detail17trampoline_kernelINS0_14default_configENS1_38merge_sort_block_merge_config_selectorIiNS0_10empty_typeEEEZZNS1_27merge_sort_block_merge_implIS3_N6thrust23THRUST_200600_302600_NS6detail15normal_iteratorINS9_10device_ptrIiEEEEPS5_m17evens_before_oddsEE10hipError_tT0_T1_T2_jT3_P12ihipStream_tbPNSt15iterator_traitsISI_E10value_typeEPNSO_ISJ_E10value_typeEPSK_NS1_7vsmem_tEENKUlT_SI_SJ_SK_E_clIPiSE_SF_SF_EESH_SX_SI_SJ_SK_EUlSX_E_NS1_11comp_targetILNS1_3genE8ELNS1_11target_archE1030ELNS1_3gpuE2ELNS1_3repE0EEENS1_48merge_mergepath_partition_config_static_selectorELNS0_4arch9wavefront6targetE0EEEvSJ_.num_named_barrier, 0
	.set _ZN7rocprim17ROCPRIM_400000_NS6detail17trampoline_kernelINS0_14default_configENS1_38merge_sort_block_merge_config_selectorIiNS0_10empty_typeEEEZZNS1_27merge_sort_block_merge_implIS3_N6thrust23THRUST_200600_302600_NS6detail15normal_iteratorINS9_10device_ptrIiEEEEPS5_m17evens_before_oddsEE10hipError_tT0_T1_T2_jT3_P12ihipStream_tbPNSt15iterator_traitsISI_E10value_typeEPNSO_ISJ_E10value_typeEPSK_NS1_7vsmem_tEENKUlT_SI_SJ_SK_E_clIPiSE_SF_SF_EESH_SX_SI_SJ_SK_EUlSX_E_NS1_11comp_targetILNS1_3genE8ELNS1_11target_archE1030ELNS1_3gpuE2ELNS1_3repE0EEENS1_48merge_mergepath_partition_config_static_selectorELNS0_4arch9wavefront6targetE0EEEvSJ_.private_seg_size, 0
	.set _ZN7rocprim17ROCPRIM_400000_NS6detail17trampoline_kernelINS0_14default_configENS1_38merge_sort_block_merge_config_selectorIiNS0_10empty_typeEEEZZNS1_27merge_sort_block_merge_implIS3_N6thrust23THRUST_200600_302600_NS6detail15normal_iteratorINS9_10device_ptrIiEEEEPS5_m17evens_before_oddsEE10hipError_tT0_T1_T2_jT3_P12ihipStream_tbPNSt15iterator_traitsISI_E10value_typeEPNSO_ISJ_E10value_typeEPSK_NS1_7vsmem_tEENKUlT_SI_SJ_SK_E_clIPiSE_SF_SF_EESH_SX_SI_SJ_SK_EUlSX_E_NS1_11comp_targetILNS1_3genE8ELNS1_11target_archE1030ELNS1_3gpuE2ELNS1_3repE0EEENS1_48merge_mergepath_partition_config_static_selectorELNS0_4arch9wavefront6targetE0EEEvSJ_.uses_vcc, 1
	.set _ZN7rocprim17ROCPRIM_400000_NS6detail17trampoline_kernelINS0_14default_configENS1_38merge_sort_block_merge_config_selectorIiNS0_10empty_typeEEEZZNS1_27merge_sort_block_merge_implIS3_N6thrust23THRUST_200600_302600_NS6detail15normal_iteratorINS9_10device_ptrIiEEEEPS5_m17evens_before_oddsEE10hipError_tT0_T1_T2_jT3_P12ihipStream_tbPNSt15iterator_traitsISI_E10value_typeEPNSO_ISJ_E10value_typeEPSK_NS1_7vsmem_tEENKUlT_SI_SJ_SK_E_clIPiSE_SF_SF_EESH_SX_SI_SJ_SK_EUlSX_E_NS1_11comp_targetILNS1_3genE8ELNS1_11target_archE1030ELNS1_3gpuE2ELNS1_3repE0EEENS1_48merge_mergepath_partition_config_static_selectorELNS0_4arch9wavefront6targetE0EEEvSJ_.uses_flat_scratch, 0
	.set _ZN7rocprim17ROCPRIM_400000_NS6detail17trampoline_kernelINS0_14default_configENS1_38merge_sort_block_merge_config_selectorIiNS0_10empty_typeEEEZZNS1_27merge_sort_block_merge_implIS3_N6thrust23THRUST_200600_302600_NS6detail15normal_iteratorINS9_10device_ptrIiEEEEPS5_m17evens_before_oddsEE10hipError_tT0_T1_T2_jT3_P12ihipStream_tbPNSt15iterator_traitsISI_E10value_typeEPNSO_ISJ_E10value_typeEPSK_NS1_7vsmem_tEENKUlT_SI_SJ_SK_E_clIPiSE_SF_SF_EESH_SX_SI_SJ_SK_EUlSX_E_NS1_11comp_targetILNS1_3genE8ELNS1_11target_archE1030ELNS1_3gpuE2ELNS1_3repE0EEENS1_48merge_mergepath_partition_config_static_selectorELNS0_4arch9wavefront6targetE0EEEvSJ_.has_dyn_sized_stack, 0
	.set _ZN7rocprim17ROCPRIM_400000_NS6detail17trampoline_kernelINS0_14default_configENS1_38merge_sort_block_merge_config_selectorIiNS0_10empty_typeEEEZZNS1_27merge_sort_block_merge_implIS3_N6thrust23THRUST_200600_302600_NS6detail15normal_iteratorINS9_10device_ptrIiEEEEPS5_m17evens_before_oddsEE10hipError_tT0_T1_T2_jT3_P12ihipStream_tbPNSt15iterator_traitsISI_E10value_typeEPNSO_ISJ_E10value_typeEPSK_NS1_7vsmem_tEENKUlT_SI_SJ_SK_E_clIPiSE_SF_SF_EESH_SX_SI_SJ_SK_EUlSX_E_NS1_11comp_targetILNS1_3genE8ELNS1_11target_archE1030ELNS1_3gpuE2ELNS1_3repE0EEENS1_48merge_mergepath_partition_config_static_selectorELNS0_4arch9wavefront6targetE0EEEvSJ_.has_recursion, 0
	.set _ZN7rocprim17ROCPRIM_400000_NS6detail17trampoline_kernelINS0_14default_configENS1_38merge_sort_block_merge_config_selectorIiNS0_10empty_typeEEEZZNS1_27merge_sort_block_merge_implIS3_N6thrust23THRUST_200600_302600_NS6detail15normal_iteratorINS9_10device_ptrIiEEEEPS5_m17evens_before_oddsEE10hipError_tT0_T1_T2_jT3_P12ihipStream_tbPNSt15iterator_traitsISI_E10value_typeEPNSO_ISJ_E10value_typeEPSK_NS1_7vsmem_tEENKUlT_SI_SJ_SK_E_clIPiSE_SF_SF_EESH_SX_SI_SJ_SK_EUlSX_E_NS1_11comp_targetILNS1_3genE8ELNS1_11target_archE1030ELNS1_3gpuE2ELNS1_3repE0EEENS1_48merge_mergepath_partition_config_static_selectorELNS0_4arch9wavefront6targetE0EEEvSJ_.has_indirect_call, 0
	.section	.AMDGPU.csdata,"",@progbits
; Kernel info:
; codeLenInByte = 708
; TotalNumSgprs: 10
; NumVgprs: 18
; ScratchSize: 0
; MemoryBound: 0
; FloatMode: 240
; IeeeMode: 1
; LDSByteSize: 0 bytes/workgroup (compile time only)
; SGPRBlocks: 0
; VGPRBlocks: 2
; NumSGPRsForWavesPerEU: 10
; NumVGPRsForWavesPerEU: 18
; Occupancy: 16
; WaveLimiterHint : 0
; COMPUTE_PGM_RSRC2:SCRATCH_EN: 0
; COMPUTE_PGM_RSRC2:USER_SGPR: 6
; COMPUTE_PGM_RSRC2:TRAP_HANDLER: 0
; COMPUTE_PGM_RSRC2:TGID_X_EN: 1
; COMPUTE_PGM_RSRC2:TGID_Y_EN: 0
; COMPUTE_PGM_RSRC2:TGID_Z_EN: 0
; COMPUTE_PGM_RSRC2:TIDIG_COMP_CNT: 0
	.section	.text._ZN7rocprim17ROCPRIM_400000_NS6detail17trampoline_kernelINS0_14default_configENS1_38merge_sort_block_merge_config_selectorIiNS0_10empty_typeEEEZZNS1_27merge_sort_block_merge_implIS3_N6thrust23THRUST_200600_302600_NS6detail15normal_iteratorINS9_10device_ptrIiEEEEPS5_m17evens_before_oddsEE10hipError_tT0_T1_T2_jT3_P12ihipStream_tbPNSt15iterator_traitsISI_E10value_typeEPNSO_ISJ_E10value_typeEPSK_NS1_7vsmem_tEENKUlT_SI_SJ_SK_E_clIPiSE_SF_SF_EESH_SX_SI_SJ_SK_EUlSX_E0_NS1_11comp_targetILNS1_3genE0ELNS1_11target_archE4294967295ELNS1_3gpuE0ELNS1_3repE0EEENS1_38merge_mergepath_config_static_selectorELNS0_4arch9wavefront6targetE0EEEvSJ_,"axG",@progbits,_ZN7rocprim17ROCPRIM_400000_NS6detail17trampoline_kernelINS0_14default_configENS1_38merge_sort_block_merge_config_selectorIiNS0_10empty_typeEEEZZNS1_27merge_sort_block_merge_implIS3_N6thrust23THRUST_200600_302600_NS6detail15normal_iteratorINS9_10device_ptrIiEEEEPS5_m17evens_before_oddsEE10hipError_tT0_T1_T2_jT3_P12ihipStream_tbPNSt15iterator_traitsISI_E10value_typeEPNSO_ISJ_E10value_typeEPSK_NS1_7vsmem_tEENKUlT_SI_SJ_SK_E_clIPiSE_SF_SF_EESH_SX_SI_SJ_SK_EUlSX_E0_NS1_11comp_targetILNS1_3genE0ELNS1_11target_archE4294967295ELNS1_3gpuE0ELNS1_3repE0EEENS1_38merge_mergepath_config_static_selectorELNS0_4arch9wavefront6targetE0EEEvSJ_,comdat
	.protected	_ZN7rocprim17ROCPRIM_400000_NS6detail17trampoline_kernelINS0_14default_configENS1_38merge_sort_block_merge_config_selectorIiNS0_10empty_typeEEEZZNS1_27merge_sort_block_merge_implIS3_N6thrust23THRUST_200600_302600_NS6detail15normal_iteratorINS9_10device_ptrIiEEEEPS5_m17evens_before_oddsEE10hipError_tT0_T1_T2_jT3_P12ihipStream_tbPNSt15iterator_traitsISI_E10value_typeEPNSO_ISJ_E10value_typeEPSK_NS1_7vsmem_tEENKUlT_SI_SJ_SK_E_clIPiSE_SF_SF_EESH_SX_SI_SJ_SK_EUlSX_E0_NS1_11comp_targetILNS1_3genE0ELNS1_11target_archE4294967295ELNS1_3gpuE0ELNS1_3repE0EEENS1_38merge_mergepath_config_static_selectorELNS0_4arch9wavefront6targetE0EEEvSJ_ ; -- Begin function _ZN7rocprim17ROCPRIM_400000_NS6detail17trampoline_kernelINS0_14default_configENS1_38merge_sort_block_merge_config_selectorIiNS0_10empty_typeEEEZZNS1_27merge_sort_block_merge_implIS3_N6thrust23THRUST_200600_302600_NS6detail15normal_iteratorINS9_10device_ptrIiEEEEPS5_m17evens_before_oddsEE10hipError_tT0_T1_T2_jT3_P12ihipStream_tbPNSt15iterator_traitsISI_E10value_typeEPNSO_ISJ_E10value_typeEPSK_NS1_7vsmem_tEENKUlT_SI_SJ_SK_E_clIPiSE_SF_SF_EESH_SX_SI_SJ_SK_EUlSX_E0_NS1_11comp_targetILNS1_3genE0ELNS1_11target_archE4294967295ELNS1_3gpuE0ELNS1_3repE0EEENS1_38merge_mergepath_config_static_selectorELNS0_4arch9wavefront6targetE0EEEvSJ_
	.globl	_ZN7rocprim17ROCPRIM_400000_NS6detail17trampoline_kernelINS0_14default_configENS1_38merge_sort_block_merge_config_selectorIiNS0_10empty_typeEEEZZNS1_27merge_sort_block_merge_implIS3_N6thrust23THRUST_200600_302600_NS6detail15normal_iteratorINS9_10device_ptrIiEEEEPS5_m17evens_before_oddsEE10hipError_tT0_T1_T2_jT3_P12ihipStream_tbPNSt15iterator_traitsISI_E10value_typeEPNSO_ISJ_E10value_typeEPSK_NS1_7vsmem_tEENKUlT_SI_SJ_SK_E_clIPiSE_SF_SF_EESH_SX_SI_SJ_SK_EUlSX_E0_NS1_11comp_targetILNS1_3genE0ELNS1_11target_archE4294967295ELNS1_3gpuE0ELNS1_3repE0EEENS1_38merge_mergepath_config_static_selectorELNS0_4arch9wavefront6targetE0EEEvSJ_
	.p2align	8
	.type	_ZN7rocprim17ROCPRIM_400000_NS6detail17trampoline_kernelINS0_14default_configENS1_38merge_sort_block_merge_config_selectorIiNS0_10empty_typeEEEZZNS1_27merge_sort_block_merge_implIS3_N6thrust23THRUST_200600_302600_NS6detail15normal_iteratorINS9_10device_ptrIiEEEEPS5_m17evens_before_oddsEE10hipError_tT0_T1_T2_jT3_P12ihipStream_tbPNSt15iterator_traitsISI_E10value_typeEPNSO_ISJ_E10value_typeEPSK_NS1_7vsmem_tEENKUlT_SI_SJ_SK_E_clIPiSE_SF_SF_EESH_SX_SI_SJ_SK_EUlSX_E0_NS1_11comp_targetILNS1_3genE0ELNS1_11target_archE4294967295ELNS1_3gpuE0ELNS1_3repE0EEENS1_38merge_mergepath_config_static_selectorELNS0_4arch9wavefront6targetE0EEEvSJ_,@function
_ZN7rocprim17ROCPRIM_400000_NS6detail17trampoline_kernelINS0_14default_configENS1_38merge_sort_block_merge_config_selectorIiNS0_10empty_typeEEEZZNS1_27merge_sort_block_merge_implIS3_N6thrust23THRUST_200600_302600_NS6detail15normal_iteratorINS9_10device_ptrIiEEEEPS5_m17evens_before_oddsEE10hipError_tT0_T1_T2_jT3_P12ihipStream_tbPNSt15iterator_traitsISI_E10value_typeEPNSO_ISJ_E10value_typeEPSK_NS1_7vsmem_tEENKUlT_SI_SJ_SK_E_clIPiSE_SF_SF_EESH_SX_SI_SJ_SK_EUlSX_E0_NS1_11comp_targetILNS1_3genE0ELNS1_11target_archE4294967295ELNS1_3gpuE0ELNS1_3repE0EEENS1_38merge_mergepath_config_static_selectorELNS0_4arch9wavefront6targetE0EEEvSJ_: ; @_ZN7rocprim17ROCPRIM_400000_NS6detail17trampoline_kernelINS0_14default_configENS1_38merge_sort_block_merge_config_selectorIiNS0_10empty_typeEEEZZNS1_27merge_sort_block_merge_implIS3_N6thrust23THRUST_200600_302600_NS6detail15normal_iteratorINS9_10device_ptrIiEEEEPS5_m17evens_before_oddsEE10hipError_tT0_T1_T2_jT3_P12ihipStream_tbPNSt15iterator_traitsISI_E10value_typeEPNSO_ISJ_E10value_typeEPSK_NS1_7vsmem_tEENKUlT_SI_SJ_SK_E_clIPiSE_SF_SF_EESH_SX_SI_SJ_SK_EUlSX_E0_NS1_11comp_targetILNS1_3genE0ELNS1_11target_archE4294967295ELNS1_3gpuE0ELNS1_3repE0EEENS1_38merge_mergepath_config_static_selectorELNS0_4arch9wavefront6targetE0EEEvSJ_
; %bb.0:
	.section	.rodata,"a",@progbits
	.p2align	6, 0x0
	.amdhsa_kernel _ZN7rocprim17ROCPRIM_400000_NS6detail17trampoline_kernelINS0_14default_configENS1_38merge_sort_block_merge_config_selectorIiNS0_10empty_typeEEEZZNS1_27merge_sort_block_merge_implIS3_N6thrust23THRUST_200600_302600_NS6detail15normal_iteratorINS9_10device_ptrIiEEEEPS5_m17evens_before_oddsEE10hipError_tT0_T1_T2_jT3_P12ihipStream_tbPNSt15iterator_traitsISI_E10value_typeEPNSO_ISJ_E10value_typeEPSK_NS1_7vsmem_tEENKUlT_SI_SJ_SK_E_clIPiSE_SF_SF_EESH_SX_SI_SJ_SK_EUlSX_E0_NS1_11comp_targetILNS1_3genE0ELNS1_11target_archE4294967295ELNS1_3gpuE0ELNS1_3repE0EEENS1_38merge_mergepath_config_static_selectorELNS0_4arch9wavefront6targetE0EEEvSJ_
		.amdhsa_group_segment_fixed_size 0
		.amdhsa_private_segment_fixed_size 0
		.amdhsa_kernarg_size 72
		.amdhsa_user_sgpr_count 6
		.amdhsa_user_sgpr_private_segment_buffer 1
		.amdhsa_user_sgpr_dispatch_ptr 0
		.amdhsa_user_sgpr_queue_ptr 0
		.amdhsa_user_sgpr_kernarg_segment_ptr 1
		.amdhsa_user_sgpr_dispatch_id 0
		.amdhsa_user_sgpr_flat_scratch_init 0
		.amdhsa_user_sgpr_private_segment_size 0
		.amdhsa_wavefront_size32 1
		.amdhsa_uses_dynamic_stack 0
		.amdhsa_system_sgpr_private_segment_wavefront_offset 0
		.amdhsa_system_sgpr_workgroup_id_x 1
		.amdhsa_system_sgpr_workgroup_id_y 0
		.amdhsa_system_sgpr_workgroup_id_z 0
		.amdhsa_system_sgpr_workgroup_info 0
		.amdhsa_system_vgpr_workitem_id 0
		.amdhsa_next_free_vgpr 1
		.amdhsa_next_free_sgpr 1
		.amdhsa_reserve_vcc 0
		.amdhsa_reserve_flat_scratch 0
		.amdhsa_float_round_mode_32 0
		.amdhsa_float_round_mode_16_64 0
		.amdhsa_float_denorm_mode_32 3
		.amdhsa_float_denorm_mode_16_64 3
		.amdhsa_dx10_clamp 1
		.amdhsa_ieee_mode 1
		.amdhsa_fp16_overflow 0
		.amdhsa_workgroup_processor_mode 1
		.amdhsa_memory_ordered 1
		.amdhsa_forward_progress 1
		.amdhsa_shared_vgpr_count 0
		.amdhsa_exception_fp_ieee_invalid_op 0
		.amdhsa_exception_fp_denorm_src 0
		.amdhsa_exception_fp_ieee_div_zero 0
		.amdhsa_exception_fp_ieee_overflow 0
		.amdhsa_exception_fp_ieee_underflow 0
		.amdhsa_exception_fp_ieee_inexact 0
		.amdhsa_exception_int_div_zero 0
	.end_amdhsa_kernel
	.section	.text._ZN7rocprim17ROCPRIM_400000_NS6detail17trampoline_kernelINS0_14default_configENS1_38merge_sort_block_merge_config_selectorIiNS0_10empty_typeEEEZZNS1_27merge_sort_block_merge_implIS3_N6thrust23THRUST_200600_302600_NS6detail15normal_iteratorINS9_10device_ptrIiEEEEPS5_m17evens_before_oddsEE10hipError_tT0_T1_T2_jT3_P12ihipStream_tbPNSt15iterator_traitsISI_E10value_typeEPNSO_ISJ_E10value_typeEPSK_NS1_7vsmem_tEENKUlT_SI_SJ_SK_E_clIPiSE_SF_SF_EESH_SX_SI_SJ_SK_EUlSX_E0_NS1_11comp_targetILNS1_3genE0ELNS1_11target_archE4294967295ELNS1_3gpuE0ELNS1_3repE0EEENS1_38merge_mergepath_config_static_selectorELNS0_4arch9wavefront6targetE0EEEvSJ_,"axG",@progbits,_ZN7rocprim17ROCPRIM_400000_NS6detail17trampoline_kernelINS0_14default_configENS1_38merge_sort_block_merge_config_selectorIiNS0_10empty_typeEEEZZNS1_27merge_sort_block_merge_implIS3_N6thrust23THRUST_200600_302600_NS6detail15normal_iteratorINS9_10device_ptrIiEEEEPS5_m17evens_before_oddsEE10hipError_tT0_T1_T2_jT3_P12ihipStream_tbPNSt15iterator_traitsISI_E10value_typeEPNSO_ISJ_E10value_typeEPSK_NS1_7vsmem_tEENKUlT_SI_SJ_SK_E_clIPiSE_SF_SF_EESH_SX_SI_SJ_SK_EUlSX_E0_NS1_11comp_targetILNS1_3genE0ELNS1_11target_archE4294967295ELNS1_3gpuE0ELNS1_3repE0EEENS1_38merge_mergepath_config_static_selectorELNS0_4arch9wavefront6targetE0EEEvSJ_,comdat
.Lfunc_end416:
	.size	_ZN7rocprim17ROCPRIM_400000_NS6detail17trampoline_kernelINS0_14default_configENS1_38merge_sort_block_merge_config_selectorIiNS0_10empty_typeEEEZZNS1_27merge_sort_block_merge_implIS3_N6thrust23THRUST_200600_302600_NS6detail15normal_iteratorINS9_10device_ptrIiEEEEPS5_m17evens_before_oddsEE10hipError_tT0_T1_T2_jT3_P12ihipStream_tbPNSt15iterator_traitsISI_E10value_typeEPNSO_ISJ_E10value_typeEPSK_NS1_7vsmem_tEENKUlT_SI_SJ_SK_E_clIPiSE_SF_SF_EESH_SX_SI_SJ_SK_EUlSX_E0_NS1_11comp_targetILNS1_3genE0ELNS1_11target_archE4294967295ELNS1_3gpuE0ELNS1_3repE0EEENS1_38merge_mergepath_config_static_selectorELNS0_4arch9wavefront6targetE0EEEvSJ_, .Lfunc_end416-_ZN7rocprim17ROCPRIM_400000_NS6detail17trampoline_kernelINS0_14default_configENS1_38merge_sort_block_merge_config_selectorIiNS0_10empty_typeEEEZZNS1_27merge_sort_block_merge_implIS3_N6thrust23THRUST_200600_302600_NS6detail15normal_iteratorINS9_10device_ptrIiEEEEPS5_m17evens_before_oddsEE10hipError_tT0_T1_T2_jT3_P12ihipStream_tbPNSt15iterator_traitsISI_E10value_typeEPNSO_ISJ_E10value_typeEPSK_NS1_7vsmem_tEENKUlT_SI_SJ_SK_E_clIPiSE_SF_SF_EESH_SX_SI_SJ_SK_EUlSX_E0_NS1_11comp_targetILNS1_3genE0ELNS1_11target_archE4294967295ELNS1_3gpuE0ELNS1_3repE0EEENS1_38merge_mergepath_config_static_selectorELNS0_4arch9wavefront6targetE0EEEvSJ_
                                        ; -- End function
	.set _ZN7rocprim17ROCPRIM_400000_NS6detail17trampoline_kernelINS0_14default_configENS1_38merge_sort_block_merge_config_selectorIiNS0_10empty_typeEEEZZNS1_27merge_sort_block_merge_implIS3_N6thrust23THRUST_200600_302600_NS6detail15normal_iteratorINS9_10device_ptrIiEEEEPS5_m17evens_before_oddsEE10hipError_tT0_T1_T2_jT3_P12ihipStream_tbPNSt15iterator_traitsISI_E10value_typeEPNSO_ISJ_E10value_typeEPSK_NS1_7vsmem_tEENKUlT_SI_SJ_SK_E_clIPiSE_SF_SF_EESH_SX_SI_SJ_SK_EUlSX_E0_NS1_11comp_targetILNS1_3genE0ELNS1_11target_archE4294967295ELNS1_3gpuE0ELNS1_3repE0EEENS1_38merge_mergepath_config_static_selectorELNS0_4arch9wavefront6targetE0EEEvSJ_.num_vgpr, 0
	.set _ZN7rocprim17ROCPRIM_400000_NS6detail17trampoline_kernelINS0_14default_configENS1_38merge_sort_block_merge_config_selectorIiNS0_10empty_typeEEEZZNS1_27merge_sort_block_merge_implIS3_N6thrust23THRUST_200600_302600_NS6detail15normal_iteratorINS9_10device_ptrIiEEEEPS5_m17evens_before_oddsEE10hipError_tT0_T1_T2_jT3_P12ihipStream_tbPNSt15iterator_traitsISI_E10value_typeEPNSO_ISJ_E10value_typeEPSK_NS1_7vsmem_tEENKUlT_SI_SJ_SK_E_clIPiSE_SF_SF_EESH_SX_SI_SJ_SK_EUlSX_E0_NS1_11comp_targetILNS1_3genE0ELNS1_11target_archE4294967295ELNS1_3gpuE0ELNS1_3repE0EEENS1_38merge_mergepath_config_static_selectorELNS0_4arch9wavefront6targetE0EEEvSJ_.num_agpr, 0
	.set _ZN7rocprim17ROCPRIM_400000_NS6detail17trampoline_kernelINS0_14default_configENS1_38merge_sort_block_merge_config_selectorIiNS0_10empty_typeEEEZZNS1_27merge_sort_block_merge_implIS3_N6thrust23THRUST_200600_302600_NS6detail15normal_iteratorINS9_10device_ptrIiEEEEPS5_m17evens_before_oddsEE10hipError_tT0_T1_T2_jT3_P12ihipStream_tbPNSt15iterator_traitsISI_E10value_typeEPNSO_ISJ_E10value_typeEPSK_NS1_7vsmem_tEENKUlT_SI_SJ_SK_E_clIPiSE_SF_SF_EESH_SX_SI_SJ_SK_EUlSX_E0_NS1_11comp_targetILNS1_3genE0ELNS1_11target_archE4294967295ELNS1_3gpuE0ELNS1_3repE0EEENS1_38merge_mergepath_config_static_selectorELNS0_4arch9wavefront6targetE0EEEvSJ_.numbered_sgpr, 0
	.set _ZN7rocprim17ROCPRIM_400000_NS6detail17trampoline_kernelINS0_14default_configENS1_38merge_sort_block_merge_config_selectorIiNS0_10empty_typeEEEZZNS1_27merge_sort_block_merge_implIS3_N6thrust23THRUST_200600_302600_NS6detail15normal_iteratorINS9_10device_ptrIiEEEEPS5_m17evens_before_oddsEE10hipError_tT0_T1_T2_jT3_P12ihipStream_tbPNSt15iterator_traitsISI_E10value_typeEPNSO_ISJ_E10value_typeEPSK_NS1_7vsmem_tEENKUlT_SI_SJ_SK_E_clIPiSE_SF_SF_EESH_SX_SI_SJ_SK_EUlSX_E0_NS1_11comp_targetILNS1_3genE0ELNS1_11target_archE4294967295ELNS1_3gpuE0ELNS1_3repE0EEENS1_38merge_mergepath_config_static_selectorELNS0_4arch9wavefront6targetE0EEEvSJ_.num_named_barrier, 0
	.set _ZN7rocprim17ROCPRIM_400000_NS6detail17trampoline_kernelINS0_14default_configENS1_38merge_sort_block_merge_config_selectorIiNS0_10empty_typeEEEZZNS1_27merge_sort_block_merge_implIS3_N6thrust23THRUST_200600_302600_NS6detail15normal_iteratorINS9_10device_ptrIiEEEEPS5_m17evens_before_oddsEE10hipError_tT0_T1_T2_jT3_P12ihipStream_tbPNSt15iterator_traitsISI_E10value_typeEPNSO_ISJ_E10value_typeEPSK_NS1_7vsmem_tEENKUlT_SI_SJ_SK_E_clIPiSE_SF_SF_EESH_SX_SI_SJ_SK_EUlSX_E0_NS1_11comp_targetILNS1_3genE0ELNS1_11target_archE4294967295ELNS1_3gpuE0ELNS1_3repE0EEENS1_38merge_mergepath_config_static_selectorELNS0_4arch9wavefront6targetE0EEEvSJ_.private_seg_size, 0
	.set _ZN7rocprim17ROCPRIM_400000_NS6detail17trampoline_kernelINS0_14default_configENS1_38merge_sort_block_merge_config_selectorIiNS0_10empty_typeEEEZZNS1_27merge_sort_block_merge_implIS3_N6thrust23THRUST_200600_302600_NS6detail15normal_iteratorINS9_10device_ptrIiEEEEPS5_m17evens_before_oddsEE10hipError_tT0_T1_T2_jT3_P12ihipStream_tbPNSt15iterator_traitsISI_E10value_typeEPNSO_ISJ_E10value_typeEPSK_NS1_7vsmem_tEENKUlT_SI_SJ_SK_E_clIPiSE_SF_SF_EESH_SX_SI_SJ_SK_EUlSX_E0_NS1_11comp_targetILNS1_3genE0ELNS1_11target_archE4294967295ELNS1_3gpuE0ELNS1_3repE0EEENS1_38merge_mergepath_config_static_selectorELNS0_4arch9wavefront6targetE0EEEvSJ_.uses_vcc, 0
	.set _ZN7rocprim17ROCPRIM_400000_NS6detail17trampoline_kernelINS0_14default_configENS1_38merge_sort_block_merge_config_selectorIiNS0_10empty_typeEEEZZNS1_27merge_sort_block_merge_implIS3_N6thrust23THRUST_200600_302600_NS6detail15normal_iteratorINS9_10device_ptrIiEEEEPS5_m17evens_before_oddsEE10hipError_tT0_T1_T2_jT3_P12ihipStream_tbPNSt15iterator_traitsISI_E10value_typeEPNSO_ISJ_E10value_typeEPSK_NS1_7vsmem_tEENKUlT_SI_SJ_SK_E_clIPiSE_SF_SF_EESH_SX_SI_SJ_SK_EUlSX_E0_NS1_11comp_targetILNS1_3genE0ELNS1_11target_archE4294967295ELNS1_3gpuE0ELNS1_3repE0EEENS1_38merge_mergepath_config_static_selectorELNS0_4arch9wavefront6targetE0EEEvSJ_.uses_flat_scratch, 0
	.set _ZN7rocprim17ROCPRIM_400000_NS6detail17trampoline_kernelINS0_14default_configENS1_38merge_sort_block_merge_config_selectorIiNS0_10empty_typeEEEZZNS1_27merge_sort_block_merge_implIS3_N6thrust23THRUST_200600_302600_NS6detail15normal_iteratorINS9_10device_ptrIiEEEEPS5_m17evens_before_oddsEE10hipError_tT0_T1_T2_jT3_P12ihipStream_tbPNSt15iterator_traitsISI_E10value_typeEPNSO_ISJ_E10value_typeEPSK_NS1_7vsmem_tEENKUlT_SI_SJ_SK_E_clIPiSE_SF_SF_EESH_SX_SI_SJ_SK_EUlSX_E0_NS1_11comp_targetILNS1_3genE0ELNS1_11target_archE4294967295ELNS1_3gpuE0ELNS1_3repE0EEENS1_38merge_mergepath_config_static_selectorELNS0_4arch9wavefront6targetE0EEEvSJ_.has_dyn_sized_stack, 0
	.set _ZN7rocprim17ROCPRIM_400000_NS6detail17trampoline_kernelINS0_14default_configENS1_38merge_sort_block_merge_config_selectorIiNS0_10empty_typeEEEZZNS1_27merge_sort_block_merge_implIS3_N6thrust23THRUST_200600_302600_NS6detail15normal_iteratorINS9_10device_ptrIiEEEEPS5_m17evens_before_oddsEE10hipError_tT0_T1_T2_jT3_P12ihipStream_tbPNSt15iterator_traitsISI_E10value_typeEPNSO_ISJ_E10value_typeEPSK_NS1_7vsmem_tEENKUlT_SI_SJ_SK_E_clIPiSE_SF_SF_EESH_SX_SI_SJ_SK_EUlSX_E0_NS1_11comp_targetILNS1_3genE0ELNS1_11target_archE4294967295ELNS1_3gpuE0ELNS1_3repE0EEENS1_38merge_mergepath_config_static_selectorELNS0_4arch9wavefront6targetE0EEEvSJ_.has_recursion, 0
	.set _ZN7rocprim17ROCPRIM_400000_NS6detail17trampoline_kernelINS0_14default_configENS1_38merge_sort_block_merge_config_selectorIiNS0_10empty_typeEEEZZNS1_27merge_sort_block_merge_implIS3_N6thrust23THRUST_200600_302600_NS6detail15normal_iteratorINS9_10device_ptrIiEEEEPS5_m17evens_before_oddsEE10hipError_tT0_T1_T2_jT3_P12ihipStream_tbPNSt15iterator_traitsISI_E10value_typeEPNSO_ISJ_E10value_typeEPSK_NS1_7vsmem_tEENKUlT_SI_SJ_SK_E_clIPiSE_SF_SF_EESH_SX_SI_SJ_SK_EUlSX_E0_NS1_11comp_targetILNS1_3genE0ELNS1_11target_archE4294967295ELNS1_3gpuE0ELNS1_3repE0EEENS1_38merge_mergepath_config_static_selectorELNS0_4arch9wavefront6targetE0EEEvSJ_.has_indirect_call, 0
	.section	.AMDGPU.csdata,"",@progbits
; Kernel info:
; codeLenInByte = 0
; TotalNumSgprs: 0
; NumVgprs: 0
; ScratchSize: 0
; MemoryBound: 0
; FloatMode: 240
; IeeeMode: 1
; LDSByteSize: 0 bytes/workgroup (compile time only)
; SGPRBlocks: 0
; VGPRBlocks: 0
; NumSGPRsForWavesPerEU: 1
; NumVGPRsForWavesPerEU: 1
; Occupancy: 16
; WaveLimiterHint : 0
; COMPUTE_PGM_RSRC2:SCRATCH_EN: 0
; COMPUTE_PGM_RSRC2:USER_SGPR: 6
; COMPUTE_PGM_RSRC2:TRAP_HANDLER: 0
; COMPUTE_PGM_RSRC2:TGID_X_EN: 1
; COMPUTE_PGM_RSRC2:TGID_Y_EN: 0
; COMPUTE_PGM_RSRC2:TGID_Z_EN: 0
; COMPUTE_PGM_RSRC2:TIDIG_COMP_CNT: 0
	.section	.text._ZN7rocprim17ROCPRIM_400000_NS6detail17trampoline_kernelINS0_14default_configENS1_38merge_sort_block_merge_config_selectorIiNS0_10empty_typeEEEZZNS1_27merge_sort_block_merge_implIS3_N6thrust23THRUST_200600_302600_NS6detail15normal_iteratorINS9_10device_ptrIiEEEEPS5_m17evens_before_oddsEE10hipError_tT0_T1_T2_jT3_P12ihipStream_tbPNSt15iterator_traitsISI_E10value_typeEPNSO_ISJ_E10value_typeEPSK_NS1_7vsmem_tEENKUlT_SI_SJ_SK_E_clIPiSE_SF_SF_EESH_SX_SI_SJ_SK_EUlSX_E0_NS1_11comp_targetILNS1_3genE10ELNS1_11target_archE1201ELNS1_3gpuE5ELNS1_3repE0EEENS1_38merge_mergepath_config_static_selectorELNS0_4arch9wavefront6targetE0EEEvSJ_,"axG",@progbits,_ZN7rocprim17ROCPRIM_400000_NS6detail17trampoline_kernelINS0_14default_configENS1_38merge_sort_block_merge_config_selectorIiNS0_10empty_typeEEEZZNS1_27merge_sort_block_merge_implIS3_N6thrust23THRUST_200600_302600_NS6detail15normal_iteratorINS9_10device_ptrIiEEEEPS5_m17evens_before_oddsEE10hipError_tT0_T1_T2_jT3_P12ihipStream_tbPNSt15iterator_traitsISI_E10value_typeEPNSO_ISJ_E10value_typeEPSK_NS1_7vsmem_tEENKUlT_SI_SJ_SK_E_clIPiSE_SF_SF_EESH_SX_SI_SJ_SK_EUlSX_E0_NS1_11comp_targetILNS1_3genE10ELNS1_11target_archE1201ELNS1_3gpuE5ELNS1_3repE0EEENS1_38merge_mergepath_config_static_selectorELNS0_4arch9wavefront6targetE0EEEvSJ_,comdat
	.protected	_ZN7rocprim17ROCPRIM_400000_NS6detail17trampoline_kernelINS0_14default_configENS1_38merge_sort_block_merge_config_selectorIiNS0_10empty_typeEEEZZNS1_27merge_sort_block_merge_implIS3_N6thrust23THRUST_200600_302600_NS6detail15normal_iteratorINS9_10device_ptrIiEEEEPS5_m17evens_before_oddsEE10hipError_tT0_T1_T2_jT3_P12ihipStream_tbPNSt15iterator_traitsISI_E10value_typeEPNSO_ISJ_E10value_typeEPSK_NS1_7vsmem_tEENKUlT_SI_SJ_SK_E_clIPiSE_SF_SF_EESH_SX_SI_SJ_SK_EUlSX_E0_NS1_11comp_targetILNS1_3genE10ELNS1_11target_archE1201ELNS1_3gpuE5ELNS1_3repE0EEENS1_38merge_mergepath_config_static_selectorELNS0_4arch9wavefront6targetE0EEEvSJ_ ; -- Begin function _ZN7rocprim17ROCPRIM_400000_NS6detail17trampoline_kernelINS0_14default_configENS1_38merge_sort_block_merge_config_selectorIiNS0_10empty_typeEEEZZNS1_27merge_sort_block_merge_implIS3_N6thrust23THRUST_200600_302600_NS6detail15normal_iteratorINS9_10device_ptrIiEEEEPS5_m17evens_before_oddsEE10hipError_tT0_T1_T2_jT3_P12ihipStream_tbPNSt15iterator_traitsISI_E10value_typeEPNSO_ISJ_E10value_typeEPSK_NS1_7vsmem_tEENKUlT_SI_SJ_SK_E_clIPiSE_SF_SF_EESH_SX_SI_SJ_SK_EUlSX_E0_NS1_11comp_targetILNS1_3genE10ELNS1_11target_archE1201ELNS1_3gpuE5ELNS1_3repE0EEENS1_38merge_mergepath_config_static_selectorELNS0_4arch9wavefront6targetE0EEEvSJ_
	.globl	_ZN7rocprim17ROCPRIM_400000_NS6detail17trampoline_kernelINS0_14default_configENS1_38merge_sort_block_merge_config_selectorIiNS0_10empty_typeEEEZZNS1_27merge_sort_block_merge_implIS3_N6thrust23THRUST_200600_302600_NS6detail15normal_iteratorINS9_10device_ptrIiEEEEPS5_m17evens_before_oddsEE10hipError_tT0_T1_T2_jT3_P12ihipStream_tbPNSt15iterator_traitsISI_E10value_typeEPNSO_ISJ_E10value_typeEPSK_NS1_7vsmem_tEENKUlT_SI_SJ_SK_E_clIPiSE_SF_SF_EESH_SX_SI_SJ_SK_EUlSX_E0_NS1_11comp_targetILNS1_3genE10ELNS1_11target_archE1201ELNS1_3gpuE5ELNS1_3repE0EEENS1_38merge_mergepath_config_static_selectorELNS0_4arch9wavefront6targetE0EEEvSJ_
	.p2align	8
	.type	_ZN7rocprim17ROCPRIM_400000_NS6detail17trampoline_kernelINS0_14default_configENS1_38merge_sort_block_merge_config_selectorIiNS0_10empty_typeEEEZZNS1_27merge_sort_block_merge_implIS3_N6thrust23THRUST_200600_302600_NS6detail15normal_iteratorINS9_10device_ptrIiEEEEPS5_m17evens_before_oddsEE10hipError_tT0_T1_T2_jT3_P12ihipStream_tbPNSt15iterator_traitsISI_E10value_typeEPNSO_ISJ_E10value_typeEPSK_NS1_7vsmem_tEENKUlT_SI_SJ_SK_E_clIPiSE_SF_SF_EESH_SX_SI_SJ_SK_EUlSX_E0_NS1_11comp_targetILNS1_3genE10ELNS1_11target_archE1201ELNS1_3gpuE5ELNS1_3repE0EEENS1_38merge_mergepath_config_static_selectorELNS0_4arch9wavefront6targetE0EEEvSJ_,@function
_ZN7rocprim17ROCPRIM_400000_NS6detail17trampoline_kernelINS0_14default_configENS1_38merge_sort_block_merge_config_selectorIiNS0_10empty_typeEEEZZNS1_27merge_sort_block_merge_implIS3_N6thrust23THRUST_200600_302600_NS6detail15normal_iteratorINS9_10device_ptrIiEEEEPS5_m17evens_before_oddsEE10hipError_tT0_T1_T2_jT3_P12ihipStream_tbPNSt15iterator_traitsISI_E10value_typeEPNSO_ISJ_E10value_typeEPSK_NS1_7vsmem_tEENKUlT_SI_SJ_SK_E_clIPiSE_SF_SF_EESH_SX_SI_SJ_SK_EUlSX_E0_NS1_11comp_targetILNS1_3genE10ELNS1_11target_archE1201ELNS1_3gpuE5ELNS1_3repE0EEENS1_38merge_mergepath_config_static_selectorELNS0_4arch9wavefront6targetE0EEEvSJ_: ; @_ZN7rocprim17ROCPRIM_400000_NS6detail17trampoline_kernelINS0_14default_configENS1_38merge_sort_block_merge_config_selectorIiNS0_10empty_typeEEEZZNS1_27merge_sort_block_merge_implIS3_N6thrust23THRUST_200600_302600_NS6detail15normal_iteratorINS9_10device_ptrIiEEEEPS5_m17evens_before_oddsEE10hipError_tT0_T1_T2_jT3_P12ihipStream_tbPNSt15iterator_traitsISI_E10value_typeEPNSO_ISJ_E10value_typeEPSK_NS1_7vsmem_tEENKUlT_SI_SJ_SK_E_clIPiSE_SF_SF_EESH_SX_SI_SJ_SK_EUlSX_E0_NS1_11comp_targetILNS1_3genE10ELNS1_11target_archE1201ELNS1_3gpuE5ELNS1_3repE0EEENS1_38merge_mergepath_config_static_selectorELNS0_4arch9wavefront6targetE0EEEvSJ_
; %bb.0:
	.section	.rodata,"a",@progbits
	.p2align	6, 0x0
	.amdhsa_kernel _ZN7rocprim17ROCPRIM_400000_NS6detail17trampoline_kernelINS0_14default_configENS1_38merge_sort_block_merge_config_selectorIiNS0_10empty_typeEEEZZNS1_27merge_sort_block_merge_implIS3_N6thrust23THRUST_200600_302600_NS6detail15normal_iteratorINS9_10device_ptrIiEEEEPS5_m17evens_before_oddsEE10hipError_tT0_T1_T2_jT3_P12ihipStream_tbPNSt15iterator_traitsISI_E10value_typeEPNSO_ISJ_E10value_typeEPSK_NS1_7vsmem_tEENKUlT_SI_SJ_SK_E_clIPiSE_SF_SF_EESH_SX_SI_SJ_SK_EUlSX_E0_NS1_11comp_targetILNS1_3genE10ELNS1_11target_archE1201ELNS1_3gpuE5ELNS1_3repE0EEENS1_38merge_mergepath_config_static_selectorELNS0_4arch9wavefront6targetE0EEEvSJ_
		.amdhsa_group_segment_fixed_size 0
		.amdhsa_private_segment_fixed_size 0
		.amdhsa_kernarg_size 72
		.amdhsa_user_sgpr_count 6
		.amdhsa_user_sgpr_private_segment_buffer 1
		.amdhsa_user_sgpr_dispatch_ptr 0
		.amdhsa_user_sgpr_queue_ptr 0
		.amdhsa_user_sgpr_kernarg_segment_ptr 1
		.amdhsa_user_sgpr_dispatch_id 0
		.amdhsa_user_sgpr_flat_scratch_init 0
		.amdhsa_user_sgpr_private_segment_size 0
		.amdhsa_wavefront_size32 1
		.amdhsa_uses_dynamic_stack 0
		.amdhsa_system_sgpr_private_segment_wavefront_offset 0
		.amdhsa_system_sgpr_workgroup_id_x 1
		.amdhsa_system_sgpr_workgroup_id_y 0
		.amdhsa_system_sgpr_workgroup_id_z 0
		.amdhsa_system_sgpr_workgroup_info 0
		.amdhsa_system_vgpr_workitem_id 0
		.amdhsa_next_free_vgpr 1
		.amdhsa_next_free_sgpr 1
		.amdhsa_reserve_vcc 0
		.amdhsa_reserve_flat_scratch 0
		.amdhsa_float_round_mode_32 0
		.amdhsa_float_round_mode_16_64 0
		.amdhsa_float_denorm_mode_32 3
		.amdhsa_float_denorm_mode_16_64 3
		.amdhsa_dx10_clamp 1
		.amdhsa_ieee_mode 1
		.amdhsa_fp16_overflow 0
		.amdhsa_workgroup_processor_mode 1
		.amdhsa_memory_ordered 1
		.amdhsa_forward_progress 1
		.amdhsa_shared_vgpr_count 0
		.amdhsa_exception_fp_ieee_invalid_op 0
		.amdhsa_exception_fp_denorm_src 0
		.amdhsa_exception_fp_ieee_div_zero 0
		.amdhsa_exception_fp_ieee_overflow 0
		.amdhsa_exception_fp_ieee_underflow 0
		.amdhsa_exception_fp_ieee_inexact 0
		.amdhsa_exception_int_div_zero 0
	.end_amdhsa_kernel
	.section	.text._ZN7rocprim17ROCPRIM_400000_NS6detail17trampoline_kernelINS0_14default_configENS1_38merge_sort_block_merge_config_selectorIiNS0_10empty_typeEEEZZNS1_27merge_sort_block_merge_implIS3_N6thrust23THRUST_200600_302600_NS6detail15normal_iteratorINS9_10device_ptrIiEEEEPS5_m17evens_before_oddsEE10hipError_tT0_T1_T2_jT3_P12ihipStream_tbPNSt15iterator_traitsISI_E10value_typeEPNSO_ISJ_E10value_typeEPSK_NS1_7vsmem_tEENKUlT_SI_SJ_SK_E_clIPiSE_SF_SF_EESH_SX_SI_SJ_SK_EUlSX_E0_NS1_11comp_targetILNS1_3genE10ELNS1_11target_archE1201ELNS1_3gpuE5ELNS1_3repE0EEENS1_38merge_mergepath_config_static_selectorELNS0_4arch9wavefront6targetE0EEEvSJ_,"axG",@progbits,_ZN7rocprim17ROCPRIM_400000_NS6detail17trampoline_kernelINS0_14default_configENS1_38merge_sort_block_merge_config_selectorIiNS0_10empty_typeEEEZZNS1_27merge_sort_block_merge_implIS3_N6thrust23THRUST_200600_302600_NS6detail15normal_iteratorINS9_10device_ptrIiEEEEPS5_m17evens_before_oddsEE10hipError_tT0_T1_T2_jT3_P12ihipStream_tbPNSt15iterator_traitsISI_E10value_typeEPNSO_ISJ_E10value_typeEPSK_NS1_7vsmem_tEENKUlT_SI_SJ_SK_E_clIPiSE_SF_SF_EESH_SX_SI_SJ_SK_EUlSX_E0_NS1_11comp_targetILNS1_3genE10ELNS1_11target_archE1201ELNS1_3gpuE5ELNS1_3repE0EEENS1_38merge_mergepath_config_static_selectorELNS0_4arch9wavefront6targetE0EEEvSJ_,comdat
.Lfunc_end417:
	.size	_ZN7rocprim17ROCPRIM_400000_NS6detail17trampoline_kernelINS0_14default_configENS1_38merge_sort_block_merge_config_selectorIiNS0_10empty_typeEEEZZNS1_27merge_sort_block_merge_implIS3_N6thrust23THRUST_200600_302600_NS6detail15normal_iteratorINS9_10device_ptrIiEEEEPS5_m17evens_before_oddsEE10hipError_tT0_T1_T2_jT3_P12ihipStream_tbPNSt15iterator_traitsISI_E10value_typeEPNSO_ISJ_E10value_typeEPSK_NS1_7vsmem_tEENKUlT_SI_SJ_SK_E_clIPiSE_SF_SF_EESH_SX_SI_SJ_SK_EUlSX_E0_NS1_11comp_targetILNS1_3genE10ELNS1_11target_archE1201ELNS1_3gpuE5ELNS1_3repE0EEENS1_38merge_mergepath_config_static_selectorELNS0_4arch9wavefront6targetE0EEEvSJ_, .Lfunc_end417-_ZN7rocprim17ROCPRIM_400000_NS6detail17trampoline_kernelINS0_14default_configENS1_38merge_sort_block_merge_config_selectorIiNS0_10empty_typeEEEZZNS1_27merge_sort_block_merge_implIS3_N6thrust23THRUST_200600_302600_NS6detail15normal_iteratorINS9_10device_ptrIiEEEEPS5_m17evens_before_oddsEE10hipError_tT0_T1_T2_jT3_P12ihipStream_tbPNSt15iterator_traitsISI_E10value_typeEPNSO_ISJ_E10value_typeEPSK_NS1_7vsmem_tEENKUlT_SI_SJ_SK_E_clIPiSE_SF_SF_EESH_SX_SI_SJ_SK_EUlSX_E0_NS1_11comp_targetILNS1_3genE10ELNS1_11target_archE1201ELNS1_3gpuE5ELNS1_3repE0EEENS1_38merge_mergepath_config_static_selectorELNS0_4arch9wavefront6targetE0EEEvSJ_
                                        ; -- End function
	.set _ZN7rocprim17ROCPRIM_400000_NS6detail17trampoline_kernelINS0_14default_configENS1_38merge_sort_block_merge_config_selectorIiNS0_10empty_typeEEEZZNS1_27merge_sort_block_merge_implIS3_N6thrust23THRUST_200600_302600_NS6detail15normal_iteratorINS9_10device_ptrIiEEEEPS5_m17evens_before_oddsEE10hipError_tT0_T1_T2_jT3_P12ihipStream_tbPNSt15iterator_traitsISI_E10value_typeEPNSO_ISJ_E10value_typeEPSK_NS1_7vsmem_tEENKUlT_SI_SJ_SK_E_clIPiSE_SF_SF_EESH_SX_SI_SJ_SK_EUlSX_E0_NS1_11comp_targetILNS1_3genE10ELNS1_11target_archE1201ELNS1_3gpuE5ELNS1_3repE0EEENS1_38merge_mergepath_config_static_selectorELNS0_4arch9wavefront6targetE0EEEvSJ_.num_vgpr, 0
	.set _ZN7rocprim17ROCPRIM_400000_NS6detail17trampoline_kernelINS0_14default_configENS1_38merge_sort_block_merge_config_selectorIiNS0_10empty_typeEEEZZNS1_27merge_sort_block_merge_implIS3_N6thrust23THRUST_200600_302600_NS6detail15normal_iteratorINS9_10device_ptrIiEEEEPS5_m17evens_before_oddsEE10hipError_tT0_T1_T2_jT3_P12ihipStream_tbPNSt15iterator_traitsISI_E10value_typeEPNSO_ISJ_E10value_typeEPSK_NS1_7vsmem_tEENKUlT_SI_SJ_SK_E_clIPiSE_SF_SF_EESH_SX_SI_SJ_SK_EUlSX_E0_NS1_11comp_targetILNS1_3genE10ELNS1_11target_archE1201ELNS1_3gpuE5ELNS1_3repE0EEENS1_38merge_mergepath_config_static_selectorELNS0_4arch9wavefront6targetE0EEEvSJ_.num_agpr, 0
	.set _ZN7rocprim17ROCPRIM_400000_NS6detail17trampoline_kernelINS0_14default_configENS1_38merge_sort_block_merge_config_selectorIiNS0_10empty_typeEEEZZNS1_27merge_sort_block_merge_implIS3_N6thrust23THRUST_200600_302600_NS6detail15normal_iteratorINS9_10device_ptrIiEEEEPS5_m17evens_before_oddsEE10hipError_tT0_T1_T2_jT3_P12ihipStream_tbPNSt15iterator_traitsISI_E10value_typeEPNSO_ISJ_E10value_typeEPSK_NS1_7vsmem_tEENKUlT_SI_SJ_SK_E_clIPiSE_SF_SF_EESH_SX_SI_SJ_SK_EUlSX_E0_NS1_11comp_targetILNS1_3genE10ELNS1_11target_archE1201ELNS1_3gpuE5ELNS1_3repE0EEENS1_38merge_mergepath_config_static_selectorELNS0_4arch9wavefront6targetE0EEEvSJ_.numbered_sgpr, 0
	.set _ZN7rocprim17ROCPRIM_400000_NS6detail17trampoline_kernelINS0_14default_configENS1_38merge_sort_block_merge_config_selectorIiNS0_10empty_typeEEEZZNS1_27merge_sort_block_merge_implIS3_N6thrust23THRUST_200600_302600_NS6detail15normal_iteratorINS9_10device_ptrIiEEEEPS5_m17evens_before_oddsEE10hipError_tT0_T1_T2_jT3_P12ihipStream_tbPNSt15iterator_traitsISI_E10value_typeEPNSO_ISJ_E10value_typeEPSK_NS1_7vsmem_tEENKUlT_SI_SJ_SK_E_clIPiSE_SF_SF_EESH_SX_SI_SJ_SK_EUlSX_E0_NS1_11comp_targetILNS1_3genE10ELNS1_11target_archE1201ELNS1_3gpuE5ELNS1_3repE0EEENS1_38merge_mergepath_config_static_selectorELNS0_4arch9wavefront6targetE0EEEvSJ_.num_named_barrier, 0
	.set _ZN7rocprim17ROCPRIM_400000_NS6detail17trampoline_kernelINS0_14default_configENS1_38merge_sort_block_merge_config_selectorIiNS0_10empty_typeEEEZZNS1_27merge_sort_block_merge_implIS3_N6thrust23THRUST_200600_302600_NS6detail15normal_iteratorINS9_10device_ptrIiEEEEPS5_m17evens_before_oddsEE10hipError_tT0_T1_T2_jT3_P12ihipStream_tbPNSt15iterator_traitsISI_E10value_typeEPNSO_ISJ_E10value_typeEPSK_NS1_7vsmem_tEENKUlT_SI_SJ_SK_E_clIPiSE_SF_SF_EESH_SX_SI_SJ_SK_EUlSX_E0_NS1_11comp_targetILNS1_3genE10ELNS1_11target_archE1201ELNS1_3gpuE5ELNS1_3repE0EEENS1_38merge_mergepath_config_static_selectorELNS0_4arch9wavefront6targetE0EEEvSJ_.private_seg_size, 0
	.set _ZN7rocprim17ROCPRIM_400000_NS6detail17trampoline_kernelINS0_14default_configENS1_38merge_sort_block_merge_config_selectorIiNS0_10empty_typeEEEZZNS1_27merge_sort_block_merge_implIS3_N6thrust23THRUST_200600_302600_NS6detail15normal_iteratorINS9_10device_ptrIiEEEEPS5_m17evens_before_oddsEE10hipError_tT0_T1_T2_jT3_P12ihipStream_tbPNSt15iterator_traitsISI_E10value_typeEPNSO_ISJ_E10value_typeEPSK_NS1_7vsmem_tEENKUlT_SI_SJ_SK_E_clIPiSE_SF_SF_EESH_SX_SI_SJ_SK_EUlSX_E0_NS1_11comp_targetILNS1_3genE10ELNS1_11target_archE1201ELNS1_3gpuE5ELNS1_3repE0EEENS1_38merge_mergepath_config_static_selectorELNS0_4arch9wavefront6targetE0EEEvSJ_.uses_vcc, 0
	.set _ZN7rocprim17ROCPRIM_400000_NS6detail17trampoline_kernelINS0_14default_configENS1_38merge_sort_block_merge_config_selectorIiNS0_10empty_typeEEEZZNS1_27merge_sort_block_merge_implIS3_N6thrust23THRUST_200600_302600_NS6detail15normal_iteratorINS9_10device_ptrIiEEEEPS5_m17evens_before_oddsEE10hipError_tT0_T1_T2_jT3_P12ihipStream_tbPNSt15iterator_traitsISI_E10value_typeEPNSO_ISJ_E10value_typeEPSK_NS1_7vsmem_tEENKUlT_SI_SJ_SK_E_clIPiSE_SF_SF_EESH_SX_SI_SJ_SK_EUlSX_E0_NS1_11comp_targetILNS1_3genE10ELNS1_11target_archE1201ELNS1_3gpuE5ELNS1_3repE0EEENS1_38merge_mergepath_config_static_selectorELNS0_4arch9wavefront6targetE0EEEvSJ_.uses_flat_scratch, 0
	.set _ZN7rocprim17ROCPRIM_400000_NS6detail17trampoline_kernelINS0_14default_configENS1_38merge_sort_block_merge_config_selectorIiNS0_10empty_typeEEEZZNS1_27merge_sort_block_merge_implIS3_N6thrust23THRUST_200600_302600_NS6detail15normal_iteratorINS9_10device_ptrIiEEEEPS5_m17evens_before_oddsEE10hipError_tT0_T1_T2_jT3_P12ihipStream_tbPNSt15iterator_traitsISI_E10value_typeEPNSO_ISJ_E10value_typeEPSK_NS1_7vsmem_tEENKUlT_SI_SJ_SK_E_clIPiSE_SF_SF_EESH_SX_SI_SJ_SK_EUlSX_E0_NS1_11comp_targetILNS1_3genE10ELNS1_11target_archE1201ELNS1_3gpuE5ELNS1_3repE0EEENS1_38merge_mergepath_config_static_selectorELNS0_4arch9wavefront6targetE0EEEvSJ_.has_dyn_sized_stack, 0
	.set _ZN7rocprim17ROCPRIM_400000_NS6detail17trampoline_kernelINS0_14default_configENS1_38merge_sort_block_merge_config_selectorIiNS0_10empty_typeEEEZZNS1_27merge_sort_block_merge_implIS3_N6thrust23THRUST_200600_302600_NS6detail15normal_iteratorINS9_10device_ptrIiEEEEPS5_m17evens_before_oddsEE10hipError_tT0_T1_T2_jT3_P12ihipStream_tbPNSt15iterator_traitsISI_E10value_typeEPNSO_ISJ_E10value_typeEPSK_NS1_7vsmem_tEENKUlT_SI_SJ_SK_E_clIPiSE_SF_SF_EESH_SX_SI_SJ_SK_EUlSX_E0_NS1_11comp_targetILNS1_3genE10ELNS1_11target_archE1201ELNS1_3gpuE5ELNS1_3repE0EEENS1_38merge_mergepath_config_static_selectorELNS0_4arch9wavefront6targetE0EEEvSJ_.has_recursion, 0
	.set _ZN7rocprim17ROCPRIM_400000_NS6detail17trampoline_kernelINS0_14default_configENS1_38merge_sort_block_merge_config_selectorIiNS0_10empty_typeEEEZZNS1_27merge_sort_block_merge_implIS3_N6thrust23THRUST_200600_302600_NS6detail15normal_iteratorINS9_10device_ptrIiEEEEPS5_m17evens_before_oddsEE10hipError_tT0_T1_T2_jT3_P12ihipStream_tbPNSt15iterator_traitsISI_E10value_typeEPNSO_ISJ_E10value_typeEPSK_NS1_7vsmem_tEENKUlT_SI_SJ_SK_E_clIPiSE_SF_SF_EESH_SX_SI_SJ_SK_EUlSX_E0_NS1_11comp_targetILNS1_3genE10ELNS1_11target_archE1201ELNS1_3gpuE5ELNS1_3repE0EEENS1_38merge_mergepath_config_static_selectorELNS0_4arch9wavefront6targetE0EEEvSJ_.has_indirect_call, 0
	.section	.AMDGPU.csdata,"",@progbits
; Kernel info:
; codeLenInByte = 0
; TotalNumSgprs: 0
; NumVgprs: 0
; ScratchSize: 0
; MemoryBound: 0
; FloatMode: 240
; IeeeMode: 1
; LDSByteSize: 0 bytes/workgroup (compile time only)
; SGPRBlocks: 0
; VGPRBlocks: 0
; NumSGPRsForWavesPerEU: 1
; NumVGPRsForWavesPerEU: 1
; Occupancy: 16
; WaveLimiterHint : 0
; COMPUTE_PGM_RSRC2:SCRATCH_EN: 0
; COMPUTE_PGM_RSRC2:USER_SGPR: 6
; COMPUTE_PGM_RSRC2:TRAP_HANDLER: 0
; COMPUTE_PGM_RSRC2:TGID_X_EN: 1
; COMPUTE_PGM_RSRC2:TGID_Y_EN: 0
; COMPUTE_PGM_RSRC2:TGID_Z_EN: 0
; COMPUTE_PGM_RSRC2:TIDIG_COMP_CNT: 0
	.section	.text._ZN7rocprim17ROCPRIM_400000_NS6detail17trampoline_kernelINS0_14default_configENS1_38merge_sort_block_merge_config_selectorIiNS0_10empty_typeEEEZZNS1_27merge_sort_block_merge_implIS3_N6thrust23THRUST_200600_302600_NS6detail15normal_iteratorINS9_10device_ptrIiEEEEPS5_m17evens_before_oddsEE10hipError_tT0_T1_T2_jT3_P12ihipStream_tbPNSt15iterator_traitsISI_E10value_typeEPNSO_ISJ_E10value_typeEPSK_NS1_7vsmem_tEENKUlT_SI_SJ_SK_E_clIPiSE_SF_SF_EESH_SX_SI_SJ_SK_EUlSX_E0_NS1_11comp_targetILNS1_3genE5ELNS1_11target_archE942ELNS1_3gpuE9ELNS1_3repE0EEENS1_38merge_mergepath_config_static_selectorELNS0_4arch9wavefront6targetE0EEEvSJ_,"axG",@progbits,_ZN7rocprim17ROCPRIM_400000_NS6detail17trampoline_kernelINS0_14default_configENS1_38merge_sort_block_merge_config_selectorIiNS0_10empty_typeEEEZZNS1_27merge_sort_block_merge_implIS3_N6thrust23THRUST_200600_302600_NS6detail15normal_iteratorINS9_10device_ptrIiEEEEPS5_m17evens_before_oddsEE10hipError_tT0_T1_T2_jT3_P12ihipStream_tbPNSt15iterator_traitsISI_E10value_typeEPNSO_ISJ_E10value_typeEPSK_NS1_7vsmem_tEENKUlT_SI_SJ_SK_E_clIPiSE_SF_SF_EESH_SX_SI_SJ_SK_EUlSX_E0_NS1_11comp_targetILNS1_3genE5ELNS1_11target_archE942ELNS1_3gpuE9ELNS1_3repE0EEENS1_38merge_mergepath_config_static_selectorELNS0_4arch9wavefront6targetE0EEEvSJ_,comdat
	.protected	_ZN7rocprim17ROCPRIM_400000_NS6detail17trampoline_kernelINS0_14default_configENS1_38merge_sort_block_merge_config_selectorIiNS0_10empty_typeEEEZZNS1_27merge_sort_block_merge_implIS3_N6thrust23THRUST_200600_302600_NS6detail15normal_iteratorINS9_10device_ptrIiEEEEPS5_m17evens_before_oddsEE10hipError_tT0_T1_T2_jT3_P12ihipStream_tbPNSt15iterator_traitsISI_E10value_typeEPNSO_ISJ_E10value_typeEPSK_NS1_7vsmem_tEENKUlT_SI_SJ_SK_E_clIPiSE_SF_SF_EESH_SX_SI_SJ_SK_EUlSX_E0_NS1_11comp_targetILNS1_3genE5ELNS1_11target_archE942ELNS1_3gpuE9ELNS1_3repE0EEENS1_38merge_mergepath_config_static_selectorELNS0_4arch9wavefront6targetE0EEEvSJ_ ; -- Begin function _ZN7rocprim17ROCPRIM_400000_NS6detail17trampoline_kernelINS0_14default_configENS1_38merge_sort_block_merge_config_selectorIiNS0_10empty_typeEEEZZNS1_27merge_sort_block_merge_implIS3_N6thrust23THRUST_200600_302600_NS6detail15normal_iteratorINS9_10device_ptrIiEEEEPS5_m17evens_before_oddsEE10hipError_tT0_T1_T2_jT3_P12ihipStream_tbPNSt15iterator_traitsISI_E10value_typeEPNSO_ISJ_E10value_typeEPSK_NS1_7vsmem_tEENKUlT_SI_SJ_SK_E_clIPiSE_SF_SF_EESH_SX_SI_SJ_SK_EUlSX_E0_NS1_11comp_targetILNS1_3genE5ELNS1_11target_archE942ELNS1_3gpuE9ELNS1_3repE0EEENS1_38merge_mergepath_config_static_selectorELNS0_4arch9wavefront6targetE0EEEvSJ_
	.globl	_ZN7rocprim17ROCPRIM_400000_NS6detail17trampoline_kernelINS0_14default_configENS1_38merge_sort_block_merge_config_selectorIiNS0_10empty_typeEEEZZNS1_27merge_sort_block_merge_implIS3_N6thrust23THRUST_200600_302600_NS6detail15normal_iteratorINS9_10device_ptrIiEEEEPS5_m17evens_before_oddsEE10hipError_tT0_T1_T2_jT3_P12ihipStream_tbPNSt15iterator_traitsISI_E10value_typeEPNSO_ISJ_E10value_typeEPSK_NS1_7vsmem_tEENKUlT_SI_SJ_SK_E_clIPiSE_SF_SF_EESH_SX_SI_SJ_SK_EUlSX_E0_NS1_11comp_targetILNS1_3genE5ELNS1_11target_archE942ELNS1_3gpuE9ELNS1_3repE0EEENS1_38merge_mergepath_config_static_selectorELNS0_4arch9wavefront6targetE0EEEvSJ_
	.p2align	8
	.type	_ZN7rocprim17ROCPRIM_400000_NS6detail17trampoline_kernelINS0_14default_configENS1_38merge_sort_block_merge_config_selectorIiNS0_10empty_typeEEEZZNS1_27merge_sort_block_merge_implIS3_N6thrust23THRUST_200600_302600_NS6detail15normal_iteratorINS9_10device_ptrIiEEEEPS5_m17evens_before_oddsEE10hipError_tT0_T1_T2_jT3_P12ihipStream_tbPNSt15iterator_traitsISI_E10value_typeEPNSO_ISJ_E10value_typeEPSK_NS1_7vsmem_tEENKUlT_SI_SJ_SK_E_clIPiSE_SF_SF_EESH_SX_SI_SJ_SK_EUlSX_E0_NS1_11comp_targetILNS1_3genE5ELNS1_11target_archE942ELNS1_3gpuE9ELNS1_3repE0EEENS1_38merge_mergepath_config_static_selectorELNS0_4arch9wavefront6targetE0EEEvSJ_,@function
_ZN7rocprim17ROCPRIM_400000_NS6detail17trampoline_kernelINS0_14default_configENS1_38merge_sort_block_merge_config_selectorIiNS0_10empty_typeEEEZZNS1_27merge_sort_block_merge_implIS3_N6thrust23THRUST_200600_302600_NS6detail15normal_iteratorINS9_10device_ptrIiEEEEPS5_m17evens_before_oddsEE10hipError_tT0_T1_T2_jT3_P12ihipStream_tbPNSt15iterator_traitsISI_E10value_typeEPNSO_ISJ_E10value_typeEPSK_NS1_7vsmem_tEENKUlT_SI_SJ_SK_E_clIPiSE_SF_SF_EESH_SX_SI_SJ_SK_EUlSX_E0_NS1_11comp_targetILNS1_3genE5ELNS1_11target_archE942ELNS1_3gpuE9ELNS1_3repE0EEENS1_38merge_mergepath_config_static_selectorELNS0_4arch9wavefront6targetE0EEEvSJ_: ; @_ZN7rocprim17ROCPRIM_400000_NS6detail17trampoline_kernelINS0_14default_configENS1_38merge_sort_block_merge_config_selectorIiNS0_10empty_typeEEEZZNS1_27merge_sort_block_merge_implIS3_N6thrust23THRUST_200600_302600_NS6detail15normal_iteratorINS9_10device_ptrIiEEEEPS5_m17evens_before_oddsEE10hipError_tT0_T1_T2_jT3_P12ihipStream_tbPNSt15iterator_traitsISI_E10value_typeEPNSO_ISJ_E10value_typeEPSK_NS1_7vsmem_tEENKUlT_SI_SJ_SK_E_clIPiSE_SF_SF_EESH_SX_SI_SJ_SK_EUlSX_E0_NS1_11comp_targetILNS1_3genE5ELNS1_11target_archE942ELNS1_3gpuE9ELNS1_3repE0EEENS1_38merge_mergepath_config_static_selectorELNS0_4arch9wavefront6targetE0EEEvSJ_
; %bb.0:
	.section	.rodata,"a",@progbits
	.p2align	6, 0x0
	.amdhsa_kernel _ZN7rocprim17ROCPRIM_400000_NS6detail17trampoline_kernelINS0_14default_configENS1_38merge_sort_block_merge_config_selectorIiNS0_10empty_typeEEEZZNS1_27merge_sort_block_merge_implIS3_N6thrust23THRUST_200600_302600_NS6detail15normal_iteratorINS9_10device_ptrIiEEEEPS5_m17evens_before_oddsEE10hipError_tT0_T1_T2_jT3_P12ihipStream_tbPNSt15iterator_traitsISI_E10value_typeEPNSO_ISJ_E10value_typeEPSK_NS1_7vsmem_tEENKUlT_SI_SJ_SK_E_clIPiSE_SF_SF_EESH_SX_SI_SJ_SK_EUlSX_E0_NS1_11comp_targetILNS1_3genE5ELNS1_11target_archE942ELNS1_3gpuE9ELNS1_3repE0EEENS1_38merge_mergepath_config_static_selectorELNS0_4arch9wavefront6targetE0EEEvSJ_
		.amdhsa_group_segment_fixed_size 0
		.amdhsa_private_segment_fixed_size 0
		.amdhsa_kernarg_size 72
		.amdhsa_user_sgpr_count 6
		.amdhsa_user_sgpr_private_segment_buffer 1
		.amdhsa_user_sgpr_dispatch_ptr 0
		.amdhsa_user_sgpr_queue_ptr 0
		.amdhsa_user_sgpr_kernarg_segment_ptr 1
		.amdhsa_user_sgpr_dispatch_id 0
		.amdhsa_user_sgpr_flat_scratch_init 0
		.amdhsa_user_sgpr_private_segment_size 0
		.amdhsa_wavefront_size32 1
		.amdhsa_uses_dynamic_stack 0
		.amdhsa_system_sgpr_private_segment_wavefront_offset 0
		.amdhsa_system_sgpr_workgroup_id_x 1
		.amdhsa_system_sgpr_workgroup_id_y 0
		.amdhsa_system_sgpr_workgroup_id_z 0
		.amdhsa_system_sgpr_workgroup_info 0
		.amdhsa_system_vgpr_workitem_id 0
		.amdhsa_next_free_vgpr 1
		.amdhsa_next_free_sgpr 1
		.amdhsa_reserve_vcc 0
		.amdhsa_reserve_flat_scratch 0
		.amdhsa_float_round_mode_32 0
		.amdhsa_float_round_mode_16_64 0
		.amdhsa_float_denorm_mode_32 3
		.amdhsa_float_denorm_mode_16_64 3
		.amdhsa_dx10_clamp 1
		.amdhsa_ieee_mode 1
		.amdhsa_fp16_overflow 0
		.amdhsa_workgroup_processor_mode 1
		.amdhsa_memory_ordered 1
		.amdhsa_forward_progress 1
		.amdhsa_shared_vgpr_count 0
		.amdhsa_exception_fp_ieee_invalid_op 0
		.amdhsa_exception_fp_denorm_src 0
		.amdhsa_exception_fp_ieee_div_zero 0
		.amdhsa_exception_fp_ieee_overflow 0
		.amdhsa_exception_fp_ieee_underflow 0
		.amdhsa_exception_fp_ieee_inexact 0
		.amdhsa_exception_int_div_zero 0
	.end_amdhsa_kernel
	.section	.text._ZN7rocprim17ROCPRIM_400000_NS6detail17trampoline_kernelINS0_14default_configENS1_38merge_sort_block_merge_config_selectorIiNS0_10empty_typeEEEZZNS1_27merge_sort_block_merge_implIS3_N6thrust23THRUST_200600_302600_NS6detail15normal_iteratorINS9_10device_ptrIiEEEEPS5_m17evens_before_oddsEE10hipError_tT0_T1_T2_jT3_P12ihipStream_tbPNSt15iterator_traitsISI_E10value_typeEPNSO_ISJ_E10value_typeEPSK_NS1_7vsmem_tEENKUlT_SI_SJ_SK_E_clIPiSE_SF_SF_EESH_SX_SI_SJ_SK_EUlSX_E0_NS1_11comp_targetILNS1_3genE5ELNS1_11target_archE942ELNS1_3gpuE9ELNS1_3repE0EEENS1_38merge_mergepath_config_static_selectorELNS0_4arch9wavefront6targetE0EEEvSJ_,"axG",@progbits,_ZN7rocprim17ROCPRIM_400000_NS6detail17trampoline_kernelINS0_14default_configENS1_38merge_sort_block_merge_config_selectorIiNS0_10empty_typeEEEZZNS1_27merge_sort_block_merge_implIS3_N6thrust23THRUST_200600_302600_NS6detail15normal_iteratorINS9_10device_ptrIiEEEEPS5_m17evens_before_oddsEE10hipError_tT0_T1_T2_jT3_P12ihipStream_tbPNSt15iterator_traitsISI_E10value_typeEPNSO_ISJ_E10value_typeEPSK_NS1_7vsmem_tEENKUlT_SI_SJ_SK_E_clIPiSE_SF_SF_EESH_SX_SI_SJ_SK_EUlSX_E0_NS1_11comp_targetILNS1_3genE5ELNS1_11target_archE942ELNS1_3gpuE9ELNS1_3repE0EEENS1_38merge_mergepath_config_static_selectorELNS0_4arch9wavefront6targetE0EEEvSJ_,comdat
.Lfunc_end418:
	.size	_ZN7rocprim17ROCPRIM_400000_NS6detail17trampoline_kernelINS0_14default_configENS1_38merge_sort_block_merge_config_selectorIiNS0_10empty_typeEEEZZNS1_27merge_sort_block_merge_implIS3_N6thrust23THRUST_200600_302600_NS6detail15normal_iteratorINS9_10device_ptrIiEEEEPS5_m17evens_before_oddsEE10hipError_tT0_T1_T2_jT3_P12ihipStream_tbPNSt15iterator_traitsISI_E10value_typeEPNSO_ISJ_E10value_typeEPSK_NS1_7vsmem_tEENKUlT_SI_SJ_SK_E_clIPiSE_SF_SF_EESH_SX_SI_SJ_SK_EUlSX_E0_NS1_11comp_targetILNS1_3genE5ELNS1_11target_archE942ELNS1_3gpuE9ELNS1_3repE0EEENS1_38merge_mergepath_config_static_selectorELNS0_4arch9wavefront6targetE0EEEvSJ_, .Lfunc_end418-_ZN7rocprim17ROCPRIM_400000_NS6detail17trampoline_kernelINS0_14default_configENS1_38merge_sort_block_merge_config_selectorIiNS0_10empty_typeEEEZZNS1_27merge_sort_block_merge_implIS3_N6thrust23THRUST_200600_302600_NS6detail15normal_iteratorINS9_10device_ptrIiEEEEPS5_m17evens_before_oddsEE10hipError_tT0_T1_T2_jT3_P12ihipStream_tbPNSt15iterator_traitsISI_E10value_typeEPNSO_ISJ_E10value_typeEPSK_NS1_7vsmem_tEENKUlT_SI_SJ_SK_E_clIPiSE_SF_SF_EESH_SX_SI_SJ_SK_EUlSX_E0_NS1_11comp_targetILNS1_3genE5ELNS1_11target_archE942ELNS1_3gpuE9ELNS1_3repE0EEENS1_38merge_mergepath_config_static_selectorELNS0_4arch9wavefront6targetE0EEEvSJ_
                                        ; -- End function
	.set _ZN7rocprim17ROCPRIM_400000_NS6detail17trampoline_kernelINS0_14default_configENS1_38merge_sort_block_merge_config_selectorIiNS0_10empty_typeEEEZZNS1_27merge_sort_block_merge_implIS3_N6thrust23THRUST_200600_302600_NS6detail15normal_iteratorINS9_10device_ptrIiEEEEPS5_m17evens_before_oddsEE10hipError_tT0_T1_T2_jT3_P12ihipStream_tbPNSt15iterator_traitsISI_E10value_typeEPNSO_ISJ_E10value_typeEPSK_NS1_7vsmem_tEENKUlT_SI_SJ_SK_E_clIPiSE_SF_SF_EESH_SX_SI_SJ_SK_EUlSX_E0_NS1_11comp_targetILNS1_3genE5ELNS1_11target_archE942ELNS1_3gpuE9ELNS1_3repE0EEENS1_38merge_mergepath_config_static_selectorELNS0_4arch9wavefront6targetE0EEEvSJ_.num_vgpr, 0
	.set _ZN7rocprim17ROCPRIM_400000_NS6detail17trampoline_kernelINS0_14default_configENS1_38merge_sort_block_merge_config_selectorIiNS0_10empty_typeEEEZZNS1_27merge_sort_block_merge_implIS3_N6thrust23THRUST_200600_302600_NS6detail15normal_iteratorINS9_10device_ptrIiEEEEPS5_m17evens_before_oddsEE10hipError_tT0_T1_T2_jT3_P12ihipStream_tbPNSt15iterator_traitsISI_E10value_typeEPNSO_ISJ_E10value_typeEPSK_NS1_7vsmem_tEENKUlT_SI_SJ_SK_E_clIPiSE_SF_SF_EESH_SX_SI_SJ_SK_EUlSX_E0_NS1_11comp_targetILNS1_3genE5ELNS1_11target_archE942ELNS1_3gpuE9ELNS1_3repE0EEENS1_38merge_mergepath_config_static_selectorELNS0_4arch9wavefront6targetE0EEEvSJ_.num_agpr, 0
	.set _ZN7rocprim17ROCPRIM_400000_NS6detail17trampoline_kernelINS0_14default_configENS1_38merge_sort_block_merge_config_selectorIiNS0_10empty_typeEEEZZNS1_27merge_sort_block_merge_implIS3_N6thrust23THRUST_200600_302600_NS6detail15normal_iteratorINS9_10device_ptrIiEEEEPS5_m17evens_before_oddsEE10hipError_tT0_T1_T2_jT3_P12ihipStream_tbPNSt15iterator_traitsISI_E10value_typeEPNSO_ISJ_E10value_typeEPSK_NS1_7vsmem_tEENKUlT_SI_SJ_SK_E_clIPiSE_SF_SF_EESH_SX_SI_SJ_SK_EUlSX_E0_NS1_11comp_targetILNS1_3genE5ELNS1_11target_archE942ELNS1_3gpuE9ELNS1_3repE0EEENS1_38merge_mergepath_config_static_selectorELNS0_4arch9wavefront6targetE0EEEvSJ_.numbered_sgpr, 0
	.set _ZN7rocprim17ROCPRIM_400000_NS6detail17trampoline_kernelINS0_14default_configENS1_38merge_sort_block_merge_config_selectorIiNS0_10empty_typeEEEZZNS1_27merge_sort_block_merge_implIS3_N6thrust23THRUST_200600_302600_NS6detail15normal_iteratorINS9_10device_ptrIiEEEEPS5_m17evens_before_oddsEE10hipError_tT0_T1_T2_jT3_P12ihipStream_tbPNSt15iterator_traitsISI_E10value_typeEPNSO_ISJ_E10value_typeEPSK_NS1_7vsmem_tEENKUlT_SI_SJ_SK_E_clIPiSE_SF_SF_EESH_SX_SI_SJ_SK_EUlSX_E0_NS1_11comp_targetILNS1_3genE5ELNS1_11target_archE942ELNS1_3gpuE9ELNS1_3repE0EEENS1_38merge_mergepath_config_static_selectorELNS0_4arch9wavefront6targetE0EEEvSJ_.num_named_barrier, 0
	.set _ZN7rocprim17ROCPRIM_400000_NS6detail17trampoline_kernelINS0_14default_configENS1_38merge_sort_block_merge_config_selectorIiNS0_10empty_typeEEEZZNS1_27merge_sort_block_merge_implIS3_N6thrust23THRUST_200600_302600_NS6detail15normal_iteratorINS9_10device_ptrIiEEEEPS5_m17evens_before_oddsEE10hipError_tT0_T1_T2_jT3_P12ihipStream_tbPNSt15iterator_traitsISI_E10value_typeEPNSO_ISJ_E10value_typeEPSK_NS1_7vsmem_tEENKUlT_SI_SJ_SK_E_clIPiSE_SF_SF_EESH_SX_SI_SJ_SK_EUlSX_E0_NS1_11comp_targetILNS1_3genE5ELNS1_11target_archE942ELNS1_3gpuE9ELNS1_3repE0EEENS1_38merge_mergepath_config_static_selectorELNS0_4arch9wavefront6targetE0EEEvSJ_.private_seg_size, 0
	.set _ZN7rocprim17ROCPRIM_400000_NS6detail17trampoline_kernelINS0_14default_configENS1_38merge_sort_block_merge_config_selectorIiNS0_10empty_typeEEEZZNS1_27merge_sort_block_merge_implIS3_N6thrust23THRUST_200600_302600_NS6detail15normal_iteratorINS9_10device_ptrIiEEEEPS5_m17evens_before_oddsEE10hipError_tT0_T1_T2_jT3_P12ihipStream_tbPNSt15iterator_traitsISI_E10value_typeEPNSO_ISJ_E10value_typeEPSK_NS1_7vsmem_tEENKUlT_SI_SJ_SK_E_clIPiSE_SF_SF_EESH_SX_SI_SJ_SK_EUlSX_E0_NS1_11comp_targetILNS1_3genE5ELNS1_11target_archE942ELNS1_3gpuE9ELNS1_3repE0EEENS1_38merge_mergepath_config_static_selectorELNS0_4arch9wavefront6targetE0EEEvSJ_.uses_vcc, 0
	.set _ZN7rocprim17ROCPRIM_400000_NS6detail17trampoline_kernelINS0_14default_configENS1_38merge_sort_block_merge_config_selectorIiNS0_10empty_typeEEEZZNS1_27merge_sort_block_merge_implIS3_N6thrust23THRUST_200600_302600_NS6detail15normal_iteratorINS9_10device_ptrIiEEEEPS5_m17evens_before_oddsEE10hipError_tT0_T1_T2_jT3_P12ihipStream_tbPNSt15iterator_traitsISI_E10value_typeEPNSO_ISJ_E10value_typeEPSK_NS1_7vsmem_tEENKUlT_SI_SJ_SK_E_clIPiSE_SF_SF_EESH_SX_SI_SJ_SK_EUlSX_E0_NS1_11comp_targetILNS1_3genE5ELNS1_11target_archE942ELNS1_3gpuE9ELNS1_3repE0EEENS1_38merge_mergepath_config_static_selectorELNS0_4arch9wavefront6targetE0EEEvSJ_.uses_flat_scratch, 0
	.set _ZN7rocprim17ROCPRIM_400000_NS6detail17trampoline_kernelINS0_14default_configENS1_38merge_sort_block_merge_config_selectorIiNS0_10empty_typeEEEZZNS1_27merge_sort_block_merge_implIS3_N6thrust23THRUST_200600_302600_NS6detail15normal_iteratorINS9_10device_ptrIiEEEEPS5_m17evens_before_oddsEE10hipError_tT0_T1_T2_jT3_P12ihipStream_tbPNSt15iterator_traitsISI_E10value_typeEPNSO_ISJ_E10value_typeEPSK_NS1_7vsmem_tEENKUlT_SI_SJ_SK_E_clIPiSE_SF_SF_EESH_SX_SI_SJ_SK_EUlSX_E0_NS1_11comp_targetILNS1_3genE5ELNS1_11target_archE942ELNS1_3gpuE9ELNS1_3repE0EEENS1_38merge_mergepath_config_static_selectorELNS0_4arch9wavefront6targetE0EEEvSJ_.has_dyn_sized_stack, 0
	.set _ZN7rocprim17ROCPRIM_400000_NS6detail17trampoline_kernelINS0_14default_configENS1_38merge_sort_block_merge_config_selectorIiNS0_10empty_typeEEEZZNS1_27merge_sort_block_merge_implIS3_N6thrust23THRUST_200600_302600_NS6detail15normal_iteratorINS9_10device_ptrIiEEEEPS5_m17evens_before_oddsEE10hipError_tT0_T1_T2_jT3_P12ihipStream_tbPNSt15iterator_traitsISI_E10value_typeEPNSO_ISJ_E10value_typeEPSK_NS1_7vsmem_tEENKUlT_SI_SJ_SK_E_clIPiSE_SF_SF_EESH_SX_SI_SJ_SK_EUlSX_E0_NS1_11comp_targetILNS1_3genE5ELNS1_11target_archE942ELNS1_3gpuE9ELNS1_3repE0EEENS1_38merge_mergepath_config_static_selectorELNS0_4arch9wavefront6targetE0EEEvSJ_.has_recursion, 0
	.set _ZN7rocprim17ROCPRIM_400000_NS6detail17trampoline_kernelINS0_14default_configENS1_38merge_sort_block_merge_config_selectorIiNS0_10empty_typeEEEZZNS1_27merge_sort_block_merge_implIS3_N6thrust23THRUST_200600_302600_NS6detail15normal_iteratorINS9_10device_ptrIiEEEEPS5_m17evens_before_oddsEE10hipError_tT0_T1_T2_jT3_P12ihipStream_tbPNSt15iterator_traitsISI_E10value_typeEPNSO_ISJ_E10value_typeEPSK_NS1_7vsmem_tEENKUlT_SI_SJ_SK_E_clIPiSE_SF_SF_EESH_SX_SI_SJ_SK_EUlSX_E0_NS1_11comp_targetILNS1_3genE5ELNS1_11target_archE942ELNS1_3gpuE9ELNS1_3repE0EEENS1_38merge_mergepath_config_static_selectorELNS0_4arch9wavefront6targetE0EEEvSJ_.has_indirect_call, 0
	.section	.AMDGPU.csdata,"",@progbits
; Kernel info:
; codeLenInByte = 0
; TotalNumSgprs: 0
; NumVgprs: 0
; ScratchSize: 0
; MemoryBound: 0
; FloatMode: 240
; IeeeMode: 1
; LDSByteSize: 0 bytes/workgroup (compile time only)
; SGPRBlocks: 0
; VGPRBlocks: 0
; NumSGPRsForWavesPerEU: 1
; NumVGPRsForWavesPerEU: 1
; Occupancy: 16
; WaveLimiterHint : 0
; COMPUTE_PGM_RSRC2:SCRATCH_EN: 0
; COMPUTE_PGM_RSRC2:USER_SGPR: 6
; COMPUTE_PGM_RSRC2:TRAP_HANDLER: 0
; COMPUTE_PGM_RSRC2:TGID_X_EN: 1
; COMPUTE_PGM_RSRC2:TGID_Y_EN: 0
; COMPUTE_PGM_RSRC2:TGID_Z_EN: 0
; COMPUTE_PGM_RSRC2:TIDIG_COMP_CNT: 0
	.section	.text._ZN7rocprim17ROCPRIM_400000_NS6detail17trampoline_kernelINS0_14default_configENS1_38merge_sort_block_merge_config_selectorIiNS0_10empty_typeEEEZZNS1_27merge_sort_block_merge_implIS3_N6thrust23THRUST_200600_302600_NS6detail15normal_iteratorINS9_10device_ptrIiEEEEPS5_m17evens_before_oddsEE10hipError_tT0_T1_T2_jT3_P12ihipStream_tbPNSt15iterator_traitsISI_E10value_typeEPNSO_ISJ_E10value_typeEPSK_NS1_7vsmem_tEENKUlT_SI_SJ_SK_E_clIPiSE_SF_SF_EESH_SX_SI_SJ_SK_EUlSX_E0_NS1_11comp_targetILNS1_3genE4ELNS1_11target_archE910ELNS1_3gpuE8ELNS1_3repE0EEENS1_38merge_mergepath_config_static_selectorELNS0_4arch9wavefront6targetE0EEEvSJ_,"axG",@progbits,_ZN7rocprim17ROCPRIM_400000_NS6detail17trampoline_kernelINS0_14default_configENS1_38merge_sort_block_merge_config_selectorIiNS0_10empty_typeEEEZZNS1_27merge_sort_block_merge_implIS3_N6thrust23THRUST_200600_302600_NS6detail15normal_iteratorINS9_10device_ptrIiEEEEPS5_m17evens_before_oddsEE10hipError_tT0_T1_T2_jT3_P12ihipStream_tbPNSt15iterator_traitsISI_E10value_typeEPNSO_ISJ_E10value_typeEPSK_NS1_7vsmem_tEENKUlT_SI_SJ_SK_E_clIPiSE_SF_SF_EESH_SX_SI_SJ_SK_EUlSX_E0_NS1_11comp_targetILNS1_3genE4ELNS1_11target_archE910ELNS1_3gpuE8ELNS1_3repE0EEENS1_38merge_mergepath_config_static_selectorELNS0_4arch9wavefront6targetE0EEEvSJ_,comdat
	.protected	_ZN7rocprim17ROCPRIM_400000_NS6detail17trampoline_kernelINS0_14default_configENS1_38merge_sort_block_merge_config_selectorIiNS0_10empty_typeEEEZZNS1_27merge_sort_block_merge_implIS3_N6thrust23THRUST_200600_302600_NS6detail15normal_iteratorINS9_10device_ptrIiEEEEPS5_m17evens_before_oddsEE10hipError_tT0_T1_T2_jT3_P12ihipStream_tbPNSt15iterator_traitsISI_E10value_typeEPNSO_ISJ_E10value_typeEPSK_NS1_7vsmem_tEENKUlT_SI_SJ_SK_E_clIPiSE_SF_SF_EESH_SX_SI_SJ_SK_EUlSX_E0_NS1_11comp_targetILNS1_3genE4ELNS1_11target_archE910ELNS1_3gpuE8ELNS1_3repE0EEENS1_38merge_mergepath_config_static_selectorELNS0_4arch9wavefront6targetE0EEEvSJ_ ; -- Begin function _ZN7rocprim17ROCPRIM_400000_NS6detail17trampoline_kernelINS0_14default_configENS1_38merge_sort_block_merge_config_selectorIiNS0_10empty_typeEEEZZNS1_27merge_sort_block_merge_implIS3_N6thrust23THRUST_200600_302600_NS6detail15normal_iteratorINS9_10device_ptrIiEEEEPS5_m17evens_before_oddsEE10hipError_tT0_T1_T2_jT3_P12ihipStream_tbPNSt15iterator_traitsISI_E10value_typeEPNSO_ISJ_E10value_typeEPSK_NS1_7vsmem_tEENKUlT_SI_SJ_SK_E_clIPiSE_SF_SF_EESH_SX_SI_SJ_SK_EUlSX_E0_NS1_11comp_targetILNS1_3genE4ELNS1_11target_archE910ELNS1_3gpuE8ELNS1_3repE0EEENS1_38merge_mergepath_config_static_selectorELNS0_4arch9wavefront6targetE0EEEvSJ_
	.globl	_ZN7rocprim17ROCPRIM_400000_NS6detail17trampoline_kernelINS0_14default_configENS1_38merge_sort_block_merge_config_selectorIiNS0_10empty_typeEEEZZNS1_27merge_sort_block_merge_implIS3_N6thrust23THRUST_200600_302600_NS6detail15normal_iteratorINS9_10device_ptrIiEEEEPS5_m17evens_before_oddsEE10hipError_tT0_T1_T2_jT3_P12ihipStream_tbPNSt15iterator_traitsISI_E10value_typeEPNSO_ISJ_E10value_typeEPSK_NS1_7vsmem_tEENKUlT_SI_SJ_SK_E_clIPiSE_SF_SF_EESH_SX_SI_SJ_SK_EUlSX_E0_NS1_11comp_targetILNS1_3genE4ELNS1_11target_archE910ELNS1_3gpuE8ELNS1_3repE0EEENS1_38merge_mergepath_config_static_selectorELNS0_4arch9wavefront6targetE0EEEvSJ_
	.p2align	8
	.type	_ZN7rocprim17ROCPRIM_400000_NS6detail17trampoline_kernelINS0_14default_configENS1_38merge_sort_block_merge_config_selectorIiNS0_10empty_typeEEEZZNS1_27merge_sort_block_merge_implIS3_N6thrust23THRUST_200600_302600_NS6detail15normal_iteratorINS9_10device_ptrIiEEEEPS5_m17evens_before_oddsEE10hipError_tT0_T1_T2_jT3_P12ihipStream_tbPNSt15iterator_traitsISI_E10value_typeEPNSO_ISJ_E10value_typeEPSK_NS1_7vsmem_tEENKUlT_SI_SJ_SK_E_clIPiSE_SF_SF_EESH_SX_SI_SJ_SK_EUlSX_E0_NS1_11comp_targetILNS1_3genE4ELNS1_11target_archE910ELNS1_3gpuE8ELNS1_3repE0EEENS1_38merge_mergepath_config_static_selectorELNS0_4arch9wavefront6targetE0EEEvSJ_,@function
_ZN7rocprim17ROCPRIM_400000_NS6detail17trampoline_kernelINS0_14default_configENS1_38merge_sort_block_merge_config_selectorIiNS0_10empty_typeEEEZZNS1_27merge_sort_block_merge_implIS3_N6thrust23THRUST_200600_302600_NS6detail15normal_iteratorINS9_10device_ptrIiEEEEPS5_m17evens_before_oddsEE10hipError_tT0_T1_T2_jT3_P12ihipStream_tbPNSt15iterator_traitsISI_E10value_typeEPNSO_ISJ_E10value_typeEPSK_NS1_7vsmem_tEENKUlT_SI_SJ_SK_E_clIPiSE_SF_SF_EESH_SX_SI_SJ_SK_EUlSX_E0_NS1_11comp_targetILNS1_3genE4ELNS1_11target_archE910ELNS1_3gpuE8ELNS1_3repE0EEENS1_38merge_mergepath_config_static_selectorELNS0_4arch9wavefront6targetE0EEEvSJ_: ; @_ZN7rocprim17ROCPRIM_400000_NS6detail17trampoline_kernelINS0_14default_configENS1_38merge_sort_block_merge_config_selectorIiNS0_10empty_typeEEEZZNS1_27merge_sort_block_merge_implIS3_N6thrust23THRUST_200600_302600_NS6detail15normal_iteratorINS9_10device_ptrIiEEEEPS5_m17evens_before_oddsEE10hipError_tT0_T1_T2_jT3_P12ihipStream_tbPNSt15iterator_traitsISI_E10value_typeEPNSO_ISJ_E10value_typeEPSK_NS1_7vsmem_tEENKUlT_SI_SJ_SK_E_clIPiSE_SF_SF_EESH_SX_SI_SJ_SK_EUlSX_E0_NS1_11comp_targetILNS1_3genE4ELNS1_11target_archE910ELNS1_3gpuE8ELNS1_3repE0EEENS1_38merge_mergepath_config_static_selectorELNS0_4arch9wavefront6targetE0EEEvSJ_
; %bb.0:
	.section	.rodata,"a",@progbits
	.p2align	6, 0x0
	.amdhsa_kernel _ZN7rocprim17ROCPRIM_400000_NS6detail17trampoline_kernelINS0_14default_configENS1_38merge_sort_block_merge_config_selectorIiNS0_10empty_typeEEEZZNS1_27merge_sort_block_merge_implIS3_N6thrust23THRUST_200600_302600_NS6detail15normal_iteratorINS9_10device_ptrIiEEEEPS5_m17evens_before_oddsEE10hipError_tT0_T1_T2_jT3_P12ihipStream_tbPNSt15iterator_traitsISI_E10value_typeEPNSO_ISJ_E10value_typeEPSK_NS1_7vsmem_tEENKUlT_SI_SJ_SK_E_clIPiSE_SF_SF_EESH_SX_SI_SJ_SK_EUlSX_E0_NS1_11comp_targetILNS1_3genE4ELNS1_11target_archE910ELNS1_3gpuE8ELNS1_3repE0EEENS1_38merge_mergepath_config_static_selectorELNS0_4arch9wavefront6targetE0EEEvSJ_
		.amdhsa_group_segment_fixed_size 0
		.amdhsa_private_segment_fixed_size 0
		.amdhsa_kernarg_size 72
		.amdhsa_user_sgpr_count 6
		.amdhsa_user_sgpr_private_segment_buffer 1
		.amdhsa_user_sgpr_dispatch_ptr 0
		.amdhsa_user_sgpr_queue_ptr 0
		.amdhsa_user_sgpr_kernarg_segment_ptr 1
		.amdhsa_user_sgpr_dispatch_id 0
		.amdhsa_user_sgpr_flat_scratch_init 0
		.amdhsa_user_sgpr_private_segment_size 0
		.amdhsa_wavefront_size32 1
		.amdhsa_uses_dynamic_stack 0
		.amdhsa_system_sgpr_private_segment_wavefront_offset 0
		.amdhsa_system_sgpr_workgroup_id_x 1
		.amdhsa_system_sgpr_workgroup_id_y 0
		.amdhsa_system_sgpr_workgroup_id_z 0
		.amdhsa_system_sgpr_workgroup_info 0
		.amdhsa_system_vgpr_workitem_id 0
		.amdhsa_next_free_vgpr 1
		.amdhsa_next_free_sgpr 1
		.amdhsa_reserve_vcc 0
		.amdhsa_reserve_flat_scratch 0
		.amdhsa_float_round_mode_32 0
		.amdhsa_float_round_mode_16_64 0
		.amdhsa_float_denorm_mode_32 3
		.amdhsa_float_denorm_mode_16_64 3
		.amdhsa_dx10_clamp 1
		.amdhsa_ieee_mode 1
		.amdhsa_fp16_overflow 0
		.amdhsa_workgroup_processor_mode 1
		.amdhsa_memory_ordered 1
		.amdhsa_forward_progress 1
		.amdhsa_shared_vgpr_count 0
		.amdhsa_exception_fp_ieee_invalid_op 0
		.amdhsa_exception_fp_denorm_src 0
		.amdhsa_exception_fp_ieee_div_zero 0
		.amdhsa_exception_fp_ieee_overflow 0
		.amdhsa_exception_fp_ieee_underflow 0
		.amdhsa_exception_fp_ieee_inexact 0
		.amdhsa_exception_int_div_zero 0
	.end_amdhsa_kernel
	.section	.text._ZN7rocprim17ROCPRIM_400000_NS6detail17trampoline_kernelINS0_14default_configENS1_38merge_sort_block_merge_config_selectorIiNS0_10empty_typeEEEZZNS1_27merge_sort_block_merge_implIS3_N6thrust23THRUST_200600_302600_NS6detail15normal_iteratorINS9_10device_ptrIiEEEEPS5_m17evens_before_oddsEE10hipError_tT0_T1_T2_jT3_P12ihipStream_tbPNSt15iterator_traitsISI_E10value_typeEPNSO_ISJ_E10value_typeEPSK_NS1_7vsmem_tEENKUlT_SI_SJ_SK_E_clIPiSE_SF_SF_EESH_SX_SI_SJ_SK_EUlSX_E0_NS1_11comp_targetILNS1_3genE4ELNS1_11target_archE910ELNS1_3gpuE8ELNS1_3repE0EEENS1_38merge_mergepath_config_static_selectorELNS0_4arch9wavefront6targetE0EEEvSJ_,"axG",@progbits,_ZN7rocprim17ROCPRIM_400000_NS6detail17trampoline_kernelINS0_14default_configENS1_38merge_sort_block_merge_config_selectorIiNS0_10empty_typeEEEZZNS1_27merge_sort_block_merge_implIS3_N6thrust23THRUST_200600_302600_NS6detail15normal_iteratorINS9_10device_ptrIiEEEEPS5_m17evens_before_oddsEE10hipError_tT0_T1_T2_jT3_P12ihipStream_tbPNSt15iterator_traitsISI_E10value_typeEPNSO_ISJ_E10value_typeEPSK_NS1_7vsmem_tEENKUlT_SI_SJ_SK_E_clIPiSE_SF_SF_EESH_SX_SI_SJ_SK_EUlSX_E0_NS1_11comp_targetILNS1_3genE4ELNS1_11target_archE910ELNS1_3gpuE8ELNS1_3repE0EEENS1_38merge_mergepath_config_static_selectorELNS0_4arch9wavefront6targetE0EEEvSJ_,comdat
.Lfunc_end419:
	.size	_ZN7rocprim17ROCPRIM_400000_NS6detail17trampoline_kernelINS0_14default_configENS1_38merge_sort_block_merge_config_selectorIiNS0_10empty_typeEEEZZNS1_27merge_sort_block_merge_implIS3_N6thrust23THRUST_200600_302600_NS6detail15normal_iteratorINS9_10device_ptrIiEEEEPS5_m17evens_before_oddsEE10hipError_tT0_T1_T2_jT3_P12ihipStream_tbPNSt15iterator_traitsISI_E10value_typeEPNSO_ISJ_E10value_typeEPSK_NS1_7vsmem_tEENKUlT_SI_SJ_SK_E_clIPiSE_SF_SF_EESH_SX_SI_SJ_SK_EUlSX_E0_NS1_11comp_targetILNS1_3genE4ELNS1_11target_archE910ELNS1_3gpuE8ELNS1_3repE0EEENS1_38merge_mergepath_config_static_selectorELNS0_4arch9wavefront6targetE0EEEvSJ_, .Lfunc_end419-_ZN7rocprim17ROCPRIM_400000_NS6detail17trampoline_kernelINS0_14default_configENS1_38merge_sort_block_merge_config_selectorIiNS0_10empty_typeEEEZZNS1_27merge_sort_block_merge_implIS3_N6thrust23THRUST_200600_302600_NS6detail15normal_iteratorINS9_10device_ptrIiEEEEPS5_m17evens_before_oddsEE10hipError_tT0_T1_T2_jT3_P12ihipStream_tbPNSt15iterator_traitsISI_E10value_typeEPNSO_ISJ_E10value_typeEPSK_NS1_7vsmem_tEENKUlT_SI_SJ_SK_E_clIPiSE_SF_SF_EESH_SX_SI_SJ_SK_EUlSX_E0_NS1_11comp_targetILNS1_3genE4ELNS1_11target_archE910ELNS1_3gpuE8ELNS1_3repE0EEENS1_38merge_mergepath_config_static_selectorELNS0_4arch9wavefront6targetE0EEEvSJ_
                                        ; -- End function
	.set _ZN7rocprim17ROCPRIM_400000_NS6detail17trampoline_kernelINS0_14default_configENS1_38merge_sort_block_merge_config_selectorIiNS0_10empty_typeEEEZZNS1_27merge_sort_block_merge_implIS3_N6thrust23THRUST_200600_302600_NS6detail15normal_iteratorINS9_10device_ptrIiEEEEPS5_m17evens_before_oddsEE10hipError_tT0_T1_T2_jT3_P12ihipStream_tbPNSt15iterator_traitsISI_E10value_typeEPNSO_ISJ_E10value_typeEPSK_NS1_7vsmem_tEENKUlT_SI_SJ_SK_E_clIPiSE_SF_SF_EESH_SX_SI_SJ_SK_EUlSX_E0_NS1_11comp_targetILNS1_3genE4ELNS1_11target_archE910ELNS1_3gpuE8ELNS1_3repE0EEENS1_38merge_mergepath_config_static_selectorELNS0_4arch9wavefront6targetE0EEEvSJ_.num_vgpr, 0
	.set _ZN7rocprim17ROCPRIM_400000_NS6detail17trampoline_kernelINS0_14default_configENS1_38merge_sort_block_merge_config_selectorIiNS0_10empty_typeEEEZZNS1_27merge_sort_block_merge_implIS3_N6thrust23THRUST_200600_302600_NS6detail15normal_iteratorINS9_10device_ptrIiEEEEPS5_m17evens_before_oddsEE10hipError_tT0_T1_T2_jT3_P12ihipStream_tbPNSt15iterator_traitsISI_E10value_typeEPNSO_ISJ_E10value_typeEPSK_NS1_7vsmem_tEENKUlT_SI_SJ_SK_E_clIPiSE_SF_SF_EESH_SX_SI_SJ_SK_EUlSX_E0_NS1_11comp_targetILNS1_3genE4ELNS1_11target_archE910ELNS1_3gpuE8ELNS1_3repE0EEENS1_38merge_mergepath_config_static_selectorELNS0_4arch9wavefront6targetE0EEEvSJ_.num_agpr, 0
	.set _ZN7rocprim17ROCPRIM_400000_NS6detail17trampoline_kernelINS0_14default_configENS1_38merge_sort_block_merge_config_selectorIiNS0_10empty_typeEEEZZNS1_27merge_sort_block_merge_implIS3_N6thrust23THRUST_200600_302600_NS6detail15normal_iteratorINS9_10device_ptrIiEEEEPS5_m17evens_before_oddsEE10hipError_tT0_T1_T2_jT3_P12ihipStream_tbPNSt15iterator_traitsISI_E10value_typeEPNSO_ISJ_E10value_typeEPSK_NS1_7vsmem_tEENKUlT_SI_SJ_SK_E_clIPiSE_SF_SF_EESH_SX_SI_SJ_SK_EUlSX_E0_NS1_11comp_targetILNS1_3genE4ELNS1_11target_archE910ELNS1_3gpuE8ELNS1_3repE0EEENS1_38merge_mergepath_config_static_selectorELNS0_4arch9wavefront6targetE0EEEvSJ_.numbered_sgpr, 0
	.set _ZN7rocprim17ROCPRIM_400000_NS6detail17trampoline_kernelINS0_14default_configENS1_38merge_sort_block_merge_config_selectorIiNS0_10empty_typeEEEZZNS1_27merge_sort_block_merge_implIS3_N6thrust23THRUST_200600_302600_NS6detail15normal_iteratorINS9_10device_ptrIiEEEEPS5_m17evens_before_oddsEE10hipError_tT0_T1_T2_jT3_P12ihipStream_tbPNSt15iterator_traitsISI_E10value_typeEPNSO_ISJ_E10value_typeEPSK_NS1_7vsmem_tEENKUlT_SI_SJ_SK_E_clIPiSE_SF_SF_EESH_SX_SI_SJ_SK_EUlSX_E0_NS1_11comp_targetILNS1_3genE4ELNS1_11target_archE910ELNS1_3gpuE8ELNS1_3repE0EEENS1_38merge_mergepath_config_static_selectorELNS0_4arch9wavefront6targetE0EEEvSJ_.num_named_barrier, 0
	.set _ZN7rocprim17ROCPRIM_400000_NS6detail17trampoline_kernelINS0_14default_configENS1_38merge_sort_block_merge_config_selectorIiNS0_10empty_typeEEEZZNS1_27merge_sort_block_merge_implIS3_N6thrust23THRUST_200600_302600_NS6detail15normal_iteratorINS9_10device_ptrIiEEEEPS5_m17evens_before_oddsEE10hipError_tT0_T1_T2_jT3_P12ihipStream_tbPNSt15iterator_traitsISI_E10value_typeEPNSO_ISJ_E10value_typeEPSK_NS1_7vsmem_tEENKUlT_SI_SJ_SK_E_clIPiSE_SF_SF_EESH_SX_SI_SJ_SK_EUlSX_E0_NS1_11comp_targetILNS1_3genE4ELNS1_11target_archE910ELNS1_3gpuE8ELNS1_3repE0EEENS1_38merge_mergepath_config_static_selectorELNS0_4arch9wavefront6targetE0EEEvSJ_.private_seg_size, 0
	.set _ZN7rocprim17ROCPRIM_400000_NS6detail17trampoline_kernelINS0_14default_configENS1_38merge_sort_block_merge_config_selectorIiNS0_10empty_typeEEEZZNS1_27merge_sort_block_merge_implIS3_N6thrust23THRUST_200600_302600_NS6detail15normal_iteratorINS9_10device_ptrIiEEEEPS5_m17evens_before_oddsEE10hipError_tT0_T1_T2_jT3_P12ihipStream_tbPNSt15iterator_traitsISI_E10value_typeEPNSO_ISJ_E10value_typeEPSK_NS1_7vsmem_tEENKUlT_SI_SJ_SK_E_clIPiSE_SF_SF_EESH_SX_SI_SJ_SK_EUlSX_E0_NS1_11comp_targetILNS1_3genE4ELNS1_11target_archE910ELNS1_3gpuE8ELNS1_3repE0EEENS1_38merge_mergepath_config_static_selectorELNS0_4arch9wavefront6targetE0EEEvSJ_.uses_vcc, 0
	.set _ZN7rocprim17ROCPRIM_400000_NS6detail17trampoline_kernelINS0_14default_configENS1_38merge_sort_block_merge_config_selectorIiNS0_10empty_typeEEEZZNS1_27merge_sort_block_merge_implIS3_N6thrust23THRUST_200600_302600_NS6detail15normal_iteratorINS9_10device_ptrIiEEEEPS5_m17evens_before_oddsEE10hipError_tT0_T1_T2_jT3_P12ihipStream_tbPNSt15iterator_traitsISI_E10value_typeEPNSO_ISJ_E10value_typeEPSK_NS1_7vsmem_tEENKUlT_SI_SJ_SK_E_clIPiSE_SF_SF_EESH_SX_SI_SJ_SK_EUlSX_E0_NS1_11comp_targetILNS1_3genE4ELNS1_11target_archE910ELNS1_3gpuE8ELNS1_3repE0EEENS1_38merge_mergepath_config_static_selectorELNS0_4arch9wavefront6targetE0EEEvSJ_.uses_flat_scratch, 0
	.set _ZN7rocprim17ROCPRIM_400000_NS6detail17trampoline_kernelINS0_14default_configENS1_38merge_sort_block_merge_config_selectorIiNS0_10empty_typeEEEZZNS1_27merge_sort_block_merge_implIS3_N6thrust23THRUST_200600_302600_NS6detail15normal_iteratorINS9_10device_ptrIiEEEEPS5_m17evens_before_oddsEE10hipError_tT0_T1_T2_jT3_P12ihipStream_tbPNSt15iterator_traitsISI_E10value_typeEPNSO_ISJ_E10value_typeEPSK_NS1_7vsmem_tEENKUlT_SI_SJ_SK_E_clIPiSE_SF_SF_EESH_SX_SI_SJ_SK_EUlSX_E0_NS1_11comp_targetILNS1_3genE4ELNS1_11target_archE910ELNS1_3gpuE8ELNS1_3repE0EEENS1_38merge_mergepath_config_static_selectorELNS0_4arch9wavefront6targetE0EEEvSJ_.has_dyn_sized_stack, 0
	.set _ZN7rocprim17ROCPRIM_400000_NS6detail17trampoline_kernelINS0_14default_configENS1_38merge_sort_block_merge_config_selectorIiNS0_10empty_typeEEEZZNS1_27merge_sort_block_merge_implIS3_N6thrust23THRUST_200600_302600_NS6detail15normal_iteratorINS9_10device_ptrIiEEEEPS5_m17evens_before_oddsEE10hipError_tT0_T1_T2_jT3_P12ihipStream_tbPNSt15iterator_traitsISI_E10value_typeEPNSO_ISJ_E10value_typeEPSK_NS1_7vsmem_tEENKUlT_SI_SJ_SK_E_clIPiSE_SF_SF_EESH_SX_SI_SJ_SK_EUlSX_E0_NS1_11comp_targetILNS1_3genE4ELNS1_11target_archE910ELNS1_3gpuE8ELNS1_3repE0EEENS1_38merge_mergepath_config_static_selectorELNS0_4arch9wavefront6targetE0EEEvSJ_.has_recursion, 0
	.set _ZN7rocprim17ROCPRIM_400000_NS6detail17trampoline_kernelINS0_14default_configENS1_38merge_sort_block_merge_config_selectorIiNS0_10empty_typeEEEZZNS1_27merge_sort_block_merge_implIS3_N6thrust23THRUST_200600_302600_NS6detail15normal_iteratorINS9_10device_ptrIiEEEEPS5_m17evens_before_oddsEE10hipError_tT0_T1_T2_jT3_P12ihipStream_tbPNSt15iterator_traitsISI_E10value_typeEPNSO_ISJ_E10value_typeEPSK_NS1_7vsmem_tEENKUlT_SI_SJ_SK_E_clIPiSE_SF_SF_EESH_SX_SI_SJ_SK_EUlSX_E0_NS1_11comp_targetILNS1_3genE4ELNS1_11target_archE910ELNS1_3gpuE8ELNS1_3repE0EEENS1_38merge_mergepath_config_static_selectorELNS0_4arch9wavefront6targetE0EEEvSJ_.has_indirect_call, 0
	.section	.AMDGPU.csdata,"",@progbits
; Kernel info:
; codeLenInByte = 0
; TotalNumSgprs: 0
; NumVgprs: 0
; ScratchSize: 0
; MemoryBound: 0
; FloatMode: 240
; IeeeMode: 1
; LDSByteSize: 0 bytes/workgroup (compile time only)
; SGPRBlocks: 0
; VGPRBlocks: 0
; NumSGPRsForWavesPerEU: 1
; NumVGPRsForWavesPerEU: 1
; Occupancy: 16
; WaveLimiterHint : 0
; COMPUTE_PGM_RSRC2:SCRATCH_EN: 0
; COMPUTE_PGM_RSRC2:USER_SGPR: 6
; COMPUTE_PGM_RSRC2:TRAP_HANDLER: 0
; COMPUTE_PGM_RSRC2:TGID_X_EN: 1
; COMPUTE_PGM_RSRC2:TGID_Y_EN: 0
; COMPUTE_PGM_RSRC2:TGID_Z_EN: 0
; COMPUTE_PGM_RSRC2:TIDIG_COMP_CNT: 0
	.section	.text._ZN7rocprim17ROCPRIM_400000_NS6detail17trampoline_kernelINS0_14default_configENS1_38merge_sort_block_merge_config_selectorIiNS0_10empty_typeEEEZZNS1_27merge_sort_block_merge_implIS3_N6thrust23THRUST_200600_302600_NS6detail15normal_iteratorINS9_10device_ptrIiEEEEPS5_m17evens_before_oddsEE10hipError_tT0_T1_T2_jT3_P12ihipStream_tbPNSt15iterator_traitsISI_E10value_typeEPNSO_ISJ_E10value_typeEPSK_NS1_7vsmem_tEENKUlT_SI_SJ_SK_E_clIPiSE_SF_SF_EESH_SX_SI_SJ_SK_EUlSX_E0_NS1_11comp_targetILNS1_3genE3ELNS1_11target_archE908ELNS1_3gpuE7ELNS1_3repE0EEENS1_38merge_mergepath_config_static_selectorELNS0_4arch9wavefront6targetE0EEEvSJ_,"axG",@progbits,_ZN7rocprim17ROCPRIM_400000_NS6detail17trampoline_kernelINS0_14default_configENS1_38merge_sort_block_merge_config_selectorIiNS0_10empty_typeEEEZZNS1_27merge_sort_block_merge_implIS3_N6thrust23THRUST_200600_302600_NS6detail15normal_iteratorINS9_10device_ptrIiEEEEPS5_m17evens_before_oddsEE10hipError_tT0_T1_T2_jT3_P12ihipStream_tbPNSt15iterator_traitsISI_E10value_typeEPNSO_ISJ_E10value_typeEPSK_NS1_7vsmem_tEENKUlT_SI_SJ_SK_E_clIPiSE_SF_SF_EESH_SX_SI_SJ_SK_EUlSX_E0_NS1_11comp_targetILNS1_3genE3ELNS1_11target_archE908ELNS1_3gpuE7ELNS1_3repE0EEENS1_38merge_mergepath_config_static_selectorELNS0_4arch9wavefront6targetE0EEEvSJ_,comdat
	.protected	_ZN7rocprim17ROCPRIM_400000_NS6detail17trampoline_kernelINS0_14default_configENS1_38merge_sort_block_merge_config_selectorIiNS0_10empty_typeEEEZZNS1_27merge_sort_block_merge_implIS3_N6thrust23THRUST_200600_302600_NS6detail15normal_iteratorINS9_10device_ptrIiEEEEPS5_m17evens_before_oddsEE10hipError_tT0_T1_T2_jT3_P12ihipStream_tbPNSt15iterator_traitsISI_E10value_typeEPNSO_ISJ_E10value_typeEPSK_NS1_7vsmem_tEENKUlT_SI_SJ_SK_E_clIPiSE_SF_SF_EESH_SX_SI_SJ_SK_EUlSX_E0_NS1_11comp_targetILNS1_3genE3ELNS1_11target_archE908ELNS1_3gpuE7ELNS1_3repE0EEENS1_38merge_mergepath_config_static_selectorELNS0_4arch9wavefront6targetE0EEEvSJ_ ; -- Begin function _ZN7rocprim17ROCPRIM_400000_NS6detail17trampoline_kernelINS0_14default_configENS1_38merge_sort_block_merge_config_selectorIiNS0_10empty_typeEEEZZNS1_27merge_sort_block_merge_implIS3_N6thrust23THRUST_200600_302600_NS6detail15normal_iteratorINS9_10device_ptrIiEEEEPS5_m17evens_before_oddsEE10hipError_tT0_T1_T2_jT3_P12ihipStream_tbPNSt15iterator_traitsISI_E10value_typeEPNSO_ISJ_E10value_typeEPSK_NS1_7vsmem_tEENKUlT_SI_SJ_SK_E_clIPiSE_SF_SF_EESH_SX_SI_SJ_SK_EUlSX_E0_NS1_11comp_targetILNS1_3genE3ELNS1_11target_archE908ELNS1_3gpuE7ELNS1_3repE0EEENS1_38merge_mergepath_config_static_selectorELNS0_4arch9wavefront6targetE0EEEvSJ_
	.globl	_ZN7rocprim17ROCPRIM_400000_NS6detail17trampoline_kernelINS0_14default_configENS1_38merge_sort_block_merge_config_selectorIiNS0_10empty_typeEEEZZNS1_27merge_sort_block_merge_implIS3_N6thrust23THRUST_200600_302600_NS6detail15normal_iteratorINS9_10device_ptrIiEEEEPS5_m17evens_before_oddsEE10hipError_tT0_T1_T2_jT3_P12ihipStream_tbPNSt15iterator_traitsISI_E10value_typeEPNSO_ISJ_E10value_typeEPSK_NS1_7vsmem_tEENKUlT_SI_SJ_SK_E_clIPiSE_SF_SF_EESH_SX_SI_SJ_SK_EUlSX_E0_NS1_11comp_targetILNS1_3genE3ELNS1_11target_archE908ELNS1_3gpuE7ELNS1_3repE0EEENS1_38merge_mergepath_config_static_selectorELNS0_4arch9wavefront6targetE0EEEvSJ_
	.p2align	8
	.type	_ZN7rocprim17ROCPRIM_400000_NS6detail17trampoline_kernelINS0_14default_configENS1_38merge_sort_block_merge_config_selectorIiNS0_10empty_typeEEEZZNS1_27merge_sort_block_merge_implIS3_N6thrust23THRUST_200600_302600_NS6detail15normal_iteratorINS9_10device_ptrIiEEEEPS5_m17evens_before_oddsEE10hipError_tT0_T1_T2_jT3_P12ihipStream_tbPNSt15iterator_traitsISI_E10value_typeEPNSO_ISJ_E10value_typeEPSK_NS1_7vsmem_tEENKUlT_SI_SJ_SK_E_clIPiSE_SF_SF_EESH_SX_SI_SJ_SK_EUlSX_E0_NS1_11comp_targetILNS1_3genE3ELNS1_11target_archE908ELNS1_3gpuE7ELNS1_3repE0EEENS1_38merge_mergepath_config_static_selectorELNS0_4arch9wavefront6targetE0EEEvSJ_,@function
_ZN7rocprim17ROCPRIM_400000_NS6detail17trampoline_kernelINS0_14default_configENS1_38merge_sort_block_merge_config_selectorIiNS0_10empty_typeEEEZZNS1_27merge_sort_block_merge_implIS3_N6thrust23THRUST_200600_302600_NS6detail15normal_iteratorINS9_10device_ptrIiEEEEPS5_m17evens_before_oddsEE10hipError_tT0_T1_T2_jT3_P12ihipStream_tbPNSt15iterator_traitsISI_E10value_typeEPNSO_ISJ_E10value_typeEPSK_NS1_7vsmem_tEENKUlT_SI_SJ_SK_E_clIPiSE_SF_SF_EESH_SX_SI_SJ_SK_EUlSX_E0_NS1_11comp_targetILNS1_3genE3ELNS1_11target_archE908ELNS1_3gpuE7ELNS1_3repE0EEENS1_38merge_mergepath_config_static_selectorELNS0_4arch9wavefront6targetE0EEEvSJ_: ; @_ZN7rocprim17ROCPRIM_400000_NS6detail17trampoline_kernelINS0_14default_configENS1_38merge_sort_block_merge_config_selectorIiNS0_10empty_typeEEEZZNS1_27merge_sort_block_merge_implIS3_N6thrust23THRUST_200600_302600_NS6detail15normal_iteratorINS9_10device_ptrIiEEEEPS5_m17evens_before_oddsEE10hipError_tT0_T1_T2_jT3_P12ihipStream_tbPNSt15iterator_traitsISI_E10value_typeEPNSO_ISJ_E10value_typeEPSK_NS1_7vsmem_tEENKUlT_SI_SJ_SK_E_clIPiSE_SF_SF_EESH_SX_SI_SJ_SK_EUlSX_E0_NS1_11comp_targetILNS1_3genE3ELNS1_11target_archE908ELNS1_3gpuE7ELNS1_3repE0EEENS1_38merge_mergepath_config_static_selectorELNS0_4arch9wavefront6targetE0EEEvSJ_
; %bb.0:
	.section	.rodata,"a",@progbits
	.p2align	6, 0x0
	.amdhsa_kernel _ZN7rocprim17ROCPRIM_400000_NS6detail17trampoline_kernelINS0_14default_configENS1_38merge_sort_block_merge_config_selectorIiNS0_10empty_typeEEEZZNS1_27merge_sort_block_merge_implIS3_N6thrust23THRUST_200600_302600_NS6detail15normal_iteratorINS9_10device_ptrIiEEEEPS5_m17evens_before_oddsEE10hipError_tT0_T1_T2_jT3_P12ihipStream_tbPNSt15iterator_traitsISI_E10value_typeEPNSO_ISJ_E10value_typeEPSK_NS1_7vsmem_tEENKUlT_SI_SJ_SK_E_clIPiSE_SF_SF_EESH_SX_SI_SJ_SK_EUlSX_E0_NS1_11comp_targetILNS1_3genE3ELNS1_11target_archE908ELNS1_3gpuE7ELNS1_3repE0EEENS1_38merge_mergepath_config_static_selectorELNS0_4arch9wavefront6targetE0EEEvSJ_
		.amdhsa_group_segment_fixed_size 0
		.amdhsa_private_segment_fixed_size 0
		.amdhsa_kernarg_size 72
		.amdhsa_user_sgpr_count 6
		.amdhsa_user_sgpr_private_segment_buffer 1
		.amdhsa_user_sgpr_dispatch_ptr 0
		.amdhsa_user_sgpr_queue_ptr 0
		.amdhsa_user_sgpr_kernarg_segment_ptr 1
		.amdhsa_user_sgpr_dispatch_id 0
		.amdhsa_user_sgpr_flat_scratch_init 0
		.amdhsa_user_sgpr_private_segment_size 0
		.amdhsa_wavefront_size32 1
		.amdhsa_uses_dynamic_stack 0
		.amdhsa_system_sgpr_private_segment_wavefront_offset 0
		.amdhsa_system_sgpr_workgroup_id_x 1
		.amdhsa_system_sgpr_workgroup_id_y 0
		.amdhsa_system_sgpr_workgroup_id_z 0
		.amdhsa_system_sgpr_workgroup_info 0
		.amdhsa_system_vgpr_workitem_id 0
		.amdhsa_next_free_vgpr 1
		.amdhsa_next_free_sgpr 1
		.amdhsa_reserve_vcc 0
		.amdhsa_reserve_flat_scratch 0
		.amdhsa_float_round_mode_32 0
		.amdhsa_float_round_mode_16_64 0
		.amdhsa_float_denorm_mode_32 3
		.amdhsa_float_denorm_mode_16_64 3
		.amdhsa_dx10_clamp 1
		.amdhsa_ieee_mode 1
		.amdhsa_fp16_overflow 0
		.amdhsa_workgroup_processor_mode 1
		.amdhsa_memory_ordered 1
		.amdhsa_forward_progress 1
		.amdhsa_shared_vgpr_count 0
		.amdhsa_exception_fp_ieee_invalid_op 0
		.amdhsa_exception_fp_denorm_src 0
		.amdhsa_exception_fp_ieee_div_zero 0
		.amdhsa_exception_fp_ieee_overflow 0
		.amdhsa_exception_fp_ieee_underflow 0
		.amdhsa_exception_fp_ieee_inexact 0
		.amdhsa_exception_int_div_zero 0
	.end_amdhsa_kernel
	.section	.text._ZN7rocprim17ROCPRIM_400000_NS6detail17trampoline_kernelINS0_14default_configENS1_38merge_sort_block_merge_config_selectorIiNS0_10empty_typeEEEZZNS1_27merge_sort_block_merge_implIS3_N6thrust23THRUST_200600_302600_NS6detail15normal_iteratorINS9_10device_ptrIiEEEEPS5_m17evens_before_oddsEE10hipError_tT0_T1_T2_jT3_P12ihipStream_tbPNSt15iterator_traitsISI_E10value_typeEPNSO_ISJ_E10value_typeEPSK_NS1_7vsmem_tEENKUlT_SI_SJ_SK_E_clIPiSE_SF_SF_EESH_SX_SI_SJ_SK_EUlSX_E0_NS1_11comp_targetILNS1_3genE3ELNS1_11target_archE908ELNS1_3gpuE7ELNS1_3repE0EEENS1_38merge_mergepath_config_static_selectorELNS0_4arch9wavefront6targetE0EEEvSJ_,"axG",@progbits,_ZN7rocprim17ROCPRIM_400000_NS6detail17trampoline_kernelINS0_14default_configENS1_38merge_sort_block_merge_config_selectorIiNS0_10empty_typeEEEZZNS1_27merge_sort_block_merge_implIS3_N6thrust23THRUST_200600_302600_NS6detail15normal_iteratorINS9_10device_ptrIiEEEEPS5_m17evens_before_oddsEE10hipError_tT0_T1_T2_jT3_P12ihipStream_tbPNSt15iterator_traitsISI_E10value_typeEPNSO_ISJ_E10value_typeEPSK_NS1_7vsmem_tEENKUlT_SI_SJ_SK_E_clIPiSE_SF_SF_EESH_SX_SI_SJ_SK_EUlSX_E0_NS1_11comp_targetILNS1_3genE3ELNS1_11target_archE908ELNS1_3gpuE7ELNS1_3repE0EEENS1_38merge_mergepath_config_static_selectorELNS0_4arch9wavefront6targetE0EEEvSJ_,comdat
.Lfunc_end420:
	.size	_ZN7rocprim17ROCPRIM_400000_NS6detail17trampoline_kernelINS0_14default_configENS1_38merge_sort_block_merge_config_selectorIiNS0_10empty_typeEEEZZNS1_27merge_sort_block_merge_implIS3_N6thrust23THRUST_200600_302600_NS6detail15normal_iteratorINS9_10device_ptrIiEEEEPS5_m17evens_before_oddsEE10hipError_tT0_T1_T2_jT3_P12ihipStream_tbPNSt15iterator_traitsISI_E10value_typeEPNSO_ISJ_E10value_typeEPSK_NS1_7vsmem_tEENKUlT_SI_SJ_SK_E_clIPiSE_SF_SF_EESH_SX_SI_SJ_SK_EUlSX_E0_NS1_11comp_targetILNS1_3genE3ELNS1_11target_archE908ELNS1_3gpuE7ELNS1_3repE0EEENS1_38merge_mergepath_config_static_selectorELNS0_4arch9wavefront6targetE0EEEvSJ_, .Lfunc_end420-_ZN7rocprim17ROCPRIM_400000_NS6detail17trampoline_kernelINS0_14default_configENS1_38merge_sort_block_merge_config_selectorIiNS0_10empty_typeEEEZZNS1_27merge_sort_block_merge_implIS3_N6thrust23THRUST_200600_302600_NS6detail15normal_iteratorINS9_10device_ptrIiEEEEPS5_m17evens_before_oddsEE10hipError_tT0_T1_T2_jT3_P12ihipStream_tbPNSt15iterator_traitsISI_E10value_typeEPNSO_ISJ_E10value_typeEPSK_NS1_7vsmem_tEENKUlT_SI_SJ_SK_E_clIPiSE_SF_SF_EESH_SX_SI_SJ_SK_EUlSX_E0_NS1_11comp_targetILNS1_3genE3ELNS1_11target_archE908ELNS1_3gpuE7ELNS1_3repE0EEENS1_38merge_mergepath_config_static_selectorELNS0_4arch9wavefront6targetE0EEEvSJ_
                                        ; -- End function
	.set _ZN7rocprim17ROCPRIM_400000_NS6detail17trampoline_kernelINS0_14default_configENS1_38merge_sort_block_merge_config_selectorIiNS0_10empty_typeEEEZZNS1_27merge_sort_block_merge_implIS3_N6thrust23THRUST_200600_302600_NS6detail15normal_iteratorINS9_10device_ptrIiEEEEPS5_m17evens_before_oddsEE10hipError_tT0_T1_T2_jT3_P12ihipStream_tbPNSt15iterator_traitsISI_E10value_typeEPNSO_ISJ_E10value_typeEPSK_NS1_7vsmem_tEENKUlT_SI_SJ_SK_E_clIPiSE_SF_SF_EESH_SX_SI_SJ_SK_EUlSX_E0_NS1_11comp_targetILNS1_3genE3ELNS1_11target_archE908ELNS1_3gpuE7ELNS1_3repE0EEENS1_38merge_mergepath_config_static_selectorELNS0_4arch9wavefront6targetE0EEEvSJ_.num_vgpr, 0
	.set _ZN7rocprim17ROCPRIM_400000_NS6detail17trampoline_kernelINS0_14default_configENS1_38merge_sort_block_merge_config_selectorIiNS0_10empty_typeEEEZZNS1_27merge_sort_block_merge_implIS3_N6thrust23THRUST_200600_302600_NS6detail15normal_iteratorINS9_10device_ptrIiEEEEPS5_m17evens_before_oddsEE10hipError_tT0_T1_T2_jT3_P12ihipStream_tbPNSt15iterator_traitsISI_E10value_typeEPNSO_ISJ_E10value_typeEPSK_NS1_7vsmem_tEENKUlT_SI_SJ_SK_E_clIPiSE_SF_SF_EESH_SX_SI_SJ_SK_EUlSX_E0_NS1_11comp_targetILNS1_3genE3ELNS1_11target_archE908ELNS1_3gpuE7ELNS1_3repE0EEENS1_38merge_mergepath_config_static_selectorELNS0_4arch9wavefront6targetE0EEEvSJ_.num_agpr, 0
	.set _ZN7rocprim17ROCPRIM_400000_NS6detail17trampoline_kernelINS0_14default_configENS1_38merge_sort_block_merge_config_selectorIiNS0_10empty_typeEEEZZNS1_27merge_sort_block_merge_implIS3_N6thrust23THRUST_200600_302600_NS6detail15normal_iteratorINS9_10device_ptrIiEEEEPS5_m17evens_before_oddsEE10hipError_tT0_T1_T2_jT3_P12ihipStream_tbPNSt15iterator_traitsISI_E10value_typeEPNSO_ISJ_E10value_typeEPSK_NS1_7vsmem_tEENKUlT_SI_SJ_SK_E_clIPiSE_SF_SF_EESH_SX_SI_SJ_SK_EUlSX_E0_NS1_11comp_targetILNS1_3genE3ELNS1_11target_archE908ELNS1_3gpuE7ELNS1_3repE0EEENS1_38merge_mergepath_config_static_selectorELNS0_4arch9wavefront6targetE0EEEvSJ_.numbered_sgpr, 0
	.set _ZN7rocprim17ROCPRIM_400000_NS6detail17trampoline_kernelINS0_14default_configENS1_38merge_sort_block_merge_config_selectorIiNS0_10empty_typeEEEZZNS1_27merge_sort_block_merge_implIS3_N6thrust23THRUST_200600_302600_NS6detail15normal_iteratorINS9_10device_ptrIiEEEEPS5_m17evens_before_oddsEE10hipError_tT0_T1_T2_jT3_P12ihipStream_tbPNSt15iterator_traitsISI_E10value_typeEPNSO_ISJ_E10value_typeEPSK_NS1_7vsmem_tEENKUlT_SI_SJ_SK_E_clIPiSE_SF_SF_EESH_SX_SI_SJ_SK_EUlSX_E0_NS1_11comp_targetILNS1_3genE3ELNS1_11target_archE908ELNS1_3gpuE7ELNS1_3repE0EEENS1_38merge_mergepath_config_static_selectorELNS0_4arch9wavefront6targetE0EEEvSJ_.num_named_barrier, 0
	.set _ZN7rocprim17ROCPRIM_400000_NS6detail17trampoline_kernelINS0_14default_configENS1_38merge_sort_block_merge_config_selectorIiNS0_10empty_typeEEEZZNS1_27merge_sort_block_merge_implIS3_N6thrust23THRUST_200600_302600_NS6detail15normal_iteratorINS9_10device_ptrIiEEEEPS5_m17evens_before_oddsEE10hipError_tT0_T1_T2_jT3_P12ihipStream_tbPNSt15iterator_traitsISI_E10value_typeEPNSO_ISJ_E10value_typeEPSK_NS1_7vsmem_tEENKUlT_SI_SJ_SK_E_clIPiSE_SF_SF_EESH_SX_SI_SJ_SK_EUlSX_E0_NS1_11comp_targetILNS1_3genE3ELNS1_11target_archE908ELNS1_3gpuE7ELNS1_3repE0EEENS1_38merge_mergepath_config_static_selectorELNS0_4arch9wavefront6targetE0EEEvSJ_.private_seg_size, 0
	.set _ZN7rocprim17ROCPRIM_400000_NS6detail17trampoline_kernelINS0_14default_configENS1_38merge_sort_block_merge_config_selectorIiNS0_10empty_typeEEEZZNS1_27merge_sort_block_merge_implIS3_N6thrust23THRUST_200600_302600_NS6detail15normal_iteratorINS9_10device_ptrIiEEEEPS5_m17evens_before_oddsEE10hipError_tT0_T1_T2_jT3_P12ihipStream_tbPNSt15iterator_traitsISI_E10value_typeEPNSO_ISJ_E10value_typeEPSK_NS1_7vsmem_tEENKUlT_SI_SJ_SK_E_clIPiSE_SF_SF_EESH_SX_SI_SJ_SK_EUlSX_E0_NS1_11comp_targetILNS1_3genE3ELNS1_11target_archE908ELNS1_3gpuE7ELNS1_3repE0EEENS1_38merge_mergepath_config_static_selectorELNS0_4arch9wavefront6targetE0EEEvSJ_.uses_vcc, 0
	.set _ZN7rocprim17ROCPRIM_400000_NS6detail17trampoline_kernelINS0_14default_configENS1_38merge_sort_block_merge_config_selectorIiNS0_10empty_typeEEEZZNS1_27merge_sort_block_merge_implIS3_N6thrust23THRUST_200600_302600_NS6detail15normal_iteratorINS9_10device_ptrIiEEEEPS5_m17evens_before_oddsEE10hipError_tT0_T1_T2_jT3_P12ihipStream_tbPNSt15iterator_traitsISI_E10value_typeEPNSO_ISJ_E10value_typeEPSK_NS1_7vsmem_tEENKUlT_SI_SJ_SK_E_clIPiSE_SF_SF_EESH_SX_SI_SJ_SK_EUlSX_E0_NS1_11comp_targetILNS1_3genE3ELNS1_11target_archE908ELNS1_3gpuE7ELNS1_3repE0EEENS1_38merge_mergepath_config_static_selectorELNS0_4arch9wavefront6targetE0EEEvSJ_.uses_flat_scratch, 0
	.set _ZN7rocprim17ROCPRIM_400000_NS6detail17trampoline_kernelINS0_14default_configENS1_38merge_sort_block_merge_config_selectorIiNS0_10empty_typeEEEZZNS1_27merge_sort_block_merge_implIS3_N6thrust23THRUST_200600_302600_NS6detail15normal_iteratorINS9_10device_ptrIiEEEEPS5_m17evens_before_oddsEE10hipError_tT0_T1_T2_jT3_P12ihipStream_tbPNSt15iterator_traitsISI_E10value_typeEPNSO_ISJ_E10value_typeEPSK_NS1_7vsmem_tEENKUlT_SI_SJ_SK_E_clIPiSE_SF_SF_EESH_SX_SI_SJ_SK_EUlSX_E0_NS1_11comp_targetILNS1_3genE3ELNS1_11target_archE908ELNS1_3gpuE7ELNS1_3repE0EEENS1_38merge_mergepath_config_static_selectorELNS0_4arch9wavefront6targetE0EEEvSJ_.has_dyn_sized_stack, 0
	.set _ZN7rocprim17ROCPRIM_400000_NS6detail17trampoline_kernelINS0_14default_configENS1_38merge_sort_block_merge_config_selectorIiNS0_10empty_typeEEEZZNS1_27merge_sort_block_merge_implIS3_N6thrust23THRUST_200600_302600_NS6detail15normal_iteratorINS9_10device_ptrIiEEEEPS5_m17evens_before_oddsEE10hipError_tT0_T1_T2_jT3_P12ihipStream_tbPNSt15iterator_traitsISI_E10value_typeEPNSO_ISJ_E10value_typeEPSK_NS1_7vsmem_tEENKUlT_SI_SJ_SK_E_clIPiSE_SF_SF_EESH_SX_SI_SJ_SK_EUlSX_E0_NS1_11comp_targetILNS1_3genE3ELNS1_11target_archE908ELNS1_3gpuE7ELNS1_3repE0EEENS1_38merge_mergepath_config_static_selectorELNS0_4arch9wavefront6targetE0EEEvSJ_.has_recursion, 0
	.set _ZN7rocprim17ROCPRIM_400000_NS6detail17trampoline_kernelINS0_14default_configENS1_38merge_sort_block_merge_config_selectorIiNS0_10empty_typeEEEZZNS1_27merge_sort_block_merge_implIS3_N6thrust23THRUST_200600_302600_NS6detail15normal_iteratorINS9_10device_ptrIiEEEEPS5_m17evens_before_oddsEE10hipError_tT0_T1_T2_jT3_P12ihipStream_tbPNSt15iterator_traitsISI_E10value_typeEPNSO_ISJ_E10value_typeEPSK_NS1_7vsmem_tEENKUlT_SI_SJ_SK_E_clIPiSE_SF_SF_EESH_SX_SI_SJ_SK_EUlSX_E0_NS1_11comp_targetILNS1_3genE3ELNS1_11target_archE908ELNS1_3gpuE7ELNS1_3repE0EEENS1_38merge_mergepath_config_static_selectorELNS0_4arch9wavefront6targetE0EEEvSJ_.has_indirect_call, 0
	.section	.AMDGPU.csdata,"",@progbits
; Kernel info:
; codeLenInByte = 0
; TotalNumSgprs: 0
; NumVgprs: 0
; ScratchSize: 0
; MemoryBound: 0
; FloatMode: 240
; IeeeMode: 1
; LDSByteSize: 0 bytes/workgroup (compile time only)
; SGPRBlocks: 0
; VGPRBlocks: 0
; NumSGPRsForWavesPerEU: 1
; NumVGPRsForWavesPerEU: 1
; Occupancy: 16
; WaveLimiterHint : 0
; COMPUTE_PGM_RSRC2:SCRATCH_EN: 0
; COMPUTE_PGM_RSRC2:USER_SGPR: 6
; COMPUTE_PGM_RSRC2:TRAP_HANDLER: 0
; COMPUTE_PGM_RSRC2:TGID_X_EN: 1
; COMPUTE_PGM_RSRC2:TGID_Y_EN: 0
; COMPUTE_PGM_RSRC2:TGID_Z_EN: 0
; COMPUTE_PGM_RSRC2:TIDIG_COMP_CNT: 0
	.section	.text._ZN7rocprim17ROCPRIM_400000_NS6detail17trampoline_kernelINS0_14default_configENS1_38merge_sort_block_merge_config_selectorIiNS0_10empty_typeEEEZZNS1_27merge_sort_block_merge_implIS3_N6thrust23THRUST_200600_302600_NS6detail15normal_iteratorINS9_10device_ptrIiEEEEPS5_m17evens_before_oddsEE10hipError_tT0_T1_T2_jT3_P12ihipStream_tbPNSt15iterator_traitsISI_E10value_typeEPNSO_ISJ_E10value_typeEPSK_NS1_7vsmem_tEENKUlT_SI_SJ_SK_E_clIPiSE_SF_SF_EESH_SX_SI_SJ_SK_EUlSX_E0_NS1_11comp_targetILNS1_3genE2ELNS1_11target_archE906ELNS1_3gpuE6ELNS1_3repE0EEENS1_38merge_mergepath_config_static_selectorELNS0_4arch9wavefront6targetE0EEEvSJ_,"axG",@progbits,_ZN7rocprim17ROCPRIM_400000_NS6detail17trampoline_kernelINS0_14default_configENS1_38merge_sort_block_merge_config_selectorIiNS0_10empty_typeEEEZZNS1_27merge_sort_block_merge_implIS3_N6thrust23THRUST_200600_302600_NS6detail15normal_iteratorINS9_10device_ptrIiEEEEPS5_m17evens_before_oddsEE10hipError_tT0_T1_T2_jT3_P12ihipStream_tbPNSt15iterator_traitsISI_E10value_typeEPNSO_ISJ_E10value_typeEPSK_NS1_7vsmem_tEENKUlT_SI_SJ_SK_E_clIPiSE_SF_SF_EESH_SX_SI_SJ_SK_EUlSX_E0_NS1_11comp_targetILNS1_3genE2ELNS1_11target_archE906ELNS1_3gpuE6ELNS1_3repE0EEENS1_38merge_mergepath_config_static_selectorELNS0_4arch9wavefront6targetE0EEEvSJ_,comdat
	.protected	_ZN7rocprim17ROCPRIM_400000_NS6detail17trampoline_kernelINS0_14default_configENS1_38merge_sort_block_merge_config_selectorIiNS0_10empty_typeEEEZZNS1_27merge_sort_block_merge_implIS3_N6thrust23THRUST_200600_302600_NS6detail15normal_iteratorINS9_10device_ptrIiEEEEPS5_m17evens_before_oddsEE10hipError_tT0_T1_T2_jT3_P12ihipStream_tbPNSt15iterator_traitsISI_E10value_typeEPNSO_ISJ_E10value_typeEPSK_NS1_7vsmem_tEENKUlT_SI_SJ_SK_E_clIPiSE_SF_SF_EESH_SX_SI_SJ_SK_EUlSX_E0_NS1_11comp_targetILNS1_3genE2ELNS1_11target_archE906ELNS1_3gpuE6ELNS1_3repE0EEENS1_38merge_mergepath_config_static_selectorELNS0_4arch9wavefront6targetE0EEEvSJ_ ; -- Begin function _ZN7rocprim17ROCPRIM_400000_NS6detail17trampoline_kernelINS0_14default_configENS1_38merge_sort_block_merge_config_selectorIiNS0_10empty_typeEEEZZNS1_27merge_sort_block_merge_implIS3_N6thrust23THRUST_200600_302600_NS6detail15normal_iteratorINS9_10device_ptrIiEEEEPS5_m17evens_before_oddsEE10hipError_tT0_T1_T2_jT3_P12ihipStream_tbPNSt15iterator_traitsISI_E10value_typeEPNSO_ISJ_E10value_typeEPSK_NS1_7vsmem_tEENKUlT_SI_SJ_SK_E_clIPiSE_SF_SF_EESH_SX_SI_SJ_SK_EUlSX_E0_NS1_11comp_targetILNS1_3genE2ELNS1_11target_archE906ELNS1_3gpuE6ELNS1_3repE0EEENS1_38merge_mergepath_config_static_selectorELNS0_4arch9wavefront6targetE0EEEvSJ_
	.globl	_ZN7rocprim17ROCPRIM_400000_NS6detail17trampoline_kernelINS0_14default_configENS1_38merge_sort_block_merge_config_selectorIiNS0_10empty_typeEEEZZNS1_27merge_sort_block_merge_implIS3_N6thrust23THRUST_200600_302600_NS6detail15normal_iteratorINS9_10device_ptrIiEEEEPS5_m17evens_before_oddsEE10hipError_tT0_T1_T2_jT3_P12ihipStream_tbPNSt15iterator_traitsISI_E10value_typeEPNSO_ISJ_E10value_typeEPSK_NS1_7vsmem_tEENKUlT_SI_SJ_SK_E_clIPiSE_SF_SF_EESH_SX_SI_SJ_SK_EUlSX_E0_NS1_11comp_targetILNS1_3genE2ELNS1_11target_archE906ELNS1_3gpuE6ELNS1_3repE0EEENS1_38merge_mergepath_config_static_selectorELNS0_4arch9wavefront6targetE0EEEvSJ_
	.p2align	8
	.type	_ZN7rocprim17ROCPRIM_400000_NS6detail17trampoline_kernelINS0_14default_configENS1_38merge_sort_block_merge_config_selectorIiNS0_10empty_typeEEEZZNS1_27merge_sort_block_merge_implIS3_N6thrust23THRUST_200600_302600_NS6detail15normal_iteratorINS9_10device_ptrIiEEEEPS5_m17evens_before_oddsEE10hipError_tT0_T1_T2_jT3_P12ihipStream_tbPNSt15iterator_traitsISI_E10value_typeEPNSO_ISJ_E10value_typeEPSK_NS1_7vsmem_tEENKUlT_SI_SJ_SK_E_clIPiSE_SF_SF_EESH_SX_SI_SJ_SK_EUlSX_E0_NS1_11comp_targetILNS1_3genE2ELNS1_11target_archE906ELNS1_3gpuE6ELNS1_3repE0EEENS1_38merge_mergepath_config_static_selectorELNS0_4arch9wavefront6targetE0EEEvSJ_,@function
_ZN7rocprim17ROCPRIM_400000_NS6detail17trampoline_kernelINS0_14default_configENS1_38merge_sort_block_merge_config_selectorIiNS0_10empty_typeEEEZZNS1_27merge_sort_block_merge_implIS3_N6thrust23THRUST_200600_302600_NS6detail15normal_iteratorINS9_10device_ptrIiEEEEPS5_m17evens_before_oddsEE10hipError_tT0_T1_T2_jT3_P12ihipStream_tbPNSt15iterator_traitsISI_E10value_typeEPNSO_ISJ_E10value_typeEPSK_NS1_7vsmem_tEENKUlT_SI_SJ_SK_E_clIPiSE_SF_SF_EESH_SX_SI_SJ_SK_EUlSX_E0_NS1_11comp_targetILNS1_3genE2ELNS1_11target_archE906ELNS1_3gpuE6ELNS1_3repE0EEENS1_38merge_mergepath_config_static_selectorELNS0_4arch9wavefront6targetE0EEEvSJ_: ; @_ZN7rocprim17ROCPRIM_400000_NS6detail17trampoline_kernelINS0_14default_configENS1_38merge_sort_block_merge_config_selectorIiNS0_10empty_typeEEEZZNS1_27merge_sort_block_merge_implIS3_N6thrust23THRUST_200600_302600_NS6detail15normal_iteratorINS9_10device_ptrIiEEEEPS5_m17evens_before_oddsEE10hipError_tT0_T1_T2_jT3_P12ihipStream_tbPNSt15iterator_traitsISI_E10value_typeEPNSO_ISJ_E10value_typeEPSK_NS1_7vsmem_tEENKUlT_SI_SJ_SK_E_clIPiSE_SF_SF_EESH_SX_SI_SJ_SK_EUlSX_E0_NS1_11comp_targetILNS1_3genE2ELNS1_11target_archE906ELNS1_3gpuE6ELNS1_3repE0EEENS1_38merge_mergepath_config_static_selectorELNS0_4arch9wavefront6targetE0EEEvSJ_
; %bb.0:
	.section	.rodata,"a",@progbits
	.p2align	6, 0x0
	.amdhsa_kernel _ZN7rocprim17ROCPRIM_400000_NS6detail17trampoline_kernelINS0_14default_configENS1_38merge_sort_block_merge_config_selectorIiNS0_10empty_typeEEEZZNS1_27merge_sort_block_merge_implIS3_N6thrust23THRUST_200600_302600_NS6detail15normal_iteratorINS9_10device_ptrIiEEEEPS5_m17evens_before_oddsEE10hipError_tT0_T1_T2_jT3_P12ihipStream_tbPNSt15iterator_traitsISI_E10value_typeEPNSO_ISJ_E10value_typeEPSK_NS1_7vsmem_tEENKUlT_SI_SJ_SK_E_clIPiSE_SF_SF_EESH_SX_SI_SJ_SK_EUlSX_E0_NS1_11comp_targetILNS1_3genE2ELNS1_11target_archE906ELNS1_3gpuE6ELNS1_3repE0EEENS1_38merge_mergepath_config_static_selectorELNS0_4arch9wavefront6targetE0EEEvSJ_
		.amdhsa_group_segment_fixed_size 0
		.amdhsa_private_segment_fixed_size 0
		.amdhsa_kernarg_size 72
		.amdhsa_user_sgpr_count 6
		.amdhsa_user_sgpr_private_segment_buffer 1
		.amdhsa_user_sgpr_dispatch_ptr 0
		.amdhsa_user_sgpr_queue_ptr 0
		.amdhsa_user_sgpr_kernarg_segment_ptr 1
		.amdhsa_user_sgpr_dispatch_id 0
		.amdhsa_user_sgpr_flat_scratch_init 0
		.amdhsa_user_sgpr_private_segment_size 0
		.amdhsa_wavefront_size32 1
		.amdhsa_uses_dynamic_stack 0
		.amdhsa_system_sgpr_private_segment_wavefront_offset 0
		.amdhsa_system_sgpr_workgroup_id_x 1
		.amdhsa_system_sgpr_workgroup_id_y 0
		.amdhsa_system_sgpr_workgroup_id_z 0
		.amdhsa_system_sgpr_workgroup_info 0
		.amdhsa_system_vgpr_workitem_id 0
		.amdhsa_next_free_vgpr 1
		.amdhsa_next_free_sgpr 1
		.amdhsa_reserve_vcc 0
		.amdhsa_reserve_flat_scratch 0
		.amdhsa_float_round_mode_32 0
		.amdhsa_float_round_mode_16_64 0
		.amdhsa_float_denorm_mode_32 3
		.amdhsa_float_denorm_mode_16_64 3
		.amdhsa_dx10_clamp 1
		.amdhsa_ieee_mode 1
		.amdhsa_fp16_overflow 0
		.amdhsa_workgroup_processor_mode 1
		.amdhsa_memory_ordered 1
		.amdhsa_forward_progress 1
		.amdhsa_shared_vgpr_count 0
		.amdhsa_exception_fp_ieee_invalid_op 0
		.amdhsa_exception_fp_denorm_src 0
		.amdhsa_exception_fp_ieee_div_zero 0
		.amdhsa_exception_fp_ieee_overflow 0
		.amdhsa_exception_fp_ieee_underflow 0
		.amdhsa_exception_fp_ieee_inexact 0
		.amdhsa_exception_int_div_zero 0
	.end_amdhsa_kernel
	.section	.text._ZN7rocprim17ROCPRIM_400000_NS6detail17trampoline_kernelINS0_14default_configENS1_38merge_sort_block_merge_config_selectorIiNS0_10empty_typeEEEZZNS1_27merge_sort_block_merge_implIS3_N6thrust23THRUST_200600_302600_NS6detail15normal_iteratorINS9_10device_ptrIiEEEEPS5_m17evens_before_oddsEE10hipError_tT0_T1_T2_jT3_P12ihipStream_tbPNSt15iterator_traitsISI_E10value_typeEPNSO_ISJ_E10value_typeEPSK_NS1_7vsmem_tEENKUlT_SI_SJ_SK_E_clIPiSE_SF_SF_EESH_SX_SI_SJ_SK_EUlSX_E0_NS1_11comp_targetILNS1_3genE2ELNS1_11target_archE906ELNS1_3gpuE6ELNS1_3repE0EEENS1_38merge_mergepath_config_static_selectorELNS0_4arch9wavefront6targetE0EEEvSJ_,"axG",@progbits,_ZN7rocprim17ROCPRIM_400000_NS6detail17trampoline_kernelINS0_14default_configENS1_38merge_sort_block_merge_config_selectorIiNS0_10empty_typeEEEZZNS1_27merge_sort_block_merge_implIS3_N6thrust23THRUST_200600_302600_NS6detail15normal_iteratorINS9_10device_ptrIiEEEEPS5_m17evens_before_oddsEE10hipError_tT0_T1_T2_jT3_P12ihipStream_tbPNSt15iterator_traitsISI_E10value_typeEPNSO_ISJ_E10value_typeEPSK_NS1_7vsmem_tEENKUlT_SI_SJ_SK_E_clIPiSE_SF_SF_EESH_SX_SI_SJ_SK_EUlSX_E0_NS1_11comp_targetILNS1_3genE2ELNS1_11target_archE906ELNS1_3gpuE6ELNS1_3repE0EEENS1_38merge_mergepath_config_static_selectorELNS0_4arch9wavefront6targetE0EEEvSJ_,comdat
.Lfunc_end421:
	.size	_ZN7rocprim17ROCPRIM_400000_NS6detail17trampoline_kernelINS0_14default_configENS1_38merge_sort_block_merge_config_selectorIiNS0_10empty_typeEEEZZNS1_27merge_sort_block_merge_implIS3_N6thrust23THRUST_200600_302600_NS6detail15normal_iteratorINS9_10device_ptrIiEEEEPS5_m17evens_before_oddsEE10hipError_tT0_T1_T2_jT3_P12ihipStream_tbPNSt15iterator_traitsISI_E10value_typeEPNSO_ISJ_E10value_typeEPSK_NS1_7vsmem_tEENKUlT_SI_SJ_SK_E_clIPiSE_SF_SF_EESH_SX_SI_SJ_SK_EUlSX_E0_NS1_11comp_targetILNS1_3genE2ELNS1_11target_archE906ELNS1_3gpuE6ELNS1_3repE0EEENS1_38merge_mergepath_config_static_selectorELNS0_4arch9wavefront6targetE0EEEvSJ_, .Lfunc_end421-_ZN7rocprim17ROCPRIM_400000_NS6detail17trampoline_kernelINS0_14default_configENS1_38merge_sort_block_merge_config_selectorIiNS0_10empty_typeEEEZZNS1_27merge_sort_block_merge_implIS3_N6thrust23THRUST_200600_302600_NS6detail15normal_iteratorINS9_10device_ptrIiEEEEPS5_m17evens_before_oddsEE10hipError_tT0_T1_T2_jT3_P12ihipStream_tbPNSt15iterator_traitsISI_E10value_typeEPNSO_ISJ_E10value_typeEPSK_NS1_7vsmem_tEENKUlT_SI_SJ_SK_E_clIPiSE_SF_SF_EESH_SX_SI_SJ_SK_EUlSX_E0_NS1_11comp_targetILNS1_3genE2ELNS1_11target_archE906ELNS1_3gpuE6ELNS1_3repE0EEENS1_38merge_mergepath_config_static_selectorELNS0_4arch9wavefront6targetE0EEEvSJ_
                                        ; -- End function
	.set _ZN7rocprim17ROCPRIM_400000_NS6detail17trampoline_kernelINS0_14default_configENS1_38merge_sort_block_merge_config_selectorIiNS0_10empty_typeEEEZZNS1_27merge_sort_block_merge_implIS3_N6thrust23THRUST_200600_302600_NS6detail15normal_iteratorINS9_10device_ptrIiEEEEPS5_m17evens_before_oddsEE10hipError_tT0_T1_T2_jT3_P12ihipStream_tbPNSt15iterator_traitsISI_E10value_typeEPNSO_ISJ_E10value_typeEPSK_NS1_7vsmem_tEENKUlT_SI_SJ_SK_E_clIPiSE_SF_SF_EESH_SX_SI_SJ_SK_EUlSX_E0_NS1_11comp_targetILNS1_3genE2ELNS1_11target_archE906ELNS1_3gpuE6ELNS1_3repE0EEENS1_38merge_mergepath_config_static_selectorELNS0_4arch9wavefront6targetE0EEEvSJ_.num_vgpr, 0
	.set _ZN7rocprim17ROCPRIM_400000_NS6detail17trampoline_kernelINS0_14default_configENS1_38merge_sort_block_merge_config_selectorIiNS0_10empty_typeEEEZZNS1_27merge_sort_block_merge_implIS3_N6thrust23THRUST_200600_302600_NS6detail15normal_iteratorINS9_10device_ptrIiEEEEPS5_m17evens_before_oddsEE10hipError_tT0_T1_T2_jT3_P12ihipStream_tbPNSt15iterator_traitsISI_E10value_typeEPNSO_ISJ_E10value_typeEPSK_NS1_7vsmem_tEENKUlT_SI_SJ_SK_E_clIPiSE_SF_SF_EESH_SX_SI_SJ_SK_EUlSX_E0_NS1_11comp_targetILNS1_3genE2ELNS1_11target_archE906ELNS1_3gpuE6ELNS1_3repE0EEENS1_38merge_mergepath_config_static_selectorELNS0_4arch9wavefront6targetE0EEEvSJ_.num_agpr, 0
	.set _ZN7rocprim17ROCPRIM_400000_NS6detail17trampoline_kernelINS0_14default_configENS1_38merge_sort_block_merge_config_selectorIiNS0_10empty_typeEEEZZNS1_27merge_sort_block_merge_implIS3_N6thrust23THRUST_200600_302600_NS6detail15normal_iteratorINS9_10device_ptrIiEEEEPS5_m17evens_before_oddsEE10hipError_tT0_T1_T2_jT3_P12ihipStream_tbPNSt15iterator_traitsISI_E10value_typeEPNSO_ISJ_E10value_typeEPSK_NS1_7vsmem_tEENKUlT_SI_SJ_SK_E_clIPiSE_SF_SF_EESH_SX_SI_SJ_SK_EUlSX_E0_NS1_11comp_targetILNS1_3genE2ELNS1_11target_archE906ELNS1_3gpuE6ELNS1_3repE0EEENS1_38merge_mergepath_config_static_selectorELNS0_4arch9wavefront6targetE0EEEvSJ_.numbered_sgpr, 0
	.set _ZN7rocprim17ROCPRIM_400000_NS6detail17trampoline_kernelINS0_14default_configENS1_38merge_sort_block_merge_config_selectorIiNS0_10empty_typeEEEZZNS1_27merge_sort_block_merge_implIS3_N6thrust23THRUST_200600_302600_NS6detail15normal_iteratorINS9_10device_ptrIiEEEEPS5_m17evens_before_oddsEE10hipError_tT0_T1_T2_jT3_P12ihipStream_tbPNSt15iterator_traitsISI_E10value_typeEPNSO_ISJ_E10value_typeEPSK_NS1_7vsmem_tEENKUlT_SI_SJ_SK_E_clIPiSE_SF_SF_EESH_SX_SI_SJ_SK_EUlSX_E0_NS1_11comp_targetILNS1_3genE2ELNS1_11target_archE906ELNS1_3gpuE6ELNS1_3repE0EEENS1_38merge_mergepath_config_static_selectorELNS0_4arch9wavefront6targetE0EEEvSJ_.num_named_barrier, 0
	.set _ZN7rocprim17ROCPRIM_400000_NS6detail17trampoline_kernelINS0_14default_configENS1_38merge_sort_block_merge_config_selectorIiNS0_10empty_typeEEEZZNS1_27merge_sort_block_merge_implIS3_N6thrust23THRUST_200600_302600_NS6detail15normal_iteratorINS9_10device_ptrIiEEEEPS5_m17evens_before_oddsEE10hipError_tT0_T1_T2_jT3_P12ihipStream_tbPNSt15iterator_traitsISI_E10value_typeEPNSO_ISJ_E10value_typeEPSK_NS1_7vsmem_tEENKUlT_SI_SJ_SK_E_clIPiSE_SF_SF_EESH_SX_SI_SJ_SK_EUlSX_E0_NS1_11comp_targetILNS1_3genE2ELNS1_11target_archE906ELNS1_3gpuE6ELNS1_3repE0EEENS1_38merge_mergepath_config_static_selectorELNS0_4arch9wavefront6targetE0EEEvSJ_.private_seg_size, 0
	.set _ZN7rocprim17ROCPRIM_400000_NS6detail17trampoline_kernelINS0_14default_configENS1_38merge_sort_block_merge_config_selectorIiNS0_10empty_typeEEEZZNS1_27merge_sort_block_merge_implIS3_N6thrust23THRUST_200600_302600_NS6detail15normal_iteratorINS9_10device_ptrIiEEEEPS5_m17evens_before_oddsEE10hipError_tT0_T1_T2_jT3_P12ihipStream_tbPNSt15iterator_traitsISI_E10value_typeEPNSO_ISJ_E10value_typeEPSK_NS1_7vsmem_tEENKUlT_SI_SJ_SK_E_clIPiSE_SF_SF_EESH_SX_SI_SJ_SK_EUlSX_E0_NS1_11comp_targetILNS1_3genE2ELNS1_11target_archE906ELNS1_3gpuE6ELNS1_3repE0EEENS1_38merge_mergepath_config_static_selectorELNS0_4arch9wavefront6targetE0EEEvSJ_.uses_vcc, 0
	.set _ZN7rocprim17ROCPRIM_400000_NS6detail17trampoline_kernelINS0_14default_configENS1_38merge_sort_block_merge_config_selectorIiNS0_10empty_typeEEEZZNS1_27merge_sort_block_merge_implIS3_N6thrust23THRUST_200600_302600_NS6detail15normal_iteratorINS9_10device_ptrIiEEEEPS5_m17evens_before_oddsEE10hipError_tT0_T1_T2_jT3_P12ihipStream_tbPNSt15iterator_traitsISI_E10value_typeEPNSO_ISJ_E10value_typeEPSK_NS1_7vsmem_tEENKUlT_SI_SJ_SK_E_clIPiSE_SF_SF_EESH_SX_SI_SJ_SK_EUlSX_E0_NS1_11comp_targetILNS1_3genE2ELNS1_11target_archE906ELNS1_3gpuE6ELNS1_3repE0EEENS1_38merge_mergepath_config_static_selectorELNS0_4arch9wavefront6targetE0EEEvSJ_.uses_flat_scratch, 0
	.set _ZN7rocprim17ROCPRIM_400000_NS6detail17trampoline_kernelINS0_14default_configENS1_38merge_sort_block_merge_config_selectorIiNS0_10empty_typeEEEZZNS1_27merge_sort_block_merge_implIS3_N6thrust23THRUST_200600_302600_NS6detail15normal_iteratorINS9_10device_ptrIiEEEEPS5_m17evens_before_oddsEE10hipError_tT0_T1_T2_jT3_P12ihipStream_tbPNSt15iterator_traitsISI_E10value_typeEPNSO_ISJ_E10value_typeEPSK_NS1_7vsmem_tEENKUlT_SI_SJ_SK_E_clIPiSE_SF_SF_EESH_SX_SI_SJ_SK_EUlSX_E0_NS1_11comp_targetILNS1_3genE2ELNS1_11target_archE906ELNS1_3gpuE6ELNS1_3repE0EEENS1_38merge_mergepath_config_static_selectorELNS0_4arch9wavefront6targetE0EEEvSJ_.has_dyn_sized_stack, 0
	.set _ZN7rocprim17ROCPRIM_400000_NS6detail17trampoline_kernelINS0_14default_configENS1_38merge_sort_block_merge_config_selectorIiNS0_10empty_typeEEEZZNS1_27merge_sort_block_merge_implIS3_N6thrust23THRUST_200600_302600_NS6detail15normal_iteratorINS9_10device_ptrIiEEEEPS5_m17evens_before_oddsEE10hipError_tT0_T1_T2_jT3_P12ihipStream_tbPNSt15iterator_traitsISI_E10value_typeEPNSO_ISJ_E10value_typeEPSK_NS1_7vsmem_tEENKUlT_SI_SJ_SK_E_clIPiSE_SF_SF_EESH_SX_SI_SJ_SK_EUlSX_E0_NS1_11comp_targetILNS1_3genE2ELNS1_11target_archE906ELNS1_3gpuE6ELNS1_3repE0EEENS1_38merge_mergepath_config_static_selectorELNS0_4arch9wavefront6targetE0EEEvSJ_.has_recursion, 0
	.set _ZN7rocprim17ROCPRIM_400000_NS6detail17trampoline_kernelINS0_14default_configENS1_38merge_sort_block_merge_config_selectorIiNS0_10empty_typeEEEZZNS1_27merge_sort_block_merge_implIS3_N6thrust23THRUST_200600_302600_NS6detail15normal_iteratorINS9_10device_ptrIiEEEEPS5_m17evens_before_oddsEE10hipError_tT0_T1_T2_jT3_P12ihipStream_tbPNSt15iterator_traitsISI_E10value_typeEPNSO_ISJ_E10value_typeEPSK_NS1_7vsmem_tEENKUlT_SI_SJ_SK_E_clIPiSE_SF_SF_EESH_SX_SI_SJ_SK_EUlSX_E0_NS1_11comp_targetILNS1_3genE2ELNS1_11target_archE906ELNS1_3gpuE6ELNS1_3repE0EEENS1_38merge_mergepath_config_static_selectorELNS0_4arch9wavefront6targetE0EEEvSJ_.has_indirect_call, 0
	.section	.AMDGPU.csdata,"",@progbits
; Kernel info:
; codeLenInByte = 0
; TotalNumSgprs: 0
; NumVgprs: 0
; ScratchSize: 0
; MemoryBound: 0
; FloatMode: 240
; IeeeMode: 1
; LDSByteSize: 0 bytes/workgroup (compile time only)
; SGPRBlocks: 0
; VGPRBlocks: 0
; NumSGPRsForWavesPerEU: 1
; NumVGPRsForWavesPerEU: 1
; Occupancy: 16
; WaveLimiterHint : 0
; COMPUTE_PGM_RSRC2:SCRATCH_EN: 0
; COMPUTE_PGM_RSRC2:USER_SGPR: 6
; COMPUTE_PGM_RSRC2:TRAP_HANDLER: 0
; COMPUTE_PGM_RSRC2:TGID_X_EN: 1
; COMPUTE_PGM_RSRC2:TGID_Y_EN: 0
; COMPUTE_PGM_RSRC2:TGID_Z_EN: 0
; COMPUTE_PGM_RSRC2:TIDIG_COMP_CNT: 0
	.section	.text._ZN7rocprim17ROCPRIM_400000_NS6detail17trampoline_kernelINS0_14default_configENS1_38merge_sort_block_merge_config_selectorIiNS0_10empty_typeEEEZZNS1_27merge_sort_block_merge_implIS3_N6thrust23THRUST_200600_302600_NS6detail15normal_iteratorINS9_10device_ptrIiEEEEPS5_m17evens_before_oddsEE10hipError_tT0_T1_T2_jT3_P12ihipStream_tbPNSt15iterator_traitsISI_E10value_typeEPNSO_ISJ_E10value_typeEPSK_NS1_7vsmem_tEENKUlT_SI_SJ_SK_E_clIPiSE_SF_SF_EESH_SX_SI_SJ_SK_EUlSX_E0_NS1_11comp_targetILNS1_3genE9ELNS1_11target_archE1100ELNS1_3gpuE3ELNS1_3repE0EEENS1_38merge_mergepath_config_static_selectorELNS0_4arch9wavefront6targetE0EEEvSJ_,"axG",@progbits,_ZN7rocprim17ROCPRIM_400000_NS6detail17trampoline_kernelINS0_14default_configENS1_38merge_sort_block_merge_config_selectorIiNS0_10empty_typeEEEZZNS1_27merge_sort_block_merge_implIS3_N6thrust23THRUST_200600_302600_NS6detail15normal_iteratorINS9_10device_ptrIiEEEEPS5_m17evens_before_oddsEE10hipError_tT0_T1_T2_jT3_P12ihipStream_tbPNSt15iterator_traitsISI_E10value_typeEPNSO_ISJ_E10value_typeEPSK_NS1_7vsmem_tEENKUlT_SI_SJ_SK_E_clIPiSE_SF_SF_EESH_SX_SI_SJ_SK_EUlSX_E0_NS1_11comp_targetILNS1_3genE9ELNS1_11target_archE1100ELNS1_3gpuE3ELNS1_3repE0EEENS1_38merge_mergepath_config_static_selectorELNS0_4arch9wavefront6targetE0EEEvSJ_,comdat
	.protected	_ZN7rocprim17ROCPRIM_400000_NS6detail17trampoline_kernelINS0_14default_configENS1_38merge_sort_block_merge_config_selectorIiNS0_10empty_typeEEEZZNS1_27merge_sort_block_merge_implIS3_N6thrust23THRUST_200600_302600_NS6detail15normal_iteratorINS9_10device_ptrIiEEEEPS5_m17evens_before_oddsEE10hipError_tT0_T1_T2_jT3_P12ihipStream_tbPNSt15iterator_traitsISI_E10value_typeEPNSO_ISJ_E10value_typeEPSK_NS1_7vsmem_tEENKUlT_SI_SJ_SK_E_clIPiSE_SF_SF_EESH_SX_SI_SJ_SK_EUlSX_E0_NS1_11comp_targetILNS1_3genE9ELNS1_11target_archE1100ELNS1_3gpuE3ELNS1_3repE0EEENS1_38merge_mergepath_config_static_selectorELNS0_4arch9wavefront6targetE0EEEvSJ_ ; -- Begin function _ZN7rocprim17ROCPRIM_400000_NS6detail17trampoline_kernelINS0_14default_configENS1_38merge_sort_block_merge_config_selectorIiNS0_10empty_typeEEEZZNS1_27merge_sort_block_merge_implIS3_N6thrust23THRUST_200600_302600_NS6detail15normal_iteratorINS9_10device_ptrIiEEEEPS5_m17evens_before_oddsEE10hipError_tT0_T1_T2_jT3_P12ihipStream_tbPNSt15iterator_traitsISI_E10value_typeEPNSO_ISJ_E10value_typeEPSK_NS1_7vsmem_tEENKUlT_SI_SJ_SK_E_clIPiSE_SF_SF_EESH_SX_SI_SJ_SK_EUlSX_E0_NS1_11comp_targetILNS1_3genE9ELNS1_11target_archE1100ELNS1_3gpuE3ELNS1_3repE0EEENS1_38merge_mergepath_config_static_selectorELNS0_4arch9wavefront6targetE0EEEvSJ_
	.globl	_ZN7rocprim17ROCPRIM_400000_NS6detail17trampoline_kernelINS0_14default_configENS1_38merge_sort_block_merge_config_selectorIiNS0_10empty_typeEEEZZNS1_27merge_sort_block_merge_implIS3_N6thrust23THRUST_200600_302600_NS6detail15normal_iteratorINS9_10device_ptrIiEEEEPS5_m17evens_before_oddsEE10hipError_tT0_T1_T2_jT3_P12ihipStream_tbPNSt15iterator_traitsISI_E10value_typeEPNSO_ISJ_E10value_typeEPSK_NS1_7vsmem_tEENKUlT_SI_SJ_SK_E_clIPiSE_SF_SF_EESH_SX_SI_SJ_SK_EUlSX_E0_NS1_11comp_targetILNS1_3genE9ELNS1_11target_archE1100ELNS1_3gpuE3ELNS1_3repE0EEENS1_38merge_mergepath_config_static_selectorELNS0_4arch9wavefront6targetE0EEEvSJ_
	.p2align	8
	.type	_ZN7rocprim17ROCPRIM_400000_NS6detail17trampoline_kernelINS0_14default_configENS1_38merge_sort_block_merge_config_selectorIiNS0_10empty_typeEEEZZNS1_27merge_sort_block_merge_implIS3_N6thrust23THRUST_200600_302600_NS6detail15normal_iteratorINS9_10device_ptrIiEEEEPS5_m17evens_before_oddsEE10hipError_tT0_T1_T2_jT3_P12ihipStream_tbPNSt15iterator_traitsISI_E10value_typeEPNSO_ISJ_E10value_typeEPSK_NS1_7vsmem_tEENKUlT_SI_SJ_SK_E_clIPiSE_SF_SF_EESH_SX_SI_SJ_SK_EUlSX_E0_NS1_11comp_targetILNS1_3genE9ELNS1_11target_archE1100ELNS1_3gpuE3ELNS1_3repE0EEENS1_38merge_mergepath_config_static_selectorELNS0_4arch9wavefront6targetE0EEEvSJ_,@function
_ZN7rocprim17ROCPRIM_400000_NS6detail17trampoline_kernelINS0_14default_configENS1_38merge_sort_block_merge_config_selectorIiNS0_10empty_typeEEEZZNS1_27merge_sort_block_merge_implIS3_N6thrust23THRUST_200600_302600_NS6detail15normal_iteratorINS9_10device_ptrIiEEEEPS5_m17evens_before_oddsEE10hipError_tT0_T1_T2_jT3_P12ihipStream_tbPNSt15iterator_traitsISI_E10value_typeEPNSO_ISJ_E10value_typeEPSK_NS1_7vsmem_tEENKUlT_SI_SJ_SK_E_clIPiSE_SF_SF_EESH_SX_SI_SJ_SK_EUlSX_E0_NS1_11comp_targetILNS1_3genE9ELNS1_11target_archE1100ELNS1_3gpuE3ELNS1_3repE0EEENS1_38merge_mergepath_config_static_selectorELNS0_4arch9wavefront6targetE0EEEvSJ_: ; @_ZN7rocprim17ROCPRIM_400000_NS6detail17trampoline_kernelINS0_14default_configENS1_38merge_sort_block_merge_config_selectorIiNS0_10empty_typeEEEZZNS1_27merge_sort_block_merge_implIS3_N6thrust23THRUST_200600_302600_NS6detail15normal_iteratorINS9_10device_ptrIiEEEEPS5_m17evens_before_oddsEE10hipError_tT0_T1_T2_jT3_P12ihipStream_tbPNSt15iterator_traitsISI_E10value_typeEPNSO_ISJ_E10value_typeEPSK_NS1_7vsmem_tEENKUlT_SI_SJ_SK_E_clIPiSE_SF_SF_EESH_SX_SI_SJ_SK_EUlSX_E0_NS1_11comp_targetILNS1_3genE9ELNS1_11target_archE1100ELNS1_3gpuE3ELNS1_3repE0EEENS1_38merge_mergepath_config_static_selectorELNS0_4arch9wavefront6targetE0EEEvSJ_
; %bb.0:
	.section	.rodata,"a",@progbits
	.p2align	6, 0x0
	.amdhsa_kernel _ZN7rocprim17ROCPRIM_400000_NS6detail17trampoline_kernelINS0_14default_configENS1_38merge_sort_block_merge_config_selectorIiNS0_10empty_typeEEEZZNS1_27merge_sort_block_merge_implIS3_N6thrust23THRUST_200600_302600_NS6detail15normal_iteratorINS9_10device_ptrIiEEEEPS5_m17evens_before_oddsEE10hipError_tT0_T1_T2_jT3_P12ihipStream_tbPNSt15iterator_traitsISI_E10value_typeEPNSO_ISJ_E10value_typeEPSK_NS1_7vsmem_tEENKUlT_SI_SJ_SK_E_clIPiSE_SF_SF_EESH_SX_SI_SJ_SK_EUlSX_E0_NS1_11comp_targetILNS1_3genE9ELNS1_11target_archE1100ELNS1_3gpuE3ELNS1_3repE0EEENS1_38merge_mergepath_config_static_selectorELNS0_4arch9wavefront6targetE0EEEvSJ_
		.amdhsa_group_segment_fixed_size 0
		.amdhsa_private_segment_fixed_size 0
		.amdhsa_kernarg_size 72
		.amdhsa_user_sgpr_count 6
		.amdhsa_user_sgpr_private_segment_buffer 1
		.amdhsa_user_sgpr_dispatch_ptr 0
		.amdhsa_user_sgpr_queue_ptr 0
		.amdhsa_user_sgpr_kernarg_segment_ptr 1
		.amdhsa_user_sgpr_dispatch_id 0
		.amdhsa_user_sgpr_flat_scratch_init 0
		.amdhsa_user_sgpr_private_segment_size 0
		.amdhsa_wavefront_size32 1
		.amdhsa_uses_dynamic_stack 0
		.amdhsa_system_sgpr_private_segment_wavefront_offset 0
		.amdhsa_system_sgpr_workgroup_id_x 1
		.amdhsa_system_sgpr_workgroup_id_y 0
		.amdhsa_system_sgpr_workgroup_id_z 0
		.amdhsa_system_sgpr_workgroup_info 0
		.amdhsa_system_vgpr_workitem_id 0
		.amdhsa_next_free_vgpr 1
		.amdhsa_next_free_sgpr 1
		.amdhsa_reserve_vcc 0
		.amdhsa_reserve_flat_scratch 0
		.amdhsa_float_round_mode_32 0
		.amdhsa_float_round_mode_16_64 0
		.amdhsa_float_denorm_mode_32 3
		.amdhsa_float_denorm_mode_16_64 3
		.amdhsa_dx10_clamp 1
		.amdhsa_ieee_mode 1
		.amdhsa_fp16_overflow 0
		.amdhsa_workgroup_processor_mode 1
		.amdhsa_memory_ordered 1
		.amdhsa_forward_progress 1
		.amdhsa_shared_vgpr_count 0
		.amdhsa_exception_fp_ieee_invalid_op 0
		.amdhsa_exception_fp_denorm_src 0
		.amdhsa_exception_fp_ieee_div_zero 0
		.amdhsa_exception_fp_ieee_overflow 0
		.amdhsa_exception_fp_ieee_underflow 0
		.amdhsa_exception_fp_ieee_inexact 0
		.amdhsa_exception_int_div_zero 0
	.end_amdhsa_kernel
	.section	.text._ZN7rocprim17ROCPRIM_400000_NS6detail17trampoline_kernelINS0_14default_configENS1_38merge_sort_block_merge_config_selectorIiNS0_10empty_typeEEEZZNS1_27merge_sort_block_merge_implIS3_N6thrust23THRUST_200600_302600_NS6detail15normal_iteratorINS9_10device_ptrIiEEEEPS5_m17evens_before_oddsEE10hipError_tT0_T1_T2_jT3_P12ihipStream_tbPNSt15iterator_traitsISI_E10value_typeEPNSO_ISJ_E10value_typeEPSK_NS1_7vsmem_tEENKUlT_SI_SJ_SK_E_clIPiSE_SF_SF_EESH_SX_SI_SJ_SK_EUlSX_E0_NS1_11comp_targetILNS1_3genE9ELNS1_11target_archE1100ELNS1_3gpuE3ELNS1_3repE0EEENS1_38merge_mergepath_config_static_selectorELNS0_4arch9wavefront6targetE0EEEvSJ_,"axG",@progbits,_ZN7rocprim17ROCPRIM_400000_NS6detail17trampoline_kernelINS0_14default_configENS1_38merge_sort_block_merge_config_selectorIiNS0_10empty_typeEEEZZNS1_27merge_sort_block_merge_implIS3_N6thrust23THRUST_200600_302600_NS6detail15normal_iteratorINS9_10device_ptrIiEEEEPS5_m17evens_before_oddsEE10hipError_tT0_T1_T2_jT3_P12ihipStream_tbPNSt15iterator_traitsISI_E10value_typeEPNSO_ISJ_E10value_typeEPSK_NS1_7vsmem_tEENKUlT_SI_SJ_SK_E_clIPiSE_SF_SF_EESH_SX_SI_SJ_SK_EUlSX_E0_NS1_11comp_targetILNS1_3genE9ELNS1_11target_archE1100ELNS1_3gpuE3ELNS1_3repE0EEENS1_38merge_mergepath_config_static_selectorELNS0_4arch9wavefront6targetE0EEEvSJ_,comdat
.Lfunc_end422:
	.size	_ZN7rocprim17ROCPRIM_400000_NS6detail17trampoline_kernelINS0_14default_configENS1_38merge_sort_block_merge_config_selectorIiNS0_10empty_typeEEEZZNS1_27merge_sort_block_merge_implIS3_N6thrust23THRUST_200600_302600_NS6detail15normal_iteratorINS9_10device_ptrIiEEEEPS5_m17evens_before_oddsEE10hipError_tT0_T1_T2_jT3_P12ihipStream_tbPNSt15iterator_traitsISI_E10value_typeEPNSO_ISJ_E10value_typeEPSK_NS1_7vsmem_tEENKUlT_SI_SJ_SK_E_clIPiSE_SF_SF_EESH_SX_SI_SJ_SK_EUlSX_E0_NS1_11comp_targetILNS1_3genE9ELNS1_11target_archE1100ELNS1_3gpuE3ELNS1_3repE0EEENS1_38merge_mergepath_config_static_selectorELNS0_4arch9wavefront6targetE0EEEvSJ_, .Lfunc_end422-_ZN7rocprim17ROCPRIM_400000_NS6detail17trampoline_kernelINS0_14default_configENS1_38merge_sort_block_merge_config_selectorIiNS0_10empty_typeEEEZZNS1_27merge_sort_block_merge_implIS3_N6thrust23THRUST_200600_302600_NS6detail15normal_iteratorINS9_10device_ptrIiEEEEPS5_m17evens_before_oddsEE10hipError_tT0_T1_T2_jT3_P12ihipStream_tbPNSt15iterator_traitsISI_E10value_typeEPNSO_ISJ_E10value_typeEPSK_NS1_7vsmem_tEENKUlT_SI_SJ_SK_E_clIPiSE_SF_SF_EESH_SX_SI_SJ_SK_EUlSX_E0_NS1_11comp_targetILNS1_3genE9ELNS1_11target_archE1100ELNS1_3gpuE3ELNS1_3repE0EEENS1_38merge_mergepath_config_static_selectorELNS0_4arch9wavefront6targetE0EEEvSJ_
                                        ; -- End function
	.set _ZN7rocprim17ROCPRIM_400000_NS6detail17trampoline_kernelINS0_14default_configENS1_38merge_sort_block_merge_config_selectorIiNS0_10empty_typeEEEZZNS1_27merge_sort_block_merge_implIS3_N6thrust23THRUST_200600_302600_NS6detail15normal_iteratorINS9_10device_ptrIiEEEEPS5_m17evens_before_oddsEE10hipError_tT0_T1_T2_jT3_P12ihipStream_tbPNSt15iterator_traitsISI_E10value_typeEPNSO_ISJ_E10value_typeEPSK_NS1_7vsmem_tEENKUlT_SI_SJ_SK_E_clIPiSE_SF_SF_EESH_SX_SI_SJ_SK_EUlSX_E0_NS1_11comp_targetILNS1_3genE9ELNS1_11target_archE1100ELNS1_3gpuE3ELNS1_3repE0EEENS1_38merge_mergepath_config_static_selectorELNS0_4arch9wavefront6targetE0EEEvSJ_.num_vgpr, 0
	.set _ZN7rocprim17ROCPRIM_400000_NS6detail17trampoline_kernelINS0_14default_configENS1_38merge_sort_block_merge_config_selectorIiNS0_10empty_typeEEEZZNS1_27merge_sort_block_merge_implIS3_N6thrust23THRUST_200600_302600_NS6detail15normal_iteratorINS9_10device_ptrIiEEEEPS5_m17evens_before_oddsEE10hipError_tT0_T1_T2_jT3_P12ihipStream_tbPNSt15iterator_traitsISI_E10value_typeEPNSO_ISJ_E10value_typeEPSK_NS1_7vsmem_tEENKUlT_SI_SJ_SK_E_clIPiSE_SF_SF_EESH_SX_SI_SJ_SK_EUlSX_E0_NS1_11comp_targetILNS1_3genE9ELNS1_11target_archE1100ELNS1_3gpuE3ELNS1_3repE0EEENS1_38merge_mergepath_config_static_selectorELNS0_4arch9wavefront6targetE0EEEvSJ_.num_agpr, 0
	.set _ZN7rocprim17ROCPRIM_400000_NS6detail17trampoline_kernelINS0_14default_configENS1_38merge_sort_block_merge_config_selectorIiNS0_10empty_typeEEEZZNS1_27merge_sort_block_merge_implIS3_N6thrust23THRUST_200600_302600_NS6detail15normal_iteratorINS9_10device_ptrIiEEEEPS5_m17evens_before_oddsEE10hipError_tT0_T1_T2_jT3_P12ihipStream_tbPNSt15iterator_traitsISI_E10value_typeEPNSO_ISJ_E10value_typeEPSK_NS1_7vsmem_tEENKUlT_SI_SJ_SK_E_clIPiSE_SF_SF_EESH_SX_SI_SJ_SK_EUlSX_E0_NS1_11comp_targetILNS1_3genE9ELNS1_11target_archE1100ELNS1_3gpuE3ELNS1_3repE0EEENS1_38merge_mergepath_config_static_selectorELNS0_4arch9wavefront6targetE0EEEvSJ_.numbered_sgpr, 0
	.set _ZN7rocprim17ROCPRIM_400000_NS6detail17trampoline_kernelINS0_14default_configENS1_38merge_sort_block_merge_config_selectorIiNS0_10empty_typeEEEZZNS1_27merge_sort_block_merge_implIS3_N6thrust23THRUST_200600_302600_NS6detail15normal_iteratorINS9_10device_ptrIiEEEEPS5_m17evens_before_oddsEE10hipError_tT0_T1_T2_jT3_P12ihipStream_tbPNSt15iterator_traitsISI_E10value_typeEPNSO_ISJ_E10value_typeEPSK_NS1_7vsmem_tEENKUlT_SI_SJ_SK_E_clIPiSE_SF_SF_EESH_SX_SI_SJ_SK_EUlSX_E0_NS1_11comp_targetILNS1_3genE9ELNS1_11target_archE1100ELNS1_3gpuE3ELNS1_3repE0EEENS1_38merge_mergepath_config_static_selectorELNS0_4arch9wavefront6targetE0EEEvSJ_.num_named_barrier, 0
	.set _ZN7rocprim17ROCPRIM_400000_NS6detail17trampoline_kernelINS0_14default_configENS1_38merge_sort_block_merge_config_selectorIiNS0_10empty_typeEEEZZNS1_27merge_sort_block_merge_implIS3_N6thrust23THRUST_200600_302600_NS6detail15normal_iteratorINS9_10device_ptrIiEEEEPS5_m17evens_before_oddsEE10hipError_tT0_T1_T2_jT3_P12ihipStream_tbPNSt15iterator_traitsISI_E10value_typeEPNSO_ISJ_E10value_typeEPSK_NS1_7vsmem_tEENKUlT_SI_SJ_SK_E_clIPiSE_SF_SF_EESH_SX_SI_SJ_SK_EUlSX_E0_NS1_11comp_targetILNS1_3genE9ELNS1_11target_archE1100ELNS1_3gpuE3ELNS1_3repE0EEENS1_38merge_mergepath_config_static_selectorELNS0_4arch9wavefront6targetE0EEEvSJ_.private_seg_size, 0
	.set _ZN7rocprim17ROCPRIM_400000_NS6detail17trampoline_kernelINS0_14default_configENS1_38merge_sort_block_merge_config_selectorIiNS0_10empty_typeEEEZZNS1_27merge_sort_block_merge_implIS3_N6thrust23THRUST_200600_302600_NS6detail15normal_iteratorINS9_10device_ptrIiEEEEPS5_m17evens_before_oddsEE10hipError_tT0_T1_T2_jT3_P12ihipStream_tbPNSt15iterator_traitsISI_E10value_typeEPNSO_ISJ_E10value_typeEPSK_NS1_7vsmem_tEENKUlT_SI_SJ_SK_E_clIPiSE_SF_SF_EESH_SX_SI_SJ_SK_EUlSX_E0_NS1_11comp_targetILNS1_3genE9ELNS1_11target_archE1100ELNS1_3gpuE3ELNS1_3repE0EEENS1_38merge_mergepath_config_static_selectorELNS0_4arch9wavefront6targetE0EEEvSJ_.uses_vcc, 0
	.set _ZN7rocprim17ROCPRIM_400000_NS6detail17trampoline_kernelINS0_14default_configENS1_38merge_sort_block_merge_config_selectorIiNS0_10empty_typeEEEZZNS1_27merge_sort_block_merge_implIS3_N6thrust23THRUST_200600_302600_NS6detail15normal_iteratorINS9_10device_ptrIiEEEEPS5_m17evens_before_oddsEE10hipError_tT0_T1_T2_jT3_P12ihipStream_tbPNSt15iterator_traitsISI_E10value_typeEPNSO_ISJ_E10value_typeEPSK_NS1_7vsmem_tEENKUlT_SI_SJ_SK_E_clIPiSE_SF_SF_EESH_SX_SI_SJ_SK_EUlSX_E0_NS1_11comp_targetILNS1_3genE9ELNS1_11target_archE1100ELNS1_3gpuE3ELNS1_3repE0EEENS1_38merge_mergepath_config_static_selectorELNS0_4arch9wavefront6targetE0EEEvSJ_.uses_flat_scratch, 0
	.set _ZN7rocprim17ROCPRIM_400000_NS6detail17trampoline_kernelINS0_14default_configENS1_38merge_sort_block_merge_config_selectorIiNS0_10empty_typeEEEZZNS1_27merge_sort_block_merge_implIS3_N6thrust23THRUST_200600_302600_NS6detail15normal_iteratorINS9_10device_ptrIiEEEEPS5_m17evens_before_oddsEE10hipError_tT0_T1_T2_jT3_P12ihipStream_tbPNSt15iterator_traitsISI_E10value_typeEPNSO_ISJ_E10value_typeEPSK_NS1_7vsmem_tEENKUlT_SI_SJ_SK_E_clIPiSE_SF_SF_EESH_SX_SI_SJ_SK_EUlSX_E0_NS1_11comp_targetILNS1_3genE9ELNS1_11target_archE1100ELNS1_3gpuE3ELNS1_3repE0EEENS1_38merge_mergepath_config_static_selectorELNS0_4arch9wavefront6targetE0EEEvSJ_.has_dyn_sized_stack, 0
	.set _ZN7rocprim17ROCPRIM_400000_NS6detail17trampoline_kernelINS0_14default_configENS1_38merge_sort_block_merge_config_selectorIiNS0_10empty_typeEEEZZNS1_27merge_sort_block_merge_implIS3_N6thrust23THRUST_200600_302600_NS6detail15normal_iteratorINS9_10device_ptrIiEEEEPS5_m17evens_before_oddsEE10hipError_tT0_T1_T2_jT3_P12ihipStream_tbPNSt15iterator_traitsISI_E10value_typeEPNSO_ISJ_E10value_typeEPSK_NS1_7vsmem_tEENKUlT_SI_SJ_SK_E_clIPiSE_SF_SF_EESH_SX_SI_SJ_SK_EUlSX_E0_NS1_11comp_targetILNS1_3genE9ELNS1_11target_archE1100ELNS1_3gpuE3ELNS1_3repE0EEENS1_38merge_mergepath_config_static_selectorELNS0_4arch9wavefront6targetE0EEEvSJ_.has_recursion, 0
	.set _ZN7rocprim17ROCPRIM_400000_NS6detail17trampoline_kernelINS0_14default_configENS1_38merge_sort_block_merge_config_selectorIiNS0_10empty_typeEEEZZNS1_27merge_sort_block_merge_implIS3_N6thrust23THRUST_200600_302600_NS6detail15normal_iteratorINS9_10device_ptrIiEEEEPS5_m17evens_before_oddsEE10hipError_tT0_T1_T2_jT3_P12ihipStream_tbPNSt15iterator_traitsISI_E10value_typeEPNSO_ISJ_E10value_typeEPSK_NS1_7vsmem_tEENKUlT_SI_SJ_SK_E_clIPiSE_SF_SF_EESH_SX_SI_SJ_SK_EUlSX_E0_NS1_11comp_targetILNS1_3genE9ELNS1_11target_archE1100ELNS1_3gpuE3ELNS1_3repE0EEENS1_38merge_mergepath_config_static_selectorELNS0_4arch9wavefront6targetE0EEEvSJ_.has_indirect_call, 0
	.section	.AMDGPU.csdata,"",@progbits
; Kernel info:
; codeLenInByte = 0
; TotalNumSgprs: 0
; NumVgprs: 0
; ScratchSize: 0
; MemoryBound: 0
; FloatMode: 240
; IeeeMode: 1
; LDSByteSize: 0 bytes/workgroup (compile time only)
; SGPRBlocks: 0
; VGPRBlocks: 0
; NumSGPRsForWavesPerEU: 1
; NumVGPRsForWavesPerEU: 1
; Occupancy: 16
; WaveLimiterHint : 0
; COMPUTE_PGM_RSRC2:SCRATCH_EN: 0
; COMPUTE_PGM_RSRC2:USER_SGPR: 6
; COMPUTE_PGM_RSRC2:TRAP_HANDLER: 0
; COMPUTE_PGM_RSRC2:TGID_X_EN: 1
; COMPUTE_PGM_RSRC2:TGID_Y_EN: 0
; COMPUTE_PGM_RSRC2:TGID_Z_EN: 0
; COMPUTE_PGM_RSRC2:TIDIG_COMP_CNT: 0
	.section	.text._ZN7rocprim17ROCPRIM_400000_NS6detail17trampoline_kernelINS0_14default_configENS1_38merge_sort_block_merge_config_selectorIiNS0_10empty_typeEEEZZNS1_27merge_sort_block_merge_implIS3_N6thrust23THRUST_200600_302600_NS6detail15normal_iteratorINS9_10device_ptrIiEEEEPS5_m17evens_before_oddsEE10hipError_tT0_T1_T2_jT3_P12ihipStream_tbPNSt15iterator_traitsISI_E10value_typeEPNSO_ISJ_E10value_typeEPSK_NS1_7vsmem_tEENKUlT_SI_SJ_SK_E_clIPiSE_SF_SF_EESH_SX_SI_SJ_SK_EUlSX_E0_NS1_11comp_targetILNS1_3genE8ELNS1_11target_archE1030ELNS1_3gpuE2ELNS1_3repE0EEENS1_38merge_mergepath_config_static_selectorELNS0_4arch9wavefront6targetE0EEEvSJ_,"axG",@progbits,_ZN7rocprim17ROCPRIM_400000_NS6detail17trampoline_kernelINS0_14default_configENS1_38merge_sort_block_merge_config_selectorIiNS0_10empty_typeEEEZZNS1_27merge_sort_block_merge_implIS3_N6thrust23THRUST_200600_302600_NS6detail15normal_iteratorINS9_10device_ptrIiEEEEPS5_m17evens_before_oddsEE10hipError_tT0_T1_T2_jT3_P12ihipStream_tbPNSt15iterator_traitsISI_E10value_typeEPNSO_ISJ_E10value_typeEPSK_NS1_7vsmem_tEENKUlT_SI_SJ_SK_E_clIPiSE_SF_SF_EESH_SX_SI_SJ_SK_EUlSX_E0_NS1_11comp_targetILNS1_3genE8ELNS1_11target_archE1030ELNS1_3gpuE2ELNS1_3repE0EEENS1_38merge_mergepath_config_static_selectorELNS0_4arch9wavefront6targetE0EEEvSJ_,comdat
	.protected	_ZN7rocprim17ROCPRIM_400000_NS6detail17trampoline_kernelINS0_14default_configENS1_38merge_sort_block_merge_config_selectorIiNS0_10empty_typeEEEZZNS1_27merge_sort_block_merge_implIS3_N6thrust23THRUST_200600_302600_NS6detail15normal_iteratorINS9_10device_ptrIiEEEEPS5_m17evens_before_oddsEE10hipError_tT0_T1_T2_jT3_P12ihipStream_tbPNSt15iterator_traitsISI_E10value_typeEPNSO_ISJ_E10value_typeEPSK_NS1_7vsmem_tEENKUlT_SI_SJ_SK_E_clIPiSE_SF_SF_EESH_SX_SI_SJ_SK_EUlSX_E0_NS1_11comp_targetILNS1_3genE8ELNS1_11target_archE1030ELNS1_3gpuE2ELNS1_3repE0EEENS1_38merge_mergepath_config_static_selectorELNS0_4arch9wavefront6targetE0EEEvSJ_ ; -- Begin function _ZN7rocprim17ROCPRIM_400000_NS6detail17trampoline_kernelINS0_14default_configENS1_38merge_sort_block_merge_config_selectorIiNS0_10empty_typeEEEZZNS1_27merge_sort_block_merge_implIS3_N6thrust23THRUST_200600_302600_NS6detail15normal_iteratorINS9_10device_ptrIiEEEEPS5_m17evens_before_oddsEE10hipError_tT0_T1_T2_jT3_P12ihipStream_tbPNSt15iterator_traitsISI_E10value_typeEPNSO_ISJ_E10value_typeEPSK_NS1_7vsmem_tEENKUlT_SI_SJ_SK_E_clIPiSE_SF_SF_EESH_SX_SI_SJ_SK_EUlSX_E0_NS1_11comp_targetILNS1_3genE8ELNS1_11target_archE1030ELNS1_3gpuE2ELNS1_3repE0EEENS1_38merge_mergepath_config_static_selectorELNS0_4arch9wavefront6targetE0EEEvSJ_
	.globl	_ZN7rocprim17ROCPRIM_400000_NS6detail17trampoline_kernelINS0_14default_configENS1_38merge_sort_block_merge_config_selectorIiNS0_10empty_typeEEEZZNS1_27merge_sort_block_merge_implIS3_N6thrust23THRUST_200600_302600_NS6detail15normal_iteratorINS9_10device_ptrIiEEEEPS5_m17evens_before_oddsEE10hipError_tT0_T1_T2_jT3_P12ihipStream_tbPNSt15iterator_traitsISI_E10value_typeEPNSO_ISJ_E10value_typeEPSK_NS1_7vsmem_tEENKUlT_SI_SJ_SK_E_clIPiSE_SF_SF_EESH_SX_SI_SJ_SK_EUlSX_E0_NS1_11comp_targetILNS1_3genE8ELNS1_11target_archE1030ELNS1_3gpuE2ELNS1_3repE0EEENS1_38merge_mergepath_config_static_selectorELNS0_4arch9wavefront6targetE0EEEvSJ_
	.p2align	8
	.type	_ZN7rocprim17ROCPRIM_400000_NS6detail17trampoline_kernelINS0_14default_configENS1_38merge_sort_block_merge_config_selectorIiNS0_10empty_typeEEEZZNS1_27merge_sort_block_merge_implIS3_N6thrust23THRUST_200600_302600_NS6detail15normal_iteratorINS9_10device_ptrIiEEEEPS5_m17evens_before_oddsEE10hipError_tT0_T1_T2_jT3_P12ihipStream_tbPNSt15iterator_traitsISI_E10value_typeEPNSO_ISJ_E10value_typeEPSK_NS1_7vsmem_tEENKUlT_SI_SJ_SK_E_clIPiSE_SF_SF_EESH_SX_SI_SJ_SK_EUlSX_E0_NS1_11comp_targetILNS1_3genE8ELNS1_11target_archE1030ELNS1_3gpuE2ELNS1_3repE0EEENS1_38merge_mergepath_config_static_selectorELNS0_4arch9wavefront6targetE0EEEvSJ_,@function
_ZN7rocprim17ROCPRIM_400000_NS6detail17trampoline_kernelINS0_14default_configENS1_38merge_sort_block_merge_config_selectorIiNS0_10empty_typeEEEZZNS1_27merge_sort_block_merge_implIS3_N6thrust23THRUST_200600_302600_NS6detail15normal_iteratorINS9_10device_ptrIiEEEEPS5_m17evens_before_oddsEE10hipError_tT0_T1_T2_jT3_P12ihipStream_tbPNSt15iterator_traitsISI_E10value_typeEPNSO_ISJ_E10value_typeEPSK_NS1_7vsmem_tEENKUlT_SI_SJ_SK_E_clIPiSE_SF_SF_EESH_SX_SI_SJ_SK_EUlSX_E0_NS1_11comp_targetILNS1_3genE8ELNS1_11target_archE1030ELNS1_3gpuE2ELNS1_3repE0EEENS1_38merge_mergepath_config_static_selectorELNS0_4arch9wavefront6targetE0EEEvSJ_: ; @_ZN7rocprim17ROCPRIM_400000_NS6detail17trampoline_kernelINS0_14default_configENS1_38merge_sort_block_merge_config_selectorIiNS0_10empty_typeEEEZZNS1_27merge_sort_block_merge_implIS3_N6thrust23THRUST_200600_302600_NS6detail15normal_iteratorINS9_10device_ptrIiEEEEPS5_m17evens_before_oddsEE10hipError_tT0_T1_T2_jT3_P12ihipStream_tbPNSt15iterator_traitsISI_E10value_typeEPNSO_ISJ_E10value_typeEPSK_NS1_7vsmem_tEENKUlT_SI_SJ_SK_E_clIPiSE_SF_SF_EESH_SX_SI_SJ_SK_EUlSX_E0_NS1_11comp_targetILNS1_3genE8ELNS1_11target_archE1030ELNS1_3gpuE2ELNS1_3repE0EEENS1_38merge_mergepath_config_static_selectorELNS0_4arch9wavefront6targetE0EEEvSJ_
; %bb.0:
	s_clause 0x1
	s_load_dwordx2 s[22:23], s[4:5], 0x48
	s_load_dword s0, s[4:5], 0x38
	s_add_u32 s20, s4, 0x48
	s_addc_u32 s21, s5, 0
	s_waitcnt lgkmcnt(0)
	s_mul_i32 s1, s23, s8
	s_add_i32 s1, s1, s7
	s_mul_i32 s1, s1, s22
	s_add_i32 s18, s1, s6
	s_cmp_ge_u32 s18, s0
	s_cbranch_scc1 .LBB423_35
; %bb.1:
	s_clause 0x1
	s_load_dwordx2 s[0:1], s[4:5], 0x40
	s_load_dwordx4 s[8:11], s[4:5], 0x28
	s_mov_b32 s19, 0
	s_lshl_b64 s[2:3], s[18:19], 3
	s_waitcnt lgkmcnt(0)
	s_add_u32 s0, s0, s2
	s_addc_u32 s1, s1, s3
	s_lshl_b64 s[16:17], s[18:19], 10
	s_load_dwordx4 s[12:15], s[0:1], 0x0
	s_lshr_b64 s[0:1], s[10:11], 9
	s_mov_b32 s1, s19
	s_and_b32 s0, s0, -2
	s_sub_i32 s30, 0, s0
	s_and_b32 s0, s18, s30
	s_lshl_b64 s[24:25], s[0:1], 10
	s_sub_u32 s7, s16, s24
	s_subb_u32 s23, s17, s25
	s_lshl_b64 s[26:27], s[0:1], 11
	s_load_dwordx4 s[0:3], s[4:5], 0x8
	s_add_u32 s4, s26, s10
	s_addc_u32 s26, s27, s11
	s_add_u32 s5, s4, s7
	s_addc_u32 s23, s26, s23
	s_waitcnt lgkmcnt(0)
	s_sub_u32 s7, s5, s14
	s_subb_u32 s15, s23, s15
	s_add_u32 s28, s7, 0x400
	s_addc_u32 s29, s15, 0
	v_cmp_lt_u64_e64 s7, s[8:9], s[28:29]
	s_and_b32 s7, s7, exec_lo
	s_cselect_b32 s7, s8, s28
	s_or_b32 s15, s18, s30
	s_cmp_lg_u32 s15, -1
	s_mov_b32 s15, -1
	s_cbranch_scc1 .LBB423_3
; %bb.2:
	s_sub_u32 s24, s4, s24
	s_subb_u32 s25, s26, s25
	v_cmp_lt_u64_e64 s4, s[8:9], s[24:25]
	s_and_b32 s4, s4, exec_lo
	s_cselect_b32 s14, s8, s24
	s_add_u32 s10, s24, s10
	s_addc_u32 s11, s25, s11
	v_cmp_lt_u64_e64 s4, s[8:9], s[10:11]
	s_and_b32 s4, s4, exec_lo
	s_cselect_b32 s7, s8, s10
.LBB423_3:
	s_lshr_b64 s[24:25], s[8:9], 10
	v_mov_b32_e32 v4, 0
	s_cmp_lg_u64 s[24:25], s[18:19]
	v_lshlrev_b32_e32 v5, 2, v0
	s_cselect_b32 s4, -1, 0
	s_sub_u32 s10, s5, s12
	s_subb_u32 s11, s23, s13
	global_load_dword v1, v4, s[20:21] offset:14
	v_cmp_lt_u64_e64 s5, s[8:9], s[10:11]
                                        ; implicit-def: $vgpr6
	s_and_b32 s5, s5, exec_lo
	s_cselect_b32 s26, s8, s10
	s_cselect_b32 s27, s9, s11
	s_sub_i32 s5, s14, s12
	s_lshl_b64 s[12:13], s[12:13], 2
	s_sub_i32 s7, s7, s26
	s_add_u32 s11, s0, s12
	s_addc_u32 s12, s1, s13
	s_lshl_b64 s[26:27], s[26:27], 2
	s_add_u32 s9, s0, s26
	s_addc_u32 s10, s1, s27
	s_cmp_lt_u32 s6, s22
	s_cselect_b32 s0, 12, 18
	s_add_u32 s0, s20, s0
	s_addc_u32 s1, s21, 0
	s_cmp_eq_u64 s[24:25], s[18:19]
	global_load_ushort v2, v4, s[0:1]
	s_waitcnt vmcnt(1)
	v_lshrrev_b32_e32 v3, 16, v1
	v_and_b32_e32 v1, 0xffff, v1
	v_mul_lo_u32 v1, v1, v3
                                        ; implicit-def: $vgpr3
	s_waitcnt vmcnt(0)
	v_mul_lo_u32 v1, v1, v2
                                        ; implicit-def: $vgpr2
	v_add_nc_u32_e32 v1, v1, v0
	s_cbranch_scc1 .LBB423_5
; %bb.4:
	v_mov_b32_e32 v2, v4
	v_sub_co_u32 v3, vcc_lo, v0, s5
	v_add_co_u32 v10, s0, s11, v5
	v_lshlrev_b64 v[6:7], 2, v[1:2]
	v_add_co_ci_u32_e64 v11, null, s12, 0, s0
	v_lshlrev_b64 v[8:9], 2, v[3:4]
	s_mov_b32 s15, 0
	v_add_co_u32 v6, s0, s11, v6
	v_add_co_ci_u32_e64 v7, null, s12, v7, s0
	v_sub_co_u32 v3, s0, v1, s5
	v_lshlrev_b64 v[2:3], 2, v[3:4]
	v_add_co_u32 v4, s1, s9, v8
	v_add_co_ci_u32_e64 v8, null, s10, v9, s1
	v_add_co_u32 v9, s1, s9, v2
	v_add_co_ci_u32_e64 v12, null, s10, v3, s1
	v_cndmask_b32_e32 v3, v8, v11, vcc_lo
	v_cndmask_b32_e32 v2, v4, v10, vcc_lo
	v_cndmask_b32_e64 v6, v9, v6, s0
	v_cndmask_b32_e64 v7, v12, v7, s0
	s_add_i32 s0, s5, s7
	global_load_dword v3, v[2:3], off
	global_load_dword v2, v[6:7], off
	v_mov_b32_e32 v6, s0
.LBB423_5:
	s_andn2_b32 vcc_lo, exec_lo, s15
	s_cbranch_vccnz .LBB423_11
; %bb.6:
	s_waitcnt vmcnt(0)
	v_mov_b32_e32 v2, 0
	v_mov_b32_e32 v3, 0
	s_add_i32 s1, s5, s7
	s_mov_b32 s6, exec_lo
	v_cmpx_gt_u32_e64 s1, v0
	s_cbranch_execz .LBB423_8
; %bb.7:
	v_sub_co_u32 v3, vcc_lo, v0, s5
	v_mov_b32_e32 v4, 0
	v_add_co_u32 v6, s0, s11, v5
	v_add_co_ci_u32_e64 v7, null, s12, 0, s0
	v_lshlrev_b64 v[3:4], 2, v[3:4]
	v_add_co_u32 v3, s0, s9, v3
	v_add_co_ci_u32_e64 v4, null, s10, v4, s0
	v_cndmask_b32_e32 v3, v3, v6, vcc_lo
	v_cndmask_b32_e32 v4, v4, v7, vcc_lo
	global_load_dword v3, v[3:4], off
.LBB423_8:
	s_or_b32 exec_lo, exec_lo, s6
	s_mov_b32 s6, exec_lo
	v_cmpx_gt_u32_e64 s1, v1
	s_cbranch_execz .LBB423_10
; %bb.9:
	v_mov_b32_e32 v2, 0
	v_lshlrev_b64 v[6:7], 2, v[1:2]
	v_add_co_u32 v4, vcc_lo, s11, v6
	v_add_co_ci_u32_e64 v6, null, s12, v7, vcc_lo
	v_sub_co_u32 v1, vcc_lo, v1, s5
	v_lshlrev_b64 v[1:2], 2, v[1:2]
	v_add_co_u32 v1, s0, s9, v1
	v_add_co_ci_u32_e64 v2, null, s10, v2, s0
	v_cndmask_b32_e32 v1, v1, v4, vcc_lo
	v_cndmask_b32_e32 v2, v2, v6, vcc_lo
	global_load_dword v2, v[1:2], off
.LBB423_10:
	s_or_b32 exec_lo, exec_lo, s6
	v_mov_b32_e32 v6, s1
.LBB423_11:
	v_lshlrev_b32_e32 v1, 1, v0
	s_mov_b32 s0, exec_lo
	s_waitcnt vmcnt(0)
	ds_write2st64_b32 v5, v3, v2 offset1:8
	s_waitcnt lgkmcnt(0)
	s_barrier
	v_min_u32_e32 v7, v6, v1
	buffer_gl0_inv
	v_sub_nc_u32_e64 v4, v7, s7 clamp
	v_min_u32_e32 v8, s5, v7
	v_cmpx_lt_u32_e64 v4, v8
	s_cbranch_execz .LBB423_15
; %bb.12:
	v_lshlrev_b32_e32 v9, 2, v7
	s_mov_b32 s1, 0
	v_lshl_add_u32 v9, s5, 2, v9
	s_inst_prefetch 0x1
	.p2align	6
.LBB423_13:                             ; =>This Inner Loop Header: Depth=1
	v_add_nc_u32_e32 v10, v8, v4
	v_lshrrev_b32_e32 v10, 1, v10
	v_not_b32_e32 v11, v10
	v_lshlrev_b32_e32 v12, 2, v10
	v_lshl_add_u32 v11, v11, 2, v9
	ds_read_b32 v12, v12
	ds_read_b32 v11, v11
	s_waitcnt lgkmcnt(1)
	v_lshrrev_b32_e32 v14, 31, v12
	s_waitcnt lgkmcnt(0)
	v_lshrrev_b32_e32 v13, 31, v11
	v_cmp_lt_i32_e32 vcc_lo, v11, v12
	v_add_nc_u32_e32 v14, v12, v14
	v_add_nc_u32_e32 v13, v11, v13
	v_and_b32_e32 v14, -2, v14
	v_and_b32_e32 v13, -2, v13
	v_sub_nc_u32_e32 v12, v12, v14
	v_sub_nc_u32_e32 v13, v11, v13
	v_cndmask_b32_e64 v11, 0, 1, vcc_lo
	v_cmp_eq_u32_e32 vcc_lo, 0, v13
	v_cndmask_b32_e64 v14, 0, 1, vcc_lo
	v_cmp_eq_u32_e32 vcc_lo, v13, v12
	v_add_nc_u32_e32 v12, 1, v10
	v_cndmask_b32_e32 v11, v14, v11, vcc_lo
	v_and_b32_e32 v11, 1, v11
	v_cmp_eq_u32_e32 vcc_lo, 1, v11
	v_cndmask_b32_e32 v8, v8, v10, vcc_lo
	v_cndmask_b32_e32 v4, v12, v4, vcc_lo
	v_cmp_ge_u32_e32 vcc_lo, v4, v8
	s_or_b32 s1, vcc_lo, s1
	s_andn2_b32 exec_lo, exec_lo, s1
	s_cbranch_execnz .LBB423_13
; %bb.14:
	s_inst_prefetch 0x2
	s_or_b32 exec_lo, exec_lo, s1
.LBB423_15:
	s_or_b32 exec_lo, exec_lo, s0
	v_sub_nc_u32_e32 v7, v7, v4
	v_cmp_ge_u32_e32 vcc_lo, s5, v4
	v_add_nc_u32_e32 v8, s5, v7
	v_cmp_le_u32_e64 s0, v8, v6
	s_or_b32 s0, vcc_lo, s0
	s_and_saveexec_b32 s1, s0
	s_cbranch_execz .LBB423_27
; %bb.16:
	s_mov_b32 s6, exec_lo
	v_cmp_le_u32_e32 vcc_lo, s5, v4
                                        ; implicit-def: $vgpr3
	v_cmpx_gt_u32_e64 s5, v4
; %bb.17:
	v_lshlrev_b32_e32 v2, 2, v4
	ds_read_b32 v3, v2
; %bb.18:
	s_or_b32 exec_lo, exec_lo, s6
	v_cmp_ge_u32_e64 s6, v8, v6
	s_mov_b32 s7, exec_lo
                                        ; implicit-def: $vgpr7
	v_cmpx_lt_u32_e64 v8, v6
; %bb.19:
	v_lshlrev_b32_e32 v2, 2, v8
	ds_read_b32 v7, v2
; %bb.20:
	s_or_b32 exec_lo, exec_lo, s7
	s_nor_b32 s7, vcc_lo, s6
	s_and_saveexec_b32 s0, s7
	s_cbranch_execz .LBB423_22
; %bb.21:
	s_waitcnt lgkmcnt(0)
	v_lshrrev_b32_e32 v2, 31, v7
	v_lshrrev_b32_e32 v9, 31, v3
	v_cmp_ge_i32_e32 vcc_lo, v7, v3
	s_andn2_b32 s6, s6, exec_lo
	v_add_nc_u32_e32 v2, v7, v2
	v_add_nc_u32_e32 v9, v3, v9
	v_cndmask_b32_e64 v10, 0, 1, vcc_lo
	v_and_b32_e32 v2, -2, v2
	v_and_b32_e32 v9, -2, v9
	v_sub_nc_u32_e32 v2, v7, v2
	v_sub_nc_u32_e32 v9, v3, v9
	v_cmp_ne_u32_e32 vcc_lo, 0, v2
	v_cndmask_b32_e64 v11, 0, 1, vcc_lo
	v_cmp_eq_u32_e32 vcc_lo, v2, v9
	v_cndmask_b32_e32 v2, v11, v10, vcc_lo
	v_and_b32_e32 v2, 1, v2
	v_cmp_eq_u32_e32 vcc_lo, 1, v2
	s_and_b32 s7, vcc_lo, exec_lo
	s_or_b32 s6, s6, s7
.LBB423_22:
	s_or_b32 exec_lo, exec_lo, s0
	v_cndmask_b32_e64 v2, v8, v4, s6
	v_cndmask_b32_e64 v10, v6, s5, s6
	s_mov_b32 s0, exec_lo
	v_add_nc_u32_e32 v9, 1, v2
	v_add_nc_u32_e32 v2, -1, v10
	v_cndmask_b32_e64 v8, v9, v8, s6
	v_min_u32_e32 v2, v9, v2
	v_lshlrev_b32_e32 v2, 2, v2
	ds_read_b32 v10, v2
	s_waitcnt lgkmcnt(0)
	v_cndmask_b32_e64 v2, v3, v10, s6
	v_cmpx_lt_u32_e64 v8, v6
	s_cbranch_execz .LBB423_26
; %bb.23:
	v_cndmask_b32_e64 v6, v4, v9, s6
	v_cndmask_b32_e64 v4, v10, v7, s6
	v_cmp_gt_u32_e32 vcc_lo, s5, v6
	s_and_saveexec_b32 s5, vcc_lo
	s_cbranch_execz .LBB423_25
; %bb.24:
	v_lshrrev_b32_e32 v6, 31, v4
	v_lshrrev_b32_e32 v8, 31, v2
	v_cmp_ge_i32_e32 vcc_lo, v4, v2
	v_add_nc_u32_e32 v6, v4, v6
	v_add_nc_u32_e32 v8, v2, v8
	v_cndmask_b32_e64 v9, 0, 1, vcc_lo
	v_and_b32_e32 v6, -2, v6
	v_and_b32_e32 v8, -2, v8
	v_sub_nc_u32_e32 v6, v4, v6
	v_sub_nc_u32_e32 v8, v2, v8
	v_cmp_ne_u32_e32 vcc_lo, 0, v6
	v_cndmask_b32_e64 v10, 0, 1, vcc_lo
	v_cmp_eq_u32_e32 vcc_lo, v6, v8
	v_cndmask_b32_e32 v6, v10, v9, vcc_lo
	v_and_b32_e32 v6, 1, v6
	v_cmp_eq_u32_e32 vcc_lo, 1, v6
	v_cndmask_b32_e32 v4, v4, v2, vcc_lo
.LBB423_25:
	s_or_b32 exec_lo, exec_lo, s5
	v_mov_b32_e32 v2, v4
.LBB423_26:
	s_or_b32 exec_lo, exec_lo, s0
	v_cndmask_b32_e64 v3, v7, v3, s6
.LBB423_27:
	s_or_b32 exec_lo, exec_lo, s1
	v_lshrrev_b32_e32 v6, 2, v0
	v_or_b32_e32 v4, 0x200, v0
	v_lshrrev_b32_e32 v7, 3, v0
	s_lshl_b64 s[0:1], s[16:17], 2
	v_and_b32_e32 v6, 0x7c, v6
	v_lshrrev_b32_e32 v8, 3, v4
	s_add_u32 s0, s2, s0
	s_barrier
	buffer_gl0_inv
	v_lshl_add_u32 v1, v1, 2, v6
	v_and_b32_e32 v6, 60, v7
	v_and_b32_e32 v7, 0x7c, v8
	s_barrier
	buffer_gl0_inv
	s_addc_u32 s1, s3, s1
	ds_write2_b32 v1, v3, v2 offset1:1
	v_add_co_u32 v1, s0, s0, v5
	v_add_nc_u32_e32 v6, v6, v5
	v_add_nc_u32_e32 v7, v7, v5
	v_add_co_ci_u32_e64 v2, null, s1, 0, s0
	s_and_b32 vcc_lo, exec_lo, s4
	s_waitcnt lgkmcnt(0)
	s_cbranch_vccz .LBB423_29
; %bb.28:
	s_barrier
	buffer_gl0_inv
	ds_read_b32 v5, v6
	ds_read_b32 v3, v7 offset:2048
	s_mov_b32 s0, -1
	s_waitcnt lgkmcnt(1)
	global_store_dword v[1:2], v5, off
	s_cbranch_execz .LBB423_30
	s_branch .LBB423_33
.LBB423_29:
	s_mov_b32 s0, 0
                                        ; implicit-def: $vgpr3
.LBB423_30:
	s_barrier
	s_waitcnt lgkmcnt(0)
	s_waitcnt_vscnt null, 0x0
	buffer_gl0_inv
	ds_read_b32 v3, v7 offset:2048
	s_sub_i32 s0, s8, s16
	s_mov_b32 s1, exec_lo
	v_cmpx_gt_u32_e64 s0, v0
	s_cbranch_execz .LBB423_32
; %bb.31:
	ds_read_b32 v0, v6
	s_waitcnt lgkmcnt(0)
	global_store_dword v[1:2], v0, off
.LBB423_32:
	s_or_b32 exec_lo, exec_lo, s1
	v_cmp_gt_u32_e64 s0, s0, v4
.LBB423_33:
	s_and_saveexec_b32 s1, s0
	s_cbranch_execz .LBB423_35
; %bb.34:
	v_add_co_u32 v0, vcc_lo, 0x800, v1
	v_add_co_ci_u32_e64 v1, null, 0, v2, vcc_lo
	s_waitcnt lgkmcnt(0)
	global_store_dword v[0:1], v3, off
.LBB423_35:
	s_endpgm
	.section	.rodata,"a",@progbits
	.p2align	6, 0x0
	.amdhsa_kernel _ZN7rocprim17ROCPRIM_400000_NS6detail17trampoline_kernelINS0_14default_configENS1_38merge_sort_block_merge_config_selectorIiNS0_10empty_typeEEEZZNS1_27merge_sort_block_merge_implIS3_N6thrust23THRUST_200600_302600_NS6detail15normal_iteratorINS9_10device_ptrIiEEEEPS5_m17evens_before_oddsEE10hipError_tT0_T1_T2_jT3_P12ihipStream_tbPNSt15iterator_traitsISI_E10value_typeEPNSO_ISJ_E10value_typeEPSK_NS1_7vsmem_tEENKUlT_SI_SJ_SK_E_clIPiSE_SF_SF_EESH_SX_SI_SJ_SK_EUlSX_E0_NS1_11comp_targetILNS1_3genE8ELNS1_11target_archE1030ELNS1_3gpuE2ELNS1_3repE0EEENS1_38merge_mergepath_config_static_selectorELNS0_4arch9wavefront6targetE0EEEvSJ_
		.amdhsa_group_segment_fixed_size 4224
		.amdhsa_private_segment_fixed_size 0
		.amdhsa_kernarg_size 328
		.amdhsa_user_sgpr_count 6
		.amdhsa_user_sgpr_private_segment_buffer 1
		.amdhsa_user_sgpr_dispatch_ptr 0
		.amdhsa_user_sgpr_queue_ptr 0
		.amdhsa_user_sgpr_kernarg_segment_ptr 1
		.amdhsa_user_sgpr_dispatch_id 0
		.amdhsa_user_sgpr_flat_scratch_init 0
		.amdhsa_user_sgpr_private_segment_size 0
		.amdhsa_wavefront_size32 1
		.amdhsa_uses_dynamic_stack 0
		.amdhsa_system_sgpr_private_segment_wavefront_offset 0
		.amdhsa_system_sgpr_workgroup_id_x 1
		.amdhsa_system_sgpr_workgroup_id_y 1
		.amdhsa_system_sgpr_workgroup_id_z 1
		.amdhsa_system_sgpr_workgroup_info 0
		.amdhsa_system_vgpr_workitem_id 0
		.amdhsa_next_free_vgpr 15
		.amdhsa_next_free_sgpr 31
		.amdhsa_reserve_vcc 1
		.amdhsa_reserve_flat_scratch 0
		.amdhsa_float_round_mode_32 0
		.amdhsa_float_round_mode_16_64 0
		.amdhsa_float_denorm_mode_32 3
		.amdhsa_float_denorm_mode_16_64 3
		.amdhsa_dx10_clamp 1
		.amdhsa_ieee_mode 1
		.amdhsa_fp16_overflow 0
		.amdhsa_workgroup_processor_mode 1
		.amdhsa_memory_ordered 1
		.amdhsa_forward_progress 1
		.amdhsa_shared_vgpr_count 0
		.amdhsa_exception_fp_ieee_invalid_op 0
		.amdhsa_exception_fp_denorm_src 0
		.amdhsa_exception_fp_ieee_div_zero 0
		.amdhsa_exception_fp_ieee_overflow 0
		.amdhsa_exception_fp_ieee_underflow 0
		.amdhsa_exception_fp_ieee_inexact 0
		.amdhsa_exception_int_div_zero 0
	.end_amdhsa_kernel
	.section	.text._ZN7rocprim17ROCPRIM_400000_NS6detail17trampoline_kernelINS0_14default_configENS1_38merge_sort_block_merge_config_selectorIiNS0_10empty_typeEEEZZNS1_27merge_sort_block_merge_implIS3_N6thrust23THRUST_200600_302600_NS6detail15normal_iteratorINS9_10device_ptrIiEEEEPS5_m17evens_before_oddsEE10hipError_tT0_T1_T2_jT3_P12ihipStream_tbPNSt15iterator_traitsISI_E10value_typeEPNSO_ISJ_E10value_typeEPSK_NS1_7vsmem_tEENKUlT_SI_SJ_SK_E_clIPiSE_SF_SF_EESH_SX_SI_SJ_SK_EUlSX_E0_NS1_11comp_targetILNS1_3genE8ELNS1_11target_archE1030ELNS1_3gpuE2ELNS1_3repE0EEENS1_38merge_mergepath_config_static_selectorELNS0_4arch9wavefront6targetE0EEEvSJ_,"axG",@progbits,_ZN7rocprim17ROCPRIM_400000_NS6detail17trampoline_kernelINS0_14default_configENS1_38merge_sort_block_merge_config_selectorIiNS0_10empty_typeEEEZZNS1_27merge_sort_block_merge_implIS3_N6thrust23THRUST_200600_302600_NS6detail15normal_iteratorINS9_10device_ptrIiEEEEPS5_m17evens_before_oddsEE10hipError_tT0_T1_T2_jT3_P12ihipStream_tbPNSt15iterator_traitsISI_E10value_typeEPNSO_ISJ_E10value_typeEPSK_NS1_7vsmem_tEENKUlT_SI_SJ_SK_E_clIPiSE_SF_SF_EESH_SX_SI_SJ_SK_EUlSX_E0_NS1_11comp_targetILNS1_3genE8ELNS1_11target_archE1030ELNS1_3gpuE2ELNS1_3repE0EEENS1_38merge_mergepath_config_static_selectorELNS0_4arch9wavefront6targetE0EEEvSJ_,comdat
.Lfunc_end423:
	.size	_ZN7rocprim17ROCPRIM_400000_NS6detail17trampoline_kernelINS0_14default_configENS1_38merge_sort_block_merge_config_selectorIiNS0_10empty_typeEEEZZNS1_27merge_sort_block_merge_implIS3_N6thrust23THRUST_200600_302600_NS6detail15normal_iteratorINS9_10device_ptrIiEEEEPS5_m17evens_before_oddsEE10hipError_tT0_T1_T2_jT3_P12ihipStream_tbPNSt15iterator_traitsISI_E10value_typeEPNSO_ISJ_E10value_typeEPSK_NS1_7vsmem_tEENKUlT_SI_SJ_SK_E_clIPiSE_SF_SF_EESH_SX_SI_SJ_SK_EUlSX_E0_NS1_11comp_targetILNS1_3genE8ELNS1_11target_archE1030ELNS1_3gpuE2ELNS1_3repE0EEENS1_38merge_mergepath_config_static_selectorELNS0_4arch9wavefront6targetE0EEEvSJ_, .Lfunc_end423-_ZN7rocprim17ROCPRIM_400000_NS6detail17trampoline_kernelINS0_14default_configENS1_38merge_sort_block_merge_config_selectorIiNS0_10empty_typeEEEZZNS1_27merge_sort_block_merge_implIS3_N6thrust23THRUST_200600_302600_NS6detail15normal_iteratorINS9_10device_ptrIiEEEEPS5_m17evens_before_oddsEE10hipError_tT0_T1_T2_jT3_P12ihipStream_tbPNSt15iterator_traitsISI_E10value_typeEPNSO_ISJ_E10value_typeEPSK_NS1_7vsmem_tEENKUlT_SI_SJ_SK_E_clIPiSE_SF_SF_EESH_SX_SI_SJ_SK_EUlSX_E0_NS1_11comp_targetILNS1_3genE8ELNS1_11target_archE1030ELNS1_3gpuE2ELNS1_3repE0EEENS1_38merge_mergepath_config_static_selectorELNS0_4arch9wavefront6targetE0EEEvSJ_
                                        ; -- End function
	.set _ZN7rocprim17ROCPRIM_400000_NS6detail17trampoline_kernelINS0_14default_configENS1_38merge_sort_block_merge_config_selectorIiNS0_10empty_typeEEEZZNS1_27merge_sort_block_merge_implIS3_N6thrust23THRUST_200600_302600_NS6detail15normal_iteratorINS9_10device_ptrIiEEEEPS5_m17evens_before_oddsEE10hipError_tT0_T1_T2_jT3_P12ihipStream_tbPNSt15iterator_traitsISI_E10value_typeEPNSO_ISJ_E10value_typeEPSK_NS1_7vsmem_tEENKUlT_SI_SJ_SK_E_clIPiSE_SF_SF_EESH_SX_SI_SJ_SK_EUlSX_E0_NS1_11comp_targetILNS1_3genE8ELNS1_11target_archE1030ELNS1_3gpuE2ELNS1_3repE0EEENS1_38merge_mergepath_config_static_selectorELNS0_4arch9wavefront6targetE0EEEvSJ_.num_vgpr, 15
	.set _ZN7rocprim17ROCPRIM_400000_NS6detail17trampoline_kernelINS0_14default_configENS1_38merge_sort_block_merge_config_selectorIiNS0_10empty_typeEEEZZNS1_27merge_sort_block_merge_implIS3_N6thrust23THRUST_200600_302600_NS6detail15normal_iteratorINS9_10device_ptrIiEEEEPS5_m17evens_before_oddsEE10hipError_tT0_T1_T2_jT3_P12ihipStream_tbPNSt15iterator_traitsISI_E10value_typeEPNSO_ISJ_E10value_typeEPSK_NS1_7vsmem_tEENKUlT_SI_SJ_SK_E_clIPiSE_SF_SF_EESH_SX_SI_SJ_SK_EUlSX_E0_NS1_11comp_targetILNS1_3genE8ELNS1_11target_archE1030ELNS1_3gpuE2ELNS1_3repE0EEENS1_38merge_mergepath_config_static_selectorELNS0_4arch9wavefront6targetE0EEEvSJ_.num_agpr, 0
	.set _ZN7rocprim17ROCPRIM_400000_NS6detail17trampoline_kernelINS0_14default_configENS1_38merge_sort_block_merge_config_selectorIiNS0_10empty_typeEEEZZNS1_27merge_sort_block_merge_implIS3_N6thrust23THRUST_200600_302600_NS6detail15normal_iteratorINS9_10device_ptrIiEEEEPS5_m17evens_before_oddsEE10hipError_tT0_T1_T2_jT3_P12ihipStream_tbPNSt15iterator_traitsISI_E10value_typeEPNSO_ISJ_E10value_typeEPSK_NS1_7vsmem_tEENKUlT_SI_SJ_SK_E_clIPiSE_SF_SF_EESH_SX_SI_SJ_SK_EUlSX_E0_NS1_11comp_targetILNS1_3genE8ELNS1_11target_archE1030ELNS1_3gpuE2ELNS1_3repE0EEENS1_38merge_mergepath_config_static_selectorELNS0_4arch9wavefront6targetE0EEEvSJ_.numbered_sgpr, 31
	.set _ZN7rocprim17ROCPRIM_400000_NS6detail17trampoline_kernelINS0_14default_configENS1_38merge_sort_block_merge_config_selectorIiNS0_10empty_typeEEEZZNS1_27merge_sort_block_merge_implIS3_N6thrust23THRUST_200600_302600_NS6detail15normal_iteratorINS9_10device_ptrIiEEEEPS5_m17evens_before_oddsEE10hipError_tT0_T1_T2_jT3_P12ihipStream_tbPNSt15iterator_traitsISI_E10value_typeEPNSO_ISJ_E10value_typeEPSK_NS1_7vsmem_tEENKUlT_SI_SJ_SK_E_clIPiSE_SF_SF_EESH_SX_SI_SJ_SK_EUlSX_E0_NS1_11comp_targetILNS1_3genE8ELNS1_11target_archE1030ELNS1_3gpuE2ELNS1_3repE0EEENS1_38merge_mergepath_config_static_selectorELNS0_4arch9wavefront6targetE0EEEvSJ_.num_named_barrier, 0
	.set _ZN7rocprim17ROCPRIM_400000_NS6detail17trampoline_kernelINS0_14default_configENS1_38merge_sort_block_merge_config_selectorIiNS0_10empty_typeEEEZZNS1_27merge_sort_block_merge_implIS3_N6thrust23THRUST_200600_302600_NS6detail15normal_iteratorINS9_10device_ptrIiEEEEPS5_m17evens_before_oddsEE10hipError_tT0_T1_T2_jT3_P12ihipStream_tbPNSt15iterator_traitsISI_E10value_typeEPNSO_ISJ_E10value_typeEPSK_NS1_7vsmem_tEENKUlT_SI_SJ_SK_E_clIPiSE_SF_SF_EESH_SX_SI_SJ_SK_EUlSX_E0_NS1_11comp_targetILNS1_3genE8ELNS1_11target_archE1030ELNS1_3gpuE2ELNS1_3repE0EEENS1_38merge_mergepath_config_static_selectorELNS0_4arch9wavefront6targetE0EEEvSJ_.private_seg_size, 0
	.set _ZN7rocprim17ROCPRIM_400000_NS6detail17trampoline_kernelINS0_14default_configENS1_38merge_sort_block_merge_config_selectorIiNS0_10empty_typeEEEZZNS1_27merge_sort_block_merge_implIS3_N6thrust23THRUST_200600_302600_NS6detail15normal_iteratorINS9_10device_ptrIiEEEEPS5_m17evens_before_oddsEE10hipError_tT0_T1_T2_jT3_P12ihipStream_tbPNSt15iterator_traitsISI_E10value_typeEPNSO_ISJ_E10value_typeEPSK_NS1_7vsmem_tEENKUlT_SI_SJ_SK_E_clIPiSE_SF_SF_EESH_SX_SI_SJ_SK_EUlSX_E0_NS1_11comp_targetILNS1_3genE8ELNS1_11target_archE1030ELNS1_3gpuE2ELNS1_3repE0EEENS1_38merge_mergepath_config_static_selectorELNS0_4arch9wavefront6targetE0EEEvSJ_.uses_vcc, 1
	.set _ZN7rocprim17ROCPRIM_400000_NS6detail17trampoline_kernelINS0_14default_configENS1_38merge_sort_block_merge_config_selectorIiNS0_10empty_typeEEEZZNS1_27merge_sort_block_merge_implIS3_N6thrust23THRUST_200600_302600_NS6detail15normal_iteratorINS9_10device_ptrIiEEEEPS5_m17evens_before_oddsEE10hipError_tT0_T1_T2_jT3_P12ihipStream_tbPNSt15iterator_traitsISI_E10value_typeEPNSO_ISJ_E10value_typeEPSK_NS1_7vsmem_tEENKUlT_SI_SJ_SK_E_clIPiSE_SF_SF_EESH_SX_SI_SJ_SK_EUlSX_E0_NS1_11comp_targetILNS1_3genE8ELNS1_11target_archE1030ELNS1_3gpuE2ELNS1_3repE0EEENS1_38merge_mergepath_config_static_selectorELNS0_4arch9wavefront6targetE0EEEvSJ_.uses_flat_scratch, 0
	.set _ZN7rocprim17ROCPRIM_400000_NS6detail17trampoline_kernelINS0_14default_configENS1_38merge_sort_block_merge_config_selectorIiNS0_10empty_typeEEEZZNS1_27merge_sort_block_merge_implIS3_N6thrust23THRUST_200600_302600_NS6detail15normal_iteratorINS9_10device_ptrIiEEEEPS5_m17evens_before_oddsEE10hipError_tT0_T1_T2_jT3_P12ihipStream_tbPNSt15iterator_traitsISI_E10value_typeEPNSO_ISJ_E10value_typeEPSK_NS1_7vsmem_tEENKUlT_SI_SJ_SK_E_clIPiSE_SF_SF_EESH_SX_SI_SJ_SK_EUlSX_E0_NS1_11comp_targetILNS1_3genE8ELNS1_11target_archE1030ELNS1_3gpuE2ELNS1_3repE0EEENS1_38merge_mergepath_config_static_selectorELNS0_4arch9wavefront6targetE0EEEvSJ_.has_dyn_sized_stack, 0
	.set _ZN7rocprim17ROCPRIM_400000_NS6detail17trampoline_kernelINS0_14default_configENS1_38merge_sort_block_merge_config_selectorIiNS0_10empty_typeEEEZZNS1_27merge_sort_block_merge_implIS3_N6thrust23THRUST_200600_302600_NS6detail15normal_iteratorINS9_10device_ptrIiEEEEPS5_m17evens_before_oddsEE10hipError_tT0_T1_T2_jT3_P12ihipStream_tbPNSt15iterator_traitsISI_E10value_typeEPNSO_ISJ_E10value_typeEPSK_NS1_7vsmem_tEENKUlT_SI_SJ_SK_E_clIPiSE_SF_SF_EESH_SX_SI_SJ_SK_EUlSX_E0_NS1_11comp_targetILNS1_3genE8ELNS1_11target_archE1030ELNS1_3gpuE2ELNS1_3repE0EEENS1_38merge_mergepath_config_static_selectorELNS0_4arch9wavefront6targetE0EEEvSJ_.has_recursion, 0
	.set _ZN7rocprim17ROCPRIM_400000_NS6detail17trampoline_kernelINS0_14default_configENS1_38merge_sort_block_merge_config_selectorIiNS0_10empty_typeEEEZZNS1_27merge_sort_block_merge_implIS3_N6thrust23THRUST_200600_302600_NS6detail15normal_iteratorINS9_10device_ptrIiEEEEPS5_m17evens_before_oddsEE10hipError_tT0_T1_T2_jT3_P12ihipStream_tbPNSt15iterator_traitsISI_E10value_typeEPNSO_ISJ_E10value_typeEPSK_NS1_7vsmem_tEENKUlT_SI_SJ_SK_E_clIPiSE_SF_SF_EESH_SX_SI_SJ_SK_EUlSX_E0_NS1_11comp_targetILNS1_3genE8ELNS1_11target_archE1030ELNS1_3gpuE2ELNS1_3repE0EEENS1_38merge_mergepath_config_static_selectorELNS0_4arch9wavefront6targetE0EEEvSJ_.has_indirect_call, 0
	.section	.AMDGPU.csdata,"",@progbits
; Kernel info:
; codeLenInByte = 1772
; TotalNumSgprs: 33
; NumVgprs: 15
; ScratchSize: 0
; MemoryBound: 0
; FloatMode: 240
; IeeeMode: 1
; LDSByteSize: 4224 bytes/workgroup (compile time only)
; SGPRBlocks: 0
; VGPRBlocks: 1
; NumSGPRsForWavesPerEU: 33
; NumVGPRsForWavesPerEU: 15
; Occupancy: 16
; WaveLimiterHint : 1
; COMPUTE_PGM_RSRC2:SCRATCH_EN: 0
; COMPUTE_PGM_RSRC2:USER_SGPR: 6
; COMPUTE_PGM_RSRC2:TRAP_HANDLER: 0
; COMPUTE_PGM_RSRC2:TGID_X_EN: 1
; COMPUTE_PGM_RSRC2:TGID_Y_EN: 1
; COMPUTE_PGM_RSRC2:TGID_Z_EN: 1
; COMPUTE_PGM_RSRC2:TIDIG_COMP_CNT: 0
	.section	.text._ZN7rocprim17ROCPRIM_400000_NS6detail17trampoline_kernelINS0_14default_configENS1_38merge_sort_block_merge_config_selectorIiNS0_10empty_typeEEEZZNS1_27merge_sort_block_merge_implIS3_N6thrust23THRUST_200600_302600_NS6detail15normal_iteratorINS9_10device_ptrIiEEEEPS5_m17evens_before_oddsEE10hipError_tT0_T1_T2_jT3_P12ihipStream_tbPNSt15iterator_traitsISI_E10value_typeEPNSO_ISJ_E10value_typeEPSK_NS1_7vsmem_tEENKUlT_SI_SJ_SK_E_clIPiSE_SF_SF_EESH_SX_SI_SJ_SK_EUlSX_E1_NS1_11comp_targetILNS1_3genE0ELNS1_11target_archE4294967295ELNS1_3gpuE0ELNS1_3repE0EEENS1_36merge_oddeven_config_static_selectorELNS0_4arch9wavefront6targetE0EEEvSJ_,"axG",@progbits,_ZN7rocprim17ROCPRIM_400000_NS6detail17trampoline_kernelINS0_14default_configENS1_38merge_sort_block_merge_config_selectorIiNS0_10empty_typeEEEZZNS1_27merge_sort_block_merge_implIS3_N6thrust23THRUST_200600_302600_NS6detail15normal_iteratorINS9_10device_ptrIiEEEEPS5_m17evens_before_oddsEE10hipError_tT0_T1_T2_jT3_P12ihipStream_tbPNSt15iterator_traitsISI_E10value_typeEPNSO_ISJ_E10value_typeEPSK_NS1_7vsmem_tEENKUlT_SI_SJ_SK_E_clIPiSE_SF_SF_EESH_SX_SI_SJ_SK_EUlSX_E1_NS1_11comp_targetILNS1_3genE0ELNS1_11target_archE4294967295ELNS1_3gpuE0ELNS1_3repE0EEENS1_36merge_oddeven_config_static_selectorELNS0_4arch9wavefront6targetE0EEEvSJ_,comdat
	.protected	_ZN7rocprim17ROCPRIM_400000_NS6detail17trampoline_kernelINS0_14default_configENS1_38merge_sort_block_merge_config_selectorIiNS0_10empty_typeEEEZZNS1_27merge_sort_block_merge_implIS3_N6thrust23THRUST_200600_302600_NS6detail15normal_iteratorINS9_10device_ptrIiEEEEPS5_m17evens_before_oddsEE10hipError_tT0_T1_T2_jT3_P12ihipStream_tbPNSt15iterator_traitsISI_E10value_typeEPNSO_ISJ_E10value_typeEPSK_NS1_7vsmem_tEENKUlT_SI_SJ_SK_E_clIPiSE_SF_SF_EESH_SX_SI_SJ_SK_EUlSX_E1_NS1_11comp_targetILNS1_3genE0ELNS1_11target_archE4294967295ELNS1_3gpuE0ELNS1_3repE0EEENS1_36merge_oddeven_config_static_selectorELNS0_4arch9wavefront6targetE0EEEvSJ_ ; -- Begin function _ZN7rocprim17ROCPRIM_400000_NS6detail17trampoline_kernelINS0_14default_configENS1_38merge_sort_block_merge_config_selectorIiNS0_10empty_typeEEEZZNS1_27merge_sort_block_merge_implIS3_N6thrust23THRUST_200600_302600_NS6detail15normal_iteratorINS9_10device_ptrIiEEEEPS5_m17evens_before_oddsEE10hipError_tT0_T1_T2_jT3_P12ihipStream_tbPNSt15iterator_traitsISI_E10value_typeEPNSO_ISJ_E10value_typeEPSK_NS1_7vsmem_tEENKUlT_SI_SJ_SK_E_clIPiSE_SF_SF_EESH_SX_SI_SJ_SK_EUlSX_E1_NS1_11comp_targetILNS1_3genE0ELNS1_11target_archE4294967295ELNS1_3gpuE0ELNS1_3repE0EEENS1_36merge_oddeven_config_static_selectorELNS0_4arch9wavefront6targetE0EEEvSJ_
	.globl	_ZN7rocprim17ROCPRIM_400000_NS6detail17trampoline_kernelINS0_14default_configENS1_38merge_sort_block_merge_config_selectorIiNS0_10empty_typeEEEZZNS1_27merge_sort_block_merge_implIS3_N6thrust23THRUST_200600_302600_NS6detail15normal_iteratorINS9_10device_ptrIiEEEEPS5_m17evens_before_oddsEE10hipError_tT0_T1_T2_jT3_P12ihipStream_tbPNSt15iterator_traitsISI_E10value_typeEPNSO_ISJ_E10value_typeEPSK_NS1_7vsmem_tEENKUlT_SI_SJ_SK_E_clIPiSE_SF_SF_EESH_SX_SI_SJ_SK_EUlSX_E1_NS1_11comp_targetILNS1_3genE0ELNS1_11target_archE4294967295ELNS1_3gpuE0ELNS1_3repE0EEENS1_36merge_oddeven_config_static_selectorELNS0_4arch9wavefront6targetE0EEEvSJ_
	.p2align	8
	.type	_ZN7rocprim17ROCPRIM_400000_NS6detail17trampoline_kernelINS0_14default_configENS1_38merge_sort_block_merge_config_selectorIiNS0_10empty_typeEEEZZNS1_27merge_sort_block_merge_implIS3_N6thrust23THRUST_200600_302600_NS6detail15normal_iteratorINS9_10device_ptrIiEEEEPS5_m17evens_before_oddsEE10hipError_tT0_T1_T2_jT3_P12ihipStream_tbPNSt15iterator_traitsISI_E10value_typeEPNSO_ISJ_E10value_typeEPSK_NS1_7vsmem_tEENKUlT_SI_SJ_SK_E_clIPiSE_SF_SF_EESH_SX_SI_SJ_SK_EUlSX_E1_NS1_11comp_targetILNS1_3genE0ELNS1_11target_archE4294967295ELNS1_3gpuE0ELNS1_3repE0EEENS1_36merge_oddeven_config_static_selectorELNS0_4arch9wavefront6targetE0EEEvSJ_,@function
_ZN7rocprim17ROCPRIM_400000_NS6detail17trampoline_kernelINS0_14default_configENS1_38merge_sort_block_merge_config_selectorIiNS0_10empty_typeEEEZZNS1_27merge_sort_block_merge_implIS3_N6thrust23THRUST_200600_302600_NS6detail15normal_iteratorINS9_10device_ptrIiEEEEPS5_m17evens_before_oddsEE10hipError_tT0_T1_T2_jT3_P12ihipStream_tbPNSt15iterator_traitsISI_E10value_typeEPNSO_ISJ_E10value_typeEPSK_NS1_7vsmem_tEENKUlT_SI_SJ_SK_E_clIPiSE_SF_SF_EESH_SX_SI_SJ_SK_EUlSX_E1_NS1_11comp_targetILNS1_3genE0ELNS1_11target_archE4294967295ELNS1_3gpuE0ELNS1_3repE0EEENS1_36merge_oddeven_config_static_selectorELNS0_4arch9wavefront6targetE0EEEvSJ_: ; @_ZN7rocprim17ROCPRIM_400000_NS6detail17trampoline_kernelINS0_14default_configENS1_38merge_sort_block_merge_config_selectorIiNS0_10empty_typeEEEZZNS1_27merge_sort_block_merge_implIS3_N6thrust23THRUST_200600_302600_NS6detail15normal_iteratorINS9_10device_ptrIiEEEEPS5_m17evens_before_oddsEE10hipError_tT0_T1_T2_jT3_P12ihipStream_tbPNSt15iterator_traitsISI_E10value_typeEPNSO_ISJ_E10value_typeEPSK_NS1_7vsmem_tEENKUlT_SI_SJ_SK_E_clIPiSE_SF_SF_EESH_SX_SI_SJ_SK_EUlSX_E1_NS1_11comp_targetILNS1_3genE0ELNS1_11target_archE4294967295ELNS1_3gpuE0ELNS1_3repE0EEENS1_36merge_oddeven_config_static_selectorELNS0_4arch9wavefront6targetE0EEEvSJ_
; %bb.0:
	.section	.rodata,"a",@progbits
	.p2align	6, 0x0
	.amdhsa_kernel _ZN7rocprim17ROCPRIM_400000_NS6detail17trampoline_kernelINS0_14default_configENS1_38merge_sort_block_merge_config_selectorIiNS0_10empty_typeEEEZZNS1_27merge_sort_block_merge_implIS3_N6thrust23THRUST_200600_302600_NS6detail15normal_iteratorINS9_10device_ptrIiEEEEPS5_m17evens_before_oddsEE10hipError_tT0_T1_T2_jT3_P12ihipStream_tbPNSt15iterator_traitsISI_E10value_typeEPNSO_ISJ_E10value_typeEPSK_NS1_7vsmem_tEENKUlT_SI_SJ_SK_E_clIPiSE_SF_SF_EESH_SX_SI_SJ_SK_EUlSX_E1_NS1_11comp_targetILNS1_3genE0ELNS1_11target_archE4294967295ELNS1_3gpuE0ELNS1_3repE0EEENS1_36merge_oddeven_config_static_selectorELNS0_4arch9wavefront6targetE0EEEvSJ_
		.amdhsa_group_segment_fixed_size 0
		.amdhsa_private_segment_fixed_size 0
		.amdhsa_kernarg_size 56
		.amdhsa_user_sgpr_count 6
		.amdhsa_user_sgpr_private_segment_buffer 1
		.amdhsa_user_sgpr_dispatch_ptr 0
		.amdhsa_user_sgpr_queue_ptr 0
		.amdhsa_user_sgpr_kernarg_segment_ptr 1
		.amdhsa_user_sgpr_dispatch_id 0
		.amdhsa_user_sgpr_flat_scratch_init 0
		.amdhsa_user_sgpr_private_segment_size 0
		.amdhsa_wavefront_size32 1
		.amdhsa_uses_dynamic_stack 0
		.amdhsa_system_sgpr_private_segment_wavefront_offset 0
		.amdhsa_system_sgpr_workgroup_id_x 1
		.amdhsa_system_sgpr_workgroup_id_y 0
		.amdhsa_system_sgpr_workgroup_id_z 0
		.amdhsa_system_sgpr_workgroup_info 0
		.amdhsa_system_vgpr_workitem_id 0
		.amdhsa_next_free_vgpr 1
		.amdhsa_next_free_sgpr 1
		.amdhsa_reserve_vcc 0
		.amdhsa_reserve_flat_scratch 0
		.amdhsa_float_round_mode_32 0
		.amdhsa_float_round_mode_16_64 0
		.amdhsa_float_denorm_mode_32 3
		.amdhsa_float_denorm_mode_16_64 3
		.amdhsa_dx10_clamp 1
		.amdhsa_ieee_mode 1
		.amdhsa_fp16_overflow 0
		.amdhsa_workgroup_processor_mode 1
		.amdhsa_memory_ordered 1
		.amdhsa_forward_progress 1
		.amdhsa_shared_vgpr_count 0
		.amdhsa_exception_fp_ieee_invalid_op 0
		.amdhsa_exception_fp_denorm_src 0
		.amdhsa_exception_fp_ieee_div_zero 0
		.amdhsa_exception_fp_ieee_overflow 0
		.amdhsa_exception_fp_ieee_underflow 0
		.amdhsa_exception_fp_ieee_inexact 0
		.amdhsa_exception_int_div_zero 0
	.end_amdhsa_kernel
	.section	.text._ZN7rocprim17ROCPRIM_400000_NS6detail17trampoline_kernelINS0_14default_configENS1_38merge_sort_block_merge_config_selectorIiNS0_10empty_typeEEEZZNS1_27merge_sort_block_merge_implIS3_N6thrust23THRUST_200600_302600_NS6detail15normal_iteratorINS9_10device_ptrIiEEEEPS5_m17evens_before_oddsEE10hipError_tT0_T1_T2_jT3_P12ihipStream_tbPNSt15iterator_traitsISI_E10value_typeEPNSO_ISJ_E10value_typeEPSK_NS1_7vsmem_tEENKUlT_SI_SJ_SK_E_clIPiSE_SF_SF_EESH_SX_SI_SJ_SK_EUlSX_E1_NS1_11comp_targetILNS1_3genE0ELNS1_11target_archE4294967295ELNS1_3gpuE0ELNS1_3repE0EEENS1_36merge_oddeven_config_static_selectorELNS0_4arch9wavefront6targetE0EEEvSJ_,"axG",@progbits,_ZN7rocprim17ROCPRIM_400000_NS6detail17trampoline_kernelINS0_14default_configENS1_38merge_sort_block_merge_config_selectorIiNS0_10empty_typeEEEZZNS1_27merge_sort_block_merge_implIS3_N6thrust23THRUST_200600_302600_NS6detail15normal_iteratorINS9_10device_ptrIiEEEEPS5_m17evens_before_oddsEE10hipError_tT0_T1_T2_jT3_P12ihipStream_tbPNSt15iterator_traitsISI_E10value_typeEPNSO_ISJ_E10value_typeEPSK_NS1_7vsmem_tEENKUlT_SI_SJ_SK_E_clIPiSE_SF_SF_EESH_SX_SI_SJ_SK_EUlSX_E1_NS1_11comp_targetILNS1_3genE0ELNS1_11target_archE4294967295ELNS1_3gpuE0ELNS1_3repE0EEENS1_36merge_oddeven_config_static_selectorELNS0_4arch9wavefront6targetE0EEEvSJ_,comdat
.Lfunc_end424:
	.size	_ZN7rocprim17ROCPRIM_400000_NS6detail17trampoline_kernelINS0_14default_configENS1_38merge_sort_block_merge_config_selectorIiNS0_10empty_typeEEEZZNS1_27merge_sort_block_merge_implIS3_N6thrust23THRUST_200600_302600_NS6detail15normal_iteratorINS9_10device_ptrIiEEEEPS5_m17evens_before_oddsEE10hipError_tT0_T1_T2_jT3_P12ihipStream_tbPNSt15iterator_traitsISI_E10value_typeEPNSO_ISJ_E10value_typeEPSK_NS1_7vsmem_tEENKUlT_SI_SJ_SK_E_clIPiSE_SF_SF_EESH_SX_SI_SJ_SK_EUlSX_E1_NS1_11comp_targetILNS1_3genE0ELNS1_11target_archE4294967295ELNS1_3gpuE0ELNS1_3repE0EEENS1_36merge_oddeven_config_static_selectorELNS0_4arch9wavefront6targetE0EEEvSJ_, .Lfunc_end424-_ZN7rocprim17ROCPRIM_400000_NS6detail17trampoline_kernelINS0_14default_configENS1_38merge_sort_block_merge_config_selectorIiNS0_10empty_typeEEEZZNS1_27merge_sort_block_merge_implIS3_N6thrust23THRUST_200600_302600_NS6detail15normal_iteratorINS9_10device_ptrIiEEEEPS5_m17evens_before_oddsEE10hipError_tT0_T1_T2_jT3_P12ihipStream_tbPNSt15iterator_traitsISI_E10value_typeEPNSO_ISJ_E10value_typeEPSK_NS1_7vsmem_tEENKUlT_SI_SJ_SK_E_clIPiSE_SF_SF_EESH_SX_SI_SJ_SK_EUlSX_E1_NS1_11comp_targetILNS1_3genE0ELNS1_11target_archE4294967295ELNS1_3gpuE0ELNS1_3repE0EEENS1_36merge_oddeven_config_static_selectorELNS0_4arch9wavefront6targetE0EEEvSJ_
                                        ; -- End function
	.set _ZN7rocprim17ROCPRIM_400000_NS6detail17trampoline_kernelINS0_14default_configENS1_38merge_sort_block_merge_config_selectorIiNS0_10empty_typeEEEZZNS1_27merge_sort_block_merge_implIS3_N6thrust23THRUST_200600_302600_NS6detail15normal_iteratorINS9_10device_ptrIiEEEEPS5_m17evens_before_oddsEE10hipError_tT0_T1_T2_jT3_P12ihipStream_tbPNSt15iterator_traitsISI_E10value_typeEPNSO_ISJ_E10value_typeEPSK_NS1_7vsmem_tEENKUlT_SI_SJ_SK_E_clIPiSE_SF_SF_EESH_SX_SI_SJ_SK_EUlSX_E1_NS1_11comp_targetILNS1_3genE0ELNS1_11target_archE4294967295ELNS1_3gpuE0ELNS1_3repE0EEENS1_36merge_oddeven_config_static_selectorELNS0_4arch9wavefront6targetE0EEEvSJ_.num_vgpr, 0
	.set _ZN7rocprim17ROCPRIM_400000_NS6detail17trampoline_kernelINS0_14default_configENS1_38merge_sort_block_merge_config_selectorIiNS0_10empty_typeEEEZZNS1_27merge_sort_block_merge_implIS3_N6thrust23THRUST_200600_302600_NS6detail15normal_iteratorINS9_10device_ptrIiEEEEPS5_m17evens_before_oddsEE10hipError_tT0_T1_T2_jT3_P12ihipStream_tbPNSt15iterator_traitsISI_E10value_typeEPNSO_ISJ_E10value_typeEPSK_NS1_7vsmem_tEENKUlT_SI_SJ_SK_E_clIPiSE_SF_SF_EESH_SX_SI_SJ_SK_EUlSX_E1_NS1_11comp_targetILNS1_3genE0ELNS1_11target_archE4294967295ELNS1_3gpuE0ELNS1_3repE0EEENS1_36merge_oddeven_config_static_selectorELNS0_4arch9wavefront6targetE0EEEvSJ_.num_agpr, 0
	.set _ZN7rocprim17ROCPRIM_400000_NS6detail17trampoline_kernelINS0_14default_configENS1_38merge_sort_block_merge_config_selectorIiNS0_10empty_typeEEEZZNS1_27merge_sort_block_merge_implIS3_N6thrust23THRUST_200600_302600_NS6detail15normal_iteratorINS9_10device_ptrIiEEEEPS5_m17evens_before_oddsEE10hipError_tT0_T1_T2_jT3_P12ihipStream_tbPNSt15iterator_traitsISI_E10value_typeEPNSO_ISJ_E10value_typeEPSK_NS1_7vsmem_tEENKUlT_SI_SJ_SK_E_clIPiSE_SF_SF_EESH_SX_SI_SJ_SK_EUlSX_E1_NS1_11comp_targetILNS1_3genE0ELNS1_11target_archE4294967295ELNS1_3gpuE0ELNS1_3repE0EEENS1_36merge_oddeven_config_static_selectorELNS0_4arch9wavefront6targetE0EEEvSJ_.numbered_sgpr, 0
	.set _ZN7rocprim17ROCPRIM_400000_NS6detail17trampoline_kernelINS0_14default_configENS1_38merge_sort_block_merge_config_selectorIiNS0_10empty_typeEEEZZNS1_27merge_sort_block_merge_implIS3_N6thrust23THRUST_200600_302600_NS6detail15normal_iteratorINS9_10device_ptrIiEEEEPS5_m17evens_before_oddsEE10hipError_tT0_T1_T2_jT3_P12ihipStream_tbPNSt15iterator_traitsISI_E10value_typeEPNSO_ISJ_E10value_typeEPSK_NS1_7vsmem_tEENKUlT_SI_SJ_SK_E_clIPiSE_SF_SF_EESH_SX_SI_SJ_SK_EUlSX_E1_NS1_11comp_targetILNS1_3genE0ELNS1_11target_archE4294967295ELNS1_3gpuE0ELNS1_3repE0EEENS1_36merge_oddeven_config_static_selectorELNS0_4arch9wavefront6targetE0EEEvSJ_.num_named_barrier, 0
	.set _ZN7rocprim17ROCPRIM_400000_NS6detail17trampoline_kernelINS0_14default_configENS1_38merge_sort_block_merge_config_selectorIiNS0_10empty_typeEEEZZNS1_27merge_sort_block_merge_implIS3_N6thrust23THRUST_200600_302600_NS6detail15normal_iteratorINS9_10device_ptrIiEEEEPS5_m17evens_before_oddsEE10hipError_tT0_T1_T2_jT3_P12ihipStream_tbPNSt15iterator_traitsISI_E10value_typeEPNSO_ISJ_E10value_typeEPSK_NS1_7vsmem_tEENKUlT_SI_SJ_SK_E_clIPiSE_SF_SF_EESH_SX_SI_SJ_SK_EUlSX_E1_NS1_11comp_targetILNS1_3genE0ELNS1_11target_archE4294967295ELNS1_3gpuE0ELNS1_3repE0EEENS1_36merge_oddeven_config_static_selectorELNS0_4arch9wavefront6targetE0EEEvSJ_.private_seg_size, 0
	.set _ZN7rocprim17ROCPRIM_400000_NS6detail17trampoline_kernelINS0_14default_configENS1_38merge_sort_block_merge_config_selectorIiNS0_10empty_typeEEEZZNS1_27merge_sort_block_merge_implIS3_N6thrust23THRUST_200600_302600_NS6detail15normal_iteratorINS9_10device_ptrIiEEEEPS5_m17evens_before_oddsEE10hipError_tT0_T1_T2_jT3_P12ihipStream_tbPNSt15iterator_traitsISI_E10value_typeEPNSO_ISJ_E10value_typeEPSK_NS1_7vsmem_tEENKUlT_SI_SJ_SK_E_clIPiSE_SF_SF_EESH_SX_SI_SJ_SK_EUlSX_E1_NS1_11comp_targetILNS1_3genE0ELNS1_11target_archE4294967295ELNS1_3gpuE0ELNS1_3repE0EEENS1_36merge_oddeven_config_static_selectorELNS0_4arch9wavefront6targetE0EEEvSJ_.uses_vcc, 0
	.set _ZN7rocprim17ROCPRIM_400000_NS6detail17trampoline_kernelINS0_14default_configENS1_38merge_sort_block_merge_config_selectorIiNS0_10empty_typeEEEZZNS1_27merge_sort_block_merge_implIS3_N6thrust23THRUST_200600_302600_NS6detail15normal_iteratorINS9_10device_ptrIiEEEEPS5_m17evens_before_oddsEE10hipError_tT0_T1_T2_jT3_P12ihipStream_tbPNSt15iterator_traitsISI_E10value_typeEPNSO_ISJ_E10value_typeEPSK_NS1_7vsmem_tEENKUlT_SI_SJ_SK_E_clIPiSE_SF_SF_EESH_SX_SI_SJ_SK_EUlSX_E1_NS1_11comp_targetILNS1_3genE0ELNS1_11target_archE4294967295ELNS1_3gpuE0ELNS1_3repE0EEENS1_36merge_oddeven_config_static_selectorELNS0_4arch9wavefront6targetE0EEEvSJ_.uses_flat_scratch, 0
	.set _ZN7rocprim17ROCPRIM_400000_NS6detail17trampoline_kernelINS0_14default_configENS1_38merge_sort_block_merge_config_selectorIiNS0_10empty_typeEEEZZNS1_27merge_sort_block_merge_implIS3_N6thrust23THRUST_200600_302600_NS6detail15normal_iteratorINS9_10device_ptrIiEEEEPS5_m17evens_before_oddsEE10hipError_tT0_T1_T2_jT3_P12ihipStream_tbPNSt15iterator_traitsISI_E10value_typeEPNSO_ISJ_E10value_typeEPSK_NS1_7vsmem_tEENKUlT_SI_SJ_SK_E_clIPiSE_SF_SF_EESH_SX_SI_SJ_SK_EUlSX_E1_NS1_11comp_targetILNS1_3genE0ELNS1_11target_archE4294967295ELNS1_3gpuE0ELNS1_3repE0EEENS1_36merge_oddeven_config_static_selectorELNS0_4arch9wavefront6targetE0EEEvSJ_.has_dyn_sized_stack, 0
	.set _ZN7rocprim17ROCPRIM_400000_NS6detail17trampoline_kernelINS0_14default_configENS1_38merge_sort_block_merge_config_selectorIiNS0_10empty_typeEEEZZNS1_27merge_sort_block_merge_implIS3_N6thrust23THRUST_200600_302600_NS6detail15normal_iteratorINS9_10device_ptrIiEEEEPS5_m17evens_before_oddsEE10hipError_tT0_T1_T2_jT3_P12ihipStream_tbPNSt15iterator_traitsISI_E10value_typeEPNSO_ISJ_E10value_typeEPSK_NS1_7vsmem_tEENKUlT_SI_SJ_SK_E_clIPiSE_SF_SF_EESH_SX_SI_SJ_SK_EUlSX_E1_NS1_11comp_targetILNS1_3genE0ELNS1_11target_archE4294967295ELNS1_3gpuE0ELNS1_3repE0EEENS1_36merge_oddeven_config_static_selectorELNS0_4arch9wavefront6targetE0EEEvSJ_.has_recursion, 0
	.set _ZN7rocprim17ROCPRIM_400000_NS6detail17trampoline_kernelINS0_14default_configENS1_38merge_sort_block_merge_config_selectorIiNS0_10empty_typeEEEZZNS1_27merge_sort_block_merge_implIS3_N6thrust23THRUST_200600_302600_NS6detail15normal_iteratorINS9_10device_ptrIiEEEEPS5_m17evens_before_oddsEE10hipError_tT0_T1_T2_jT3_P12ihipStream_tbPNSt15iterator_traitsISI_E10value_typeEPNSO_ISJ_E10value_typeEPSK_NS1_7vsmem_tEENKUlT_SI_SJ_SK_E_clIPiSE_SF_SF_EESH_SX_SI_SJ_SK_EUlSX_E1_NS1_11comp_targetILNS1_3genE0ELNS1_11target_archE4294967295ELNS1_3gpuE0ELNS1_3repE0EEENS1_36merge_oddeven_config_static_selectorELNS0_4arch9wavefront6targetE0EEEvSJ_.has_indirect_call, 0
	.section	.AMDGPU.csdata,"",@progbits
; Kernel info:
; codeLenInByte = 0
; TotalNumSgprs: 0
; NumVgprs: 0
; ScratchSize: 0
; MemoryBound: 0
; FloatMode: 240
; IeeeMode: 1
; LDSByteSize: 0 bytes/workgroup (compile time only)
; SGPRBlocks: 0
; VGPRBlocks: 0
; NumSGPRsForWavesPerEU: 1
; NumVGPRsForWavesPerEU: 1
; Occupancy: 16
; WaveLimiterHint : 0
; COMPUTE_PGM_RSRC2:SCRATCH_EN: 0
; COMPUTE_PGM_RSRC2:USER_SGPR: 6
; COMPUTE_PGM_RSRC2:TRAP_HANDLER: 0
; COMPUTE_PGM_RSRC2:TGID_X_EN: 1
; COMPUTE_PGM_RSRC2:TGID_Y_EN: 0
; COMPUTE_PGM_RSRC2:TGID_Z_EN: 0
; COMPUTE_PGM_RSRC2:TIDIG_COMP_CNT: 0
	.section	.text._ZN7rocprim17ROCPRIM_400000_NS6detail17trampoline_kernelINS0_14default_configENS1_38merge_sort_block_merge_config_selectorIiNS0_10empty_typeEEEZZNS1_27merge_sort_block_merge_implIS3_N6thrust23THRUST_200600_302600_NS6detail15normal_iteratorINS9_10device_ptrIiEEEEPS5_m17evens_before_oddsEE10hipError_tT0_T1_T2_jT3_P12ihipStream_tbPNSt15iterator_traitsISI_E10value_typeEPNSO_ISJ_E10value_typeEPSK_NS1_7vsmem_tEENKUlT_SI_SJ_SK_E_clIPiSE_SF_SF_EESH_SX_SI_SJ_SK_EUlSX_E1_NS1_11comp_targetILNS1_3genE10ELNS1_11target_archE1201ELNS1_3gpuE5ELNS1_3repE0EEENS1_36merge_oddeven_config_static_selectorELNS0_4arch9wavefront6targetE0EEEvSJ_,"axG",@progbits,_ZN7rocprim17ROCPRIM_400000_NS6detail17trampoline_kernelINS0_14default_configENS1_38merge_sort_block_merge_config_selectorIiNS0_10empty_typeEEEZZNS1_27merge_sort_block_merge_implIS3_N6thrust23THRUST_200600_302600_NS6detail15normal_iteratorINS9_10device_ptrIiEEEEPS5_m17evens_before_oddsEE10hipError_tT0_T1_T2_jT3_P12ihipStream_tbPNSt15iterator_traitsISI_E10value_typeEPNSO_ISJ_E10value_typeEPSK_NS1_7vsmem_tEENKUlT_SI_SJ_SK_E_clIPiSE_SF_SF_EESH_SX_SI_SJ_SK_EUlSX_E1_NS1_11comp_targetILNS1_3genE10ELNS1_11target_archE1201ELNS1_3gpuE5ELNS1_3repE0EEENS1_36merge_oddeven_config_static_selectorELNS0_4arch9wavefront6targetE0EEEvSJ_,comdat
	.protected	_ZN7rocprim17ROCPRIM_400000_NS6detail17trampoline_kernelINS0_14default_configENS1_38merge_sort_block_merge_config_selectorIiNS0_10empty_typeEEEZZNS1_27merge_sort_block_merge_implIS3_N6thrust23THRUST_200600_302600_NS6detail15normal_iteratorINS9_10device_ptrIiEEEEPS5_m17evens_before_oddsEE10hipError_tT0_T1_T2_jT3_P12ihipStream_tbPNSt15iterator_traitsISI_E10value_typeEPNSO_ISJ_E10value_typeEPSK_NS1_7vsmem_tEENKUlT_SI_SJ_SK_E_clIPiSE_SF_SF_EESH_SX_SI_SJ_SK_EUlSX_E1_NS1_11comp_targetILNS1_3genE10ELNS1_11target_archE1201ELNS1_3gpuE5ELNS1_3repE0EEENS1_36merge_oddeven_config_static_selectorELNS0_4arch9wavefront6targetE0EEEvSJ_ ; -- Begin function _ZN7rocprim17ROCPRIM_400000_NS6detail17trampoline_kernelINS0_14default_configENS1_38merge_sort_block_merge_config_selectorIiNS0_10empty_typeEEEZZNS1_27merge_sort_block_merge_implIS3_N6thrust23THRUST_200600_302600_NS6detail15normal_iteratorINS9_10device_ptrIiEEEEPS5_m17evens_before_oddsEE10hipError_tT0_T1_T2_jT3_P12ihipStream_tbPNSt15iterator_traitsISI_E10value_typeEPNSO_ISJ_E10value_typeEPSK_NS1_7vsmem_tEENKUlT_SI_SJ_SK_E_clIPiSE_SF_SF_EESH_SX_SI_SJ_SK_EUlSX_E1_NS1_11comp_targetILNS1_3genE10ELNS1_11target_archE1201ELNS1_3gpuE5ELNS1_3repE0EEENS1_36merge_oddeven_config_static_selectorELNS0_4arch9wavefront6targetE0EEEvSJ_
	.globl	_ZN7rocprim17ROCPRIM_400000_NS6detail17trampoline_kernelINS0_14default_configENS1_38merge_sort_block_merge_config_selectorIiNS0_10empty_typeEEEZZNS1_27merge_sort_block_merge_implIS3_N6thrust23THRUST_200600_302600_NS6detail15normal_iteratorINS9_10device_ptrIiEEEEPS5_m17evens_before_oddsEE10hipError_tT0_T1_T2_jT3_P12ihipStream_tbPNSt15iterator_traitsISI_E10value_typeEPNSO_ISJ_E10value_typeEPSK_NS1_7vsmem_tEENKUlT_SI_SJ_SK_E_clIPiSE_SF_SF_EESH_SX_SI_SJ_SK_EUlSX_E1_NS1_11comp_targetILNS1_3genE10ELNS1_11target_archE1201ELNS1_3gpuE5ELNS1_3repE0EEENS1_36merge_oddeven_config_static_selectorELNS0_4arch9wavefront6targetE0EEEvSJ_
	.p2align	8
	.type	_ZN7rocprim17ROCPRIM_400000_NS6detail17trampoline_kernelINS0_14default_configENS1_38merge_sort_block_merge_config_selectorIiNS0_10empty_typeEEEZZNS1_27merge_sort_block_merge_implIS3_N6thrust23THRUST_200600_302600_NS6detail15normal_iteratorINS9_10device_ptrIiEEEEPS5_m17evens_before_oddsEE10hipError_tT0_T1_T2_jT3_P12ihipStream_tbPNSt15iterator_traitsISI_E10value_typeEPNSO_ISJ_E10value_typeEPSK_NS1_7vsmem_tEENKUlT_SI_SJ_SK_E_clIPiSE_SF_SF_EESH_SX_SI_SJ_SK_EUlSX_E1_NS1_11comp_targetILNS1_3genE10ELNS1_11target_archE1201ELNS1_3gpuE5ELNS1_3repE0EEENS1_36merge_oddeven_config_static_selectorELNS0_4arch9wavefront6targetE0EEEvSJ_,@function
_ZN7rocprim17ROCPRIM_400000_NS6detail17trampoline_kernelINS0_14default_configENS1_38merge_sort_block_merge_config_selectorIiNS0_10empty_typeEEEZZNS1_27merge_sort_block_merge_implIS3_N6thrust23THRUST_200600_302600_NS6detail15normal_iteratorINS9_10device_ptrIiEEEEPS5_m17evens_before_oddsEE10hipError_tT0_T1_T2_jT3_P12ihipStream_tbPNSt15iterator_traitsISI_E10value_typeEPNSO_ISJ_E10value_typeEPSK_NS1_7vsmem_tEENKUlT_SI_SJ_SK_E_clIPiSE_SF_SF_EESH_SX_SI_SJ_SK_EUlSX_E1_NS1_11comp_targetILNS1_3genE10ELNS1_11target_archE1201ELNS1_3gpuE5ELNS1_3repE0EEENS1_36merge_oddeven_config_static_selectorELNS0_4arch9wavefront6targetE0EEEvSJ_: ; @_ZN7rocprim17ROCPRIM_400000_NS6detail17trampoline_kernelINS0_14default_configENS1_38merge_sort_block_merge_config_selectorIiNS0_10empty_typeEEEZZNS1_27merge_sort_block_merge_implIS3_N6thrust23THRUST_200600_302600_NS6detail15normal_iteratorINS9_10device_ptrIiEEEEPS5_m17evens_before_oddsEE10hipError_tT0_T1_T2_jT3_P12ihipStream_tbPNSt15iterator_traitsISI_E10value_typeEPNSO_ISJ_E10value_typeEPSK_NS1_7vsmem_tEENKUlT_SI_SJ_SK_E_clIPiSE_SF_SF_EESH_SX_SI_SJ_SK_EUlSX_E1_NS1_11comp_targetILNS1_3genE10ELNS1_11target_archE1201ELNS1_3gpuE5ELNS1_3repE0EEENS1_36merge_oddeven_config_static_selectorELNS0_4arch9wavefront6targetE0EEEvSJ_
; %bb.0:
	.section	.rodata,"a",@progbits
	.p2align	6, 0x0
	.amdhsa_kernel _ZN7rocprim17ROCPRIM_400000_NS6detail17trampoline_kernelINS0_14default_configENS1_38merge_sort_block_merge_config_selectorIiNS0_10empty_typeEEEZZNS1_27merge_sort_block_merge_implIS3_N6thrust23THRUST_200600_302600_NS6detail15normal_iteratorINS9_10device_ptrIiEEEEPS5_m17evens_before_oddsEE10hipError_tT0_T1_T2_jT3_P12ihipStream_tbPNSt15iterator_traitsISI_E10value_typeEPNSO_ISJ_E10value_typeEPSK_NS1_7vsmem_tEENKUlT_SI_SJ_SK_E_clIPiSE_SF_SF_EESH_SX_SI_SJ_SK_EUlSX_E1_NS1_11comp_targetILNS1_3genE10ELNS1_11target_archE1201ELNS1_3gpuE5ELNS1_3repE0EEENS1_36merge_oddeven_config_static_selectorELNS0_4arch9wavefront6targetE0EEEvSJ_
		.amdhsa_group_segment_fixed_size 0
		.amdhsa_private_segment_fixed_size 0
		.amdhsa_kernarg_size 56
		.amdhsa_user_sgpr_count 6
		.amdhsa_user_sgpr_private_segment_buffer 1
		.amdhsa_user_sgpr_dispatch_ptr 0
		.amdhsa_user_sgpr_queue_ptr 0
		.amdhsa_user_sgpr_kernarg_segment_ptr 1
		.amdhsa_user_sgpr_dispatch_id 0
		.amdhsa_user_sgpr_flat_scratch_init 0
		.amdhsa_user_sgpr_private_segment_size 0
		.amdhsa_wavefront_size32 1
		.amdhsa_uses_dynamic_stack 0
		.amdhsa_system_sgpr_private_segment_wavefront_offset 0
		.amdhsa_system_sgpr_workgroup_id_x 1
		.amdhsa_system_sgpr_workgroup_id_y 0
		.amdhsa_system_sgpr_workgroup_id_z 0
		.amdhsa_system_sgpr_workgroup_info 0
		.amdhsa_system_vgpr_workitem_id 0
		.amdhsa_next_free_vgpr 1
		.amdhsa_next_free_sgpr 1
		.amdhsa_reserve_vcc 0
		.amdhsa_reserve_flat_scratch 0
		.amdhsa_float_round_mode_32 0
		.amdhsa_float_round_mode_16_64 0
		.amdhsa_float_denorm_mode_32 3
		.amdhsa_float_denorm_mode_16_64 3
		.amdhsa_dx10_clamp 1
		.amdhsa_ieee_mode 1
		.amdhsa_fp16_overflow 0
		.amdhsa_workgroup_processor_mode 1
		.amdhsa_memory_ordered 1
		.amdhsa_forward_progress 1
		.amdhsa_shared_vgpr_count 0
		.amdhsa_exception_fp_ieee_invalid_op 0
		.amdhsa_exception_fp_denorm_src 0
		.amdhsa_exception_fp_ieee_div_zero 0
		.amdhsa_exception_fp_ieee_overflow 0
		.amdhsa_exception_fp_ieee_underflow 0
		.amdhsa_exception_fp_ieee_inexact 0
		.amdhsa_exception_int_div_zero 0
	.end_amdhsa_kernel
	.section	.text._ZN7rocprim17ROCPRIM_400000_NS6detail17trampoline_kernelINS0_14default_configENS1_38merge_sort_block_merge_config_selectorIiNS0_10empty_typeEEEZZNS1_27merge_sort_block_merge_implIS3_N6thrust23THRUST_200600_302600_NS6detail15normal_iteratorINS9_10device_ptrIiEEEEPS5_m17evens_before_oddsEE10hipError_tT0_T1_T2_jT3_P12ihipStream_tbPNSt15iterator_traitsISI_E10value_typeEPNSO_ISJ_E10value_typeEPSK_NS1_7vsmem_tEENKUlT_SI_SJ_SK_E_clIPiSE_SF_SF_EESH_SX_SI_SJ_SK_EUlSX_E1_NS1_11comp_targetILNS1_3genE10ELNS1_11target_archE1201ELNS1_3gpuE5ELNS1_3repE0EEENS1_36merge_oddeven_config_static_selectorELNS0_4arch9wavefront6targetE0EEEvSJ_,"axG",@progbits,_ZN7rocprim17ROCPRIM_400000_NS6detail17trampoline_kernelINS0_14default_configENS1_38merge_sort_block_merge_config_selectorIiNS0_10empty_typeEEEZZNS1_27merge_sort_block_merge_implIS3_N6thrust23THRUST_200600_302600_NS6detail15normal_iteratorINS9_10device_ptrIiEEEEPS5_m17evens_before_oddsEE10hipError_tT0_T1_T2_jT3_P12ihipStream_tbPNSt15iterator_traitsISI_E10value_typeEPNSO_ISJ_E10value_typeEPSK_NS1_7vsmem_tEENKUlT_SI_SJ_SK_E_clIPiSE_SF_SF_EESH_SX_SI_SJ_SK_EUlSX_E1_NS1_11comp_targetILNS1_3genE10ELNS1_11target_archE1201ELNS1_3gpuE5ELNS1_3repE0EEENS1_36merge_oddeven_config_static_selectorELNS0_4arch9wavefront6targetE0EEEvSJ_,comdat
.Lfunc_end425:
	.size	_ZN7rocprim17ROCPRIM_400000_NS6detail17trampoline_kernelINS0_14default_configENS1_38merge_sort_block_merge_config_selectorIiNS0_10empty_typeEEEZZNS1_27merge_sort_block_merge_implIS3_N6thrust23THRUST_200600_302600_NS6detail15normal_iteratorINS9_10device_ptrIiEEEEPS5_m17evens_before_oddsEE10hipError_tT0_T1_T2_jT3_P12ihipStream_tbPNSt15iterator_traitsISI_E10value_typeEPNSO_ISJ_E10value_typeEPSK_NS1_7vsmem_tEENKUlT_SI_SJ_SK_E_clIPiSE_SF_SF_EESH_SX_SI_SJ_SK_EUlSX_E1_NS1_11comp_targetILNS1_3genE10ELNS1_11target_archE1201ELNS1_3gpuE5ELNS1_3repE0EEENS1_36merge_oddeven_config_static_selectorELNS0_4arch9wavefront6targetE0EEEvSJ_, .Lfunc_end425-_ZN7rocprim17ROCPRIM_400000_NS6detail17trampoline_kernelINS0_14default_configENS1_38merge_sort_block_merge_config_selectorIiNS0_10empty_typeEEEZZNS1_27merge_sort_block_merge_implIS3_N6thrust23THRUST_200600_302600_NS6detail15normal_iteratorINS9_10device_ptrIiEEEEPS5_m17evens_before_oddsEE10hipError_tT0_T1_T2_jT3_P12ihipStream_tbPNSt15iterator_traitsISI_E10value_typeEPNSO_ISJ_E10value_typeEPSK_NS1_7vsmem_tEENKUlT_SI_SJ_SK_E_clIPiSE_SF_SF_EESH_SX_SI_SJ_SK_EUlSX_E1_NS1_11comp_targetILNS1_3genE10ELNS1_11target_archE1201ELNS1_3gpuE5ELNS1_3repE0EEENS1_36merge_oddeven_config_static_selectorELNS0_4arch9wavefront6targetE0EEEvSJ_
                                        ; -- End function
	.set _ZN7rocprim17ROCPRIM_400000_NS6detail17trampoline_kernelINS0_14default_configENS1_38merge_sort_block_merge_config_selectorIiNS0_10empty_typeEEEZZNS1_27merge_sort_block_merge_implIS3_N6thrust23THRUST_200600_302600_NS6detail15normal_iteratorINS9_10device_ptrIiEEEEPS5_m17evens_before_oddsEE10hipError_tT0_T1_T2_jT3_P12ihipStream_tbPNSt15iterator_traitsISI_E10value_typeEPNSO_ISJ_E10value_typeEPSK_NS1_7vsmem_tEENKUlT_SI_SJ_SK_E_clIPiSE_SF_SF_EESH_SX_SI_SJ_SK_EUlSX_E1_NS1_11comp_targetILNS1_3genE10ELNS1_11target_archE1201ELNS1_3gpuE5ELNS1_3repE0EEENS1_36merge_oddeven_config_static_selectorELNS0_4arch9wavefront6targetE0EEEvSJ_.num_vgpr, 0
	.set _ZN7rocprim17ROCPRIM_400000_NS6detail17trampoline_kernelINS0_14default_configENS1_38merge_sort_block_merge_config_selectorIiNS0_10empty_typeEEEZZNS1_27merge_sort_block_merge_implIS3_N6thrust23THRUST_200600_302600_NS6detail15normal_iteratorINS9_10device_ptrIiEEEEPS5_m17evens_before_oddsEE10hipError_tT0_T1_T2_jT3_P12ihipStream_tbPNSt15iterator_traitsISI_E10value_typeEPNSO_ISJ_E10value_typeEPSK_NS1_7vsmem_tEENKUlT_SI_SJ_SK_E_clIPiSE_SF_SF_EESH_SX_SI_SJ_SK_EUlSX_E1_NS1_11comp_targetILNS1_3genE10ELNS1_11target_archE1201ELNS1_3gpuE5ELNS1_3repE0EEENS1_36merge_oddeven_config_static_selectorELNS0_4arch9wavefront6targetE0EEEvSJ_.num_agpr, 0
	.set _ZN7rocprim17ROCPRIM_400000_NS6detail17trampoline_kernelINS0_14default_configENS1_38merge_sort_block_merge_config_selectorIiNS0_10empty_typeEEEZZNS1_27merge_sort_block_merge_implIS3_N6thrust23THRUST_200600_302600_NS6detail15normal_iteratorINS9_10device_ptrIiEEEEPS5_m17evens_before_oddsEE10hipError_tT0_T1_T2_jT3_P12ihipStream_tbPNSt15iterator_traitsISI_E10value_typeEPNSO_ISJ_E10value_typeEPSK_NS1_7vsmem_tEENKUlT_SI_SJ_SK_E_clIPiSE_SF_SF_EESH_SX_SI_SJ_SK_EUlSX_E1_NS1_11comp_targetILNS1_3genE10ELNS1_11target_archE1201ELNS1_3gpuE5ELNS1_3repE0EEENS1_36merge_oddeven_config_static_selectorELNS0_4arch9wavefront6targetE0EEEvSJ_.numbered_sgpr, 0
	.set _ZN7rocprim17ROCPRIM_400000_NS6detail17trampoline_kernelINS0_14default_configENS1_38merge_sort_block_merge_config_selectorIiNS0_10empty_typeEEEZZNS1_27merge_sort_block_merge_implIS3_N6thrust23THRUST_200600_302600_NS6detail15normal_iteratorINS9_10device_ptrIiEEEEPS5_m17evens_before_oddsEE10hipError_tT0_T1_T2_jT3_P12ihipStream_tbPNSt15iterator_traitsISI_E10value_typeEPNSO_ISJ_E10value_typeEPSK_NS1_7vsmem_tEENKUlT_SI_SJ_SK_E_clIPiSE_SF_SF_EESH_SX_SI_SJ_SK_EUlSX_E1_NS1_11comp_targetILNS1_3genE10ELNS1_11target_archE1201ELNS1_3gpuE5ELNS1_3repE0EEENS1_36merge_oddeven_config_static_selectorELNS0_4arch9wavefront6targetE0EEEvSJ_.num_named_barrier, 0
	.set _ZN7rocprim17ROCPRIM_400000_NS6detail17trampoline_kernelINS0_14default_configENS1_38merge_sort_block_merge_config_selectorIiNS0_10empty_typeEEEZZNS1_27merge_sort_block_merge_implIS3_N6thrust23THRUST_200600_302600_NS6detail15normal_iteratorINS9_10device_ptrIiEEEEPS5_m17evens_before_oddsEE10hipError_tT0_T1_T2_jT3_P12ihipStream_tbPNSt15iterator_traitsISI_E10value_typeEPNSO_ISJ_E10value_typeEPSK_NS1_7vsmem_tEENKUlT_SI_SJ_SK_E_clIPiSE_SF_SF_EESH_SX_SI_SJ_SK_EUlSX_E1_NS1_11comp_targetILNS1_3genE10ELNS1_11target_archE1201ELNS1_3gpuE5ELNS1_3repE0EEENS1_36merge_oddeven_config_static_selectorELNS0_4arch9wavefront6targetE0EEEvSJ_.private_seg_size, 0
	.set _ZN7rocprim17ROCPRIM_400000_NS6detail17trampoline_kernelINS0_14default_configENS1_38merge_sort_block_merge_config_selectorIiNS0_10empty_typeEEEZZNS1_27merge_sort_block_merge_implIS3_N6thrust23THRUST_200600_302600_NS6detail15normal_iteratorINS9_10device_ptrIiEEEEPS5_m17evens_before_oddsEE10hipError_tT0_T1_T2_jT3_P12ihipStream_tbPNSt15iterator_traitsISI_E10value_typeEPNSO_ISJ_E10value_typeEPSK_NS1_7vsmem_tEENKUlT_SI_SJ_SK_E_clIPiSE_SF_SF_EESH_SX_SI_SJ_SK_EUlSX_E1_NS1_11comp_targetILNS1_3genE10ELNS1_11target_archE1201ELNS1_3gpuE5ELNS1_3repE0EEENS1_36merge_oddeven_config_static_selectorELNS0_4arch9wavefront6targetE0EEEvSJ_.uses_vcc, 0
	.set _ZN7rocprim17ROCPRIM_400000_NS6detail17trampoline_kernelINS0_14default_configENS1_38merge_sort_block_merge_config_selectorIiNS0_10empty_typeEEEZZNS1_27merge_sort_block_merge_implIS3_N6thrust23THRUST_200600_302600_NS6detail15normal_iteratorINS9_10device_ptrIiEEEEPS5_m17evens_before_oddsEE10hipError_tT0_T1_T2_jT3_P12ihipStream_tbPNSt15iterator_traitsISI_E10value_typeEPNSO_ISJ_E10value_typeEPSK_NS1_7vsmem_tEENKUlT_SI_SJ_SK_E_clIPiSE_SF_SF_EESH_SX_SI_SJ_SK_EUlSX_E1_NS1_11comp_targetILNS1_3genE10ELNS1_11target_archE1201ELNS1_3gpuE5ELNS1_3repE0EEENS1_36merge_oddeven_config_static_selectorELNS0_4arch9wavefront6targetE0EEEvSJ_.uses_flat_scratch, 0
	.set _ZN7rocprim17ROCPRIM_400000_NS6detail17trampoline_kernelINS0_14default_configENS1_38merge_sort_block_merge_config_selectorIiNS0_10empty_typeEEEZZNS1_27merge_sort_block_merge_implIS3_N6thrust23THRUST_200600_302600_NS6detail15normal_iteratorINS9_10device_ptrIiEEEEPS5_m17evens_before_oddsEE10hipError_tT0_T1_T2_jT3_P12ihipStream_tbPNSt15iterator_traitsISI_E10value_typeEPNSO_ISJ_E10value_typeEPSK_NS1_7vsmem_tEENKUlT_SI_SJ_SK_E_clIPiSE_SF_SF_EESH_SX_SI_SJ_SK_EUlSX_E1_NS1_11comp_targetILNS1_3genE10ELNS1_11target_archE1201ELNS1_3gpuE5ELNS1_3repE0EEENS1_36merge_oddeven_config_static_selectorELNS0_4arch9wavefront6targetE0EEEvSJ_.has_dyn_sized_stack, 0
	.set _ZN7rocprim17ROCPRIM_400000_NS6detail17trampoline_kernelINS0_14default_configENS1_38merge_sort_block_merge_config_selectorIiNS0_10empty_typeEEEZZNS1_27merge_sort_block_merge_implIS3_N6thrust23THRUST_200600_302600_NS6detail15normal_iteratorINS9_10device_ptrIiEEEEPS5_m17evens_before_oddsEE10hipError_tT0_T1_T2_jT3_P12ihipStream_tbPNSt15iterator_traitsISI_E10value_typeEPNSO_ISJ_E10value_typeEPSK_NS1_7vsmem_tEENKUlT_SI_SJ_SK_E_clIPiSE_SF_SF_EESH_SX_SI_SJ_SK_EUlSX_E1_NS1_11comp_targetILNS1_3genE10ELNS1_11target_archE1201ELNS1_3gpuE5ELNS1_3repE0EEENS1_36merge_oddeven_config_static_selectorELNS0_4arch9wavefront6targetE0EEEvSJ_.has_recursion, 0
	.set _ZN7rocprim17ROCPRIM_400000_NS6detail17trampoline_kernelINS0_14default_configENS1_38merge_sort_block_merge_config_selectorIiNS0_10empty_typeEEEZZNS1_27merge_sort_block_merge_implIS3_N6thrust23THRUST_200600_302600_NS6detail15normal_iteratorINS9_10device_ptrIiEEEEPS5_m17evens_before_oddsEE10hipError_tT0_T1_T2_jT3_P12ihipStream_tbPNSt15iterator_traitsISI_E10value_typeEPNSO_ISJ_E10value_typeEPSK_NS1_7vsmem_tEENKUlT_SI_SJ_SK_E_clIPiSE_SF_SF_EESH_SX_SI_SJ_SK_EUlSX_E1_NS1_11comp_targetILNS1_3genE10ELNS1_11target_archE1201ELNS1_3gpuE5ELNS1_3repE0EEENS1_36merge_oddeven_config_static_selectorELNS0_4arch9wavefront6targetE0EEEvSJ_.has_indirect_call, 0
	.section	.AMDGPU.csdata,"",@progbits
; Kernel info:
; codeLenInByte = 0
; TotalNumSgprs: 0
; NumVgprs: 0
; ScratchSize: 0
; MemoryBound: 0
; FloatMode: 240
; IeeeMode: 1
; LDSByteSize: 0 bytes/workgroup (compile time only)
; SGPRBlocks: 0
; VGPRBlocks: 0
; NumSGPRsForWavesPerEU: 1
; NumVGPRsForWavesPerEU: 1
; Occupancy: 16
; WaveLimiterHint : 0
; COMPUTE_PGM_RSRC2:SCRATCH_EN: 0
; COMPUTE_PGM_RSRC2:USER_SGPR: 6
; COMPUTE_PGM_RSRC2:TRAP_HANDLER: 0
; COMPUTE_PGM_RSRC2:TGID_X_EN: 1
; COMPUTE_PGM_RSRC2:TGID_Y_EN: 0
; COMPUTE_PGM_RSRC2:TGID_Z_EN: 0
; COMPUTE_PGM_RSRC2:TIDIG_COMP_CNT: 0
	.section	.text._ZN7rocprim17ROCPRIM_400000_NS6detail17trampoline_kernelINS0_14default_configENS1_38merge_sort_block_merge_config_selectorIiNS0_10empty_typeEEEZZNS1_27merge_sort_block_merge_implIS3_N6thrust23THRUST_200600_302600_NS6detail15normal_iteratorINS9_10device_ptrIiEEEEPS5_m17evens_before_oddsEE10hipError_tT0_T1_T2_jT3_P12ihipStream_tbPNSt15iterator_traitsISI_E10value_typeEPNSO_ISJ_E10value_typeEPSK_NS1_7vsmem_tEENKUlT_SI_SJ_SK_E_clIPiSE_SF_SF_EESH_SX_SI_SJ_SK_EUlSX_E1_NS1_11comp_targetILNS1_3genE5ELNS1_11target_archE942ELNS1_3gpuE9ELNS1_3repE0EEENS1_36merge_oddeven_config_static_selectorELNS0_4arch9wavefront6targetE0EEEvSJ_,"axG",@progbits,_ZN7rocprim17ROCPRIM_400000_NS6detail17trampoline_kernelINS0_14default_configENS1_38merge_sort_block_merge_config_selectorIiNS0_10empty_typeEEEZZNS1_27merge_sort_block_merge_implIS3_N6thrust23THRUST_200600_302600_NS6detail15normal_iteratorINS9_10device_ptrIiEEEEPS5_m17evens_before_oddsEE10hipError_tT0_T1_T2_jT3_P12ihipStream_tbPNSt15iterator_traitsISI_E10value_typeEPNSO_ISJ_E10value_typeEPSK_NS1_7vsmem_tEENKUlT_SI_SJ_SK_E_clIPiSE_SF_SF_EESH_SX_SI_SJ_SK_EUlSX_E1_NS1_11comp_targetILNS1_3genE5ELNS1_11target_archE942ELNS1_3gpuE9ELNS1_3repE0EEENS1_36merge_oddeven_config_static_selectorELNS0_4arch9wavefront6targetE0EEEvSJ_,comdat
	.protected	_ZN7rocprim17ROCPRIM_400000_NS6detail17trampoline_kernelINS0_14default_configENS1_38merge_sort_block_merge_config_selectorIiNS0_10empty_typeEEEZZNS1_27merge_sort_block_merge_implIS3_N6thrust23THRUST_200600_302600_NS6detail15normal_iteratorINS9_10device_ptrIiEEEEPS5_m17evens_before_oddsEE10hipError_tT0_T1_T2_jT3_P12ihipStream_tbPNSt15iterator_traitsISI_E10value_typeEPNSO_ISJ_E10value_typeEPSK_NS1_7vsmem_tEENKUlT_SI_SJ_SK_E_clIPiSE_SF_SF_EESH_SX_SI_SJ_SK_EUlSX_E1_NS1_11comp_targetILNS1_3genE5ELNS1_11target_archE942ELNS1_3gpuE9ELNS1_3repE0EEENS1_36merge_oddeven_config_static_selectorELNS0_4arch9wavefront6targetE0EEEvSJ_ ; -- Begin function _ZN7rocprim17ROCPRIM_400000_NS6detail17trampoline_kernelINS0_14default_configENS1_38merge_sort_block_merge_config_selectorIiNS0_10empty_typeEEEZZNS1_27merge_sort_block_merge_implIS3_N6thrust23THRUST_200600_302600_NS6detail15normal_iteratorINS9_10device_ptrIiEEEEPS5_m17evens_before_oddsEE10hipError_tT0_T1_T2_jT3_P12ihipStream_tbPNSt15iterator_traitsISI_E10value_typeEPNSO_ISJ_E10value_typeEPSK_NS1_7vsmem_tEENKUlT_SI_SJ_SK_E_clIPiSE_SF_SF_EESH_SX_SI_SJ_SK_EUlSX_E1_NS1_11comp_targetILNS1_3genE5ELNS1_11target_archE942ELNS1_3gpuE9ELNS1_3repE0EEENS1_36merge_oddeven_config_static_selectorELNS0_4arch9wavefront6targetE0EEEvSJ_
	.globl	_ZN7rocprim17ROCPRIM_400000_NS6detail17trampoline_kernelINS0_14default_configENS1_38merge_sort_block_merge_config_selectorIiNS0_10empty_typeEEEZZNS1_27merge_sort_block_merge_implIS3_N6thrust23THRUST_200600_302600_NS6detail15normal_iteratorINS9_10device_ptrIiEEEEPS5_m17evens_before_oddsEE10hipError_tT0_T1_T2_jT3_P12ihipStream_tbPNSt15iterator_traitsISI_E10value_typeEPNSO_ISJ_E10value_typeEPSK_NS1_7vsmem_tEENKUlT_SI_SJ_SK_E_clIPiSE_SF_SF_EESH_SX_SI_SJ_SK_EUlSX_E1_NS1_11comp_targetILNS1_3genE5ELNS1_11target_archE942ELNS1_3gpuE9ELNS1_3repE0EEENS1_36merge_oddeven_config_static_selectorELNS0_4arch9wavefront6targetE0EEEvSJ_
	.p2align	8
	.type	_ZN7rocprim17ROCPRIM_400000_NS6detail17trampoline_kernelINS0_14default_configENS1_38merge_sort_block_merge_config_selectorIiNS0_10empty_typeEEEZZNS1_27merge_sort_block_merge_implIS3_N6thrust23THRUST_200600_302600_NS6detail15normal_iteratorINS9_10device_ptrIiEEEEPS5_m17evens_before_oddsEE10hipError_tT0_T1_T2_jT3_P12ihipStream_tbPNSt15iterator_traitsISI_E10value_typeEPNSO_ISJ_E10value_typeEPSK_NS1_7vsmem_tEENKUlT_SI_SJ_SK_E_clIPiSE_SF_SF_EESH_SX_SI_SJ_SK_EUlSX_E1_NS1_11comp_targetILNS1_3genE5ELNS1_11target_archE942ELNS1_3gpuE9ELNS1_3repE0EEENS1_36merge_oddeven_config_static_selectorELNS0_4arch9wavefront6targetE0EEEvSJ_,@function
_ZN7rocprim17ROCPRIM_400000_NS6detail17trampoline_kernelINS0_14default_configENS1_38merge_sort_block_merge_config_selectorIiNS0_10empty_typeEEEZZNS1_27merge_sort_block_merge_implIS3_N6thrust23THRUST_200600_302600_NS6detail15normal_iteratorINS9_10device_ptrIiEEEEPS5_m17evens_before_oddsEE10hipError_tT0_T1_T2_jT3_P12ihipStream_tbPNSt15iterator_traitsISI_E10value_typeEPNSO_ISJ_E10value_typeEPSK_NS1_7vsmem_tEENKUlT_SI_SJ_SK_E_clIPiSE_SF_SF_EESH_SX_SI_SJ_SK_EUlSX_E1_NS1_11comp_targetILNS1_3genE5ELNS1_11target_archE942ELNS1_3gpuE9ELNS1_3repE0EEENS1_36merge_oddeven_config_static_selectorELNS0_4arch9wavefront6targetE0EEEvSJ_: ; @_ZN7rocprim17ROCPRIM_400000_NS6detail17trampoline_kernelINS0_14default_configENS1_38merge_sort_block_merge_config_selectorIiNS0_10empty_typeEEEZZNS1_27merge_sort_block_merge_implIS3_N6thrust23THRUST_200600_302600_NS6detail15normal_iteratorINS9_10device_ptrIiEEEEPS5_m17evens_before_oddsEE10hipError_tT0_T1_T2_jT3_P12ihipStream_tbPNSt15iterator_traitsISI_E10value_typeEPNSO_ISJ_E10value_typeEPSK_NS1_7vsmem_tEENKUlT_SI_SJ_SK_E_clIPiSE_SF_SF_EESH_SX_SI_SJ_SK_EUlSX_E1_NS1_11comp_targetILNS1_3genE5ELNS1_11target_archE942ELNS1_3gpuE9ELNS1_3repE0EEENS1_36merge_oddeven_config_static_selectorELNS0_4arch9wavefront6targetE0EEEvSJ_
; %bb.0:
	.section	.rodata,"a",@progbits
	.p2align	6, 0x0
	.amdhsa_kernel _ZN7rocprim17ROCPRIM_400000_NS6detail17trampoline_kernelINS0_14default_configENS1_38merge_sort_block_merge_config_selectorIiNS0_10empty_typeEEEZZNS1_27merge_sort_block_merge_implIS3_N6thrust23THRUST_200600_302600_NS6detail15normal_iteratorINS9_10device_ptrIiEEEEPS5_m17evens_before_oddsEE10hipError_tT0_T1_T2_jT3_P12ihipStream_tbPNSt15iterator_traitsISI_E10value_typeEPNSO_ISJ_E10value_typeEPSK_NS1_7vsmem_tEENKUlT_SI_SJ_SK_E_clIPiSE_SF_SF_EESH_SX_SI_SJ_SK_EUlSX_E1_NS1_11comp_targetILNS1_3genE5ELNS1_11target_archE942ELNS1_3gpuE9ELNS1_3repE0EEENS1_36merge_oddeven_config_static_selectorELNS0_4arch9wavefront6targetE0EEEvSJ_
		.amdhsa_group_segment_fixed_size 0
		.amdhsa_private_segment_fixed_size 0
		.amdhsa_kernarg_size 56
		.amdhsa_user_sgpr_count 6
		.amdhsa_user_sgpr_private_segment_buffer 1
		.amdhsa_user_sgpr_dispatch_ptr 0
		.amdhsa_user_sgpr_queue_ptr 0
		.amdhsa_user_sgpr_kernarg_segment_ptr 1
		.amdhsa_user_sgpr_dispatch_id 0
		.amdhsa_user_sgpr_flat_scratch_init 0
		.amdhsa_user_sgpr_private_segment_size 0
		.amdhsa_wavefront_size32 1
		.amdhsa_uses_dynamic_stack 0
		.amdhsa_system_sgpr_private_segment_wavefront_offset 0
		.amdhsa_system_sgpr_workgroup_id_x 1
		.amdhsa_system_sgpr_workgroup_id_y 0
		.amdhsa_system_sgpr_workgroup_id_z 0
		.amdhsa_system_sgpr_workgroup_info 0
		.amdhsa_system_vgpr_workitem_id 0
		.amdhsa_next_free_vgpr 1
		.amdhsa_next_free_sgpr 1
		.amdhsa_reserve_vcc 0
		.amdhsa_reserve_flat_scratch 0
		.amdhsa_float_round_mode_32 0
		.amdhsa_float_round_mode_16_64 0
		.amdhsa_float_denorm_mode_32 3
		.amdhsa_float_denorm_mode_16_64 3
		.amdhsa_dx10_clamp 1
		.amdhsa_ieee_mode 1
		.amdhsa_fp16_overflow 0
		.amdhsa_workgroup_processor_mode 1
		.amdhsa_memory_ordered 1
		.amdhsa_forward_progress 1
		.amdhsa_shared_vgpr_count 0
		.amdhsa_exception_fp_ieee_invalid_op 0
		.amdhsa_exception_fp_denorm_src 0
		.amdhsa_exception_fp_ieee_div_zero 0
		.amdhsa_exception_fp_ieee_overflow 0
		.amdhsa_exception_fp_ieee_underflow 0
		.amdhsa_exception_fp_ieee_inexact 0
		.amdhsa_exception_int_div_zero 0
	.end_amdhsa_kernel
	.section	.text._ZN7rocprim17ROCPRIM_400000_NS6detail17trampoline_kernelINS0_14default_configENS1_38merge_sort_block_merge_config_selectorIiNS0_10empty_typeEEEZZNS1_27merge_sort_block_merge_implIS3_N6thrust23THRUST_200600_302600_NS6detail15normal_iteratorINS9_10device_ptrIiEEEEPS5_m17evens_before_oddsEE10hipError_tT0_T1_T2_jT3_P12ihipStream_tbPNSt15iterator_traitsISI_E10value_typeEPNSO_ISJ_E10value_typeEPSK_NS1_7vsmem_tEENKUlT_SI_SJ_SK_E_clIPiSE_SF_SF_EESH_SX_SI_SJ_SK_EUlSX_E1_NS1_11comp_targetILNS1_3genE5ELNS1_11target_archE942ELNS1_3gpuE9ELNS1_3repE0EEENS1_36merge_oddeven_config_static_selectorELNS0_4arch9wavefront6targetE0EEEvSJ_,"axG",@progbits,_ZN7rocprim17ROCPRIM_400000_NS6detail17trampoline_kernelINS0_14default_configENS1_38merge_sort_block_merge_config_selectorIiNS0_10empty_typeEEEZZNS1_27merge_sort_block_merge_implIS3_N6thrust23THRUST_200600_302600_NS6detail15normal_iteratorINS9_10device_ptrIiEEEEPS5_m17evens_before_oddsEE10hipError_tT0_T1_T2_jT3_P12ihipStream_tbPNSt15iterator_traitsISI_E10value_typeEPNSO_ISJ_E10value_typeEPSK_NS1_7vsmem_tEENKUlT_SI_SJ_SK_E_clIPiSE_SF_SF_EESH_SX_SI_SJ_SK_EUlSX_E1_NS1_11comp_targetILNS1_3genE5ELNS1_11target_archE942ELNS1_3gpuE9ELNS1_3repE0EEENS1_36merge_oddeven_config_static_selectorELNS0_4arch9wavefront6targetE0EEEvSJ_,comdat
.Lfunc_end426:
	.size	_ZN7rocprim17ROCPRIM_400000_NS6detail17trampoline_kernelINS0_14default_configENS1_38merge_sort_block_merge_config_selectorIiNS0_10empty_typeEEEZZNS1_27merge_sort_block_merge_implIS3_N6thrust23THRUST_200600_302600_NS6detail15normal_iteratorINS9_10device_ptrIiEEEEPS5_m17evens_before_oddsEE10hipError_tT0_T1_T2_jT3_P12ihipStream_tbPNSt15iterator_traitsISI_E10value_typeEPNSO_ISJ_E10value_typeEPSK_NS1_7vsmem_tEENKUlT_SI_SJ_SK_E_clIPiSE_SF_SF_EESH_SX_SI_SJ_SK_EUlSX_E1_NS1_11comp_targetILNS1_3genE5ELNS1_11target_archE942ELNS1_3gpuE9ELNS1_3repE0EEENS1_36merge_oddeven_config_static_selectorELNS0_4arch9wavefront6targetE0EEEvSJ_, .Lfunc_end426-_ZN7rocprim17ROCPRIM_400000_NS6detail17trampoline_kernelINS0_14default_configENS1_38merge_sort_block_merge_config_selectorIiNS0_10empty_typeEEEZZNS1_27merge_sort_block_merge_implIS3_N6thrust23THRUST_200600_302600_NS6detail15normal_iteratorINS9_10device_ptrIiEEEEPS5_m17evens_before_oddsEE10hipError_tT0_T1_T2_jT3_P12ihipStream_tbPNSt15iterator_traitsISI_E10value_typeEPNSO_ISJ_E10value_typeEPSK_NS1_7vsmem_tEENKUlT_SI_SJ_SK_E_clIPiSE_SF_SF_EESH_SX_SI_SJ_SK_EUlSX_E1_NS1_11comp_targetILNS1_3genE5ELNS1_11target_archE942ELNS1_3gpuE9ELNS1_3repE0EEENS1_36merge_oddeven_config_static_selectorELNS0_4arch9wavefront6targetE0EEEvSJ_
                                        ; -- End function
	.set _ZN7rocprim17ROCPRIM_400000_NS6detail17trampoline_kernelINS0_14default_configENS1_38merge_sort_block_merge_config_selectorIiNS0_10empty_typeEEEZZNS1_27merge_sort_block_merge_implIS3_N6thrust23THRUST_200600_302600_NS6detail15normal_iteratorINS9_10device_ptrIiEEEEPS5_m17evens_before_oddsEE10hipError_tT0_T1_T2_jT3_P12ihipStream_tbPNSt15iterator_traitsISI_E10value_typeEPNSO_ISJ_E10value_typeEPSK_NS1_7vsmem_tEENKUlT_SI_SJ_SK_E_clIPiSE_SF_SF_EESH_SX_SI_SJ_SK_EUlSX_E1_NS1_11comp_targetILNS1_3genE5ELNS1_11target_archE942ELNS1_3gpuE9ELNS1_3repE0EEENS1_36merge_oddeven_config_static_selectorELNS0_4arch9wavefront6targetE0EEEvSJ_.num_vgpr, 0
	.set _ZN7rocprim17ROCPRIM_400000_NS6detail17trampoline_kernelINS0_14default_configENS1_38merge_sort_block_merge_config_selectorIiNS0_10empty_typeEEEZZNS1_27merge_sort_block_merge_implIS3_N6thrust23THRUST_200600_302600_NS6detail15normal_iteratorINS9_10device_ptrIiEEEEPS5_m17evens_before_oddsEE10hipError_tT0_T1_T2_jT3_P12ihipStream_tbPNSt15iterator_traitsISI_E10value_typeEPNSO_ISJ_E10value_typeEPSK_NS1_7vsmem_tEENKUlT_SI_SJ_SK_E_clIPiSE_SF_SF_EESH_SX_SI_SJ_SK_EUlSX_E1_NS1_11comp_targetILNS1_3genE5ELNS1_11target_archE942ELNS1_3gpuE9ELNS1_3repE0EEENS1_36merge_oddeven_config_static_selectorELNS0_4arch9wavefront6targetE0EEEvSJ_.num_agpr, 0
	.set _ZN7rocprim17ROCPRIM_400000_NS6detail17trampoline_kernelINS0_14default_configENS1_38merge_sort_block_merge_config_selectorIiNS0_10empty_typeEEEZZNS1_27merge_sort_block_merge_implIS3_N6thrust23THRUST_200600_302600_NS6detail15normal_iteratorINS9_10device_ptrIiEEEEPS5_m17evens_before_oddsEE10hipError_tT0_T1_T2_jT3_P12ihipStream_tbPNSt15iterator_traitsISI_E10value_typeEPNSO_ISJ_E10value_typeEPSK_NS1_7vsmem_tEENKUlT_SI_SJ_SK_E_clIPiSE_SF_SF_EESH_SX_SI_SJ_SK_EUlSX_E1_NS1_11comp_targetILNS1_3genE5ELNS1_11target_archE942ELNS1_3gpuE9ELNS1_3repE0EEENS1_36merge_oddeven_config_static_selectorELNS0_4arch9wavefront6targetE0EEEvSJ_.numbered_sgpr, 0
	.set _ZN7rocprim17ROCPRIM_400000_NS6detail17trampoline_kernelINS0_14default_configENS1_38merge_sort_block_merge_config_selectorIiNS0_10empty_typeEEEZZNS1_27merge_sort_block_merge_implIS3_N6thrust23THRUST_200600_302600_NS6detail15normal_iteratorINS9_10device_ptrIiEEEEPS5_m17evens_before_oddsEE10hipError_tT0_T1_T2_jT3_P12ihipStream_tbPNSt15iterator_traitsISI_E10value_typeEPNSO_ISJ_E10value_typeEPSK_NS1_7vsmem_tEENKUlT_SI_SJ_SK_E_clIPiSE_SF_SF_EESH_SX_SI_SJ_SK_EUlSX_E1_NS1_11comp_targetILNS1_3genE5ELNS1_11target_archE942ELNS1_3gpuE9ELNS1_3repE0EEENS1_36merge_oddeven_config_static_selectorELNS0_4arch9wavefront6targetE0EEEvSJ_.num_named_barrier, 0
	.set _ZN7rocprim17ROCPRIM_400000_NS6detail17trampoline_kernelINS0_14default_configENS1_38merge_sort_block_merge_config_selectorIiNS0_10empty_typeEEEZZNS1_27merge_sort_block_merge_implIS3_N6thrust23THRUST_200600_302600_NS6detail15normal_iteratorINS9_10device_ptrIiEEEEPS5_m17evens_before_oddsEE10hipError_tT0_T1_T2_jT3_P12ihipStream_tbPNSt15iterator_traitsISI_E10value_typeEPNSO_ISJ_E10value_typeEPSK_NS1_7vsmem_tEENKUlT_SI_SJ_SK_E_clIPiSE_SF_SF_EESH_SX_SI_SJ_SK_EUlSX_E1_NS1_11comp_targetILNS1_3genE5ELNS1_11target_archE942ELNS1_3gpuE9ELNS1_3repE0EEENS1_36merge_oddeven_config_static_selectorELNS0_4arch9wavefront6targetE0EEEvSJ_.private_seg_size, 0
	.set _ZN7rocprim17ROCPRIM_400000_NS6detail17trampoline_kernelINS0_14default_configENS1_38merge_sort_block_merge_config_selectorIiNS0_10empty_typeEEEZZNS1_27merge_sort_block_merge_implIS3_N6thrust23THRUST_200600_302600_NS6detail15normal_iteratorINS9_10device_ptrIiEEEEPS5_m17evens_before_oddsEE10hipError_tT0_T1_T2_jT3_P12ihipStream_tbPNSt15iterator_traitsISI_E10value_typeEPNSO_ISJ_E10value_typeEPSK_NS1_7vsmem_tEENKUlT_SI_SJ_SK_E_clIPiSE_SF_SF_EESH_SX_SI_SJ_SK_EUlSX_E1_NS1_11comp_targetILNS1_3genE5ELNS1_11target_archE942ELNS1_3gpuE9ELNS1_3repE0EEENS1_36merge_oddeven_config_static_selectorELNS0_4arch9wavefront6targetE0EEEvSJ_.uses_vcc, 0
	.set _ZN7rocprim17ROCPRIM_400000_NS6detail17trampoline_kernelINS0_14default_configENS1_38merge_sort_block_merge_config_selectorIiNS0_10empty_typeEEEZZNS1_27merge_sort_block_merge_implIS3_N6thrust23THRUST_200600_302600_NS6detail15normal_iteratorINS9_10device_ptrIiEEEEPS5_m17evens_before_oddsEE10hipError_tT0_T1_T2_jT3_P12ihipStream_tbPNSt15iterator_traitsISI_E10value_typeEPNSO_ISJ_E10value_typeEPSK_NS1_7vsmem_tEENKUlT_SI_SJ_SK_E_clIPiSE_SF_SF_EESH_SX_SI_SJ_SK_EUlSX_E1_NS1_11comp_targetILNS1_3genE5ELNS1_11target_archE942ELNS1_3gpuE9ELNS1_3repE0EEENS1_36merge_oddeven_config_static_selectorELNS0_4arch9wavefront6targetE0EEEvSJ_.uses_flat_scratch, 0
	.set _ZN7rocprim17ROCPRIM_400000_NS6detail17trampoline_kernelINS0_14default_configENS1_38merge_sort_block_merge_config_selectorIiNS0_10empty_typeEEEZZNS1_27merge_sort_block_merge_implIS3_N6thrust23THRUST_200600_302600_NS6detail15normal_iteratorINS9_10device_ptrIiEEEEPS5_m17evens_before_oddsEE10hipError_tT0_T1_T2_jT3_P12ihipStream_tbPNSt15iterator_traitsISI_E10value_typeEPNSO_ISJ_E10value_typeEPSK_NS1_7vsmem_tEENKUlT_SI_SJ_SK_E_clIPiSE_SF_SF_EESH_SX_SI_SJ_SK_EUlSX_E1_NS1_11comp_targetILNS1_3genE5ELNS1_11target_archE942ELNS1_3gpuE9ELNS1_3repE0EEENS1_36merge_oddeven_config_static_selectorELNS0_4arch9wavefront6targetE0EEEvSJ_.has_dyn_sized_stack, 0
	.set _ZN7rocprim17ROCPRIM_400000_NS6detail17trampoline_kernelINS0_14default_configENS1_38merge_sort_block_merge_config_selectorIiNS0_10empty_typeEEEZZNS1_27merge_sort_block_merge_implIS3_N6thrust23THRUST_200600_302600_NS6detail15normal_iteratorINS9_10device_ptrIiEEEEPS5_m17evens_before_oddsEE10hipError_tT0_T1_T2_jT3_P12ihipStream_tbPNSt15iterator_traitsISI_E10value_typeEPNSO_ISJ_E10value_typeEPSK_NS1_7vsmem_tEENKUlT_SI_SJ_SK_E_clIPiSE_SF_SF_EESH_SX_SI_SJ_SK_EUlSX_E1_NS1_11comp_targetILNS1_3genE5ELNS1_11target_archE942ELNS1_3gpuE9ELNS1_3repE0EEENS1_36merge_oddeven_config_static_selectorELNS0_4arch9wavefront6targetE0EEEvSJ_.has_recursion, 0
	.set _ZN7rocprim17ROCPRIM_400000_NS6detail17trampoline_kernelINS0_14default_configENS1_38merge_sort_block_merge_config_selectorIiNS0_10empty_typeEEEZZNS1_27merge_sort_block_merge_implIS3_N6thrust23THRUST_200600_302600_NS6detail15normal_iteratorINS9_10device_ptrIiEEEEPS5_m17evens_before_oddsEE10hipError_tT0_T1_T2_jT3_P12ihipStream_tbPNSt15iterator_traitsISI_E10value_typeEPNSO_ISJ_E10value_typeEPSK_NS1_7vsmem_tEENKUlT_SI_SJ_SK_E_clIPiSE_SF_SF_EESH_SX_SI_SJ_SK_EUlSX_E1_NS1_11comp_targetILNS1_3genE5ELNS1_11target_archE942ELNS1_3gpuE9ELNS1_3repE0EEENS1_36merge_oddeven_config_static_selectorELNS0_4arch9wavefront6targetE0EEEvSJ_.has_indirect_call, 0
	.section	.AMDGPU.csdata,"",@progbits
; Kernel info:
; codeLenInByte = 0
; TotalNumSgprs: 0
; NumVgprs: 0
; ScratchSize: 0
; MemoryBound: 0
; FloatMode: 240
; IeeeMode: 1
; LDSByteSize: 0 bytes/workgroup (compile time only)
; SGPRBlocks: 0
; VGPRBlocks: 0
; NumSGPRsForWavesPerEU: 1
; NumVGPRsForWavesPerEU: 1
; Occupancy: 16
; WaveLimiterHint : 0
; COMPUTE_PGM_RSRC2:SCRATCH_EN: 0
; COMPUTE_PGM_RSRC2:USER_SGPR: 6
; COMPUTE_PGM_RSRC2:TRAP_HANDLER: 0
; COMPUTE_PGM_RSRC2:TGID_X_EN: 1
; COMPUTE_PGM_RSRC2:TGID_Y_EN: 0
; COMPUTE_PGM_RSRC2:TGID_Z_EN: 0
; COMPUTE_PGM_RSRC2:TIDIG_COMP_CNT: 0
	.section	.text._ZN7rocprim17ROCPRIM_400000_NS6detail17trampoline_kernelINS0_14default_configENS1_38merge_sort_block_merge_config_selectorIiNS0_10empty_typeEEEZZNS1_27merge_sort_block_merge_implIS3_N6thrust23THRUST_200600_302600_NS6detail15normal_iteratorINS9_10device_ptrIiEEEEPS5_m17evens_before_oddsEE10hipError_tT0_T1_T2_jT3_P12ihipStream_tbPNSt15iterator_traitsISI_E10value_typeEPNSO_ISJ_E10value_typeEPSK_NS1_7vsmem_tEENKUlT_SI_SJ_SK_E_clIPiSE_SF_SF_EESH_SX_SI_SJ_SK_EUlSX_E1_NS1_11comp_targetILNS1_3genE4ELNS1_11target_archE910ELNS1_3gpuE8ELNS1_3repE0EEENS1_36merge_oddeven_config_static_selectorELNS0_4arch9wavefront6targetE0EEEvSJ_,"axG",@progbits,_ZN7rocprim17ROCPRIM_400000_NS6detail17trampoline_kernelINS0_14default_configENS1_38merge_sort_block_merge_config_selectorIiNS0_10empty_typeEEEZZNS1_27merge_sort_block_merge_implIS3_N6thrust23THRUST_200600_302600_NS6detail15normal_iteratorINS9_10device_ptrIiEEEEPS5_m17evens_before_oddsEE10hipError_tT0_T1_T2_jT3_P12ihipStream_tbPNSt15iterator_traitsISI_E10value_typeEPNSO_ISJ_E10value_typeEPSK_NS1_7vsmem_tEENKUlT_SI_SJ_SK_E_clIPiSE_SF_SF_EESH_SX_SI_SJ_SK_EUlSX_E1_NS1_11comp_targetILNS1_3genE4ELNS1_11target_archE910ELNS1_3gpuE8ELNS1_3repE0EEENS1_36merge_oddeven_config_static_selectorELNS0_4arch9wavefront6targetE0EEEvSJ_,comdat
	.protected	_ZN7rocprim17ROCPRIM_400000_NS6detail17trampoline_kernelINS0_14default_configENS1_38merge_sort_block_merge_config_selectorIiNS0_10empty_typeEEEZZNS1_27merge_sort_block_merge_implIS3_N6thrust23THRUST_200600_302600_NS6detail15normal_iteratorINS9_10device_ptrIiEEEEPS5_m17evens_before_oddsEE10hipError_tT0_T1_T2_jT3_P12ihipStream_tbPNSt15iterator_traitsISI_E10value_typeEPNSO_ISJ_E10value_typeEPSK_NS1_7vsmem_tEENKUlT_SI_SJ_SK_E_clIPiSE_SF_SF_EESH_SX_SI_SJ_SK_EUlSX_E1_NS1_11comp_targetILNS1_3genE4ELNS1_11target_archE910ELNS1_3gpuE8ELNS1_3repE0EEENS1_36merge_oddeven_config_static_selectorELNS0_4arch9wavefront6targetE0EEEvSJ_ ; -- Begin function _ZN7rocprim17ROCPRIM_400000_NS6detail17trampoline_kernelINS0_14default_configENS1_38merge_sort_block_merge_config_selectorIiNS0_10empty_typeEEEZZNS1_27merge_sort_block_merge_implIS3_N6thrust23THRUST_200600_302600_NS6detail15normal_iteratorINS9_10device_ptrIiEEEEPS5_m17evens_before_oddsEE10hipError_tT0_T1_T2_jT3_P12ihipStream_tbPNSt15iterator_traitsISI_E10value_typeEPNSO_ISJ_E10value_typeEPSK_NS1_7vsmem_tEENKUlT_SI_SJ_SK_E_clIPiSE_SF_SF_EESH_SX_SI_SJ_SK_EUlSX_E1_NS1_11comp_targetILNS1_3genE4ELNS1_11target_archE910ELNS1_3gpuE8ELNS1_3repE0EEENS1_36merge_oddeven_config_static_selectorELNS0_4arch9wavefront6targetE0EEEvSJ_
	.globl	_ZN7rocprim17ROCPRIM_400000_NS6detail17trampoline_kernelINS0_14default_configENS1_38merge_sort_block_merge_config_selectorIiNS0_10empty_typeEEEZZNS1_27merge_sort_block_merge_implIS3_N6thrust23THRUST_200600_302600_NS6detail15normal_iteratorINS9_10device_ptrIiEEEEPS5_m17evens_before_oddsEE10hipError_tT0_T1_T2_jT3_P12ihipStream_tbPNSt15iterator_traitsISI_E10value_typeEPNSO_ISJ_E10value_typeEPSK_NS1_7vsmem_tEENKUlT_SI_SJ_SK_E_clIPiSE_SF_SF_EESH_SX_SI_SJ_SK_EUlSX_E1_NS1_11comp_targetILNS1_3genE4ELNS1_11target_archE910ELNS1_3gpuE8ELNS1_3repE0EEENS1_36merge_oddeven_config_static_selectorELNS0_4arch9wavefront6targetE0EEEvSJ_
	.p2align	8
	.type	_ZN7rocprim17ROCPRIM_400000_NS6detail17trampoline_kernelINS0_14default_configENS1_38merge_sort_block_merge_config_selectorIiNS0_10empty_typeEEEZZNS1_27merge_sort_block_merge_implIS3_N6thrust23THRUST_200600_302600_NS6detail15normal_iteratorINS9_10device_ptrIiEEEEPS5_m17evens_before_oddsEE10hipError_tT0_T1_T2_jT3_P12ihipStream_tbPNSt15iterator_traitsISI_E10value_typeEPNSO_ISJ_E10value_typeEPSK_NS1_7vsmem_tEENKUlT_SI_SJ_SK_E_clIPiSE_SF_SF_EESH_SX_SI_SJ_SK_EUlSX_E1_NS1_11comp_targetILNS1_3genE4ELNS1_11target_archE910ELNS1_3gpuE8ELNS1_3repE0EEENS1_36merge_oddeven_config_static_selectorELNS0_4arch9wavefront6targetE0EEEvSJ_,@function
_ZN7rocprim17ROCPRIM_400000_NS6detail17trampoline_kernelINS0_14default_configENS1_38merge_sort_block_merge_config_selectorIiNS0_10empty_typeEEEZZNS1_27merge_sort_block_merge_implIS3_N6thrust23THRUST_200600_302600_NS6detail15normal_iteratorINS9_10device_ptrIiEEEEPS5_m17evens_before_oddsEE10hipError_tT0_T1_T2_jT3_P12ihipStream_tbPNSt15iterator_traitsISI_E10value_typeEPNSO_ISJ_E10value_typeEPSK_NS1_7vsmem_tEENKUlT_SI_SJ_SK_E_clIPiSE_SF_SF_EESH_SX_SI_SJ_SK_EUlSX_E1_NS1_11comp_targetILNS1_3genE4ELNS1_11target_archE910ELNS1_3gpuE8ELNS1_3repE0EEENS1_36merge_oddeven_config_static_selectorELNS0_4arch9wavefront6targetE0EEEvSJ_: ; @_ZN7rocprim17ROCPRIM_400000_NS6detail17trampoline_kernelINS0_14default_configENS1_38merge_sort_block_merge_config_selectorIiNS0_10empty_typeEEEZZNS1_27merge_sort_block_merge_implIS3_N6thrust23THRUST_200600_302600_NS6detail15normal_iteratorINS9_10device_ptrIiEEEEPS5_m17evens_before_oddsEE10hipError_tT0_T1_T2_jT3_P12ihipStream_tbPNSt15iterator_traitsISI_E10value_typeEPNSO_ISJ_E10value_typeEPSK_NS1_7vsmem_tEENKUlT_SI_SJ_SK_E_clIPiSE_SF_SF_EESH_SX_SI_SJ_SK_EUlSX_E1_NS1_11comp_targetILNS1_3genE4ELNS1_11target_archE910ELNS1_3gpuE8ELNS1_3repE0EEENS1_36merge_oddeven_config_static_selectorELNS0_4arch9wavefront6targetE0EEEvSJ_
; %bb.0:
	.section	.rodata,"a",@progbits
	.p2align	6, 0x0
	.amdhsa_kernel _ZN7rocprim17ROCPRIM_400000_NS6detail17trampoline_kernelINS0_14default_configENS1_38merge_sort_block_merge_config_selectorIiNS0_10empty_typeEEEZZNS1_27merge_sort_block_merge_implIS3_N6thrust23THRUST_200600_302600_NS6detail15normal_iteratorINS9_10device_ptrIiEEEEPS5_m17evens_before_oddsEE10hipError_tT0_T1_T2_jT3_P12ihipStream_tbPNSt15iterator_traitsISI_E10value_typeEPNSO_ISJ_E10value_typeEPSK_NS1_7vsmem_tEENKUlT_SI_SJ_SK_E_clIPiSE_SF_SF_EESH_SX_SI_SJ_SK_EUlSX_E1_NS1_11comp_targetILNS1_3genE4ELNS1_11target_archE910ELNS1_3gpuE8ELNS1_3repE0EEENS1_36merge_oddeven_config_static_selectorELNS0_4arch9wavefront6targetE0EEEvSJ_
		.amdhsa_group_segment_fixed_size 0
		.amdhsa_private_segment_fixed_size 0
		.amdhsa_kernarg_size 56
		.amdhsa_user_sgpr_count 6
		.amdhsa_user_sgpr_private_segment_buffer 1
		.amdhsa_user_sgpr_dispatch_ptr 0
		.amdhsa_user_sgpr_queue_ptr 0
		.amdhsa_user_sgpr_kernarg_segment_ptr 1
		.amdhsa_user_sgpr_dispatch_id 0
		.amdhsa_user_sgpr_flat_scratch_init 0
		.amdhsa_user_sgpr_private_segment_size 0
		.amdhsa_wavefront_size32 1
		.amdhsa_uses_dynamic_stack 0
		.amdhsa_system_sgpr_private_segment_wavefront_offset 0
		.amdhsa_system_sgpr_workgroup_id_x 1
		.amdhsa_system_sgpr_workgroup_id_y 0
		.amdhsa_system_sgpr_workgroup_id_z 0
		.amdhsa_system_sgpr_workgroup_info 0
		.amdhsa_system_vgpr_workitem_id 0
		.amdhsa_next_free_vgpr 1
		.amdhsa_next_free_sgpr 1
		.amdhsa_reserve_vcc 0
		.amdhsa_reserve_flat_scratch 0
		.amdhsa_float_round_mode_32 0
		.amdhsa_float_round_mode_16_64 0
		.amdhsa_float_denorm_mode_32 3
		.amdhsa_float_denorm_mode_16_64 3
		.amdhsa_dx10_clamp 1
		.amdhsa_ieee_mode 1
		.amdhsa_fp16_overflow 0
		.amdhsa_workgroup_processor_mode 1
		.amdhsa_memory_ordered 1
		.amdhsa_forward_progress 1
		.amdhsa_shared_vgpr_count 0
		.amdhsa_exception_fp_ieee_invalid_op 0
		.amdhsa_exception_fp_denorm_src 0
		.amdhsa_exception_fp_ieee_div_zero 0
		.amdhsa_exception_fp_ieee_overflow 0
		.amdhsa_exception_fp_ieee_underflow 0
		.amdhsa_exception_fp_ieee_inexact 0
		.amdhsa_exception_int_div_zero 0
	.end_amdhsa_kernel
	.section	.text._ZN7rocprim17ROCPRIM_400000_NS6detail17trampoline_kernelINS0_14default_configENS1_38merge_sort_block_merge_config_selectorIiNS0_10empty_typeEEEZZNS1_27merge_sort_block_merge_implIS3_N6thrust23THRUST_200600_302600_NS6detail15normal_iteratorINS9_10device_ptrIiEEEEPS5_m17evens_before_oddsEE10hipError_tT0_T1_T2_jT3_P12ihipStream_tbPNSt15iterator_traitsISI_E10value_typeEPNSO_ISJ_E10value_typeEPSK_NS1_7vsmem_tEENKUlT_SI_SJ_SK_E_clIPiSE_SF_SF_EESH_SX_SI_SJ_SK_EUlSX_E1_NS1_11comp_targetILNS1_3genE4ELNS1_11target_archE910ELNS1_3gpuE8ELNS1_3repE0EEENS1_36merge_oddeven_config_static_selectorELNS0_4arch9wavefront6targetE0EEEvSJ_,"axG",@progbits,_ZN7rocprim17ROCPRIM_400000_NS6detail17trampoline_kernelINS0_14default_configENS1_38merge_sort_block_merge_config_selectorIiNS0_10empty_typeEEEZZNS1_27merge_sort_block_merge_implIS3_N6thrust23THRUST_200600_302600_NS6detail15normal_iteratorINS9_10device_ptrIiEEEEPS5_m17evens_before_oddsEE10hipError_tT0_T1_T2_jT3_P12ihipStream_tbPNSt15iterator_traitsISI_E10value_typeEPNSO_ISJ_E10value_typeEPSK_NS1_7vsmem_tEENKUlT_SI_SJ_SK_E_clIPiSE_SF_SF_EESH_SX_SI_SJ_SK_EUlSX_E1_NS1_11comp_targetILNS1_3genE4ELNS1_11target_archE910ELNS1_3gpuE8ELNS1_3repE0EEENS1_36merge_oddeven_config_static_selectorELNS0_4arch9wavefront6targetE0EEEvSJ_,comdat
.Lfunc_end427:
	.size	_ZN7rocprim17ROCPRIM_400000_NS6detail17trampoline_kernelINS0_14default_configENS1_38merge_sort_block_merge_config_selectorIiNS0_10empty_typeEEEZZNS1_27merge_sort_block_merge_implIS3_N6thrust23THRUST_200600_302600_NS6detail15normal_iteratorINS9_10device_ptrIiEEEEPS5_m17evens_before_oddsEE10hipError_tT0_T1_T2_jT3_P12ihipStream_tbPNSt15iterator_traitsISI_E10value_typeEPNSO_ISJ_E10value_typeEPSK_NS1_7vsmem_tEENKUlT_SI_SJ_SK_E_clIPiSE_SF_SF_EESH_SX_SI_SJ_SK_EUlSX_E1_NS1_11comp_targetILNS1_3genE4ELNS1_11target_archE910ELNS1_3gpuE8ELNS1_3repE0EEENS1_36merge_oddeven_config_static_selectorELNS0_4arch9wavefront6targetE0EEEvSJ_, .Lfunc_end427-_ZN7rocprim17ROCPRIM_400000_NS6detail17trampoline_kernelINS0_14default_configENS1_38merge_sort_block_merge_config_selectorIiNS0_10empty_typeEEEZZNS1_27merge_sort_block_merge_implIS3_N6thrust23THRUST_200600_302600_NS6detail15normal_iteratorINS9_10device_ptrIiEEEEPS5_m17evens_before_oddsEE10hipError_tT0_T1_T2_jT3_P12ihipStream_tbPNSt15iterator_traitsISI_E10value_typeEPNSO_ISJ_E10value_typeEPSK_NS1_7vsmem_tEENKUlT_SI_SJ_SK_E_clIPiSE_SF_SF_EESH_SX_SI_SJ_SK_EUlSX_E1_NS1_11comp_targetILNS1_3genE4ELNS1_11target_archE910ELNS1_3gpuE8ELNS1_3repE0EEENS1_36merge_oddeven_config_static_selectorELNS0_4arch9wavefront6targetE0EEEvSJ_
                                        ; -- End function
	.set _ZN7rocprim17ROCPRIM_400000_NS6detail17trampoline_kernelINS0_14default_configENS1_38merge_sort_block_merge_config_selectorIiNS0_10empty_typeEEEZZNS1_27merge_sort_block_merge_implIS3_N6thrust23THRUST_200600_302600_NS6detail15normal_iteratorINS9_10device_ptrIiEEEEPS5_m17evens_before_oddsEE10hipError_tT0_T1_T2_jT3_P12ihipStream_tbPNSt15iterator_traitsISI_E10value_typeEPNSO_ISJ_E10value_typeEPSK_NS1_7vsmem_tEENKUlT_SI_SJ_SK_E_clIPiSE_SF_SF_EESH_SX_SI_SJ_SK_EUlSX_E1_NS1_11comp_targetILNS1_3genE4ELNS1_11target_archE910ELNS1_3gpuE8ELNS1_3repE0EEENS1_36merge_oddeven_config_static_selectorELNS0_4arch9wavefront6targetE0EEEvSJ_.num_vgpr, 0
	.set _ZN7rocprim17ROCPRIM_400000_NS6detail17trampoline_kernelINS0_14default_configENS1_38merge_sort_block_merge_config_selectorIiNS0_10empty_typeEEEZZNS1_27merge_sort_block_merge_implIS3_N6thrust23THRUST_200600_302600_NS6detail15normal_iteratorINS9_10device_ptrIiEEEEPS5_m17evens_before_oddsEE10hipError_tT0_T1_T2_jT3_P12ihipStream_tbPNSt15iterator_traitsISI_E10value_typeEPNSO_ISJ_E10value_typeEPSK_NS1_7vsmem_tEENKUlT_SI_SJ_SK_E_clIPiSE_SF_SF_EESH_SX_SI_SJ_SK_EUlSX_E1_NS1_11comp_targetILNS1_3genE4ELNS1_11target_archE910ELNS1_3gpuE8ELNS1_3repE0EEENS1_36merge_oddeven_config_static_selectorELNS0_4arch9wavefront6targetE0EEEvSJ_.num_agpr, 0
	.set _ZN7rocprim17ROCPRIM_400000_NS6detail17trampoline_kernelINS0_14default_configENS1_38merge_sort_block_merge_config_selectorIiNS0_10empty_typeEEEZZNS1_27merge_sort_block_merge_implIS3_N6thrust23THRUST_200600_302600_NS6detail15normal_iteratorINS9_10device_ptrIiEEEEPS5_m17evens_before_oddsEE10hipError_tT0_T1_T2_jT3_P12ihipStream_tbPNSt15iterator_traitsISI_E10value_typeEPNSO_ISJ_E10value_typeEPSK_NS1_7vsmem_tEENKUlT_SI_SJ_SK_E_clIPiSE_SF_SF_EESH_SX_SI_SJ_SK_EUlSX_E1_NS1_11comp_targetILNS1_3genE4ELNS1_11target_archE910ELNS1_3gpuE8ELNS1_3repE0EEENS1_36merge_oddeven_config_static_selectorELNS0_4arch9wavefront6targetE0EEEvSJ_.numbered_sgpr, 0
	.set _ZN7rocprim17ROCPRIM_400000_NS6detail17trampoline_kernelINS0_14default_configENS1_38merge_sort_block_merge_config_selectorIiNS0_10empty_typeEEEZZNS1_27merge_sort_block_merge_implIS3_N6thrust23THRUST_200600_302600_NS6detail15normal_iteratorINS9_10device_ptrIiEEEEPS5_m17evens_before_oddsEE10hipError_tT0_T1_T2_jT3_P12ihipStream_tbPNSt15iterator_traitsISI_E10value_typeEPNSO_ISJ_E10value_typeEPSK_NS1_7vsmem_tEENKUlT_SI_SJ_SK_E_clIPiSE_SF_SF_EESH_SX_SI_SJ_SK_EUlSX_E1_NS1_11comp_targetILNS1_3genE4ELNS1_11target_archE910ELNS1_3gpuE8ELNS1_3repE0EEENS1_36merge_oddeven_config_static_selectorELNS0_4arch9wavefront6targetE0EEEvSJ_.num_named_barrier, 0
	.set _ZN7rocprim17ROCPRIM_400000_NS6detail17trampoline_kernelINS0_14default_configENS1_38merge_sort_block_merge_config_selectorIiNS0_10empty_typeEEEZZNS1_27merge_sort_block_merge_implIS3_N6thrust23THRUST_200600_302600_NS6detail15normal_iteratorINS9_10device_ptrIiEEEEPS5_m17evens_before_oddsEE10hipError_tT0_T1_T2_jT3_P12ihipStream_tbPNSt15iterator_traitsISI_E10value_typeEPNSO_ISJ_E10value_typeEPSK_NS1_7vsmem_tEENKUlT_SI_SJ_SK_E_clIPiSE_SF_SF_EESH_SX_SI_SJ_SK_EUlSX_E1_NS1_11comp_targetILNS1_3genE4ELNS1_11target_archE910ELNS1_3gpuE8ELNS1_3repE0EEENS1_36merge_oddeven_config_static_selectorELNS0_4arch9wavefront6targetE0EEEvSJ_.private_seg_size, 0
	.set _ZN7rocprim17ROCPRIM_400000_NS6detail17trampoline_kernelINS0_14default_configENS1_38merge_sort_block_merge_config_selectorIiNS0_10empty_typeEEEZZNS1_27merge_sort_block_merge_implIS3_N6thrust23THRUST_200600_302600_NS6detail15normal_iteratorINS9_10device_ptrIiEEEEPS5_m17evens_before_oddsEE10hipError_tT0_T1_T2_jT3_P12ihipStream_tbPNSt15iterator_traitsISI_E10value_typeEPNSO_ISJ_E10value_typeEPSK_NS1_7vsmem_tEENKUlT_SI_SJ_SK_E_clIPiSE_SF_SF_EESH_SX_SI_SJ_SK_EUlSX_E1_NS1_11comp_targetILNS1_3genE4ELNS1_11target_archE910ELNS1_3gpuE8ELNS1_3repE0EEENS1_36merge_oddeven_config_static_selectorELNS0_4arch9wavefront6targetE0EEEvSJ_.uses_vcc, 0
	.set _ZN7rocprim17ROCPRIM_400000_NS6detail17trampoline_kernelINS0_14default_configENS1_38merge_sort_block_merge_config_selectorIiNS0_10empty_typeEEEZZNS1_27merge_sort_block_merge_implIS3_N6thrust23THRUST_200600_302600_NS6detail15normal_iteratorINS9_10device_ptrIiEEEEPS5_m17evens_before_oddsEE10hipError_tT0_T1_T2_jT3_P12ihipStream_tbPNSt15iterator_traitsISI_E10value_typeEPNSO_ISJ_E10value_typeEPSK_NS1_7vsmem_tEENKUlT_SI_SJ_SK_E_clIPiSE_SF_SF_EESH_SX_SI_SJ_SK_EUlSX_E1_NS1_11comp_targetILNS1_3genE4ELNS1_11target_archE910ELNS1_3gpuE8ELNS1_3repE0EEENS1_36merge_oddeven_config_static_selectorELNS0_4arch9wavefront6targetE0EEEvSJ_.uses_flat_scratch, 0
	.set _ZN7rocprim17ROCPRIM_400000_NS6detail17trampoline_kernelINS0_14default_configENS1_38merge_sort_block_merge_config_selectorIiNS0_10empty_typeEEEZZNS1_27merge_sort_block_merge_implIS3_N6thrust23THRUST_200600_302600_NS6detail15normal_iteratorINS9_10device_ptrIiEEEEPS5_m17evens_before_oddsEE10hipError_tT0_T1_T2_jT3_P12ihipStream_tbPNSt15iterator_traitsISI_E10value_typeEPNSO_ISJ_E10value_typeEPSK_NS1_7vsmem_tEENKUlT_SI_SJ_SK_E_clIPiSE_SF_SF_EESH_SX_SI_SJ_SK_EUlSX_E1_NS1_11comp_targetILNS1_3genE4ELNS1_11target_archE910ELNS1_3gpuE8ELNS1_3repE0EEENS1_36merge_oddeven_config_static_selectorELNS0_4arch9wavefront6targetE0EEEvSJ_.has_dyn_sized_stack, 0
	.set _ZN7rocprim17ROCPRIM_400000_NS6detail17trampoline_kernelINS0_14default_configENS1_38merge_sort_block_merge_config_selectorIiNS0_10empty_typeEEEZZNS1_27merge_sort_block_merge_implIS3_N6thrust23THRUST_200600_302600_NS6detail15normal_iteratorINS9_10device_ptrIiEEEEPS5_m17evens_before_oddsEE10hipError_tT0_T1_T2_jT3_P12ihipStream_tbPNSt15iterator_traitsISI_E10value_typeEPNSO_ISJ_E10value_typeEPSK_NS1_7vsmem_tEENKUlT_SI_SJ_SK_E_clIPiSE_SF_SF_EESH_SX_SI_SJ_SK_EUlSX_E1_NS1_11comp_targetILNS1_3genE4ELNS1_11target_archE910ELNS1_3gpuE8ELNS1_3repE0EEENS1_36merge_oddeven_config_static_selectorELNS0_4arch9wavefront6targetE0EEEvSJ_.has_recursion, 0
	.set _ZN7rocprim17ROCPRIM_400000_NS6detail17trampoline_kernelINS0_14default_configENS1_38merge_sort_block_merge_config_selectorIiNS0_10empty_typeEEEZZNS1_27merge_sort_block_merge_implIS3_N6thrust23THRUST_200600_302600_NS6detail15normal_iteratorINS9_10device_ptrIiEEEEPS5_m17evens_before_oddsEE10hipError_tT0_T1_T2_jT3_P12ihipStream_tbPNSt15iterator_traitsISI_E10value_typeEPNSO_ISJ_E10value_typeEPSK_NS1_7vsmem_tEENKUlT_SI_SJ_SK_E_clIPiSE_SF_SF_EESH_SX_SI_SJ_SK_EUlSX_E1_NS1_11comp_targetILNS1_3genE4ELNS1_11target_archE910ELNS1_3gpuE8ELNS1_3repE0EEENS1_36merge_oddeven_config_static_selectorELNS0_4arch9wavefront6targetE0EEEvSJ_.has_indirect_call, 0
	.section	.AMDGPU.csdata,"",@progbits
; Kernel info:
; codeLenInByte = 0
; TotalNumSgprs: 0
; NumVgprs: 0
; ScratchSize: 0
; MemoryBound: 0
; FloatMode: 240
; IeeeMode: 1
; LDSByteSize: 0 bytes/workgroup (compile time only)
; SGPRBlocks: 0
; VGPRBlocks: 0
; NumSGPRsForWavesPerEU: 1
; NumVGPRsForWavesPerEU: 1
; Occupancy: 16
; WaveLimiterHint : 0
; COMPUTE_PGM_RSRC2:SCRATCH_EN: 0
; COMPUTE_PGM_RSRC2:USER_SGPR: 6
; COMPUTE_PGM_RSRC2:TRAP_HANDLER: 0
; COMPUTE_PGM_RSRC2:TGID_X_EN: 1
; COMPUTE_PGM_RSRC2:TGID_Y_EN: 0
; COMPUTE_PGM_RSRC2:TGID_Z_EN: 0
; COMPUTE_PGM_RSRC2:TIDIG_COMP_CNT: 0
	.section	.text._ZN7rocprim17ROCPRIM_400000_NS6detail17trampoline_kernelINS0_14default_configENS1_38merge_sort_block_merge_config_selectorIiNS0_10empty_typeEEEZZNS1_27merge_sort_block_merge_implIS3_N6thrust23THRUST_200600_302600_NS6detail15normal_iteratorINS9_10device_ptrIiEEEEPS5_m17evens_before_oddsEE10hipError_tT0_T1_T2_jT3_P12ihipStream_tbPNSt15iterator_traitsISI_E10value_typeEPNSO_ISJ_E10value_typeEPSK_NS1_7vsmem_tEENKUlT_SI_SJ_SK_E_clIPiSE_SF_SF_EESH_SX_SI_SJ_SK_EUlSX_E1_NS1_11comp_targetILNS1_3genE3ELNS1_11target_archE908ELNS1_3gpuE7ELNS1_3repE0EEENS1_36merge_oddeven_config_static_selectorELNS0_4arch9wavefront6targetE0EEEvSJ_,"axG",@progbits,_ZN7rocprim17ROCPRIM_400000_NS6detail17trampoline_kernelINS0_14default_configENS1_38merge_sort_block_merge_config_selectorIiNS0_10empty_typeEEEZZNS1_27merge_sort_block_merge_implIS3_N6thrust23THRUST_200600_302600_NS6detail15normal_iteratorINS9_10device_ptrIiEEEEPS5_m17evens_before_oddsEE10hipError_tT0_T1_T2_jT3_P12ihipStream_tbPNSt15iterator_traitsISI_E10value_typeEPNSO_ISJ_E10value_typeEPSK_NS1_7vsmem_tEENKUlT_SI_SJ_SK_E_clIPiSE_SF_SF_EESH_SX_SI_SJ_SK_EUlSX_E1_NS1_11comp_targetILNS1_3genE3ELNS1_11target_archE908ELNS1_3gpuE7ELNS1_3repE0EEENS1_36merge_oddeven_config_static_selectorELNS0_4arch9wavefront6targetE0EEEvSJ_,comdat
	.protected	_ZN7rocprim17ROCPRIM_400000_NS6detail17trampoline_kernelINS0_14default_configENS1_38merge_sort_block_merge_config_selectorIiNS0_10empty_typeEEEZZNS1_27merge_sort_block_merge_implIS3_N6thrust23THRUST_200600_302600_NS6detail15normal_iteratorINS9_10device_ptrIiEEEEPS5_m17evens_before_oddsEE10hipError_tT0_T1_T2_jT3_P12ihipStream_tbPNSt15iterator_traitsISI_E10value_typeEPNSO_ISJ_E10value_typeEPSK_NS1_7vsmem_tEENKUlT_SI_SJ_SK_E_clIPiSE_SF_SF_EESH_SX_SI_SJ_SK_EUlSX_E1_NS1_11comp_targetILNS1_3genE3ELNS1_11target_archE908ELNS1_3gpuE7ELNS1_3repE0EEENS1_36merge_oddeven_config_static_selectorELNS0_4arch9wavefront6targetE0EEEvSJ_ ; -- Begin function _ZN7rocprim17ROCPRIM_400000_NS6detail17trampoline_kernelINS0_14default_configENS1_38merge_sort_block_merge_config_selectorIiNS0_10empty_typeEEEZZNS1_27merge_sort_block_merge_implIS3_N6thrust23THRUST_200600_302600_NS6detail15normal_iteratorINS9_10device_ptrIiEEEEPS5_m17evens_before_oddsEE10hipError_tT0_T1_T2_jT3_P12ihipStream_tbPNSt15iterator_traitsISI_E10value_typeEPNSO_ISJ_E10value_typeEPSK_NS1_7vsmem_tEENKUlT_SI_SJ_SK_E_clIPiSE_SF_SF_EESH_SX_SI_SJ_SK_EUlSX_E1_NS1_11comp_targetILNS1_3genE3ELNS1_11target_archE908ELNS1_3gpuE7ELNS1_3repE0EEENS1_36merge_oddeven_config_static_selectorELNS0_4arch9wavefront6targetE0EEEvSJ_
	.globl	_ZN7rocprim17ROCPRIM_400000_NS6detail17trampoline_kernelINS0_14default_configENS1_38merge_sort_block_merge_config_selectorIiNS0_10empty_typeEEEZZNS1_27merge_sort_block_merge_implIS3_N6thrust23THRUST_200600_302600_NS6detail15normal_iteratorINS9_10device_ptrIiEEEEPS5_m17evens_before_oddsEE10hipError_tT0_T1_T2_jT3_P12ihipStream_tbPNSt15iterator_traitsISI_E10value_typeEPNSO_ISJ_E10value_typeEPSK_NS1_7vsmem_tEENKUlT_SI_SJ_SK_E_clIPiSE_SF_SF_EESH_SX_SI_SJ_SK_EUlSX_E1_NS1_11comp_targetILNS1_3genE3ELNS1_11target_archE908ELNS1_3gpuE7ELNS1_3repE0EEENS1_36merge_oddeven_config_static_selectorELNS0_4arch9wavefront6targetE0EEEvSJ_
	.p2align	8
	.type	_ZN7rocprim17ROCPRIM_400000_NS6detail17trampoline_kernelINS0_14default_configENS1_38merge_sort_block_merge_config_selectorIiNS0_10empty_typeEEEZZNS1_27merge_sort_block_merge_implIS3_N6thrust23THRUST_200600_302600_NS6detail15normal_iteratorINS9_10device_ptrIiEEEEPS5_m17evens_before_oddsEE10hipError_tT0_T1_T2_jT3_P12ihipStream_tbPNSt15iterator_traitsISI_E10value_typeEPNSO_ISJ_E10value_typeEPSK_NS1_7vsmem_tEENKUlT_SI_SJ_SK_E_clIPiSE_SF_SF_EESH_SX_SI_SJ_SK_EUlSX_E1_NS1_11comp_targetILNS1_3genE3ELNS1_11target_archE908ELNS1_3gpuE7ELNS1_3repE0EEENS1_36merge_oddeven_config_static_selectorELNS0_4arch9wavefront6targetE0EEEvSJ_,@function
_ZN7rocprim17ROCPRIM_400000_NS6detail17trampoline_kernelINS0_14default_configENS1_38merge_sort_block_merge_config_selectorIiNS0_10empty_typeEEEZZNS1_27merge_sort_block_merge_implIS3_N6thrust23THRUST_200600_302600_NS6detail15normal_iteratorINS9_10device_ptrIiEEEEPS5_m17evens_before_oddsEE10hipError_tT0_T1_T2_jT3_P12ihipStream_tbPNSt15iterator_traitsISI_E10value_typeEPNSO_ISJ_E10value_typeEPSK_NS1_7vsmem_tEENKUlT_SI_SJ_SK_E_clIPiSE_SF_SF_EESH_SX_SI_SJ_SK_EUlSX_E1_NS1_11comp_targetILNS1_3genE3ELNS1_11target_archE908ELNS1_3gpuE7ELNS1_3repE0EEENS1_36merge_oddeven_config_static_selectorELNS0_4arch9wavefront6targetE0EEEvSJ_: ; @_ZN7rocprim17ROCPRIM_400000_NS6detail17trampoline_kernelINS0_14default_configENS1_38merge_sort_block_merge_config_selectorIiNS0_10empty_typeEEEZZNS1_27merge_sort_block_merge_implIS3_N6thrust23THRUST_200600_302600_NS6detail15normal_iteratorINS9_10device_ptrIiEEEEPS5_m17evens_before_oddsEE10hipError_tT0_T1_T2_jT3_P12ihipStream_tbPNSt15iterator_traitsISI_E10value_typeEPNSO_ISJ_E10value_typeEPSK_NS1_7vsmem_tEENKUlT_SI_SJ_SK_E_clIPiSE_SF_SF_EESH_SX_SI_SJ_SK_EUlSX_E1_NS1_11comp_targetILNS1_3genE3ELNS1_11target_archE908ELNS1_3gpuE7ELNS1_3repE0EEENS1_36merge_oddeven_config_static_selectorELNS0_4arch9wavefront6targetE0EEEvSJ_
; %bb.0:
	.section	.rodata,"a",@progbits
	.p2align	6, 0x0
	.amdhsa_kernel _ZN7rocprim17ROCPRIM_400000_NS6detail17trampoline_kernelINS0_14default_configENS1_38merge_sort_block_merge_config_selectorIiNS0_10empty_typeEEEZZNS1_27merge_sort_block_merge_implIS3_N6thrust23THRUST_200600_302600_NS6detail15normal_iteratorINS9_10device_ptrIiEEEEPS5_m17evens_before_oddsEE10hipError_tT0_T1_T2_jT3_P12ihipStream_tbPNSt15iterator_traitsISI_E10value_typeEPNSO_ISJ_E10value_typeEPSK_NS1_7vsmem_tEENKUlT_SI_SJ_SK_E_clIPiSE_SF_SF_EESH_SX_SI_SJ_SK_EUlSX_E1_NS1_11comp_targetILNS1_3genE3ELNS1_11target_archE908ELNS1_3gpuE7ELNS1_3repE0EEENS1_36merge_oddeven_config_static_selectorELNS0_4arch9wavefront6targetE0EEEvSJ_
		.amdhsa_group_segment_fixed_size 0
		.amdhsa_private_segment_fixed_size 0
		.amdhsa_kernarg_size 56
		.amdhsa_user_sgpr_count 6
		.amdhsa_user_sgpr_private_segment_buffer 1
		.amdhsa_user_sgpr_dispatch_ptr 0
		.amdhsa_user_sgpr_queue_ptr 0
		.amdhsa_user_sgpr_kernarg_segment_ptr 1
		.amdhsa_user_sgpr_dispatch_id 0
		.amdhsa_user_sgpr_flat_scratch_init 0
		.amdhsa_user_sgpr_private_segment_size 0
		.amdhsa_wavefront_size32 1
		.amdhsa_uses_dynamic_stack 0
		.amdhsa_system_sgpr_private_segment_wavefront_offset 0
		.amdhsa_system_sgpr_workgroup_id_x 1
		.amdhsa_system_sgpr_workgroup_id_y 0
		.amdhsa_system_sgpr_workgroup_id_z 0
		.amdhsa_system_sgpr_workgroup_info 0
		.amdhsa_system_vgpr_workitem_id 0
		.amdhsa_next_free_vgpr 1
		.amdhsa_next_free_sgpr 1
		.amdhsa_reserve_vcc 0
		.amdhsa_reserve_flat_scratch 0
		.amdhsa_float_round_mode_32 0
		.amdhsa_float_round_mode_16_64 0
		.amdhsa_float_denorm_mode_32 3
		.amdhsa_float_denorm_mode_16_64 3
		.amdhsa_dx10_clamp 1
		.amdhsa_ieee_mode 1
		.amdhsa_fp16_overflow 0
		.amdhsa_workgroup_processor_mode 1
		.amdhsa_memory_ordered 1
		.amdhsa_forward_progress 1
		.amdhsa_shared_vgpr_count 0
		.amdhsa_exception_fp_ieee_invalid_op 0
		.amdhsa_exception_fp_denorm_src 0
		.amdhsa_exception_fp_ieee_div_zero 0
		.amdhsa_exception_fp_ieee_overflow 0
		.amdhsa_exception_fp_ieee_underflow 0
		.amdhsa_exception_fp_ieee_inexact 0
		.amdhsa_exception_int_div_zero 0
	.end_amdhsa_kernel
	.section	.text._ZN7rocprim17ROCPRIM_400000_NS6detail17trampoline_kernelINS0_14default_configENS1_38merge_sort_block_merge_config_selectorIiNS0_10empty_typeEEEZZNS1_27merge_sort_block_merge_implIS3_N6thrust23THRUST_200600_302600_NS6detail15normal_iteratorINS9_10device_ptrIiEEEEPS5_m17evens_before_oddsEE10hipError_tT0_T1_T2_jT3_P12ihipStream_tbPNSt15iterator_traitsISI_E10value_typeEPNSO_ISJ_E10value_typeEPSK_NS1_7vsmem_tEENKUlT_SI_SJ_SK_E_clIPiSE_SF_SF_EESH_SX_SI_SJ_SK_EUlSX_E1_NS1_11comp_targetILNS1_3genE3ELNS1_11target_archE908ELNS1_3gpuE7ELNS1_3repE0EEENS1_36merge_oddeven_config_static_selectorELNS0_4arch9wavefront6targetE0EEEvSJ_,"axG",@progbits,_ZN7rocprim17ROCPRIM_400000_NS6detail17trampoline_kernelINS0_14default_configENS1_38merge_sort_block_merge_config_selectorIiNS0_10empty_typeEEEZZNS1_27merge_sort_block_merge_implIS3_N6thrust23THRUST_200600_302600_NS6detail15normal_iteratorINS9_10device_ptrIiEEEEPS5_m17evens_before_oddsEE10hipError_tT0_T1_T2_jT3_P12ihipStream_tbPNSt15iterator_traitsISI_E10value_typeEPNSO_ISJ_E10value_typeEPSK_NS1_7vsmem_tEENKUlT_SI_SJ_SK_E_clIPiSE_SF_SF_EESH_SX_SI_SJ_SK_EUlSX_E1_NS1_11comp_targetILNS1_3genE3ELNS1_11target_archE908ELNS1_3gpuE7ELNS1_3repE0EEENS1_36merge_oddeven_config_static_selectorELNS0_4arch9wavefront6targetE0EEEvSJ_,comdat
.Lfunc_end428:
	.size	_ZN7rocprim17ROCPRIM_400000_NS6detail17trampoline_kernelINS0_14default_configENS1_38merge_sort_block_merge_config_selectorIiNS0_10empty_typeEEEZZNS1_27merge_sort_block_merge_implIS3_N6thrust23THRUST_200600_302600_NS6detail15normal_iteratorINS9_10device_ptrIiEEEEPS5_m17evens_before_oddsEE10hipError_tT0_T1_T2_jT3_P12ihipStream_tbPNSt15iterator_traitsISI_E10value_typeEPNSO_ISJ_E10value_typeEPSK_NS1_7vsmem_tEENKUlT_SI_SJ_SK_E_clIPiSE_SF_SF_EESH_SX_SI_SJ_SK_EUlSX_E1_NS1_11comp_targetILNS1_3genE3ELNS1_11target_archE908ELNS1_3gpuE7ELNS1_3repE0EEENS1_36merge_oddeven_config_static_selectorELNS0_4arch9wavefront6targetE0EEEvSJ_, .Lfunc_end428-_ZN7rocprim17ROCPRIM_400000_NS6detail17trampoline_kernelINS0_14default_configENS1_38merge_sort_block_merge_config_selectorIiNS0_10empty_typeEEEZZNS1_27merge_sort_block_merge_implIS3_N6thrust23THRUST_200600_302600_NS6detail15normal_iteratorINS9_10device_ptrIiEEEEPS5_m17evens_before_oddsEE10hipError_tT0_T1_T2_jT3_P12ihipStream_tbPNSt15iterator_traitsISI_E10value_typeEPNSO_ISJ_E10value_typeEPSK_NS1_7vsmem_tEENKUlT_SI_SJ_SK_E_clIPiSE_SF_SF_EESH_SX_SI_SJ_SK_EUlSX_E1_NS1_11comp_targetILNS1_3genE3ELNS1_11target_archE908ELNS1_3gpuE7ELNS1_3repE0EEENS1_36merge_oddeven_config_static_selectorELNS0_4arch9wavefront6targetE0EEEvSJ_
                                        ; -- End function
	.set _ZN7rocprim17ROCPRIM_400000_NS6detail17trampoline_kernelINS0_14default_configENS1_38merge_sort_block_merge_config_selectorIiNS0_10empty_typeEEEZZNS1_27merge_sort_block_merge_implIS3_N6thrust23THRUST_200600_302600_NS6detail15normal_iteratorINS9_10device_ptrIiEEEEPS5_m17evens_before_oddsEE10hipError_tT0_T1_T2_jT3_P12ihipStream_tbPNSt15iterator_traitsISI_E10value_typeEPNSO_ISJ_E10value_typeEPSK_NS1_7vsmem_tEENKUlT_SI_SJ_SK_E_clIPiSE_SF_SF_EESH_SX_SI_SJ_SK_EUlSX_E1_NS1_11comp_targetILNS1_3genE3ELNS1_11target_archE908ELNS1_3gpuE7ELNS1_3repE0EEENS1_36merge_oddeven_config_static_selectorELNS0_4arch9wavefront6targetE0EEEvSJ_.num_vgpr, 0
	.set _ZN7rocprim17ROCPRIM_400000_NS6detail17trampoline_kernelINS0_14default_configENS1_38merge_sort_block_merge_config_selectorIiNS0_10empty_typeEEEZZNS1_27merge_sort_block_merge_implIS3_N6thrust23THRUST_200600_302600_NS6detail15normal_iteratorINS9_10device_ptrIiEEEEPS5_m17evens_before_oddsEE10hipError_tT0_T1_T2_jT3_P12ihipStream_tbPNSt15iterator_traitsISI_E10value_typeEPNSO_ISJ_E10value_typeEPSK_NS1_7vsmem_tEENKUlT_SI_SJ_SK_E_clIPiSE_SF_SF_EESH_SX_SI_SJ_SK_EUlSX_E1_NS1_11comp_targetILNS1_3genE3ELNS1_11target_archE908ELNS1_3gpuE7ELNS1_3repE0EEENS1_36merge_oddeven_config_static_selectorELNS0_4arch9wavefront6targetE0EEEvSJ_.num_agpr, 0
	.set _ZN7rocprim17ROCPRIM_400000_NS6detail17trampoline_kernelINS0_14default_configENS1_38merge_sort_block_merge_config_selectorIiNS0_10empty_typeEEEZZNS1_27merge_sort_block_merge_implIS3_N6thrust23THRUST_200600_302600_NS6detail15normal_iteratorINS9_10device_ptrIiEEEEPS5_m17evens_before_oddsEE10hipError_tT0_T1_T2_jT3_P12ihipStream_tbPNSt15iterator_traitsISI_E10value_typeEPNSO_ISJ_E10value_typeEPSK_NS1_7vsmem_tEENKUlT_SI_SJ_SK_E_clIPiSE_SF_SF_EESH_SX_SI_SJ_SK_EUlSX_E1_NS1_11comp_targetILNS1_3genE3ELNS1_11target_archE908ELNS1_3gpuE7ELNS1_3repE0EEENS1_36merge_oddeven_config_static_selectorELNS0_4arch9wavefront6targetE0EEEvSJ_.numbered_sgpr, 0
	.set _ZN7rocprim17ROCPRIM_400000_NS6detail17trampoline_kernelINS0_14default_configENS1_38merge_sort_block_merge_config_selectorIiNS0_10empty_typeEEEZZNS1_27merge_sort_block_merge_implIS3_N6thrust23THRUST_200600_302600_NS6detail15normal_iteratorINS9_10device_ptrIiEEEEPS5_m17evens_before_oddsEE10hipError_tT0_T1_T2_jT3_P12ihipStream_tbPNSt15iterator_traitsISI_E10value_typeEPNSO_ISJ_E10value_typeEPSK_NS1_7vsmem_tEENKUlT_SI_SJ_SK_E_clIPiSE_SF_SF_EESH_SX_SI_SJ_SK_EUlSX_E1_NS1_11comp_targetILNS1_3genE3ELNS1_11target_archE908ELNS1_3gpuE7ELNS1_3repE0EEENS1_36merge_oddeven_config_static_selectorELNS0_4arch9wavefront6targetE0EEEvSJ_.num_named_barrier, 0
	.set _ZN7rocprim17ROCPRIM_400000_NS6detail17trampoline_kernelINS0_14default_configENS1_38merge_sort_block_merge_config_selectorIiNS0_10empty_typeEEEZZNS1_27merge_sort_block_merge_implIS3_N6thrust23THRUST_200600_302600_NS6detail15normal_iteratorINS9_10device_ptrIiEEEEPS5_m17evens_before_oddsEE10hipError_tT0_T1_T2_jT3_P12ihipStream_tbPNSt15iterator_traitsISI_E10value_typeEPNSO_ISJ_E10value_typeEPSK_NS1_7vsmem_tEENKUlT_SI_SJ_SK_E_clIPiSE_SF_SF_EESH_SX_SI_SJ_SK_EUlSX_E1_NS1_11comp_targetILNS1_3genE3ELNS1_11target_archE908ELNS1_3gpuE7ELNS1_3repE0EEENS1_36merge_oddeven_config_static_selectorELNS0_4arch9wavefront6targetE0EEEvSJ_.private_seg_size, 0
	.set _ZN7rocprim17ROCPRIM_400000_NS6detail17trampoline_kernelINS0_14default_configENS1_38merge_sort_block_merge_config_selectorIiNS0_10empty_typeEEEZZNS1_27merge_sort_block_merge_implIS3_N6thrust23THRUST_200600_302600_NS6detail15normal_iteratorINS9_10device_ptrIiEEEEPS5_m17evens_before_oddsEE10hipError_tT0_T1_T2_jT3_P12ihipStream_tbPNSt15iterator_traitsISI_E10value_typeEPNSO_ISJ_E10value_typeEPSK_NS1_7vsmem_tEENKUlT_SI_SJ_SK_E_clIPiSE_SF_SF_EESH_SX_SI_SJ_SK_EUlSX_E1_NS1_11comp_targetILNS1_3genE3ELNS1_11target_archE908ELNS1_3gpuE7ELNS1_3repE0EEENS1_36merge_oddeven_config_static_selectorELNS0_4arch9wavefront6targetE0EEEvSJ_.uses_vcc, 0
	.set _ZN7rocprim17ROCPRIM_400000_NS6detail17trampoline_kernelINS0_14default_configENS1_38merge_sort_block_merge_config_selectorIiNS0_10empty_typeEEEZZNS1_27merge_sort_block_merge_implIS3_N6thrust23THRUST_200600_302600_NS6detail15normal_iteratorINS9_10device_ptrIiEEEEPS5_m17evens_before_oddsEE10hipError_tT0_T1_T2_jT3_P12ihipStream_tbPNSt15iterator_traitsISI_E10value_typeEPNSO_ISJ_E10value_typeEPSK_NS1_7vsmem_tEENKUlT_SI_SJ_SK_E_clIPiSE_SF_SF_EESH_SX_SI_SJ_SK_EUlSX_E1_NS1_11comp_targetILNS1_3genE3ELNS1_11target_archE908ELNS1_3gpuE7ELNS1_3repE0EEENS1_36merge_oddeven_config_static_selectorELNS0_4arch9wavefront6targetE0EEEvSJ_.uses_flat_scratch, 0
	.set _ZN7rocprim17ROCPRIM_400000_NS6detail17trampoline_kernelINS0_14default_configENS1_38merge_sort_block_merge_config_selectorIiNS0_10empty_typeEEEZZNS1_27merge_sort_block_merge_implIS3_N6thrust23THRUST_200600_302600_NS6detail15normal_iteratorINS9_10device_ptrIiEEEEPS5_m17evens_before_oddsEE10hipError_tT0_T1_T2_jT3_P12ihipStream_tbPNSt15iterator_traitsISI_E10value_typeEPNSO_ISJ_E10value_typeEPSK_NS1_7vsmem_tEENKUlT_SI_SJ_SK_E_clIPiSE_SF_SF_EESH_SX_SI_SJ_SK_EUlSX_E1_NS1_11comp_targetILNS1_3genE3ELNS1_11target_archE908ELNS1_3gpuE7ELNS1_3repE0EEENS1_36merge_oddeven_config_static_selectorELNS0_4arch9wavefront6targetE0EEEvSJ_.has_dyn_sized_stack, 0
	.set _ZN7rocprim17ROCPRIM_400000_NS6detail17trampoline_kernelINS0_14default_configENS1_38merge_sort_block_merge_config_selectorIiNS0_10empty_typeEEEZZNS1_27merge_sort_block_merge_implIS3_N6thrust23THRUST_200600_302600_NS6detail15normal_iteratorINS9_10device_ptrIiEEEEPS5_m17evens_before_oddsEE10hipError_tT0_T1_T2_jT3_P12ihipStream_tbPNSt15iterator_traitsISI_E10value_typeEPNSO_ISJ_E10value_typeEPSK_NS1_7vsmem_tEENKUlT_SI_SJ_SK_E_clIPiSE_SF_SF_EESH_SX_SI_SJ_SK_EUlSX_E1_NS1_11comp_targetILNS1_3genE3ELNS1_11target_archE908ELNS1_3gpuE7ELNS1_3repE0EEENS1_36merge_oddeven_config_static_selectorELNS0_4arch9wavefront6targetE0EEEvSJ_.has_recursion, 0
	.set _ZN7rocprim17ROCPRIM_400000_NS6detail17trampoline_kernelINS0_14default_configENS1_38merge_sort_block_merge_config_selectorIiNS0_10empty_typeEEEZZNS1_27merge_sort_block_merge_implIS3_N6thrust23THRUST_200600_302600_NS6detail15normal_iteratorINS9_10device_ptrIiEEEEPS5_m17evens_before_oddsEE10hipError_tT0_T1_T2_jT3_P12ihipStream_tbPNSt15iterator_traitsISI_E10value_typeEPNSO_ISJ_E10value_typeEPSK_NS1_7vsmem_tEENKUlT_SI_SJ_SK_E_clIPiSE_SF_SF_EESH_SX_SI_SJ_SK_EUlSX_E1_NS1_11comp_targetILNS1_3genE3ELNS1_11target_archE908ELNS1_3gpuE7ELNS1_3repE0EEENS1_36merge_oddeven_config_static_selectorELNS0_4arch9wavefront6targetE0EEEvSJ_.has_indirect_call, 0
	.section	.AMDGPU.csdata,"",@progbits
; Kernel info:
; codeLenInByte = 0
; TotalNumSgprs: 0
; NumVgprs: 0
; ScratchSize: 0
; MemoryBound: 0
; FloatMode: 240
; IeeeMode: 1
; LDSByteSize: 0 bytes/workgroup (compile time only)
; SGPRBlocks: 0
; VGPRBlocks: 0
; NumSGPRsForWavesPerEU: 1
; NumVGPRsForWavesPerEU: 1
; Occupancy: 16
; WaveLimiterHint : 0
; COMPUTE_PGM_RSRC2:SCRATCH_EN: 0
; COMPUTE_PGM_RSRC2:USER_SGPR: 6
; COMPUTE_PGM_RSRC2:TRAP_HANDLER: 0
; COMPUTE_PGM_RSRC2:TGID_X_EN: 1
; COMPUTE_PGM_RSRC2:TGID_Y_EN: 0
; COMPUTE_PGM_RSRC2:TGID_Z_EN: 0
; COMPUTE_PGM_RSRC2:TIDIG_COMP_CNT: 0
	.section	.text._ZN7rocprim17ROCPRIM_400000_NS6detail17trampoline_kernelINS0_14default_configENS1_38merge_sort_block_merge_config_selectorIiNS0_10empty_typeEEEZZNS1_27merge_sort_block_merge_implIS3_N6thrust23THRUST_200600_302600_NS6detail15normal_iteratorINS9_10device_ptrIiEEEEPS5_m17evens_before_oddsEE10hipError_tT0_T1_T2_jT3_P12ihipStream_tbPNSt15iterator_traitsISI_E10value_typeEPNSO_ISJ_E10value_typeEPSK_NS1_7vsmem_tEENKUlT_SI_SJ_SK_E_clIPiSE_SF_SF_EESH_SX_SI_SJ_SK_EUlSX_E1_NS1_11comp_targetILNS1_3genE2ELNS1_11target_archE906ELNS1_3gpuE6ELNS1_3repE0EEENS1_36merge_oddeven_config_static_selectorELNS0_4arch9wavefront6targetE0EEEvSJ_,"axG",@progbits,_ZN7rocprim17ROCPRIM_400000_NS6detail17trampoline_kernelINS0_14default_configENS1_38merge_sort_block_merge_config_selectorIiNS0_10empty_typeEEEZZNS1_27merge_sort_block_merge_implIS3_N6thrust23THRUST_200600_302600_NS6detail15normal_iteratorINS9_10device_ptrIiEEEEPS5_m17evens_before_oddsEE10hipError_tT0_T1_T2_jT3_P12ihipStream_tbPNSt15iterator_traitsISI_E10value_typeEPNSO_ISJ_E10value_typeEPSK_NS1_7vsmem_tEENKUlT_SI_SJ_SK_E_clIPiSE_SF_SF_EESH_SX_SI_SJ_SK_EUlSX_E1_NS1_11comp_targetILNS1_3genE2ELNS1_11target_archE906ELNS1_3gpuE6ELNS1_3repE0EEENS1_36merge_oddeven_config_static_selectorELNS0_4arch9wavefront6targetE0EEEvSJ_,comdat
	.protected	_ZN7rocprim17ROCPRIM_400000_NS6detail17trampoline_kernelINS0_14default_configENS1_38merge_sort_block_merge_config_selectorIiNS0_10empty_typeEEEZZNS1_27merge_sort_block_merge_implIS3_N6thrust23THRUST_200600_302600_NS6detail15normal_iteratorINS9_10device_ptrIiEEEEPS5_m17evens_before_oddsEE10hipError_tT0_T1_T2_jT3_P12ihipStream_tbPNSt15iterator_traitsISI_E10value_typeEPNSO_ISJ_E10value_typeEPSK_NS1_7vsmem_tEENKUlT_SI_SJ_SK_E_clIPiSE_SF_SF_EESH_SX_SI_SJ_SK_EUlSX_E1_NS1_11comp_targetILNS1_3genE2ELNS1_11target_archE906ELNS1_3gpuE6ELNS1_3repE0EEENS1_36merge_oddeven_config_static_selectorELNS0_4arch9wavefront6targetE0EEEvSJ_ ; -- Begin function _ZN7rocprim17ROCPRIM_400000_NS6detail17trampoline_kernelINS0_14default_configENS1_38merge_sort_block_merge_config_selectorIiNS0_10empty_typeEEEZZNS1_27merge_sort_block_merge_implIS3_N6thrust23THRUST_200600_302600_NS6detail15normal_iteratorINS9_10device_ptrIiEEEEPS5_m17evens_before_oddsEE10hipError_tT0_T1_T2_jT3_P12ihipStream_tbPNSt15iterator_traitsISI_E10value_typeEPNSO_ISJ_E10value_typeEPSK_NS1_7vsmem_tEENKUlT_SI_SJ_SK_E_clIPiSE_SF_SF_EESH_SX_SI_SJ_SK_EUlSX_E1_NS1_11comp_targetILNS1_3genE2ELNS1_11target_archE906ELNS1_3gpuE6ELNS1_3repE0EEENS1_36merge_oddeven_config_static_selectorELNS0_4arch9wavefront6targetE0EEEvSJ_
	.globl	_ZN7rocprim17ROCPRIM_400000_NS6detail17trampoline_kernelINS0_14default_configENS1_38merge_sort_block_merge_config_selectorIiNS0_10empty_typeEEEZZNS1_27merge_sort_block_merge_implIS3_N6thrust23THRUST_200600_302600_NS6detail15normal_iteratorINS9_10device_ptrIiEEEEPS5_m17evens_before_oddsEE10hipError_tT0_T1_T2_jT3_P12ihipStream_tbPNSt15iterator_traitsISI_E10value_typeEPNSO_ISJ_E10value_typeEPSK_NS1_7vsmem_tEENKUlT_SI_SJ_SK_E_clIPiSE_SF_SF_EESH_SX_SI_SJ_SK_EUlSX_E1_NS1_11comp_targetILNS1_3genE2ELNS1_11target_archE906ELNS1_3gpuE6ELNS1_3repE0EEENS1_36merge_oddeven_config_static_selectorELNS0_4arch9wavefront6targetE0EEEvSJ_
	.p2align	8
	.type	_ZN7rocprim17ROCPRIM_400000_NS6detail17trampoline_kernelINS0_14default_configENS1_38merge_sort_block_merge_config_selectorIiNS0_10empty_typeEEEZZNS1_27merge_sort_block_merge_implIS3_N6thrust23THRUST_200600_302600_NS6detail15normal_iteratorINS9_10device_ptrIiEEEEPS5_m17evens_before_oddsEE10hipError_tT0_T1_T2_jT3_P12ihipStream_tbPNSt15iterator_traitsISI_E10value_typeEPNSO_ISJ_E10value_typeEPSK_NS1_7vsmem_tEENKUlT_SI_SJ_SK_E_clIPiSE_SF_SF_EESH_SX_SI_SJ_SK_EUlSX_E1_NS1_11comp_targetILNS1_3genE2ELNS1_11target_archE906ELNS1_3gpuE6ELNS1_3repE0EEENS1_36merge_oddeven_config_static_selectorELNS0_4arch9wavefront6targetE0EEEvSJ_,@function
_ZN7rocprim17ROCPRIM_400000_NS6detail17trampoline_kernelINS0_14default_configENS1_38merge_sort_block_merge_config_selectorIiNS0_10empty_typeEEEZZNS1_27merge_sort_block_merge_implIS3_N6thrust23THRUST_200600_302600_NS6detail15normal_iteratorINS9_10device_ptrIiEEEEPS5_m17evens_before_oddsEE10hipError_tT0_T1_T2_jT3_P12ihipStream_tbPNSt15iterator_traitsISI_E10value_typeEPNSO_ISJ_E10value_typeEPSK_NS1_7vsmem_tEENKUlT_SI_SJ_SK_E_clIPiSE_SF_SF_EESH_SX_SI_SJ_SK_EUlSX_E1_NS1_11comp_targetILNS1_3genE2ELNS1_11target_archE906ELNS1_3gpuE6ELNS1_3repE0EEENS1_36merge_oddeven_config_static_selectorELNS0_4arch9wavefront6targetE0EEEvSJ_: ; @_ZN7rocprim17ROCPRIM_400000_NS6detail17trampoline_kernelINS0_14default_configENS1_38merge_sort_block_merge_config_selectorIiNS0_10empty_typeEEEZZNS1_27merge_sort_block_merge_implIS3_N6thrust23THRUST_200600_302600_NS6detail15normal_iteratorINS9_10device_ptrIiEEEEPS5_m17evens_before_oddsEE10hipError_tT0_T1_T2_jT3_P12ihipStream_tbPNSt15iterator_traitsISI_E10value_typeEPNSO_ISJ_E10value_typeEPSK_NS1_7vsmem_tEENKUlT_SI_SJ_SK_E_clIPiSE_SF_SF_EESH_SX_SI_SJ_SK_EUlSX_E1_NS1_11comp_targetILNS1_3genE2ELNS1_11target_archE906ELNS1_3gpuE6ELNS1_3repE0EEENS1_36merge_oddeven_config_static_selectorELNS0_4arch9wavefront6targetE0EEEvSJ_
; %bb.0:
	.section	.rodata,"a",@progbits
	.p2align	6, 0x0
	.amdhsa_kernel _ZN7rocprim17ROCPRIM_400000_NS6detail17trampoline_kernelINS0_14default_configENS1_38merge_sort_block_merge_config_selectorIiNS0_10empty_typeEEEZZNS1_27merge_sort_block_merge_implIS3_N6thrust23THRUST_200600_302600_NS6detail15normal_iteratorINS9_10device_ptrIiEEEEPS5_m17evens_before_oddsEE10hipError_tT0_T1_T2_jT3_P12ihipStream_tbPNSt15iterator_traitsISI_E10value_typeEPNSO_ISJ_E10value_typeEPSK_NS1_7vsmem_tEENKUlT_SI_SJ_SK_E_clIPiSE_SF_SF_EESH_SX_SI_SJ_SK_EUlSX_E1_NS1_11comp_targetILNS1_3genE2ELNS1_11target_archE906ELNS1_3gpuE6ELNS1_3repE0EEENS1_36merge_oddeven_config_static_selectorELNS0_4arch9wavefront6targetE0EEEvSJ_
		.amdhsa_group_segment_fixed_size 0
		.amdhsa_private_segment_fixed_size 0
		.amdhsa_kernarg_size 56
		.amdhsa_user_sgpr_count 6
		.amdhsa_user_sgpr_private_segment_buffer 1
		.amdhsa_user_sgpr_dispatch_ptr 0
		.amdhsa_user_sgpr_queue_ptr 0
		.amdhsa_user_sgpr_kernarg_segment_ptr 1
		.amdhsa_user_sgpr_dispatch_id 0
		.amdhsa_user_sgpr_flat_scratch_init 0
		.amdhsa_user_sgpr_private_segment_size 0
		.amdhsa_wavefront_size32 1
		.amdhsa_uses_dynamic_stack 0
		.amdhsa_system_sgpr_private_segment_wavefront_offset 0
		.amdhsa_system_sgpr_workgroup_id_x 1
		.amdhsa_system_sgpr_workgroup_id_y 0
		.amdhsa_system_sgpr_workgroup_id_z 0
		.amdhsa_system_sgpr_workgroup_info 0
		.amdhsa_system_vgpr_workitem_id 0
		.amdhsa_next_free_vgpr 1
		.amdhsa_next_free_sgpr 1
		.amdhsa_reserve_vcc 0
		.amdhsa_reserve_flat_scratch 0
		.amdhsa_float_round_mode_32 0
		.amdhsa_float_round_mode_16_64 0
		.amdhsa_float_denorm_mode_32 3
		.amdhsa_float_denorm_mode_16_64 3
		.amdhsa_dx10_clamp 1
		.amdhsa_ieee_mode 1
		.amdhsa_fp16_overflow 0
		.amdhsa_workgroup_processor_mode 1
		.amdhsa_memory_ordered 1
		.amdhsa_forward_progress 1
		.amdhsa_shared_vgpr_count 0
		.amdhsa_exception_fp_ieee_invalid_op 0
		.amdhsa_exception_fp_denorm_src 0
		.amdhsa_exception_fp_ieee_div_zero 0
		.amdhsa_exception_fp_ieee_overflow 0
		.amdhsa_exception_fp_ieee_underflow 0
		.amdhsa_exception_fp_ieee_inexact 0
		.amdhsa_exception_int_div_zero 0
	.end_amdhsa_kernel
	.section	.text._ZN7rocprim17ROCPRIM_400000_NS6detail17trampoline_kernelINS0_14default_configENS1_38merge_sort_block_merge_config_selectorIiNS0_10empty_typeEEEZZNS1_27merge_sort_block_merge_implIS3_N6thrust23THRUST_200600_302600_NS6detail15normal_iteratorINS9_10device_ptrIiEEEEPS5_m17evens_before_oddsEE10hipError_tT0_T1_T2_jT3_P12ihipStream_tbPNSt15iterator_traitsISI_E10value_typeEPNSO_ISJ_E10value_typeEPSK_NS1_7vsmem_tEENKUlT_SI_SJ_SK_E_clIPiSE_SF_SF_EESH_SX_SI_SJ_SK_EUlSX_E1_NS1_11comp_targetILNS1_3genE2ELNS1_11target_archE906ELNS1_3gpuE6ELNS1_3repE0EEENS1_36merge_oddeven_config_static_selectorELNS0_4arch9wavefront6targetE0EEEvSJ_,"axG",@progbits,_ZN7rocprim17ROCPRIM_400000_NS6detail17trampoline_kernelINS0_14default_configENS1_38merge_sort_block_merge_config_selectorIiNS0_10empty_typeEEEZZNS1_27merge_sort_block_merge_implIS3_N6thrust23THRUST_200600_302600_NS6detail15normal_iteratorINS9_10device_ptrIiEEEEPS5_m17evens_before_oddsEE10hipError_tT0_T1_T2_jT3_P12ihipStream_tbPNSt15iterator_traitsISI_E10value_typeEPNSO_ISJ_E10value_typeEPSK_NS1_7vsmem_tEENKUlT_SI_SJ_SK_E_clIPiSE_SF_SF_EESH_SX_SI_SJ_SK_EUlSX_E1_NS1_11comp_targetILNS1_3genE2ELNS1_11target_archE906ELNS1_3gpuE6ELNS1_3repE0EEENS1_36merge_oddeven_config_static_selectorELNS0_4arch9wavefront6targetE0EEEvSJ_,comdat
.Lfunc_end429:
	.size	_ZN7rocprim17ROCPRIM_400000_NS6detail17trampoline_kernelINS0_14default_configENS1_38merge_sort_block_merge_config_selectorIiNS0_10empty_typeEEEZZNS1_27merge_sort_block_merge_implIS3_N6thrust23THRUST_200600_302600_NS6detail15normal_iteratorINS9_10device_ptrIiEEEEPS5_m17evens_before_oddsEE10hipError_tT0_T1_T2_jT3_P12ihipStream_tbPNSt15iterator_traitsISI_E10value_typeEPNSO_ISJ_E10value_typeEPSK_NS1_7vsmem_tEENKUlT_SI_SJ_SK_E_clIPiSE_SF_SF_EESH_SX_SI_SJ_SK_EUlSX_E1_NS1_11comp_targetILNS1_3genE2ELNS1_11target_archE906ELNS1_3gpuE6ELNS1_3repE0EEENS1_36merge_oddeven_config_static_selectorELNS0_4arch9wavefront6targetE0EEEvSJ_, .Lfunc_end429-_ZN7rocprim17ROCPRIM_400000_NS6detail17trampoline_kernelINS0_14default_configENS1_38merge_sort_block_merge_config_selectorIiNS0_10empty_typeEEEZZNS1_27merge_sort_block_merge_implIS3_N6thrust23THRUST_200600_302600_NS6detail15normal_iteratorINS9_10device_ptrIiEEEEPS5_m17evens_before_oddsEE10hipError_tT0_T1_T2_jT3_P12ihipStream_tbPNSt15iterator_traitsISI_E10value_typeEPNSO_ISJ_E10value_typeEPSK_NS1_7vsmem_tEENKUlT_SI_SJ_SK_E_clIPiSE_SF_SF_EESH_SX_SI_SJ_SK_EUlSX_E1_NS1_11comp_targetILNS1_3genE2ELNS1_11target_archE906ELNS1_3gpuE6ELNS1_3repE0EEENS1_36merge_oddeven_config_static_selectorELNS0_4arch9wavefront6targetE0EEEvSJ_
                                        ; -- End function
	.set _ZN7rocprim17ROCPRIM_400000_NS6detail17trampoline_kernelINS0_14default_configENS1_38merge_sort_block_merge_config_selectorIiNS0_10empty_typeEEEZZNS1_27merge_sort_block_merge_implIS3_N6thrust23THRUST_200600_302600_NS6detail15normal_iteratorINS9_10device_ptrIiEEEEPS5_m17evens_before_oddsEE10hipError_tT0_T1_T2_jT3_P12ihipStream_tbPNSt15iterator_traitsISI_E10value_typeEPNSO_ISJ_E10value_typeEPSK_NS1_7vsmem_tEENKUlT_SI_SJ_SK_E_clIPiSE_SF_SF_EESH_SX_SI_SJ_SK_EUlSX_E1_NS1_11comp_targetILNS1_3genE2ELNS1_11target_archE906ELNS1_3gpuE6ELNS1_3repE0EEENS1_36merge_oddeven_config_static_selectorELNS0_4arch9wavefront6targetE0EEEvSJ_.num_vgpr, 0
	.set _ZN7rocprim17ROCPRIM_400000_NS6detail17trampoline_kernelINS0_14default_configENS1_38merge_sort_block_merge_config_selectorIiNS0_10empty_typeEEEZZNS1_27merge_sort_block_merge_implIS3_N6thrust23THRUST_200600_302600_NS6detail15normal_iteratorINS9_10device_ptrIiEEEEPS5_m17evens_before_oddsEE10hipError_tT0_T1_T2_jT3_P12ihipStream_tbPNSt15iterator_traitsISI_E10value_typeEPNSO_ISJ_E10value_typeEPSK_NS1_7vsmem_tEENKUlT_SI_SJ_SK_E_clIPiSE_SF_SF_EESH_SX_SI_SJ_SK_EUlSX_E1_NS1_11comp_targetILNS1_3genE2ELNS1_11target_archE906ELNS1_3gpuE6ELNS1_3repE0EEENS1_36merge_oddeven_config_static_selectorELNS0_4arch9wavefront6targetE0EEEvSJ_.num_agpr, 0
	.set _ZN7rocprim17ROCPRIM_400000_NS6detail17trampoline_kernelINS0_14default_configENS1_38merge_sort_block_merge_config_selectorIiNS0_10empty_typeEEEZZNS1_27merge_sort_block_merge_implIS3_N6thrust23THRUST_200600_302600_NS6detail15normal_iteratorINS9_10device_ptrIiEEEEPS5_m17evens_before_oddsEE10hipError_tT0_T1_T2_jT3_P12ihipStream_tbPNSt15iterator_traitsISI_E10value_typeEPNSO_ISJ_E10value_typeEPSK_NS1_7vsmem_tEENKUlT_SI_SJ_SK_E_clIPiSE_SF_SF_EESH_SX_SI_SJ_SK_EUlSX_E1_NS1_11comp_targetILNS1_3genE2ELNS1_11target_archE906ELNS1_3gpuE6ELNS1_3repE0EEENS1_36merge_oddeven_config_static_selectorELNS0_4arch9wavefront6targetE0EEEvSJ_.numbered_sgpr, 0
	.set _ZN7rocprim17ROCPRIM_400000_NS6detail17trampoline_kernelINS0_14default_configENS1_38merge_sort_block_merge_config_selectorIiNS0_10empty_typeEEEZZNS1_27merge_sort_block_merge_implIS3_N6thrust23THRUST_200600_302600_NS6detail15normal_iteratorINS9_10device_ptrIiEEEEPS5_m17evens_before_oddsEE10hipError_tT0_T1_T2_jT3_P12ihipStream_tbPNSt15iterator_traitsISI_E10value_typeEPNSO_ISJ_E10value_typeEPSK_NS1_7vsmem_tEENKUlT_SI_SJ_SK_E_clIPiSE_SF_SF_EESH_SX_SI_SJ_SK_EUlSX_E1_NS1_11comp_targetILNS1_3genE2ELNS1_11target_archE906ELNS1_3gpuE6ELNS1_3repE0EEENS1_36merge_oddeven_config_static_selectorELNS0_4arch9wavefront6targetE0EEEvSJ_.num_named_barrier, 0
	.set _ZN7rocprim17ROCPRIM_400000_NS6detail17trampoline_kernelINS0_14default_configENS1_38merge_sort_block_merge_config_selectorIiNS0_10empty_typeEEEZZNS1_27merge_sort_block_merge_implIS3_N6thrust23THRUST_200600_302600_NS6detail15normal_iteratorINS9_10device_ptrIiEEEEPS5_m17evens_before_oddsEE10hipError_tT0_T1_T2_jT3_P12ihipStream_tbPNSt15iterator_traitsISI_E10value_typeEPNSO_ISJ_E10value_typeEPSK_NS1_7vsmem_tEENKUlT_SI_SJ_SK_E_clIPiSE_SF_SF_EESH_SX_SI_SJ_SK_EUlSX_E1_NS1_11comp_targetILNS1_3genE2ELNS1_11target_archE906ELNS1_3gpuE6ELNS1_3repE0EEENS1_36merge_oddeven_config_static_selectorELNS0_4arch9wavefront6targetE0EEEvSJ_.private_seg_size, 0
	.set _ZN7rocprim17ROCPRIM_400000_NS6detail17trampoline_kernelINS0_14default_configENS1_38merge_sort_block_merge_config_selectorIiNS0_10empty_typeEEEZZNS1_27merge_sort_block_merge_implIS3_N6thrust23THRUST_200600_302600_NS6detail15normal_iteratorINS9_10device_ptrIiEEEEPS5_m17evens_before_oddsEE10hipError_tT0_T1_T2_jT3_P12ihipStream_tbPNSt15iterator_traitsISI_E10value_typeEPNSO_ISJ_E10value_typeEPSK_NS1_7vsmem_tEENKUlT_SI_SJ_SK_E_clIPiSE_SF_SF_EESH_SX_SI_SJ_SK_EUlSX_E1_NS1_11comp_targetILNS1_3genE2ELNS1_11target_archE906ELNS1_3gpuE6ELNS1_3repE0EEENS1_36merge_oddeven_config_static_selectorELNS0_4arch9wavefront6targetE0EEEvSJ_.uses_vcc, 0
	.set _ZN7rocprim17ROCPRIM_400000_NS6detail17trampoline_kernelINS0_14default_configENS1_38merge_sort_block_merge_config_selectorIiNS0_10empty_typeEEEZZNS1_27merge_sort_block_merge_implIS3_N6thrust23THRUST_200600_302600_NS6detail15normal_iteratorINS9_10device_ptrIiEEEEPS5_m17evens_before_oddsEE10hipError_tT0_T1_T2_jT3_P12ihipStream_tbPNSt15iterator_traitsISI_E10value_typeEPNSO_ISJ_E10value_typeEPSK_NS1_7vsmem_tEENKUlT_SI_SJ_SK_E_clIPiSE_SF_SF_EESH_SX_SI_SJ_SK_EUlSX_E1_NS1_11comp_targetILNS1_3genE2ELNS1_11target_archE906ELNS1_3gpuE6ELNS1_3repE0EEENS1_36merge_oddeven_config_static_selectorELNS0_4arch9wavefront6targetE0EEEvSJ_.uses_flat_scratch, 0
	.set _ZN7rocprim17ROCPRIM_400000_NS6detail17trampoline_kernelINS0_14default_configENS1_38merge_sort_block_merge_config_selectorIiNS0_10empty_typeEEEZZNS1_27merge_sort_block_merge_implIS3_N6thrust23THRUST_200600_302600_NS6detail15normal_iteratorINS9_10device_ptrIiEEEEPS5_m17evens_before_oddsEE10hipError_tT0_T1_T2_jT3_P12ihipStream_tbPNSt15iterator_traitsISI_E10value_typeEPNSO_ISJ_E10value_typeEPSK_NS1_7vsmem_tEENKUlT_SI_SJ_SK_E_clIPiSE_SF_SF_EESH_SX_SI_SJ_SK_EUlSX_E1_NS1_11comp_targetILNS1_3genE2ELNS1_11target_archE906ELNS1_3gpuE6ELNS1_3repE0EEENS1_36merge_oddeven_config_static_selectorELNS0_4arch9wavefront6targetE0EEEvSJ_.has_dyn_sized_stack, 0
	.set _ZN7rocprim17ROCPRIM_400000_NS6detail17trampoline_kernelINS0_14default_configENS1_38merge_sort_block_merge_config_selectorIiNS0_10empty_typeEEEZZNS1_27merge_sort_block_merge_implIS3_N6thrust23THRUST_200600_302600_NS6detail15normal_iteratorINS9_10device_ptrIiEEEEPS5_m17evens_before_oddsEE10hipError_tT0_T1_T2_jT3_P12ihipStream_tbPNSt15iterator_traitsISI_E10value_typeEPNSO_ISJ_E10value_typeEPSK_NS1_7vsmem_tEENKUlT_SI_SJ_SK_E_clIPiSE_SF_SF_EESH_SX_SI_SJ_SK_EUlSX_E1_NS1_11comp_targetILNS1_3genE2ELNS1_11target_archE906ELNS1_3gpuE6ELNS1_3repE0EEENS1_36merge_oddeven_config_static_selectorELNS0_4arch9wavefront6targetE0EEEvSJ_.has_recursion, 0
	.set _ZN7rocprim17ROCPRIM_400000_NS6detail17trampoline_kernelINS0_14default_configENS1_38merge_sort_block_merge_config_selectorIiNS0_10empty_typeEEEZZNS1_27merge_sort_block_merge_implIS3_N6thrust23THRUST_200600_302600_NS6detail15normal_iteratorINS9_10device_ptrIiEEEEPS5_m17evens_before_oddsEE10hipError_tT0_T1_T2_jT3_P12ihipStream_tbPNSt15iterator_traitsISI_E10value_typeEPNSO_ISJ_E10value_typeEPSK_NS1_7vsmem_tEENKUlT_SI_SJ_SK_E_clIPiSE_SF_SF_EESH_SX_SI_SJ_SK_EUlSX_E1_NS1_11comp_targetILNS1_3genE2ELNS1_11target_archE906ELNS1_3gpuE6ELNS1_3repE0EEENS1_36merge_oddeven_config_static_selectorELNS0_4arch9wavefront6targetE0EEEvSJ_.has_indirect_call, 0
	.section	.AMDGPU.csdata,"",@progbits
; Kernel info:
; codeLenInByte = 0
; TotalNumSgprs: 0
; NumVgprs: 0
; ScratchSize: 0
; MemoryBound: 0
; FloatMode: 240
; IeeeMode: 1
; LDSByteSize: 0 bytes/workgroup (compile time only)
; SGPRBlocks: 0
; VGPRBlocks: 0
; NumSGPRsForWavesPerEU: 1
; NumVGPRsForWavesPerEU: 1
; Occupancy: 16
; WaveLimiterHint : 0
; COMPUTE_PGM_RSRC2:SCRATCH_EN: 0
; COMPUTE_PGM_RSRC2:USER_SGPR: 6
; COMPUTE_PGM_RSRC2:TRAP_HANDLER: 0
; COMPUTE_PGM_RSRC2:TGID_X_EN: 1
; COMPUTE_PGM_RSRC2:TGID_Y_EN: 0
; COMPUTE_PGM_RSRC2:TGID_Z_EN: 0
; COMPUTE_PGM_RSRC2:TIDIG_COMP_CNT: 0
	.section	.text._ZN7rocprim17ROCPRIM_400000_NS6detail17trampoline_kernelINS0_14default_configENS1_38merge_sort_block_merge_config_selectorIiNS0_10empty_typeEEEZZNS1_27merge_sort_block_merge_implIS3_N6thrust23THRUST_200600_302600_NS6detail15normal_iteratorINS9_10device_ptrIiEEEEPS5_m17evens_before_oddsEE10hipError_tT0_T1_T2_jT3_P12ihipStream_tbPNSt15iterator_traitsISI_E10value_typeEPNSO_ISJ_E10value_typeEPSK_NS1_7vsmem_tEENKUlT_SI_SJ_SK_E_clIPiSE_SF_SF_EESH_SX_SI_SJ_SK_EUlSX_E1_NS1_11comp_targetILNS1_3genE9ELNS1_11target_archE1100ELNS1_3gpuE3ELNS1_3repE0EEENS1_36merge_oddeven_config_static_selectorELNS0_4arch9wavefront6targetE0EEEvSJ_,"axG",@progbits,_ZN7rocprim17ROCPRIM_400000_NS6detail17trampoline_kernelINS0_14default_configENS1_38merge_sort_block_merge_config_selectorIiNS0_10empty_typeEEEZZNS1_27merge_sort_block_merge_implIS3_N6thrust23THRUST_200600_302600_NS6detail15normal_iteratorINS9_10device_ptrIiEEEEPS5_m17evens_before_oddsEE10hipError_tT0_T1_T2_jT3_P12ihipStream_tbPNSt15iterator_traitsISI_E10value_typeEPNSO_ISJ_E10value_typeEPSK_NS1_7vsmem_tEENKUlT_SI_SJ_SK_E_clIPiSE_SF_SF_EESH_SX_SI_SJ_SK_EUlSX_E1_NS1_11comp_targetILNS1_3genE9ELNS1_11target_archE1100ELNS1_3gpuE3ELNS1_3repE0EEENS1_36merge_oddeven_config_static_selectorELNS0_4arch9wavefront6targetE0EEEvSJ_,comdat
	.protected	_ZN7rocprim17ROCPRIM_400000_NS6detail17trampoline_kernelINS0_14default_configENS1_38merge_sort_block_merge_config_selectorIiNS0_10empty_typeEEEZZNS1_27merge_sort_block_merge_implIS3_N6thrust23THRUST_200600_302600_NS6detail15normal_iteratorINS9_10device_ptrIiEEEEPS5_m17evens_before_oddsEE10hipError_tT0_T1_T2_jT3_P12ihipStream_tbPNSt15iterator_traitsISI_E10value_typeEPNSO_ISJ_E10value_typeEPSK_NS1_7vsmem_tEENKUlT_SI_SJ_SK_E_clIPiSE_SF_SF_EESH_SX_SI_SJ_SK_EUlSX_E1_NS1_11comp_targetILNS1_3genE9ELNS1_11target_archE1100ELNS1_3gpuE3ELNS1_3repE0EEENS1_36merge_oddeven_config_static_selectorELNS0_4arch9wavefront6targetE0EEEvSJ_ ; -- Begin function _ZN7rocprim17ROCPRIM_400000_NS6detail17trampoline_kernelINS0_14default_configENS1_38merge_sort_block_merge_config_selectorIiNS0_10empty_typeEEEZZNS1_27merge_sort_block_merge_implIS3_N6thrust23THRUST_200600_302600_NS6detail15normal_iteratorINS9_10device_ptrIiEEEEPS5_m17evens_before_oddsEE10hipError_tT0_T1_T2_jT3_P12ihipStream_tbPNSt15iterator_traitsISI_E10value_typeEPNSO_ISJ_E10value_typeEPSK_NS1_7vsmem_tEENKUlT_SI_SJ_SK_E_clIPiSE_SF_SF_EESH_SX_SI_SJ_SK_EUlSX_E1_NS1_11comp_targetILNS1_3genE9ELNS1_11target_archE1100ELNS1_3gpuE3ELNS1_3repE0EEENS1_36merge_oddeven_config_static_selectorELNS0_4arch9wavefront6targetE0EEEvSJ_
	.globl	_ZN7rocprim17ROCPRIM_400000_NS6detail17trampoline_kernelINS0_14default_configENS1_38merge_sort_block_merge_config_selectorIiNS0_10empty_typeEEEZZNS1_27merge_sort_block_merge_implIS3_N6thrust23THRUST_200600_302600_NS6detail15normal_iteratorINS9_10device_ptrIiEEEEPS5_m17evens_before_oddsEE10hipError_tT0_T1_T2_jT3_P12ihipStream_tbPNSt15iterator_traitsISI_E10value_typeEPNSO_ISJ_E10value_typeEPSK_NS1_7vsmem_tEENKUlT_SI_SJ_SK_E_clIPiSE_SF_SF_EESH_SX_SI_SJ_SK_EUlSX_E1_NS1_11comp_targetILNS1_3genE9ELNS1_11target_archE1100ELNS1_3gpuE3ELNS1_3repE0EEENS1_36merge_oddeven_config_static_selectorELNS0_4arch9wavefront6targetE0EEEvSJ_
	.p2align	8
	.type	_ZN7rocprim17ROCPRIM_400000_NS6detail17trampoline_kernelINS0_14default_configENS1_38merge_sort_block_merge_config_selectorIiNS0_10empty_typeEEEZZNS1_27merge_sort_block_merge_implIS3_N6thrust23THRUST_200600_302600_NS6detail15normal_iteratorINS9_10device_ptrIiEEEEPS5_m17evens_before_oddsEE10hipError_tT0_T1_T2_jT3_P12ihipStream_tbPNSt15iterator_traitsISI_E10value_typeEPNSO_ISJ_E10value_typeEPSK_NS1_7vsmem_tEENKUlT_SI_SJ_SK_E_clIPiSE_SF_SF_EESH_SX_SI_SJ_SK_EUlSX_E1_NS1_11comp_targetILNS1_3genE9ELNS1_11target_archE1100ELNS1_3gpuE3ELNS1_3repE0EEENS1_36merge_oddeven_config_static_selectorELNS0_4arch9wavefront6targetE0EEEvSJ_,@function
_ZN7rocprim17ROCPRIM_400000_NS6detail17trampoline_kernelINS0_14default_configENS1_38merge_sort_block_merge_config_selectorIiNS0_10empty_typeEEEZZNS1_27merge_sort_block_merge_implIS3_N6thrust23THRUST_200600_302600_NS6detail15normal_iteratorINS9_10device_ptrIiEEEEPS5_m17evens_before_oddsEE10hipError_tT0_T1_T2_jT3_P12ihipStream_tbPNSt15iterator_traitsISI_E10value_typeEPNSO_ISJ_E10value_typeEPSK_NS1_7vsmem_tEENKUlT_SI_SJ_SK_E_clIPiSE_SF_SF_EESH_SX_SI_SJ_SK_EUlSX_E1_NS1_11comp_targetILNS1_3genE9ELNS1_11target_archE1100ELNS1_3gpuE3ELNS1_3repE0EEENS1_36merge_oddeven_config_static_selectorELNS0_4arch9wavefront6targetE0EEEvSJ_: ; @_ZN7rocprim17ROCPRIM_400000_NS6detail17trampoline_kernelINS0_14default_configENS1_38merge_sort_block_merge_config_selectorIiNS0_10empty_typeEEEZZNS1_27merge_sort_block_merge_implIS3_N6thrust23THRUST_200600_302600_NS6detail15normal_iteratorINS9_10device_ptrIiEEEEPS5_m17evens_before_oddsEE10hipError_tT0_T1_T2_jT3_P12ihipStream_tbPNSt15iterator_traitsISI_E10value_typeEPNSO_ISJ_E10value_typeEPSK_NS1_7vsmem_tEENKUlT_SI_SJ_SK_E_clIPiSE_SF_SF_EESH_SX_SI_SJ_SK_EUlSX_E1_NS1_11comp_targetILNS1_3genE9ELNS1_11target_archE1100ELNS1_3gpuE3ELNS1_3repE0EEENS1_36merge_oddeven_config_static_selectorELNS0_4arch9wavefront6targetE0EEEvSJ_
; %bb.0:
	.section	.rodata,"a",@progbits
	.p2align	6, 0x0
	.amdhsa_kernel _ZN7rocprim17ROCPRIM_400000_NS6detail17trampoline_kernelINS0_14default_configENS1_38merge_sort_block_merge_config_selectorIiNS0_10empty_typeEEEZZNS1_27merge_sort_block_merge_implIS3_N6thrust23THRUST_200600_302600_NS6detail15normal_iteratorINS9_10device_ptrIiEEEEPS5_m17evens_before_oddsEE10hipError_tT0_T1_T2_jT3_P12ihipStream_tbPNSt15iterator_traitsISI_E10value_typeEPNSO_ISJ_E10value_typeEPSK_NS1_7vsmem_tEENKUlT_SI_SJ_SK_E_clIPiSE_SF_SF_EESH_SX_SI_SJ_SK_EUlSX_E1_NS1_11comp_targetILNS1_3genE9ELNS1_11target_archE1100ELNS1_3gpuE3ELNS1_3repE0EEENS1_36merge_oddeven_config_static_selectorELNS0_4arch9wavefront6targetE0EEEvSJ_
		.amdhsa_group_segment_fixed_size 0
		.amdhsa_private_segment_fixed_size 0
		.amdhsa_kernarg_size 56
		.amdhsa_user_sgpr_count 6
		.amdhsa_user_sgpr_private_segment_buffer 1
		.amdhsa_user_sgpr_dispatch_ptr 0
		.amdhsa_user_sgpr_queue_ptr 0
		.amdhsa_user_sgpr_kernarg_segment_ptr 1
		.amdhsa_user_sgpr_dispatch_id 0
		.amdhsa_user_sgpr_flat_scratch_init 0
		.amdhsa_user_sgpr_private_segment_size 0
		.amdhsa_wavefront_size32 1
		.amdhsa_uses_dynamic_stack 0
		.amdhsa_system_sgpr_private_segment_wavefront_offset 0
		.amdhsa_system_sgpr_workgroup_id_x 1
		.amdhsa_system_sgpr_workgroup_id_y 0
		.amdhsa_system_sgpr_workgroup_id_z 0
		.amdhsa_system_sgpr_workgroup_info 0
		.amdhsa_system_vgpr_workitem_id 0
		.amdhsa_next_free_vgpr 1
		.amdhsa_next_free_sgpr 1
		.amdhsa_reserve_vcc 0
		.amdhsa_reserve_flat_scratch 0
		.amdhsa_float_round_mode_32 0
		.amdhsa_float_round_mode_16_64 0
		.amdhsa_float_denorm_mode_32 3
		.amdhsa_float_denorm_mode_16_64 3
		.amdhsa_dx10_clamp 1
		.amdhsa_ieee_mode 1
		.amdhsa_fp16_overflow 0
		.amdhsa_workgroup_processor_mode 1
		.amdhsa_memory_ordered 1
		.amdhsa_forward_progress 1
		.amdhsa_shared_vgpr_count 0
		.amdhsa_exception_fp_ieee_invalid_op 0
		.amdhsa_exception_fp_denorm_src 0
		.amdhsa_exception_fp_ieee_div_zero 0
		.amdhsa_exception_fp_ieee_overflow 0
		.amdhsa_exception_fp_ieee_underflow 0
		.amdhsa_exception_fp_ieee_inexact 0
		.amdhsa_exception_int_div_zero 0
	.end_amdhsa_kernel
	.section	.text._ZN7rocprim17ROCPRIM_400000_NS6detail17trampoline_kernelINS0_14default_configENS1_38merge_sort_block_merge_config_selectorIiNS0_10empty_typeEEEZZNS1_27merge_sort_block_merge_implIS3_N6thrust23THRUST_200600_302600_NS6detail15normal_iteratorINS9_10device_ptrIiEEEEPS5_m17evens_before_oddsEE10hipError_tT0_T1_T2_jT3_P12ihipStream_tbPNSt15iterator_traitsISI_E10value_typeEPNSO_ISJ_E10value_typeEPSK_NS1_7vsmem_tEENKUlT_SI_SJ_SK_E_clIPiSE_SF_SF_EESH_SX_SI_SJ_SK_EUlSX_E1_NS1_11comp_targetILNS1_3genE9ELNS1_11target_archE1100ELNS1_3gpuE3ELNS1_3repE0EEENS1_36merge_oddeven_config_static_selectorELNS0_4arch9wavefront6targetE0EEEvSJ_,"axG",@progbits,_ZN7rocprim17ROCPRIM_400000_NS6detail17trampoline_kernelINS0_14default_configENS1_38merge_sort_block_merge_config_selectorIiNS0_10empty_typeEEEZZNS1_27merge_sort_block_merge_implIS3_N6thrust23THRUST_200600_302600_NS6detail15normal_iteratorINS9_10device_ptrIiEEEEPS5_m17evens_before_oddsEE10hipError_tT0_T1_T2_jT3_P12ihipStream_tbPNSt15iterator_traitsISI_E10value_typeEPNSO_ISJ_E10value_typeEPSK_NS1_7vsmem_tEENKUlT_SI_SJ_SK_E_clIPiSE_SF_SF_EESH_SX_SI_SJ_SK_EUlSX_E1_NS1_11comp_targetILNS1_3genE9ELNS1_11target_archE1100ELNS1_3gpuE3ELNS1_3repE0EEENS1_36merge_oddeven_config_static_selectorELNS0_4arch9wavefront6targetE0EEEvSJ_,comdat
.Lfunc_end430:
	.size	_ZN7rocprim17ROCPRIM_400000_NS6detail17trampoline_kernelINS0_14default_configENS1_38merge_sort_block_merge_config_selectorIiNS0_10empty_typeEEEZZNS1_27merge_sort_block_merge_implIS3_N6thrust23THRUST_200600_302600_NS6detail15normal_iteratorINS9_10device_ptrIiEEEEPS5_m17evens_before_oddsEE10hipError_tT0_T1_T2_jT3_P12ihipStream_tbPNSt15iterator_traitsISI_E10value_typeEPNSO_ISJ_E10value_typeEPSK_NS1_7vsmem_tEENKUlT_SI_SJ_SK_E_clIPiSE_SF_SF_EESH_SX_SI_SJ_SK_EUlSX_E1_NS1_11comp_targetILNS1_3genE9ELNS1_11target_archE1100ELNS1_3gpuE3ELNS1_3repE0EEENS1_36merge_oddeven_config_static_selectorELNS0_4arch9wavefront6targetE0EEEvSJ_, .Lfunc_end430-_ZN7rocprim17ROCPRIM_400000_NS6detail17trampoline_kernelINS0_14default_configENS1_38merge_sort_block_merge_config_selectorIiNS0_10empty_typeEEEZZNS1_27merge_sort_block_merge_implIS3_N6thrust23THRUST_200600_302600_NS6detail15normal_iteratorINS9_10device_ptrIiEEEEPS5_m17evens_before_oddsEE10hipError_tT0_T1_T2_jT3_P12ihipStream_tbPNSt15iterator_traitsISI_E10value_typeEPNSO_ISJ_E10value_typeEPSK_NS1_7vsmem_tEENKUlT_SI_SJ_SK_E_clIPiSE_SF_SF_EESH_SX_SI_SJ_SK_EUlSX_E1_NS1_11comp_targetILNS1_3genE9ELNS1_11target_archE1100ELNS1_3gpuE3ELNS1_3repE0EEENS1_36merge_oddeven_config_static_selectorELNS0_4arch9wavefront6targetE0EEEvSJ_
                                        ; -- End function
	.set _ZN7rocprim17ROCPRIM_400000_NS6detail17trampoline_kernelINS0_14default_configENS1_38merge_sort_block_merge_config_selectorIiNS0_10empty_typeEEEZZNS1_27merge_sort_block_merge_implIS3_N6thrust23THRUST_200600_302600_NS6detail15normal_iteratorINS9_10device_ptrIiEEEEPS5_m17evens_before_oddsEE10hipError_tT0_T1_T2_jT3_P12ihipStream_tbPNSt15iterator_traitsISI_E10value_typeEPNSO_ISJ_E10value_typeEPSK_NS1_7vsmem_tEENKUlT_SI_SJ_SK_E_clIPiSE_SF_SF_EESH_SX_SI_SJ_SK_EUlSX_E1_NS1_11comp_targetILNS1_3genE9ELNS1_11target_archE1100ELNS1_3gpuE3ELNS1_3repE0EEENS1_36merge_oddeven_config_static_selectorELNS0_4arch9wavefront6targetE0EEEvSJ_.num_vgpr, 0
	.set _ZN7rocprim17ROCPRIM_400000_NS6detail17trampoline_kernelINS0_14default_configENS1_38merge_sort_block_merge_config_selectorIiNS0_10empty_typeEEEZZNS1_27merge_sort_block_merge_implIS3_N6thrust23THRUST_200600_302600_NS6detail15normal_iteratorINS9_10device_ptrIiEEEEPS5_m17evens_before_oddsEE10hipError_tT0_T1_T2_jT3_P12ihipStream_tbPNSt15iterator_traitsISI_E10value_typeEPNSO_ISJ_E10value_typeEPSK_NS1_7vsmem_tEENKUlT_SI_SJ_SK_E_clIPiSE_SF_SF_EESH_SX_SI_SJ_SK_EUlSX_E1_NS1_11comp_targetILNS1_3genE9ELNS1_11target_archE1100ELNS1_3gpuE3ELNS1_3repE0EEENS1_36merge_oddeven_config_static_selectorELNS0_4arch9wavefront6targetE0EEEvSJ_.num_agpr, 0
	.set _ZN7rocprim17ROCPRIM_400000_NS6detail17trampoline_kernelINS0_14default_configENS1_38merge_sort_block_merge_config_selectorIiNS0_10empty_typeEEEZZNS1_27merge_sort_block_merge_implIS3_N6thrust23THRUST_200600_302600_NS6detail15normal_iteratorINS9_10device_ptrIiEEEEPS5_m17evens_before_oddsEE10hipError_tT0_T1_T2_jT3_P12ihipStream_tbPNSt15iterator_traitsISI_E10value_typeEPNSO_ISJ_E10value_typeEPSK_NS1_7vsmem_tEENKUlT_SI_SJ_SK_E_clIPiSE_SF_SF_EESH_SX_SI_SJ_SK_EUlSX_E1_NS1_11comp_targetILNS1_3genE9ELNS1_11target_archE1100ELNS1_3gpuE3ELNS1_3repE0EEENS1_36merge_oddeven_config_static_selectorELNS0_4arch9wavefront6targetE0EEEvSJ_.numbered_sgpr, 0
	.set _ZN7rocprim17ROCPRIM_400000_NS6detail17trampoline_kernelINS0_14default_configENS1_38merge_sort_block_merge_config_selectorIiNS0_10empty_typeEEEZZNS1_27merge_sort_block_merge_implIS3_N6thrust23THRUST_200600_302600_NS6detail15normal_iteratorINS9_10device_ptrIiEEEEPS5_m17evens_before_oddsEE10hipError_tT0_T1_T2_jT3_P12ihipStream_tbPNSt15iterator_traitsISI_E10value_typeEPNSO_ISJ_E10value_typeEPSK_NS1_7vsmem_tEENKUlT_SI_SJ_SK_E_clIPiSE_SF_SF_EESH_SX_SI_SJ_SK_EUlSX_E1_NS1_11comp_targetILNS1_3genE9ELNS1_11target_archE1100ELNS1_3gpuE3ELNS1_3repE0EEENS1_36merge_oddeven_config_static_selectorELNS0_4arch9wavefront6targetE0EEEvSJ_.num_named_barrier, 0
	.set _ZN7rocprim17ROCPRIM_400000_NS6detail17trampoline_kernelINS0_14default_configENS1_38merge_sort_block_merge_config_selectorIiNS0_10empty_typeEEEZZNS1_27merge_sort_block_merge_implIS3_N6thrust23THRUST_200600_302600_NS6detail15normal_iteratorINS9_10device_ptrIiEEEEPS5_m17evens_before_oddsEE10hipError_tT0_T1_T2_jT3_P12ihipStream_tbPNSt15iterator_traitsISI_E10value_typeEPNSO_ISJ_E10value_typeEPSK_NS1_7vsmem_tEENKUlT_SI_SJ_SK_E_clIPiSE_SF_SF_EESH_SX_SI_SJ_SK_EUlSX_E1_NS1_11comp_targetILNS1_3genE9ELNS1_11target_archE1100ELNS1_3gpuE3ELNS1_3repE0EEENS1_36merge_oddeven_config_static_selectorELNS0_4arch9wavefront6targetE0EEEvSJ_.private_seg_size, 0
	.set _ZN7rocprim17ROCPRIM_400000_NS6detail17trampoline_kernelINS0_14default_configENS1_38merge_sort_block_merge_config_selectorIiNS0_10empty_typeEEEZZNS1_27merge_sort_block_merge_implIS3_N6thrust23THRUST_200600_302600_NS6detail15normal_iteratorINS9_10device_ptrIiEEEEPS5_m17evens_before_oddsEE10hipError_tT0_T1_T2_jT3_P12ihipStream_tbPNSt15iterator_traitsISI_E10value_typeEPNSO_ISJ_E10value_typeEPSK_NS1_7vsmem_tEENKUlT_SI_SJ_SK_E_clIPiSE_SF_SF_EESH_SX_SI_SJ_SK_EUlSX_E1_NS1_11comp_targetILNS1_3genE9ELNS1_11target_archE1100ELNS1_3gpuE3ELNS1_3repE0EEENS1_36merge_oddeven_config_static_selectorELNS0_4arch9wavefront6targetE0EEEvSJ_.uses_vcc, 0
	.set _ZN7rocprim17ROCPRIM_400000_NS6detail17trampoline_kernelINS0_14default_configENS1_38merge_sort_block_merge_config_selectorIiNS0_10empty_typeEEEZZNS1_27merge_sort_block_merge_implIS3_N6thrust23THRUST_200600_302600_NS6detail15normal_iteratorINS9_10device_ptrIiEEEEPS5_m17evens_before_oddsEE10hipError_tT0_T1_T2_jT3_P12ihipStream_tbPNSt15iterator_traitsISI_E10value_typeEPNSO_ISJ_E10value_typeEPSK_NS1_7vsmem_tEENKUlT_SI_SJ_SK_E_clIPiSE_SF_SF_EESH_SX_SI_SJ_SK_EUlSX_E1_NS1_11comp_targetILNS1_3genE9ELNS1_11target_archE1100ELNS1_3gpuE3ELNS1_3repE0EEENS1_36merge_oddeven_config_static_selectorELNS0_4arch9wavefront6targetE0EEEvSJ_.uses_flat_scratch, 0
	.set _ZN7rocprim17ROCPRIM_400000_NS6detail17trampoline_kernelINS0_14default_configENS1_38merge_sort_block_merge_config_selectorIiNS0_10empty_typeEEEZZNS1_27merge_sort_block_merge_implIS3_N6thrust23THRUST_200600_302600_NS6detail15normal_iteratorINS9_10device_ptrIiEEEEPS5_m17evens_before_oddsEE10hipError_tT0_T1_T2_jT3_P12ihipStream_tbPNSt15iterator_traitsISI_E10value_typeEPNSO_ISJ_E10value_typeEPSK_NS1_7vsmem_tEENKUlT_SI_SJ_SK_E_clIPiSE_SF_SF_EESH_SX_SI_SJ_SK_EUlSX_E1_NS1_11comp_targetILNS1_3genE9ELNS1_11target_archE1100ELNS1_3gpuE3ELNS1_3repE0EEENS1_36merge_oddeven_config_static_selectorELNS0_4arch9wavefront6targetE0EEEvSJ_.has_dyn_sized_stack, 0
	.set _ZN7rocprim17ROCPRIM_400000_NS6detail17trampoline_kernelINS0_14default_configENS1_38merge_sort_block_merge_config_selectorIiNS0_10empty_typeEEEZZNS1_27merge_sort_block_merge_implIS3_N6thrust23THRUST_200600_302600_NS6detail15normal_iteratorINS9_10device_ptrIiEEEEPS5_m17evens_before_oddsEE10hipError_tT0_T1_T2_jT3_P12ihipStream_tbPNSt15iterator_traitsISI_E10value_typeEPNSO_ISJ_E10value_typeEPSK_NS1_7vsmem_tEENKUlT_SI_SJ_SK_E_clIPiSE_SF_SF_EESH_SX_SI_SJ_SK_EUlSX_E1_NS1_11comp_targetILNS1_3genE9ELNS1_11target_archE1100ELNS1_3gpuE3ELNS1_3repE0EEENS1_36merge_oddeven_config_static_selectorELNS0_4arch9wavefront6targetE0EEEvSJ_.has_recursion, 0
	.set _ZN7rocprim17ROCPRIM_400000_NS6detail17trampoline_kernelINS0_14default_configENS1_38merge_sort_block_merge_config_selectorIiNS0_10empty_typeEEEZZNS1_27merge_sort_block_merge_implIS3_N6thrust23THRUST_200600_302600_NS6detail15normal_iteratorINS9_10device_ptrIiEEEEPS5_m17evens_before_oddsEE10hipError_tT0_T1_T2_jT3_P12ihipStream_tbPNSt15iterator_traitsISI_E10value_typeEPNSO_ISJ_E10value_typeEPSK_NS1_7vsmem_tEENKUlT_SI_SJ_SK_E_clIPiSE_SF_SF_EESH_SX_SI_SJ_SK_EUlSX_E1_NS1_11comp_targetILNS1_3genE9ELNS1_11target_archE1100ELNS1_3gpuE3ELNS1_3repE0EEENS1_36merge_oddeven_config_static_selectorELNS0_4arch9wavefront6targetE0EEEvSJ_.has_indirect_call, 0
	.section	.AMDGPU.csdata,"",@progbits
; Kernel info:
; codeLenInByte = 0
; TotalNumSgprs: 0
; NumVgprs: 0
; ScratchSize: 0
; MemoryBound: 0
; FloatMode: 240
; IeeeMode: 1
; LDSByteSize: 0 bytes/workgroup (compile time only)
; SGPRBlocks: 0
; VGPRBlocks: 0
; NumSGPRsForWavesPerEU: 1
; NumVGPRsForWavesPerEU: 1
; Occupancy: 16
; WaveLimiterHint : 0
; COMPUTE_PGM_RSRC2:SCRATCH_EN: 0
; COMPUTE_PGM_RSRC2:USER_SGPR: 6
; COMPUTE_PGM_RSRC2:TRAP_HANDLER: 0
; COMPUTE_PGM_RSRC2:TGID_X_EN: 1
; COMPUTE_PGM_RSRC2:TGID_Y_EN: 0
; COMPUTE_PGM_RSRC2:TGID_Z_EN: 0
; COMPUTE_PGM_RSRC2:TIDIG_COMP_CNT: 0
	.section	.text._ZN7rocprim17ROCPRIM_400000_NS6detail17trampoline_kernelINS0_14default_configENS1_38merge_sort_block_merge_config_selectorIiNS0_10empty_typeEEEZZNS1_27merge_sort_block_merge_implIS3_N6thrust23THRUST_200600_302600_NS6detail15normal_iteratorINS9_10device_ptrIiEEEEPS5_m17evens_before_oddsEE10hipError_tT0_T1_T2_jT3_P12ihipStream_tbPNSt15iterator_traitsISI_E10value_typeEPNSO_ISJ_E10value_typeEPSK_NS1_7vsmem_tEENKUlT_SI_SJ_SK_E_clIPiSE_SF_SF_EESH_SX_SI_SJ_SK_EUlSX_E1_NS1_11comp_targetILNS1_3genE8ELNS1_11target_archE1030ELNS1_3gpuE2ELNS1_3repE0EEENS1_36merge_oddeven_config_static_selectorELNS0_4arch9wavefront6targetE0EEEvSJ_,"axG",@progbits,_ZN7rocprim17ROCPRIM_400000_NS6detail17trampoline_kernelINS0_14default_configENS1_38merge_sort_block_merge_config_selectorIiNS0_10empty_typeEEEZZNS1_27merge_sort_block_merge_implIS3_N6thrust23THRUST_200600_302600_NS6detail15normal_iteratorINS9_10device_ptrIiEEEEPS5_m17evens_before_oddsEE10hipError_tT0_T1_T2_jT3_P12ihipStream_tbPNSt15iterator_traitsISI_E10value_typeEPNSO_ISJ_E10value_typeEPSK_NS1_7vsmem_tEENKUlT_SI_SJ_SK_E_clIPiSE_SF_SF_EESH_SX_SI_SJ_SK_EUlSX_E1_NS1_11comp_targetILNS1_3genE8ELNS1_11target_archE1030ELNS1_3gpuE2ELNS1_3repE0EEENS1_36merge_oddeven_config_static_selectorELNS0_4arch9wavefront6targetE0EEEvSJ_,comdat
	.protected	_ZN7rocprim17ROCPRIM_400000_NS6detail17trampoline_kernelINS0_14default_configENS1_38merge_sort_block_merge_config_selectorIiNS0_10empty_typeEEEZZNS1_27merge_sort_block_merge_implIS3_N6thrust23THRUST_200600_302600_NS6detail15normal_iteratorINS9_10device_ptrIiEEEEPS5_m17evens_before_oddsEE10hipError_tT0_T1_T2_jT3_P12ihipStream_tbPNSt15iterator_traitsISI_E10value_typeEPNSO_ISJ_E10value_typeEPSK_NS1_7vsmem_tEENKUlT_SI_SJ_SK_E_clIPiSE_SF_SF_EESH_SX_SI_SJ_SK_EUlSX_E1_NS1_11comp_targetILNS1_3genE8ELNS1_11target_archE1030ELNS1_3gpuE2ELNS1_3repE0EEENS1_36merge_oddeven_config_static_selectorELNS0_4arch9wavefront6targetE0EEEvSJ_ ; -- Begin function _ZN7rocprim17ROCPRIM_400000_NS6detail17trampoline_kernelINS0_14default_configENS1_38merge_sort_block_merge_config_selectorIiNS0_10empty_typeEEEZZNS1_27merge_sort_block_merge_implIS3_N6thrust23THRUST_200600_302600_NS6detail15normal_iteratorINS9_10device_ptrIiEEEEPS5_m17evens_before_oddsEE10hipError_tT0_T1_T2_jT3_P12ihipStream_tbPNSt15iterator_traitsISI_E10value_typeEPNSO_ISJ_E10value_typeEPSK_NS1_7vsmem_tEENKUlT_SI_SJ_SK_E_clIPiSE_SF_SF_EESH_SX_SI_SJ_SK_EUlSX_E1_NS1_11comp_targetILNS1_3genE8ELNS1_11target_archE1030ELNS1_3gpuE2ELNS1_3repE0EEENS1_36merge_oddeven_config_static_selectorELNS0_4arch9wavefront6targetE0EEEvSJ_
	.globl	_ZN7rocprim17ROCPRIM_400000_NS6detail17trampoline_kernelINS0_14default_configENS1_38merge_sort_block_merge_config_selectorIiNS0_10empty_typeEEEZZNS1_27merge_sort_block_merge_implIS3_N6thrust23THRUST_200600_302600_NS6detail15normal_iteratorINS9_10device_ptrIiEEEEPS5_m17evens_before_oddsEE10hipError_tT0_T1_T2_jT3_P12ihipStream_tbPNSt15iterator_traitsISI_E10value_typeEPNSO_ISJ_E10value_typeEPSK_NS1_7vsmem_tEENKUlT_SI_SJ_SK_E_clIPiSE_SF_SF_EESH_SX_SI_SJ_SK_EUlSX_E1_NS1_11comp_targetILNS1_3genE8ELNS1_11target_archE1030ELNS1_3gpuE2ELNS1_3repE0EEENS1_36merge_oddeven_config_static_selectorELNS0_4arch9wavefront6targetE0EEEvSJ_
	.p2align	8
	.type	_ZN7rocprim17ROCPRIM_400000_NS6detail17trampoline_kernelINS0_14default_configENS1_38merge_sort_block_merge_config_selectorIiNS0_10empty_typeEEEZZNS1_27merge_sort_block_merge_implIS3_N6thrust23THRUST_200600_302600_NS6detail15normal_iteratorINS9_10device_ptrIiEEEEPS5_m17evens_before_oddsEE10hipError_tT0_T1_T2_jT3_P12ihipStream_tbPNSt15iterator_traitsISI_E10value_typeEPNSO_ISJ_E10value_typeEPSK_NS1_7vsmem_tEENKUlT_SI_SJ_SK_E_clIPiSE_SF_SF_EESH_SX_SI_SJ_SK_EUlSX_E1_NS1_11comp_targetILNS1_3genE8ELNS1_11target_archE1030ELNS1_3gpuE2ELNS1_3repE0EEENS1_36merge_oddeven_config_static_selectorELNS0_4arch9wavefront6targetE0EEEvSJ_,@function
_ZN7rocprim17ROCPRIM_400000_NS6detail17trampoline_kernelINS0_14default_configENS1_38merge_sort_block_merge_config_selectorIiNS0_10empty_typeEEEZZNS1_27merge_sort_block_merge_implIS3_N6thrust23THRUST_200600_302600_NS6detail15normal_iteratorINS9_10device_ptrIiEEEEPS5_m17evens_before_oddsEE10hipError_tT0_T1_T2_jT3_P12ihipStream_tbPNSt15iterator_traitsISI_E10value_typeEPNSO_ISJ_E10value_typeEPSK_NS1_7vsmem_tEENKUlT_SI_SJ_SK_E_clIPiSE_SF_SF_EESH_SX_SI_SJ_SK_EUlSX_E1_NS1_11comp_targetILNS1_3genE8ELNS1_11target_archE1030ELNS1_3gpuE2ELNS1_3repE0EEENS1_36merge_oddeven_config_static_selectorELNS0_4arch9wavefront6targetE0EEEvSJ_: ; @_ZN7rocprim17ROCPRIM_400000_NS6detail17trampoline_kernelINS0_14default_configENS1_38merge_sort_block_merge_config_selectorIiNS0_10empty_typeEEEZZNS1_27merge_sort_block_merge_implIS3_N6thrust23THRUST_200600_302600_NS6detail15normal_iteratorINS9_10device_ptrIiEEEEPS5_m17evens_before_oddsEE10hipError_tT0_T1_T2_jT3_P12ihipStream_tbPNSt15iterator_traitsISI_E10value_typeEPNSO_ISJ_E10value_typeEPSK_NS1_7vsmem_tEENKUlT_SI_SJ_SK_E_clIPiSE_SF_SF_EESH_SX_SI_SJ_SK_EUlSX_E1_NS1_11comp_targetILNS1_3genE8ELNS1_11target_archE1030ELNS1_3gpuE2ELNS1_3repE0EEENS1_36merge_oddeven_config_static_selectorELNS0_4arch9wavefront6targetE0EEEvSJ_
; %bb.0:
	s_load_dword s7, s[4:5], 0x20
	s_waitcnt lgkmcnt(0)
	s_lshr_b32 s0, s7, 8
	s_cmp_lg_u32 s6, s0
	s_cselect_b32 s13, -1, 0
	s_cmp_eq_u32 s6, s0
	s_cselect_b32 s12, -1, 0
	s_lshl_b32 s2, s6, 8
	s_sub_i32 s0, s7, s2
	v_cmp_gt_u32_e64 s1, s0, v0
	s_or_b32 s0, s13, s1
	s_and_saveexec_b32 s3, s0
	s_cbranch_execz .LBB431_28
; %bb.1:
	s_clause 0x1
	s_load_dwordx4 s[8:11], s[4:5], 0x0
	s_load_dword s0, s[4:5], 0x28
	s_mov_b32 s3, 0
	v_lshlrev_b32_e32 v1, 2, v0
	s_lshl_b64 s[14:15], s[2:3], 2
	v_add_nc_u32_e32 v0, s2, v0
	s_waitcnt lgkmcnt(0)
	s_add_u32 s4, s8, s14
	s_addc_u32 s5, s9, s15
	global_load_dword v2, v1, s[4:5]
	s_lshr_b32 s4, s0, 8
	s_sub_i32 s5, 0, s4
	s_and_b32 s5, s6, s5
	s_and_b32 s14, s5, s4
	s_cmp_lg_u32 s14, 0
	s_cselect_b32 s4, -1, 0
	s_lshl_b32 s6, s5, 8
	s_sub_i32 s5, 0, s0
	s_cmp_eq_u32 s14, 0
	s_cselect_b32 s5, s0, s5
	s_add_i32 s5, s5, s6
	s_cmp_lt_u32 s5, s7
	s_cbranch_scc1 .LBB431_3
; %bb.2:
	v_cmp_gt_u32_e32 vcc_lo, s7, v0
	s_or_b32 s3, vcc_lo, s13
	s_and_b32 s3, s3, exec_lo
	s_cbranch_execz .LBB431_4
	s_branch .LBB431_26
.LBB431_3:
.LBB431_4:
	s_waitcnt vmcnt(0)
	v_lshrrev_b32_e32 v1, 31, v2
	s_min_u32 s2, s5, s7
	s_and_b32 vcc_lo, exec_lo, s12
	s_add_i32 s13, s6, s2
	s_min_u32 s6, s6, s2
	v_add_nc_u32_e32 v1, v2, v1
	v_subrev_nc_u32_e32 v0, s13, v0
	s_add_i32 s13, s2, s0
	v_and_b32_e32 v1, -2, v1
	v_add_nc_u32_e32 v3, s6, v0
	s_min_u32 s6, s13, s7
	v_sub_nc_u32_e32 v4, v2, v1
	v_cmp_ne_u32_e64 s0, 0, v4
	s_cbranch_vccz .LBB431_13
; %bb.5:
                                        ; implicit-def: $vgpr0
	s_and_saveexec_b32 s7, s1
	s_cbranch_execz .LBB431_16
; %bb.6:
	v_mov_b32_e32 v5, s2
	s_cmp_ge_u32 s5, s6
	s_cbranch_scc1 .LBB431_15
; %bb.7:
	v_mov_b32_e32 v6, s6
	v_mov_b32_e32 v5, s2
	;; [unrolled: 1-line block ×3, first 2 shown]
	v_cndmask_b32_e64 v7, 0, 1, s0
	s_mov_b32 s12, 0
	s_branch .LBB431_9
.LBB431_8:                              ;   in Loop: Header=BB431_9 Depth=1
	v_add_nc_u32_e32 v8, 1, v0
	v_cndmask_b32_e64 v6, v0, v6, s13
	v_cndmask_b32_e64 v5, v5, v8, s13
	v_cmp_ge_u32_e32 vcc_lo, v5, v6
	s_or_b32 s12, vcc_lo, s12
	s_andn2_b32 exec_lo, exec_lo, s12
	s_cbranch_execz .LBB431_14
.LBB431_9:                              ; =>This Inner Loop Header: Depth=1
	v_add_nc_u32_e32 v0, v5, v6
	s_mov_b32 s14, -1
                                        ; implicit-def: $sgpr13
	v_lshrrev_b32_e32 v0, 1, v0
	v_lshlrev_b64 v[8:9], 2, v[0:1]
	v_add_co_u32 v8, vcc_lo, s8, v8
	v_add_co_ci_u32_e64 v9, null, s9, v9, vcc_lo
	s_andn2_b32 vcc_lo, exec_lo, s4
	global_load_dword v8, v[8:9], off
	s_waitcnt vmcnt(0)
	v_lshrrev_b32_e32 v9, 31, v8
	v_add_nc_u32_e32 v9, v8, v9
	v_and_b32_e32 v9, -2, v9
	v_sub_nc_u32_e32 v9, v8, v9
	v_cmp_eq_u32_e64 s1, v9, v4
	s_cbranch_vccnz .LBB431_11
; %bb.10:                               ;   in Loop: Header=BB431_9 Depth=1
	v_cmp_ge_i32_e32 vcc_lo, v2, v8
	s_mov_b32 s14, 0
	v_cndmask_b32_e64 v10, 0, 1, vcc_lo
	v_cndmask_b32_e64 v10, v7, v10, s1
	v_and_b32_e32 v10, 1, v10
	v_cmp_eq_u32_e64 s13, 1, v10
.LBB431_11:                             ;   in Loop: Header=BB431_9 Depth=1
	s_andn2_b32 vcc_lo, exec_lo, s14
	s_cbranch_vccnz .LBB431_8
; %bb.12:                               ;   in Loop: Header=BB431_9 Depth=1
	v_cmp_lt_i32_e32 vcc_lo, v8, v2
	v_cndmask_b32_e64 v8, 0, 1, vcc_lo
	v_cmp_eq_u32_e32 vcc_lo, 0, v9
	v_cndmask_b32_e64 v9, 0, 1, vcc_lo
	v_cndmask_b32_e64 v8, v9, v8, s1
	s_andn2_b32 s1, s13, exec_lo
	v_and_b32_e32 v8, 1, v8
	v_cmp_eq_u32_e32 vcc_lo, 1, v8
	s_and_b32 s13, vcc_lo, exec_lo
	s_or_b32 s13, s1, s13
	s_branch .LBB431_8
.LBB431_13:
                                        ; implicit-def: $vgpr0
	s_cbranch_execnz .LBB431_17
	s_branch .LBB431_26
.LBB431_14:
	s_or_b32 exec_lo, exec_lo, s12
.LBB431_15:
	v_add_nc_u32_e32 v0, v5, v3
	s_or_b32 s3, s3, exec_lo
.LBB431_16:
	s_or_b32 exec_lo, exec_lo, s7
	s_branch .LBB431_26
.LBB431_17:
	v_mov_b32_e32 v5, s2
	s_cmp_ge_u32 s5, s6
	s_cbranch_scc1 .LBB431_25
; %bb.18:
	v_mov_b32_e32 v6, s6
	v_mov_b32_e32 v5, s2
	v_mov_b32_e32 v1, 0
	v_cndmask_b32_e64 v7, 0, 1, s0
	s_mov_b32 s1, 0
	s_branch .LBB431_20
.LBB431_19:                             ;   in Loop: Header=BB431_20 Depth=1
	v_add_nc_u32_e32 v8, 1, v0
	v_cndmask_b32_e64 v6, v0, v6, s2
	v_cndmask_b32_e64 v5, v5, v8, s2
	v_cmp_ge_u32_e32 vcc_lo, v5, v6
	s_or_b32 s1, vcc_lo, s1
	s_andn2_b32 exec_lo, exec_lo, s1
	s_cbranch_execz .LBB431_24
.LBB431_20:                             ; =>This Inner Loop Header: Depth=1
	v_add_nc_u32_e32 v0, v5, v6
	s_mov_b32 s3, -1
                                        ; implicit-def: $sgpr2
	v_lshrrev_b32_e32 v0, 1, v0
	v_lshlrev_b64 v[8:9], 2, v[0:1]
	v_add_co_u32 v8, vcc_lo, s8, v8
	v_add_co_ci_u32_e64 v9, null, s9, v9, vcc_lo
	s_andn2_b32 vcc_lo, exec_lo, s4
	global_load_dword v8, v[8:9], off
	s_waitcnt vmcnt(0)
	v_lshrrev_b32_e32 v9, 31, v8
	v_add_nc_u32_e32 v9, v8, v9
	v_and_b32_e32 v9, -2, v9
	v_sub_nc_u32_e32 v9, v8, v9
	v_cmp_eq_u32_e64 s0, v9, v4
	s_cbranch_vccnz .LBB431_22
; %bb.21:                               ;   in Loop: Header=BB431_20 Depth=1
	v_cmp_ge_i32_e32 vcc_lo, v2, v8
	s_mov_b32 s3, 0
	v_cndmask_b32_e64 v10, 0, 1, vcc_lo
	v_cndmask_b32_e64 v10, v7, v10, s0
	v_and_b32_e32 v10, 1, v10
	v_cmp_eq_u32_e64 s2, 1, v10
.LBB431_22:                             ;   in Loop: Header=BB431_20 Depth=1
	s_andn2_b32 vcc_lo, exec_lo, s3
	s_cbranch_vccnz .LBB431_19
; %bb.23:                               ;   in Loop: Header=BB431_20 Depth=1
	v_cmp_lt_i32_e32 vcc_lo, v8, v2
	v_cndmask_b32_e64 v8, 0, 1, vcc_lo
	v_cmp_eq_u32_e32 vcc_lo, 0, v9
	v_cndmask_b32_e64 v9, 0, 1, vcc_lo
	v_cndmask_b32_e64 v8, v9, v8, s0
	s_andn2_b32 s0, s2, exec_lo
	v_and_b32_e32 v8, 1, v8
	v_cmp_eq_u32_e32 vcc_lo, 1, v8
	s_and_b32 s2, vcc_lo, exec_lo
	s_or_b32 s2, s0, s2
	s_branch .LBB431_19
.LBB431_24:
	s_or_b32 exec_lo, exec_lo, s1
.LBB431_25:
	v_add_nc_u32_e32 v0, v5, v3
	s_mov_b32 s3, -1
.LBB431_26:
	s_and_b32 exec_lo, exec_lo, s3
	s_cbranch_execz .LBB431_28
; %bb.27:
	v_mov_b32_e32 v1, 0
	v_lshlrev_b64 v[0:1], 2, v[0:1]
	v_add_co_u32 v0, vcc_lo, s10, v0
	v_add_co_ci_u32_e64 v1, null, s11, v1, vcc_lo
	s_waitcnt vmcnt(0)
	global_store_dword v[0:1], v2, off
.LBB431_28:
	s_endpgm
	.section	.rodata,"a",@progbits
	.p2align	6, 0x0
	.amdhsa_kernel _ZN7rocprim17ROCPRIM_400000_NS6detail17trampoline_kernelINS0_14default_configENS1_38merge_sort_block_merge_config_selectorIiNS0_10empty_typeEEEZZNS1_27merge_sort_block_merge_implIS3_N6thrust23THRUST_200600_302600_NS6detail15normal_iteratorINS9_10device_ptrIiEEEEPS5_m17evens_before_oddsEE10hipError_tT0_T1_T2_jT3_P12ihipStream_tbPNSt15iterator_traitsISI_E10value_typeEPNSO_ISJ_E10value_typeEPSK_NS1_7vsmem_tEENKUlT_SI_SJ_SK_E_clIPiSE_SF_SF_EESH_SX_SI_SJ_SK_EUlSX_E1_NS1_11comp_targetILNS1_3genE8ELNS1_11target_archE1030ELNS1_3gpuE2ELNS1_3repE0EEENS1_36merge_oddeven_config_static_selectorELNS0_4arch9wavefront6targetE0EEEvSJ_
		.amdhsa_group_segment_fixed_size 0
		.amdhsa_private_segment_fixed_size 0
		.amdhsa_kernarg_size 56
		.amdhsa_user_sgpr_count 6
		.amdhsa_user_sgpr_private_segment_buffer 1
		.amdhsa_user_sgpr_dispatch_ptr 0
		.amdhsa_user_sgpr_queue_ptr 0
		.amdhsa_user_sgpr_kernarg_segment_ptr 1
		.amdhsa_user_sgpr_dispatch_id 0
		.amdhsa_user_sgpr_flat_scratch_init 0
		.amdhsa_user_sgpr_private_segment_size 0
		.amdhsa_wavefront_size32 1
		.amdhsa_uses_dynamic_stack 0
		.amdhsa_system_sgpr_private_segment_wavefront_offset 0
		.amdhsa_system_sgpr_workgroup_id_x 1
		.amdhsa_system_sgpr_workgroup_id_y 0
		.amdhsa_system_sgpr_workgroup_id_z 0
		.amdhsa_system_sgpr_workgroup_info 0
		.amdhsa_system_vgpr_workitem_id 0
		.amdhsa_next_free_vgpr 11
		.amdhsa_next_free_sgpr 16
		.amdhsa_reserve_vcc 1
		.amdhsa_reserve_flat_scratch 0
		.amdhsa_float_round_mode_32 0
		.amdhsa_float_round_mode_16_64 0
		.amdhsa_float_denorm_mode_32 3
		.amdhsa_float_denorm_mode_16_64 3
		.amdhsa_dx10_clamp 1
		.amdhsa_ieee_mode 1
		.amdhsa_fp16_overflow 0
		.amdhsa_workgroup_processor_mode 1
		.amdhsa_memory_ordered 1
		.amdhsa_forward_progress 1
		.amdhsa_shared_vgpr_count 0
		.amdhsa_exception_fp_ieee_invalid_op 0
		.amdhsa_exception_fp_denorm_src 0
		.amdhsa_exception_fp_ieee_div_zero 0
		.amdhsa_exception_fp_ieee_overflow 0
		.amdhsa_exception_fp_ieee_underflow 0
		.amdhsa_exception_fp_ieee_inexact 0
		.amdhsa_exception_int_div_zero 0
	.end_amdhsa_kernel
	.section	.text._ZN7rocprim17ROCPRIM_400000_NS6detail17trampoline_kernelINS0_14default_configENS1_38merge_sort_block_merge_config_selectorIiNS0_10empty_typeEEEZZNS1_27merge_sort_block_merge_implIS3_N6thrust23THRUST_200600_302600_NS6detail15normal_iteratorINS9_10device_ptrIiEEEEPS5_m17evens_before_oddsEE10hipError_tT0_T1_T2_jT3_P12ihipStream_tbPNSt15iterator_traitsISI_E10value_typeEPNSO_ISJ_E10value_typeEPSK_NS1_7vsmem_tEENKUlT_SI_SJ_SK_E_clIPiSE_SF_SF_EESH_SX_SI_SJ_SK_EUlSX_E1_NS1_11comp_targetILNS1_3genE8ELNS1_11target_archE1030ELNS1_3gpuE2ELNS1_3repE0EEENS1_36merge_oddeven_config_static_selectorELNS0_4arch9wavefront6targetE0EEEvSJ_,"axG",@progbits,_ZN7rocprim17ROCPRIM_400000_NS6detail17trampoline_kernelINS0_14default_configENS1_38merge_sort_block_merge_config_selectorIiNS0_10empty_typeEEEZZNS1_27merge_sort_block_merge_implIS3_N6thrust23THRUST_200600_302600_NS6detail15normal_iteratorINS9_10device_ptrIiEEEEPS5_m17evens_before_oddsEE10hipError_tT0_T1_T2_jT3_P12ihipStream_tbPNSt15iterator_traitsISI_E10value_typeEPNSO_ISJ_E10value_typeEPSK_NS1_7vsmem_tEENKUlT_SI_SJ_SK_E_clIPiSE_SF_SF_EESH_SX_SI_SJ_SK_EUlSX_E1_NS1_11comp_targetILNS1_3genE8ELNS1_11target_archE1030ELNS1_3gpuE2ELNS1_3repE0EEENS1_36merge_oddeven_config_static_selectorELNS0_4arch9wavefront6targetE0EEEvSJ_,comdat
.Lfunc_end431:
	.size	_ZN7rocprim17ROCPRIM_400000_NS6detail17trampoline_kernelINS0_14default_configENS1_38merge_sort_block_merge_config_selectorIiNS0_10empty_typeEEEZZNS1_27merge_sort_block_merge_implIS3_N6thrust23THRUST_200600_302600_NS6detail15normal_iteratorINS9_10device_ptrIiEEEEPS5_m17evens_before_oddsEE10hipError_tT0_T1_T2_jT3_P12ihipStream_tbPNSt15iterator_traitsISI_E10value_typeEPNSO_ISJ_E10value_typeEPSK_NS1_7vsmem_tEENKUlT_SI_SJ_SK_E_clIPiSE_SF_SF_EESH_SX_SI_SJ_SK_EUlSX_E1_NS1_11comp_targetILNS1_3genE8ELNS1_11target_archE1030ELNS1_3gpuE2ELNS1_3repE0EEENS1_36merge_oddeven_config_static_selectorELNS0_4arch9wavefront6targetE0EEEvSJ_, .Lfunc_end431-_ZN7rocprim17ROCPRIM_400000_NS6detail17trampoline_kernelINS0_14default_configENS1_38merge_sort_block_merge_config_selectorIiNS0_10empty_typeEEEZZNS1_27merge_sort_block_merge_implIS3_N6thrust23THRUST_200600_302600_NS6detail15normal_iteratorINS9_10device_ptrIiEEEEPS5_m17evens_before_oddsEE10hipError_tT0_T1_T2_jT3_P12ihipStream_tbPNSt15iterator_traitsISI_E10value_typeEPNSO_ISJ_E10value_typeEPSK_NS1_7vsmem_tEENKUlT_SI_SJ_SK_E_clIPiSE_SF_SF_EESH_SX_SI_SJ_SK_EUlSX_E1_NS1_11comp_targetILNS1_3genE8ELNS1_11target_archE1030ELNS1_3gpuE2ELNS1_3repE0EEENS1_36merge_oddeven_config_static_selectorELNS0_4arch9wavefront6targetE0EEEvSJ_
                                        ; -- End function
	.set _ZN7rocprim17ROCPRIM_400000_NS6detail17trampoline_kernelINS0_14default_configENS1_38merge_sort_block_merge_config_selectorIiNS0_10empty_typeEEEZZNS1_27merge_sort_block_merge_implIS3_N6thrust23THRUST_200600_302600_NS6detail15normal_iteratorINS9_10device_ptrIiEEEEPS5_m17evens_before_oddsEE10hipError_tT0_T1_T2_jT3_P12ihipStream_tbPNSt15iterator_traitsISI_E10value_typeEPNSO_ISJ_E10value_typeEPSK_NS1_7vsmem_tEENKUlT_SI_SJ_SK_E_clIPiSE_SF_SF_EESH_SX_SI_SJ_SK_EUlSX_E1_NS1_11comp_targetILNS1_3genE8ELNS1_11target_archE1030ELNS1_3gpuE2ELNS1_3repE0EEENS1_36merge_oddeven_config_static_selectorELNS0_4arch9wavefront6targetE0EEEvSJ_.num_vgpr, 11
	.set _ZN7rocprim17ROCPRIM_400000_NS6detail17trampoline_kernelINS0_14default_configENS1_38merge_sort_block_merge_config_selectorIiNS0_10empty_typeEEEZZNS1_27merge_sort_block_merge_implIS3_N6thrust23THRUST_200600_302600_NS6detail15normal_iteratorINS9_10device_ptrIiEEEEPS5_m17evens_before_oddsEE10hipError_tT0_T1_T2_jT3_P12ihipStream_tbPNSt15iterator_traitsISI_E10value_typeEPNSO_ISJ_E10value_typeEPSK_NS1_7vsmem_tEENKUlT_SI_SJ_SK_E_clIPiSE_SF_SF_EESH_SX_SI_SJ_SK_EUlSX_E1_NS1_11comp_targetILNS1_3genE8ELNS1_11target_archE1030ELNS1_3gpuE2ELNS1_3repE0EEENS1_36merge_oddeven_config_static_selectorELNS0_4arch9wavefront6targetE0EEEvSJ_.num_agpr, 0
	.set _ZN7rocprim17ROCPRIM_400000_NS6detail17trampoline_kernelINS0_14default_configENS1_38merge_sort_block_merge_config_selectorIiNS0_10empty_typeEEEZZNS1_27merge_sort_block_merge_implIS3_N6thrust23THRUST_200600_302600_NS6detail15normal_iteratorINS9_10device_ptrIiEEEEPS5_m17evens_before_oddsEE10hipError_tT0_T1_T2_jT3_P12ihipStream_tbPNSt15iterator_traitsISI_E10value_typeEPNSO_ISJ_E10value_typeEPSK_NS1_7vsmem_tEENKUlT_SI_SJ_SK_E_clIPiSE_SF_SF_EESH_SX_SI_SJ_SK_EUlSX_E1_NS1_11comp_targetILNS1_3genE8ELNS1_11target_archE1030ELNS1_3gpuE2ELNS1_3repE0EEENS1_36merge_oddeven_config_static_selectorELNS0_4arch9wavefront6targetE0EEEvSJ_.numbered_sgpr, 16
	.set _ZN7rocprim17ROCPRIM_400000_NS6detail17trampoline_kernelINS0_14default_configENS1_38merge_sort_block_merge_config_selectorIiNS0_10empty_typeEEEZZNS1_27merge_sort_block_merge_implIS3_N6thrust23THRUST_200600_302600_NS6detail15normal_iteratorINS9_10device_ptrIiEEEEPS5_m17evens_before_oddsEE10hipError_tT0_T1_T2_jT3_P12ihipStream_tbPNSt15iterator_traitsISI_E10value_typeEPNSO_ISJ_E10value_typeEPSK_NS1_7vsmem_tEENKUlT_SI_SJ_SK_E_clIPiSE_SF_SF_EESH_SX_SI_SJ_SK_EUlSX_E1_NS1_11comp_targetILNS1_3genE8ELNS1_11target_archE1030ELNS1_3gpuE2ELNS1_3repE0EEENS1_36merge_oddeven_config_static_selectorELNS0_4arch9wavefront6targetE0EEEvSJ_.num_named_barrier, 0
	.set _ZN7rocprim17ROCPRIM_400000_NS6detail17trampoline_kernelINS0_14default_configENS1_38merge_sort_block_merge_config_selectorIiNS0_10empty_typeEEEZZNS1_27merge_sort_block_merge_implIS3_N6thrust23THRUST_200600_302600_NS6detail15normal_iteratorINS9_10device_ptrIiEEEEPS5_m17evens_before_oddsEE10hipError_tT0_T1_T2_jT3_P12ihipStream_tbPNSt15iterator_traitsISI_E10value_typeEPNSO_ISJ_E10value_typeEPSK_NS1_7vsmem_tEENKUlT_SI_SJ_SK_E_clIPiSE_SF_SF_EESH_SX_SI_SJ_SK_EUlSX_E1_NS1_11comp_targetILNS1_3genE8ELNS1_11target_archE1030ELNS1_3gpuE2ELNS1_3repE0EEENS1_36merge_oddeven_config_static_selectorELNS0_4arch9wavefront6targetE0EEEvSJ_.private_seg_size, 0
	.set _ZN7rocprim17ROCPRIM_400000_NS6detail17trampoline_kernelINS0_14default_configENS1_38merge_sort_block_merge_config_selectorIiNS0_10empty_typeEEEZZNS1_27merge_sort_block_merge_implIS3_N6thrust23THRUST_200600_302600_NS6detail15normal_iteratorINS9_10device_ptrIiEEEEPS5_m17evens_before_oddsEE10hipError_tT0_T1_T2_jT3_P12ihipStream_tbPNSt15iterator_traitsISI_E10value_typeEPNSO_ISJ_E10value_typeEPSK_NS1_7vsmem_tEENKUlT_SI_SJ_SK_E_clIPiSE_SF_SF_EESH_SX_SI_SJ_SK_EUlSX_E1_NS1_11comp_targetILNS1_3genE8ELNS1_11target_archE1030ELNS1_3gpuE2ELNS1_3repE0EEENS1_36merge_oddeven_config_static_selectorELNS0_4arch9wavefront6targetE0EEEvSJ_.uses_vcc, 1
	.set _ZN7rocprim17ROCPRIM_400000_NS6detail17trampoline_kernelINS0_14default_configENS1_38merge_sort_block_merge_config_selectorIiNS0_10empty_typeEEEZZNS1_27merge_sort_block_merge_implIS3_N6thrust23THRUST_200600_302600_NS6detail15normal_iteratorINS9_10device_ptrIiEEEEPS5_m17evens_before_oddsEE10hipError_tT0_T1_T2_jT3_P12ihipStream_tbPNSt15iterator_traitsISI_E10value_typeEPNSO_ISJ_E10value_typeEPSK_NS1_7vsmem_tEENKUlT_SI_SJ_SK_E_clIPiSE_SF_SF_EESH_SX_SI_SJ_SK_EUlSX_E1_NS1_11comp_targetILNS1_3genE8ELNS1_11target_archE1030ELNS1_3gpuE2ELNS1_3repE0EEENS1_36merge_oddeven_config_static_selectorELNS0_4arch9wavefront6targetE0EEEvSJ_.uses_flat_scratch, 0
	.set _ZN7rocprim17ROCPRIM_400000_NS6detail17trampoline_kernelINS0_14default_configENS1_38merge_sort_block_merge_config_selectorIiNS0_10empty_typeEEEZZNS1_27merge_sort_block_merge_implIS3_N6thrust23THRUST_200600_302600_NS6detail15normal_iteratorINS9_10device_ptrIiEEEEPS5_m17evens_before_oddsEE10hipError_tT0_T1_T2_jT3_P12ihipStream_tbPNSt15iterator_traitsISI_E10value_typeEPNSO_ISJ_E10value_typeEPSK_NS1_7vsmem_tEENKUlT_SI_SJ_SK_E_clIPiSE_SF_SF_EESH_SX_SI_SJ_SK_EUlSX_E1_NS1_11comp_targetILNS1_3genE8ELNS1_11target_archE1030ELNS1_3gpuE2ELNS1_3repE0EEENS1_36merge_oddeven_config_static_selectorELNS0_4arch9wavefront6targetE0EEEvSJ_.has_dyn_sized_stack, 0
	.set _ZN7rocprim17ROCPRIM_400000_NS6detail17trampoline_kernelINS0_14default_configENS1_38merge_sort_block_merge_config_selectorIiNS0_10empty_typeEEEZZNS1_27merge_sort_block_merge_implIS3_N6thrust23THRUST_200600_302600_NS6detail15normal_iteratorINS9_10device_ptrIiEEEEPS5_m17evens_before_oddsEE10hipError_tT0_T1_T2_jT3_P12ihipStream_tbPNSt15iterator_traitsISI_E10value_typeEPNSO_ISJ_E10value_typeEPSK_NS1_7vsmem_tEENKUlT_SI_SJ_SK_E_clIPiSE_SF_SF_EESH_SX_SI_SJ_SK_EUlSX_E1_NS1_11comp_targetILNS1_3genE8ELNS1_11target_archE1030ELNS1_3gpuE2ELNS1_3repE0EEENS1_36merge_oddeven_config_static_selectorELNS0_4arch9wavefront6targetE0EEEvSJ_.has_recursion, 0
	.set _ZN7rocprim17ROCPRIM_400000_NS6detail17trampoline_kernelINS0_14default_configENS1_38merge_sort_block_merge_config_selectorIiNS0_10empty_typeEEEZZNS1_27merge_sort_block_merge_implIS3_N6thrust23THRUST_200600_302600_NS6detail15normal_iteratorINS9_10device_ptrIiEEEEPS5_m17evens_before_oddsEE10hipError_tT0_T1_T2_jT3_P12ihipStream_tbPNSt15iterator_traitsISI_E10value_typeEPNSO_ISJ_E10value_typeEPSK_NS1_7vsmem_tEENKUlT_SI_SJ_SK_E_clIPiSE_SF_SF_EESH_SX_SI_SJ_SK_EUlSX_E1_NS1_11comp_targetILNS1_3genE8ELNS1_11target_archE1030ELNS1_3gpuE2ELNS1_3repE0EEENS1_36merge_oddeven_config_static_selectorELNS0_4arch9wavefront6targetE0EEEvSJ_.has_indirect_call, 0
	.section	.AMDGPU.csdata,"",@progbits
; Kernel info:
; codeLenInByte = 864
; TotalNumSgprs: 18
; NumVgprs: 11
; ScratchSize: 0
; MemoryBound: 0
; FloatMode: 240
; IeeeMode: 1
; LDSByteSize: 0 bytes/workgroup (compile time only)
; SGPRBlocks: 0
; VGPRBlocks: 1
; NumSGPRsForWavesPerEU: 18
; NumVGPRsForWavesPerEU: 11
; Occupancy: 16
; WaveLimiterHint : 0
; COMPUTE_PGM_RSRC2:SCRATCH_EN: 0
; COMPUTE_PGM_RSRC2:USER_SGPR: 6
; COMPUTE_PGM_RSRC2:TRAP_HANDLER: 0
; COMPUTE_PGM_RSRC2:TGID_X_EN: 1
; COMPUTE_PGM_RSRC2:TGID_Y_EN: 0
; COMPUTE_PGM_RSRC2:TGID_Z_EN: 0
; COMPUTE_PGM_RSRC2:TIDIG_COMP_CNT: 0
	.section	.text._ZN7rocprim17ROCPRIM_400000_NS6detail17trampoline_kernelINS0_14default_configENS1_38merge_sort_block_merge_config_selectorIiNS0_10empty_typeEEEZZNS1_27merge_sort_block_merge_implIS3_N6thrust23THRUST_200600_302600_NS6detail15normal_iteratorINS9_10device_ptrIiEEEEPS5_m17evens_before_oddsEE10hipError_tT0_T1_T2_jT3_P12ihipStream_tbPNSt15iterator_traitsISI_E10value_typeEPNSO_ISJ_E10value_typeEPSK_NS1_7vsmem_tEENKUlT_SI_SJ_SK_E_clISE_PiSF_SF_EESH_SX_SI_SJ_SK_EUlSX_E_NS1_11comp_targetILNS1_3genE0ELNS1_11target_archE4294967295ELNS1_3gpuE0ELNS1_3repE0EEENS1_48merge_mergepath_partition_config_static_selectorELNS0_4arch9wavefront6targetE0EEEvSJ_,"axG",@progbits,_ZN7rocprim17ROCPRIM_400000_NS6detail17trampoline_kernelINS0_14default_configENS1_38merge_sort_block_merge_config_selectorIiNS0_10empty_typeEEEZZNS1_27merge_sort_block_merge_implIS3_N6thrust23THRUST_200600_302600_NS6detail15normal_iteratorINS9_10device_ptrIiEEEEPS5_m17evens_before_oddsEE10hipError_tT0_T1_T2_jT3_P12ihipStream_tbPNSt15iterator_traitsISI_E10value_typeEPNSO_ISJ_E10value_typeEPSK_NS1_7vsmem_tEENKUlT_SI_SJ_SK_E_clISE_PiSF_SF_EESH_SX_SI_SJ_SK_EUlSX_E_NS1_11comp_targetILNS1_3genE0ELNS1_11target_archE4294967295ELNS1_3gpuE0ELNS1_3repE0EEENS1_48merge_mergepath_partition_config_static_selectorELNS0_4arch9wavefront6targetE0EEEvSJ_,comdat
	.protected	_ZN7rocprim17ROCPRIM_400000_NS6detail17trampoline_kernelINS0_14default_configENS1_38merge_sort_block_merge_config_selectorIiNS0_10empty_typeEEEZZNS1_27merge_sort_block_merge_implIS3_N6thrust23THRUST_200600_302600_NS6detail15normal_iteratorINS9_10device_ptrIiEEEEPS5_m17evens_before_oddsEE10hipError_tT0_T1_T2_jT3_P12ihipStream_tbPNSt15iterator_traitsISI_E10value_typeEPNSO_ISJ_E10value_typeEPSK_NS1_7vsmem_tEENKUlT_SI_SJ_SK_E_clISE_PiSF_SF_EESH_SX_SI_SJ_SK_EUlSX_E_NS1_11comp_targetILNS1_3genE0ELNS1_11target_archE4294967295ELNS1_3gpuE0ELNS1_3repE0EEENS1_48merge_mergepath_partition_config_static_selectorELNS0_4arch9wavefront6targetE0EEEvSJ_ ; -- Begin function _ZN7rocprim17ROCPRIM_400000_NS6detail17trampoline_kernelINS0_14default_configENS1_38merge_sort_block_merge_config_selectorIiNS0_10empty_typeEEEZZNS1_27merge_sort_block_merge_implIS3_N6thrust23THRUST_200600_302600_NS6detail15normal_iteratorINS9_10device_ptrIiEEEEPS5_m17evens_before_oddsEE10hipError_tT0_T1_T2_jT3_P12ihipStream_tbPNSt15iterator_traitsISI_E10value_typeEPNSO_ISJ_E10value_typeEPSK_NS1_7vsmem_tEENKUlT_SI_SJ_SK_E_clISE_PiSF_SF_EESH_SX_SI_SJ_SK_EUlSX_E_NS1_11comp_targetILNS1_3genE0ELNS1_11target_archE4294967295ELNS1_3gpuE0ELNS1_3repE0EEENS1_48merge_mergepath_partition_config_static_selectorELNS0_4arch9wavefront6targetE0EEEvSJ_
	.globl	_ZN7rocprim17ROCPRIM_400000_NS6detail17trampoline_kernelINS0_14default_configENS1_38merge_sort_block_merge_config_selectorIiNS0_10empty_typeEEEZZNS1_27merge_sort_block_merge_implIS3_N6thrust23THRUST_200600_302600_NS6detail15normal_iteratorINS9_10device_ptrIiEEEEPS5_m17evens_before_oddsEE10hipError_tT0_T1_T2_jT3_P12ihipStream_tbPNSt15iterator_traitsISI_E10value_typeEPNSO_ISJ_E10value_typeEPSK_NS1_7vsmem_tEENKUlT_SI_SJ_SK_E_clISE_PiSF_SF_EESH_SX_SI_SJ_SK_EUlSX_E_NS1_11comp_targetILNS1_3genE0ELNS1_11target_archE4294967295ELNS1_3gpuE0ELNS1_3repE0EEENS1_48merge_mergepath_partition_config_static_selectorELNS0_4arch9wavefront6targetE0EEEvSJ_
	.p2align	8
	.type	_ZN7rocprim17ROCPRIM_400000_NS6detail17trampoline_kernelINS0_14default_configENS1_38merge_sort_block_merge_config_selectorIiNS0_10empty_typeEEEZZNS1_27merge_sort_block_merge_implIS3_N6thrust23THRUST_200600_302600_NS6detail15normal_iteratorINS9_10device_ptrIiEEEEPS5_m17evens_before_oddsEE10hipError_tT0_T1_T2_jT3_P12ihipStream_tbPNSt15iterator_traitsISI_E10value_typeEPNSO_ISJ_E10value_typeEPSK_NS1_7vsmem_tEENKUlT_SI_SJ_SK_E_clISE_PiSF_SF_EESH_SX_SI_SJ_SK_EUlSX_E_NS1_11comp_targetILNS1_3genE0ELNS1_11target_archE4294967295ELNS1_3gpuE0ELNS1_3repE0EEENS1_48merge_mergepath_partition_config_static_selectorELNS0_4arch9wavefront6targetE0EEEvSJ_,@function
_ZN7rocprim17ROCPRIM_400000_NS6detail17trampoline_kernelINS0_14default_configENS1_38merge_sort_block_merge_config_selectorIiNS0_10empty_typeEEEZZNS1_27merge_sort_block_merge_implIS3_N6thrust23THRUST_200600_302600_NS6detail15normal_iteratorINS9_10device_ptrIiEEEEPS5_m17evens_before_oddsEE10hipError_tT0_T1_T2_jT3_P12ihipStream_tbPNSt15iterator_traitsISI_E10value_typeEPNSO_ISJ_E10value_typeEPSK_NS1_7vsmem_tEENKUlT_SI_SJ_SK_E_clISE_PiSF_SF_EESH_SX_SI_SJ_SK_EUlSX_E_NS1_11comp_targetILNS1_3genE0ELNS1_11target_archE4294967295ELNS1_3gpuE0ELNS1_3repE0EEENS1_48merge_mergepath_partition_config_static_selectorELNS0_4arch9wavefront6targetE0EEEvSJ_: ; @_ZN7rocprim17ROCPRIM_400000_NS6detail17trampoline_kernelINS0_14default_configENS1_38merge_sort_block_merge_config_selectorIiNS0_10empty_typeEEEZZNS1_27merge_sort_block_merge_implIS3_N6thrust23THRUST_200600_302600_NS6detail15normal_iteratorINS9_10device_ptrIiEEEEPS5_m17evens_before_oddsEE10hipError_tT0_T1_T2_jT3_P12ihipStream_tbPNSt15iterator_traitsISI_E10value_typeEPNSO_ISJ_E10value_typeEPSK_NS1_7vsmem_tEENKUlT_SI_SJ_SK_E_clISE_PiSF_SF_EESH_SX_SI_SJ_SK_EUlSX_E_NS1_11comp_targetILNS1_3genE0ELNS1_11target_archE4294967295ELNS1_3gpuE0ELNS1_3repE0EEENS1_48merge_mergepath_partition_config_static_selectorELNS0_4arch9wavefront6targetE0EEEvSJ_
; %bb.0:
	.section	.rodata,"a",@progbits
	.p2align	6, 0x0
	.amdhsa_kernel _ZN7rocprim17ROCPRIM_400000_NS6detail17trampoline_kernelINS0_14default_configENS1_38merge_sort_block_merge_config_selectorIiNS0_10empty_typeEEEZZNS1_27merge_sort_block_merge_implIS3_N6thrust23THRUST_200600_302600_NS6detail15normal_iteratorINS9_10device_ptrIiEEEEPS5_m17evens_before_oddsEE10hipError_tT0_T1_T2_jT3_P12ihipStream_tbPNSt15iterator_traitsISI_E10value_typeEPNSO_ISJ_E10value_typeEPSK_NS1_7vsmem_tEENKUlT_SI_SJ_SK_E_clISE_PiSF_SF_EESH_SX_SI_SJ_SK_EUlSX_E_NS1_11comp_targetILNS1_3genE0ELNS1_11target_archE4294967295ELNS1_3gpuE0ELNS1_3repE0EEENS1_48merge_mergepath_partition_config_static_selectorELNS0_4arch9wavefront6targetE0EEEvSJ_
		.amdhsa_group_segment_fixed_size 0
		.amdhsa_private_segment_fixed_size 0
		.amdhsa_kernarg_size 48
		.amdhsa_user_sgpr_count 6
		.amdhsa_user_sgpr_private_segment_buffer 1
		.amdhsa_user_sgpr_dispatch_ptr 0
		.amdhsa_user_sgpr_queue_ptr 0
		.amdhsa_user_sgpr_kernarg_segment_ptr 1
		.amdhsa_user_sgpr_dispatch_id 0
		.amdhsa_user_sgpr_flat_scratch_init 0
		.amdhsa_user_sgpr_private_segment_size 0
		.amdhsa_wavefront_size32 1
		.amdhsa_uses_dynamic_stack 0
		.amdhsa_system_sgpr_private_segment_wavefront_offset 0
		.amdhsa_system_sgpr_workgroup_id_x 1
		.amdhsa_system_sgpr_workgroup_id_y 0
		.amdhsa_system_sgpr_workgroup_id_z 0
		.amdhsa_system_sgpr_workgroup_info 0
		.amdhsa_system_vgpr_workitem_id 0
		.amdhsa_next_free_vgpr 1
		.amdhsa_next_free_sgpr 1
		.amdhsa_reserve_vcc 0
		.amdhsa_reserve_flat_scratch 0
		.amdhsa_float_round_mode_32 0
		.amdhsa_float_round_mode_16_64 0
		.amdhsa_float_denorm_mode_32 3
		.amdhsa_float_denorm_mode_16_64 3
		.amdhsa_dx10_clamp 1
		.amdhsa_ieee_mode 1
		.amdhsa_fp16_overflow 0
		.amdhsa_workgroup_processor_mode 1
		.amdhsa_memory_ordered 1
		.amdhsa_forward_progress 1
		.amdhsa_shared_vgpr_count 0
		.amdhsa_exception_fp_ieee_invalid_op 0
		.amdhsa_exception_fp_denorm_src 0
		.amdhsa_exception_fp_ieee_div_zero 0
		.amdhsa_exception_fp_ieee_overflow 0
		.amdhsa_exception_fp_ieee_underflow 0
		.amdhsa_exception_fp_ieee_inexact 0
		.amdhsa_exception_int_div_zero 0
	.end_amdhsa_kernel
	.section	.text._ZN7rocprim17ROCPRIM_400000_NS6detail17trampoline_kernelINS0_14default_configENS1_38merge_sort_block_merge_config_selectorIiNS0_10empty_typeEEEZZNS1_27merge_sort_block_merge_implIS3_N6thrust23THRUST_200600_302600_NS6detail15normal_iteratorINS9_10device_ptrIiEEEEPS5_m17evens_before_oddsEE10hipError_tT0_T1_T2_jT3_P12ihipStream_tbPNSt15iterator_traitsISI_E10value_typeEPNSO_ISJ_E10value_typeEPSK_NS1_7vsmem_tEENKUlT_SI_SJ_SK_E_clISE_PiSF_SF_EESH_SX_SI_SJ_SK_EUlSX_E_NS1_11comp_targetILNS1_3genE0ELNS1_11target_archE4294967295ELNS1_3gpuE0ELNS1_3repE0EEENS1_48merge_mergepath_partition_config_static_selectorELNS0_4arch9wavefront6targetE0EEEvSJ_,"axG",@progbits,_ZN7rocprim17ROCPRIM_400000_NS6detail17trampoline_kernelINS0_14default_configENS1_38merge_sort_block_merge_config_selectorIiNS0_10empty_typeEEEZZNS1_27merge_sort_block_merge_implIS3_N6thrust23THRUST_200600_302600_NS6detail15normal_iteratorINS9_10device_ptrIiEEEEPS5_m17evens_before_oddsEE10hipError_tT0_T1_T2_jT3_P12ihipStream_tbPNSt15iterator_traitsISI_E10value_typeEPNSO_ISJ_E10value_typeEPSK_NS1_7vsmem_tEENKUlT_SI_SJ_SK_E_clISE_PiSF_SF_EESH_SX_SI_SJ_SK_EUlSX_E_NS1_11comp_targetILNS1_3genE0ELNS1_11target_archE4294967295ELNS1_3gpuE0ELNS1_3repE0EEENS1_48merge_mergepath_partition_config_static_selectorELNS0_4arch9wavefront6targetE0EEEvSJ_,comdat
.Lfunc_end432:
	.size	_ZN7rocprim17ROCPRIM_400000_NS6detail17trampoline_kernelINS0_14default_configENS1_38merge_sort_block_merge_config_selectorIiNS0_10empty_typeEEEZZNS1_27merge_sort_block_merge_implIS3_N6thrust23THRUST_200600_302600_NS6detail15normal_iteratorINS9_10device_ptrIiEEEEPS5_m17evens_before_oddsEE10hipError_tT0_T1_T2_jT3_P12ihipStream_tbPNSt15iterator_traitsISI_E10value_typeEPNSO_ISJ_E10value_typeEPSK_NS1_7vsmem_tEENKUlT_SI_SJ_SK_E_clISE_PiSF_SF_EESH_SX_SI_SJ_SK_EUlSX_E_NS1_11comp_targetILNS1_3genE0ELNS1_11target_archE4294967295ELNS1_3gpuE0ELNS1_3repE0EEENS1_48merge_mergepath_partition_config_static_selectorELNS0_4arch9wavefront6targetE0EEEvSJ_, .Lfunc_end432-_ZN7rocprim17ROCPRIM_400000_NS6detail17trampoline_kernelINS0_14default_configENS1_38merge_sort_block_merge_config_selectorIiNS0_10empty_typeEEEZZNS1_27merge_sort_block_merge_implIS3_N6thrust23THRUST_200600_302600_NS6detail15normal_iteratorINS9_10device_ptrIiEEEEPS5_m17evens_before_oddsEE10hipError_tT0_T1_T2_jT3_P12ihipStream_tbPNSt15iterator_traitsISI_E10value_typeEPNSO_ISJ_E10value_typeEPSK_NS1_7vsmem_tEENKUlT_SI_SJ_SK_E_clISE_PiSF_SF_EESH_SX_SI_SJ_SK_EUlSX_E_NS1_11comp_targetILNS1_3genE0ELNS1_11target_archE4294967295ELNS1_3gpuE0ELNS1_3repE0EEENS1_48merge_mergepath_partition_config_static_selectorELNS0_4arch9wavefront6targetE0EEEvSJ_
                                        ; -- End function
	.set _ZN7rocprim17ROCPRIM_400000_NS6detail17trampoline_kernelINS0_14default_configENS1_38merge_sort_block_merge_config_selectorIiNS0_10empty_typeEEEZZNS1_27merge_sort_block_merge_implIS3_N6thrust23THRUST_200600_302600_NS6detail15normal_iteratorINS9_10device_ptrIiEEEEPS5_m17evens_before_oddsEE10hipError_tT0_T1_T2_jT3_P12ihipStream_tbPNSt15iterator_traitsISI_E10value_typeEPNSO_ISJ_E10value_typeEPSK_NS1_7vsmem_tEENKUlT_SI_SJ_SK_E_clISE_PiSF_SF_EESH_SX_SI_SJ_SK_EUlSX_E_NS1_11comp_targetILNS1_3genE0ELNS1_11target_archE4294967295ELNS1_3gpuE0ELNS1_3repE0EEENS1_48merge_mergepath_partition_config_static_selectorELNS0_4arch9wavefront6targetE0EEEvSJ_.num_vgpr, 0
	.set _ZN7rocprim17ROCPRIM_400000_NS6detail17trampoline_kernelINS0_14default_configENS1_38merge_sort_block_merge_config_selectorIiNS0_10empty_typeEEEZZNS1_27merge_sort_block_merge_implIS3_N6thrust23THRUST_200600_302600_NS6detail15normal_iteratorINS9_10device_ptrIiEEEEPS5_m17evens_before_oddsEE10hipError_tT0_T1_T2_jT3_P12ihipStream_tbPNSt15iterator_traitsISI_E10value_typeEPNSO_ISJ_E10value_typeEPSK_NS1_7vsmem_tEENKUlT_SI_SJ_SK_E_clISE_PiSF_SF_EESH_SX_SI_SJ_SK_EUlSX_E_NS1_11comp_targetILNS1_3genE0ELNS1_11target_archE4294967295ELNS1_3gpuE0ELNS1_3repE0EEENS1_48merge_mergepath_partition_config_static_selectorELNS0_4arch9wavefront6targetE0EEEvSJ_.num_agpr, 0
	.set _ZN7rocprim17ROCPRIM_400000_NS6detail17trampoline_kernelINS0_14default_configENS1_38merge_sort_block_merge_config_selectorIiNS0_10empty_typeEEEZZNS1_27merge_sort_block_merge_implIS3_N6thrust23THRUST_200600_302600_NS6detail15normal_iteratorINS9_10device_ptrIiEEEEPS5_m17evens_before_oddsEE10hipError_tT0_T1_T2_jT3_P12ihipStream_tbPNSt15iterator_traitsISI_E10value_typeEPNSO_ISJ_E10value_typeEPSK_NS1_7vsmem_tEENKUlT_SI_SJ_SK_E_clISE_PiSF_SF_EESH_SX_SI_SJ_SK_EUlSX_E_NS1_11comp_targetILNS1_3genE0ELNS1_11target_archE4294967295ELNS1_3gpuE0ELNS1_3repE0EEENS1_48merge_mergepath_partition_config_static_selectorELNS0_4arch9wavefront6targetE0EEEvSJ_.numbered_sgpr, 0
	.set _ZN7rocprim17ROCPRIM_400000_NS6detail17trampoline_kernelINS0_14default_configENS1_38merge_sort_block_merge_config_selectorIiNS0_10empty_typeEEEZZNS1_27merge_sort_block_merge_implIS3_N6thrust23THRUST_200600_302600_NS6detail15normal_iteratorINS9_10device_ptrIiEEEEPS5_m17evens_before_oddsEE10hipError_tT0_T1_T2_jT3_P12ihipStream_tbPNSt15iterator_traitsISI_E10value_typeEPNSO_ISJ_E10value_typeEPSK_NS1_7vsmem_tEENKUlT_SI_SJ_SK_E_clISE_PiSF_SF_EESH_SX_SI_SJ_SK_EUlSX_E_NS1_11comp_targetILNS1_3genE0ELNS1_11target_archE4294967295ELNS1_3gpuE0ELNS1_3repE0EEENS1_48merge_mergepath_partition_config_static_selectorELNS0_4arch9wavefront6targetE0EEEvSJ_.num_named_barrier, 0
	.set _ZN7rocprim17ROCPRIM_400000_NS6detail17trampoline_kernelINS0_14default_configENS1_38merge_sort_block_merge_config_selectorIiNS0_10empty_typeEEEZZNS1_27merge_sort_block_merge_implIS3_N6thrust23THRUST_200600_302600_NS6detail15normal_iteratorINS9_10device_ptrIiEEEEPS5_m17evens_before_oddsEE10hipError_tT0_T1_T2_jT3_P12ihipStream_tbPNSt15iterator_traitsISI_E10value_typeEPNSO_ISJ_E10value_typeEPSK_NS1_7vsmem_tEENKUlT_SI_SJ_SK_E_clISE_PiSF_SF_EESH_SX_SI_SJ_SK_EUlSX_E_NS1_11comp_targetILNS1_3genE0ELNS1_11target_archE4294967295ELNS1_3gpuE0ELNS1_3repE0EEENS1_48merge_mergepath_partition_config_static_selectorELNS0_4arch9wavefront6targetE0EEEvSJ_.private_seg_size, 0
	.set _ZN7rocprim17ROCPRIM_400000_NS6detail17trampoline_kernelINS0_14default_configENS1_38merge_sort_block_merge_config_selectorIiNS0_10empty_typeEEEZZNS1_27merge_sort_block_merge_implIS3_N6thrust23THRUST_200600_302600_NS6detail15normal_iteratorINS9_10device_ptrIiEEEEPS5_m17evens_before_oddsEE10hipError_tT0_T1_T2_jT3_P12ihipStream_tbPNSt15iterator_traitsISI_E10value_typeEPNSO_ISJ_E10value_typeEPSK_NS1_7vsmem_tEENKUlT_SI_SJ_SK_E_clISE_PiSF_SF_EESH_SX_SI_SJ_SK_EUlSX_E_NS1_11comp_targetILNS1_3genE0ELNS1_11target_archE4294967295ELNS1_3gpuE0ELNS1_3repE0EEENS1_48merge_mergepath_partition_config_static_selectorELNS0_4arch9wavefront6targetE0EEEvSJ_.uses_vcc, 0
	.set _ZN7rocprim17ROCPRIM_400000_NS6detail17trampoline_kernelINS0_14default_configENS1_38merge_sort_block_merge_config_selectorIiNS0_10empty_typeEEEZZNS1_27merge_sort_block_merge_implIS3_N6thrust23THRUST_200600_302600_NS6detail15normal_iteratorINS9_10device_ptrIiEEEEPS5_m17evens_before_oddsEE10hipError_tT0_T1_T2_jT3_P12ihipStream_tbPNSt15iterator_traitsISI_E10value_typeEPNSO_ISJ_E10value_typeEPSK_NS1_7vsmem_tEENKUlT_SI_SJ_SK_E_clISE_PiSF_SF_EESH_SX_SI_SJ_SK_EUlSX_E_NS1_11comp_targetILNS1_3genE0ELNS1_11target_archE4294967295ELNS1_3gpuE0ELNS1_3repE0EEENS1_48merge_mergepath_partition_config_static_selectorELNS0_4arch9wavefront6targetE0EEEvSJ_.uses_flat_scratch, 0
	.set _ZN7rocprim17ROCPRIM_400000_NS6detail17trampoline_kernelINS0_14default_configENS1_38merge_sort_block_merge_config_selectorIiNS0_10empty_typeEEEZZNS1_27merge_sort_block_merge_implIS3_N6thrust23THRUST_200600_302600_NS6detail15normal_iteratorINS9_10device_ptrIiEEEEPS5_m17evens_before_oddsEE10hipError_tT0_T1_T2_jT3_P12ihipStream_tbPNSt15iterator_traitsISI_E10value_typeEPNSO_ISJ_E10value_typeEPSK_NS1_7vsmem_tEENKUlT_SI_SJ_SK_E_clISE_PiSF_SF_EESH_SX_SI_SJ_SK_EUlSX_E_NS1_11comp_targetILNS1_3genE0ELNS1_11target_archE4294967295ELNS1_3gpuE0ELNS1_3repE0EEENS1_48merge_mergepath_partition_config_static_selectorELNS0_4arch9wavefront6targetE0EEEvSJ_.has_dyn_sized_stack, 0
	.set _ZN7rocprim17ROCPRIM_400000_NS6detail17trampoline_kernelINS0_14default_configENS1_38merge_sort_block_merge_config_selectorIiNS0_10empty_typeEEEZZNS1_27merge_sort_block_merge_implIS3_N6thrust23THRUST_200600_302600_NS6detail15normal_iteratorINS9_10device_ptrIiEEEEPS5_m17evens_before_oddsEE10hipError_tT0_T1_T2_jT3_P12ihipStream_tbPNSt15iterator_traitsISI_E10value_typeEPNSO_ISJ_E10value_typeEPSK_NS1_7vsmem_tEENKUlT_SI_SJ_SK_E_clISE_PiSF_SF_EESH_SX_SI_SJ_SK_EUlSX_E_NS1_11comp_targetILNS1_3genE0ELNS1_11target_archE4294967295ELNS1_3gpuE0ELNS1_3repE0EEENS1_48merge_mergepath_partition_config_static_selectorELNS0_4arch9wavefront6targetE0EEEvSJ_.has_recursion, 0
	.set _ZN7rocprim17ROCPRIM_400000_NS6detail17trampoline_kernelINS0_14default_configENS1_38merge_sort_block_merge_config_selectorIiNS0_10empty_typeEEEZZNS1_27merge_sort_block_merge_implIS3_N6thrust23THRUST_200600_302600_NS6detail15normal_iteratorINS9_10device_ptrIiEEEEPS5_m17evens_before_oddsEE10hipError_tT0_T1_T2_jT3_P12ihipStream_tbPNSt15iterator_traitsISI_E10value_typeEPNSO_ISJ_E10value_typeEPSK_NS1_7vsmem_tEENKUlT_SI_SJ_SK_E_clISE_PiSF_SF_EESH_SX_SI_SJ_SK_EUlSX_E_NS1_11comp_targetILNS1_3genE0ELNS1_11target_archE4294967295ELNS1_3gpuE0ELNS1_3repE0EEENS1_48merge_mergepath_partition_config_static_selectorELNS0_4arch9wavefront6targetE0EEEvSJ_.has_indirect_call, 0
	.section	.AMDGPU.csdata,"",@progbits
; Kernel info:
; codeLenInByte = 0
; TotalNumSgprs: 0
; NumVgprs: 0
; ScratchSize: 0
; MemoryBound: 0
; FloatMode: 240
; IeeeMode: 1
; LDSByteSize: 0 bytes/workgroup (compile time only)
; SGPRBlocks: 0
; VGPRBlocks: 0
; NumSGPRsForWavesPerEU: 1
; NumVGPRsForWavesPerEU: 1
; Occupancy: 16
; WaveLimiterHint : 0
; COMPUTE_PGM_RSRC2:SCRATCH_EN: 0
; COMPUTE_PGM_RSRC2:USER_SGPR: 6
; COMPUTE_PGM_RSRC2:TRAP_HANDLER: 0
; COMPUTE_PGM_RSRC2:TGID_X_EN: 1
; COMPUTE_PGM_RSRC2:TGID_Y_EN: 0
; COMPUTE_PGM_RSRC2:TGID_Z_EN: 0
; COMPUTE_PGM_RSRC2:TIDIG_COMP_CNT: 0
	.section	.text._ZN7rocprim17ROCPRIM_400000_NS6detail17trampoline_kernelINS0_14default_configENS1_38merge_sort_block_merge_config_selectorIiNS0_10empty_typeEEEZZNS1_27merge_sort_block_merge_implIS3_N6thrust23THRUST_200600_302600_NS6detail15normal_iteratorINS9_10device_ptrIiEEEEPS5_m17evens_before_oddsEE10hipError_tT0_T1_T2_jT3_P12ihipStream_tbPNSt15iterator_traitsISI_E10value_typeEPNSO_ISJ_E10value_typeEPSK_NS1_7vsmem_tEENKUlT_SI_SJ_SK_E_clISE_PiSF_SF_EESH_SX_SI_SJ_SK_EUlSX_E_NS1_11comp_targetILNS1_3genE10ELNS1_11target_archE1201ELNS1_3gpuE5ELNS1_3repE0EEENS1_48merge_mergepath_partition_config_static_selectorELNS0_4arch9wavefront6targetE0EEEvSJ_,"axG",@progbits,_ZN7rocprim17ROCPRIM_400000_NS6detail17trampoline_kernelINS0_14default_configENS1_38merge_sort_block_merge_config_selectorIiNS0_10empty_typeEEEZZNS1_27merge_sort_block_merge_implIS3_N6thrust23THRUST_200600_302600_NS6detail15normal_iteratorINS9_10device_ptrIiEEEEPS5_m17evens_before_oddsEE10hipError_tT0_T1_T2_jT3_P12ihipStream_tbPNSt15iterator_traitsISI_E10value_typeEPNSO_ISJ_E10value_typeEPSK_NS1_7vsmem_tEENKUlT_SI_SJ_SK_E_clISE_PiSF_SF_EESH_SX_SI_SJ_SK_EUlSX_E_NS1_11comp_targetILNS1_3genE10ELNS1_11target_archE1201ELNS1_3gpuE5ELNS1_3repE0EEENS1_48merge_mergepath_partition_config_static_selectorELNS0_4arch9wavefront6targetE0EEEvSJ_,comdat
	.protected	_ZN7rocprim17ROCPRIM_400000_NS6detail17trampoline_kernelINS0_14default_configENS1_38merge_sort_block_merge_config_selectorIiNS0_10empty_typeEEEZZNS1_27merge_sort_block_merge_implIS3_N6thrust23THRUST_200600_302600_NS6detail15normal_iteratorINS9_10device_ptrIiEEEEPS5_m17evens_before_oddsEE10hipError_tT0_T1_T2_jT3_P12ihipStream_tbPNSt15iterator_traitsISI_E10value_typeEPNSO_ISJ_E10value_typeEPSK_NS1_7vsmem_tEENKUlT_SI_SJ_SK_E_clISE_PiSF_SF_EESH_SX_SI_SJ_SK_EUlSX_E_NS1_11comp_targetILNS1_3genE10ELNS1_11target_archE1201ELNS1_3gpuE5ELNS1_3repE0EEENS1_48merge_mergepath_partition_config_static_selectorELNS0_4arch9wavefront6targetE0EEEvSJ_ ; -- Begin function _ZN7rocprim17ROCPRIM_400000_NS6detail17trampoline_kernelINS0_14default_configENS1_38merge_sort_block_merge_config_selectorIiNS0_10empty_typeEEEZZNS1_27merge_sort_block_merge_implIS3_N6thrust23THRUST_200600_302600_NS6detail15normal_iteratorINS9_10device_ptrIiEEEEPS5_m17evens_before_oddsEE10hipError_tT0_T1_T2_jT3_P12ihipStream_tbPNSt15iterator_traitsISI_E10value_typeEPNSO_ISJ_E10value_typeEPSK_NS1_7vsmem_tEENKUlT_SI_SJ_SK_E_clISE_PiSF_SF_EESH_SX_SI_SJ_SK_EUlSX_E_NS1_11comp_targetILNS1_3genE10ELNS1_11target_archE1201ELNS1_3gpuE5ELNS1_3repE0EEENS1_48merge_mergepath_partition_config_static_selectorELNS0_4arch9wavefront6targetE0EEEvSJ_
	.globl	_ZN7rocprim17ROCPRIM_400000_NS6detail17trampoline_kernelINS0_14default_configENS1_38merge_sort_block_merge_config_selectorIiNS0_10empty_typeEEEZZNS1_27merge_sort_block_merge_implIS3_N6thrust23THRUST_200600_302600_NS6detail15normal_iteratorINS9_10device_ptrIiEEEEPS5_m17evens_before_oddsEE10hipError_tT0_T1_T2_jT3_P12ihipStream_tbPNSt15iterator_traitsISI_E10value_typeEPNSO_ISJ_E10value_typeEPSK_NS1_7vsmem_tEENKUlT_SI_SJ_SK_E_clISE_PiSF_SF_EESH_SX_SI_SJ_SK_EUlSX_E_NS1_11comp_targetILNS1_3genE10ELNS1_11target_archE1201ELNS1_3gpuE5ELNS1_3repE0EEENS1_48merge_mergepath_partition_config_static_selectorELNS0_4arch9wavefront6targetE0EEEvSJ_
	.p2align	8
	.type	_ZN7rocprim17ROCPRIM_400000_NS6detail17trampoline_kernelINS0_14default_configENS1_38merge_sort_block_merge_config_selectorIiNS0_10empty_typeEEEZZNS1_27merge_sort_block_merge_implIS3_N6thrust23THRUST_200600_302600_NS6detail15normal_iteratorINS9_10device_ptrIiEEEEPS5_m17evens_before_oddsEE10hipError_tT0_T1_T2_jT3_P12ihipStream_tbPNSt15iterator_traitsISI_E10value_typeEPNSO_ISJ_E10value_typeEPSK_NS1_7vsmem_tEENKUlT_SI_SJ_SK_E_clISE_PiSF_SF_EESH_SX_SI_SJ_SK_EUlSX_E_NS1_11comp_targetILNS1_3genE10ELNS1_11target_archE1201ELNS1_3gpuE5ELNS1_3repE0EEENS1_48merge_mergepath_partition_config_static_selectorELNS0_4arch9wavefront6targetE0EEEvSJ_,@function
_ZN7rocprim17ROCPRIM_400000_NS6detail17trampoline_kernelINS0_14default_configENS1_38merge_sort_block_merge_config_selectorIiNS0_10empty_typeEEEZZNS1_27merge_sort_block_merge_implIS3_N6thrust23THRUST_200600_302600_NS6detail15normal_iteratorINS9_10device_ptrIiEEEEPS5_m17evens_before_oddsEE10hipError_tT0_T1_T2_jT3_P12ihipStream_tbPNSt15iterator_traitsISI_E10value_typeEPNSO_ISJ_E10value_typeEPSK_NS1_7vsmem_tEENKUlT_SI_SJ_SK_E_clISE_PiSF_SF_EESH_SX_SI_SJ_SK_EUlSX_E_NS1_11comp_targetILNS1_3genE10ELNS1_11target_archE1201ELNS1_3gpuE5ELNS1_3repE0EEENS1_48merge_mergepath_partition_config_static_selectorELNS0_4arch9wavefront6targetE0EEEvSJ_: ; @_ZN7rocprim17ROCPRIM_400000_NS6detail17trampoline_kernelINS0_14default_configENS1_38merge_sort_block_merge_config_selectorIiNS0_10empty_typeEEEZZNS1_27merge_sort_block_merge_implIS3_N6thrust23THRUST_200600_302600_NS6detail15normal_iteratorINS9_10device_ptrIiEEEEPS5_m17evens_before_oddsEE10hipError_tT0_T1_T2_jT3_P12ihipStream_tbPNSt15iterator_traitsISI_E10value_typeEPNSO_ISJ_E10value_typeEPSK_NS1_7vsmem_tEENKUlT_SI_SJ_SK_E_clISE_PiSF_SF_EESH_SX_SI_SJ_SK_EUlSX_E_NS1_11comp_targetILNS1_3genE10ELNS1_11target_archE1201ELNS1_3gpuE5ELNS1_3repE0EEENS1_48merge_mergepath_partition_config_static_selectorELNS0_4arch9wavefront6targetE0EEEvSJ_
; %bb.0:
	.section	.rodata,"a",@progbits
	.p2align	6, 0x0
	.amdhsa_kernel _ZN7rocprim17ROCPRIM_400000_NS6detail17trampoline_kernelINS0_14default_configENS1_38merge_sort_block_merge_config_selectorIiNS0_10empty_typeEEEZZNS1_27merge_sort_block_merge_implIS3_N6thrust23THRUST_200600_302600_NS6detail15normal_iteratorINS9_10device_ptrIiEEEEPS5_m17evens_before_oddsEE10hipError_tT0_T1_T2_jT3_P12ihipStream_tbPNSt15iterator_traitsISI_E10value_typeEPNSO_ISJ_E10value_typeEPSK_NS1_7vsmem_tEENKUlT_SI_SJ_SK_E_clISE_PiSF_SF_EESH_SX_SI_SJ_SK_EUlSX_E_NS1_11comp_targetILNS1_3genE10ELNS1_11target_archE1201ELNS1_3gpuE5ELNS1_3repE0EEENS1_48merge_mergepath_partition_config_static_selectorELNS0_4arch9wavefront6targetE0EEEvSJ_
		.amdhsa_group_segment_fixed_size 0
		.amdhsa_private_segment_fixed_size 0
		.amdhsa_kernarg_size 48
		.amdhsa_user_sgpr_count 6
		.amdhsa_user_sgpr_private_segment_buffer 1
		.amdhsa_user_sgpr_dispatch_ptr 0
		.amdhsa_user_sgpr_queue_ptr 0
		.amdhsa_user_sgpr_kernarg_segment_ptr 1
		.amdhsa_user_sgpr_dispatch_id 0
		.amdhsa_user_sgpr_flat_scratch_init 0
		.amdhsa_user_sgpr_private_segment_size 0
		.amdhsa_wavefront_size32 1
		.amdhsa_uses_dynamic_stack 0
		.amdhsa_system_sgpr_private_segment_wavefront_offset 0
		.amdhsa_system_sgpr_workgroup_id_x 1
		.amdhsa_system_sgpr_workgroup_id_y 0
		.amdhsa_system_sgpr_workgroup_id_z 0
		.amdhsa_system_sgpr_workgroup_info 0
		.amdhsa_system_vgpr_workitem_id 0
		.amdhsa_next_free_vgpr 1
		.amdhsa_next_free_sgpr 1
		.amdhsa_reserve_vcc 0
		.amdhsa_reserve_flat_scratch 0
		.amdhsa_float_round_mode_32 0
		.amdhsa_float_round_mode_16_64 0
		.amdhsa_float_denorm_mode_32 3
		.amdhsa_float_denorm_mode_16_64 3
		.amdhsa_dx10_clamp 1
		.amdhsa_ieee_mode 1
		.amdhsa_fp16_overflow 0
		.amdhsa_workgroup_processor_mode 1
		.amdhsa_memory_ordered 1
		.amdhsa_forward_progress 1
		.amdhsa_shared_vgpr_count 0
		.amdhsa_exception_fp_ieee_invalid_op 0
		.amdhsa_exception_fp_denorm_src 0
		.amdhsa_exception_fp_ieee_div_zero 0
		.amdhsa_exception_fp_ieee_overflow 0
		.amdhsa_exception_fp_ieee_underflow 0
		.amdhsa_exception_fp_ieee_inexact 0
		.amdhsa_exception_int_div_zero 0
	.end_amdhsa_kernel
	.section	.text._ZN7rocprim17ROCPRIM_400000_NS6detail17trampoline_kernelINS0_14default_configENS1_38merge_sort_block_merge_config_selectorIiNS0_10empty_typeEEEZZNS1_27merge_sort_block_merge_implIS3_N6thrust23THRUST_200600_302600_NS6detail15normal_iteratorINS9_10device_ptrIiEEEEPS5_m17evens_before_oddsEE10hipError_tT0_T1_T2_jT3_P12ihipStream_tbPNSt15iterator_traitsISI_E10value_typeEPNSO_ISJ_E10value_typeEPSK_NS1_7vsmem_tEENKUlT_SI_SJ_SK_E_clISE_PiSF_SF_EESH_SX_SI_SJ_SK_EUlSX_E_NS1_11comp_targetILNS1_3genE10ELNS1_11target_archE1201ELNS1_3gpuE5ELNS1_3repE0EEENS1_48merge_mergepath_partition_config_static_selectorELNS0_4arch9wavefront6targetE0EEEvSJ_,"axG",@progbits,_ZN7rocprim17ROCPRIM_400000_NS6detail17trampoline_kernelINS0_14default_configENS1_38merge_sort_block_merge_config_selectorIiNS0_10empty_typeEEEZZNS1_27merge_sort_block_merge_implIS3_N6thrust23THRUST_200600_302600_NS6detail15normal_iteratorINS9_10device_ptrIiEEEEPS5_m17evens_before_oddsEE10hipError_tT0_T1_T2_jT3_P12ihipStream_tbPNSt15iterator_traitsISI_E10value_typeEPNSO_ISJ_E10value_typeEPSK_NS1_7vsmem_tEENKUlT_SI_SJ_SK_E_clISE_PiSF_SF_EESH_SX_SI_SJ_SK_EUlSX_E_NS1_11comp_targetILNS1_3genE10ELNS1_11target_archE1201ELNS1_3gpuE5ELNS1_3repE0EEENS1_48merge_mergepath_partition_config_static_selectorELNS0_4arch9wavefront6targetE0EEEvSJ_,comdat
.Lfunc_end433:
	.size	_ZN7rocprim17ROCPRIM_400000_NS6detail17trampoline_kernelINS0_14default_configENS1_38merge_sort_block_merge_config_selectorIiNS0_10empty_typeEEEZZNS1_27merge_sort_block_merge_implIS3_N6thrust23THRUST_200600_302600_NS6detail15normal_iteratorINS9_10device_ptrIiEEEEPS5_m17evens_before_oddsEE10hipError_tT0_T1_T2_jT3_P12ihipStream_tbPNSt15iterator_traitsISI_E10value_typeEPNSO_ISJ_E10value_typeEPSK_NS1_7vsmem_tEENKUlT_SI_SJ_SK_E_clISE_PiSF_SF_EESH_SX_SI_SJ_SK_EUlSX_E_NS1_11comp_targetILNS1_3genE10ELNS1_11target_archE1201ELNS1_3gpuE5ELNS1_3repE0EEENS1_48merge_mergepath_partition_config_static_selectorELNS0_4arch9wavefront6targetE0EEEvSJ_, .Lfunc_end433-_ZN7rocprim17ROCPRIM_400000_NS6detail17trampoline_kernelINS0_14default_configENS1_38merge_sort_block_merge_config_selectorIiNS0_10empty_typeEEEZZNS1_27merge_sort_block_merge_implIS3_N6thrust23THRUST_200600_302600_NS6detail15normal_iteratorINS9_10device_ptrIiEEEEPS5_m17evens_before_oddsEE10hipError_tT0_T1_T2_jT3_P12ihipStream_tbPNSt15iterator_traitsISI_E10value_typeEPNSO_ISJ_E10value_typeEPSK_NS1_7vsmem_tEENKUlT_SI_SJ_SK_E_clISE_PiSF_SF_EESH_SX_SI_SJ_SK_EUlSX_E_NS1_11comp_targetILNS1_3genE10ELNS1_11target_archE1201ELNS1_3gpuE5ELNS1_3repE0EEENS1_48merge_mergepath_partition_config_static_selectorELNS0_4arch9wavefront6targetE0EEEvSJ_
                                        ; -- End function
	.set _ZN7rocprim17ROCPRIM_400000_NS6detail17trampoline_kernelINS0_14default_configENS1_38merge_sort_block_merge_config_selectorIiNS0_10empty_typeEEEZZNS1_27merge_sort_block_merge_implIS3_N6thrust23THRUST_200600_302600_NS6detail15normal_iteratorINS9_10device_ptrIiEEEEPS5_m17evens_before_oddsEE10hipError_tT0_T1_T2_jT3_P12ihipStream_tbPNSt15iterator_traitsISI_E10value_typeEPNSO_ISJ_E10value_typeEPSK_NS1_7vsmem_tEENKUlT_SI_SJ_SK_E_clISE_PiSF_SF_EESH_SX_SI_SJ_SK_EUlSX_E_NS1_11comp_targetILNS1_3genE10ELNS1_11target_archE1201ELNS1_3gpuE5ELNS1_3repE0EEENS1_48merge_mergepath_partition_config_static_selectorELNS0_4arch9wavefront6targetE0EEEvSJ_.num_vgpr, 0
	.set _ZN7rocprim17ROCPRIM_400000_NS6detail17trampoline_kernelINS0_14default_configENS1_38merge_sort_block_merge_config_selectorIiNS0_10empty_typeEEEZZNS1_27merge_sort_block_merge_implIS3_N6thrust23THRUST_200600_302600_NS6detail15normal_iteratorINS9_10device_ptrIiEEEEPS5_m17evens_before_oddsEE10hipError_tT0_T1_T2_jT3_P12ihipStream_tbPNSt15iterator_traitsISI_E10value_typeEPNSO_ISJ_E10value_typeEPSK_NS1_7vsmem_tEENKUlT_SI_SJ_SK_E_clISE_PiSF_SF_EESH_SX_SI_SJ_SK_EUlSX_E_NS1_11comp_targetILNS1_3genE10ELNS1_11target_archE1201ELNS1_3gpuE5ELNS1_3repE0EEENS1_48merge_mergepath_partition_config_static_selectorELNS0_4arch9wavefront6targetE0EEEvSJ_.num_agpr, 0
	.set _ZN7rocprim17ROCPRIM_400000_NS6detail17trampoline_kernelINS0_14default_configENS1_38merge_sort_block_merge_config_selectorIiNS0_10empty_typeEEEZZNS1_27merge_sort_block_merge_implIS3_N6thrust23THRUST_200600_302600_NS6detail15normal_iteratorINS9_10device_ptrIiEEEEPS5_m17evens_before_oddsEE10hipError_tT0_T1_T2_jT3_P12ihipStream_tbPNSt15iterator_traitsISI_E10value_typeEPNSO_ISJ_E10value_typeEPSK_NS1_7vsmem_tEENKUlT_SI_SJ_SK_E_clISE_PiSF_SF_EESH_SX_SI_SJ_SK_EUlSX_E_NS1_11comp_targetILNS1_3genE10ELNS1_11target_archE1201ELNS1_3gpuE5ELNS1_3repE0EEENS1_48merge_mergepath_partition_config_static_selectorELNS0_4arch9wavefront6targetE0EEEvSJ_.numbered_sgpr, 0
	.set _ZN7rocprim17ROCPRIM_400000_NS6detail17trampoline_kernelINS0_14default_configENS1_38merge_sort_block_merge_config_selectorIiNS0_10empty_typeEEEZZNS1_27merge_sort_block_merge_implIS3_N6thrust23THRUST_200600_302600_NS6detail15normal_iteratorINS9_10device_ptrIiEEEEPS5_m17evens_before_oddsEE10hipError_tT0_T1_T2_jT3_P12ihipStream_tbPNSt15iterator_traitsISI_E10value_typeEPNSO_ISJ_E10value_typeEPSK_NS1_7vsmem_tEENKUlT_SI_SJ_SK_E_clISE_PiSF_SF_EESH_SX_SI_SJ_SK_EUlSX_E_NS1_11comp_targetILNS1_3genE10ELNS1_11target_archE1201ELNS1_3gpuE5ELNS1_3repE0EEENS1_48merge_mergepath_partition_config_static_selectorELNS0_4arch9wavefront6targetE0EEEvSJ_.num_named_barrier, 0
	.set _ZN7rocprim17ROCPRIM_400000_NS6detail17trampoline_kernelINS0_14default_configENS1_38merge_sort_block_merge_config_selectorIiNS0_10empty_typeEEEZZNS1_27merge_sort_block_merge_implIS3_N6thrust23THRUST_200600_302600_NS6detail15normal_iteratorINS9_10device_ptrIiEEEEPS5_m17evens_before_oddsEE10hipError_tT0_T1_T2_jT3_P12ihipStream_tbPNSt15iterator_traitsISI_E10value_typeEPNSO_ISJ_E10value_typeEPSK_NS1_7vsmem_tEENKUlT_SI_SJ_SK_E_clISE_PiSF_SF_EESH_SX_SI_SJ_SK_EUlSX_E_NS1_11comp_targetILNS1_3genE10ELNS1_11target_archE1201ELNS1_3gpuE5ELNS1_3repE0EEENS1_48merge_mergepath_partition_config_static_selectorELNS0_4arch9wavefront6targetE0EEEvSJ_.private_seg_size, 0
	.set _ZN7rocprim17ROCPRIM_400000_NS6detail17trampoline_kernelINS0_14default_configENS1_38merge_sort_block_merge_config_selectorIiNS0_10empty_typeEEEZZNS1_27merge_sort_block_merge_implIS3_N6thrust23THRUST_200600_302600_NS6detail15normal_iteratorINS9_10device_ptrIiEEEEPS5_m17evens_before_oddsEE10hipError_tT0_T1_T2_jT3_P12ihipStream_tbPNSt15iterator_traitsISI_E10value_typeEPNSO_ISJ_E10value_typeEPSK_NS1_7vsmem_tEENKUlT_SI_SJ_SK_E_clISE_PiSF_SF_EESH_SX_SI_SJ_SK_EUlSX_E_NS1_11comp_targetILNS1_3genE10ELNS1_11target_archE1201ELNS1_3gpuE5ELNS1_3repE0EEENS1_48merge_mergepath_partition_config_static_selectorELNS0_4arch9wavefront6targetE0EEEvSJ_.uses_vcc, 0
	.set _ZN7rocprim17ROCPRIM_400000_NS6detail17trampoline_kernelINS0_14default_configENS1_38merge_sort_block_merge_config_selectorIiNS0_10empty_typeEEEZZNS1_27merge_sort_block_merge_implIS3_N6thrust23THRUST_200600_302600_NS6detail15normal_iteratorINS9_10device_ptrIiEEEEPS5_m17evens_before_oddsEE10hipError_tT0_T1_T2_jT3_P12ihipStream_tbPNSt15iterator_traitsISI_E10value_typeEPNSO_ISJ_E10value_typeEPSK_NS1_7vsmem_tEENKUlT_SI_SJ_SK_E_clISE_PiSF_SF_EESH_SX_SI_SJ_SK_EUlSX_E_NS1_11comp_targetILNS1_3genE10ELNS1_11target_archE1201ELNS1_3gpuE5ELNS1_3repE0EEENS1_48merge_mergepath_partition_config_static_selectorELNS0_4arch9wavefront6targetE0EEEvSJ_.uses_flat_scratch, 0
	.set _ZN7rocprim17ROCPRIM_400000_NS6detail17trampoline_kernelINS0_14default_configENS1_38merge_sort_block_merge_config_selectorIiNS0_10empty_typeEEEZZNS1_27merge_sort_block_merge_implIS3_N6thrust23THRUST_200600_302600_NS6detail15normal_iteratorINS9_10device_ptrIiEEEEPS5_m17evens_before_oddsEE10hipError_tT0_T1_T2_jT3_P12ihipStream_tbPNSt15iterator_traitsISI_E10value_typeEPNSO_ISJ_E10value_typeEPSK_NS1_7vsmem_tEENKUlT_SI_SJ_SK_E_clISE_PiSF_SF_EESH_SX_SI_SJ_SK_EUlSX_E_NS1_11comp_targetILNS1_3genE10ELNS1_11target_archE1201ELNS1_3gpuE5ELNS1_3repE0EEENS1_48merge_mergepath_partition_config_static_selectorELNS0_4arch9wavefront6targetE0EEEvSJ_.has_dyn_sized_stack, 0
	.set _ZN7rocprim17ROCPRIM_400000_NS6detail17trampoline_kernelINS0_14default_configENS1_38merge_sort_block_merge_config_selectorIiNS0_10empty_typeEEEZZNS1_27merge_sort_block_merge_implIS3_N6thrust23THRUST_200600_302600_NS6detail15normal_iteratorINS9_10device_ptrIiEEEEPS5_m17evens_before_oddsEE10hipError_tT0_T1_T2_jT3_P12ihipStream_tbPNSt15iterator_traitsISI_E10value_typeEPNSO_ISJ_E10value_typeEPSK_NS1_7vsmem_tEENKUlT_SI_SJ_SK_E_clISE_PiSF_SF_EESH_SX_SI_SJ_SK_EUlSX_E_NS1_11comp_targetILNS1_3genE10ELNS1_11target_archE1201ELNS1_3gpuE5ELNS1_3repE0EEENS1_48merge_mergepath_partition_config_static_selectorELNS0_4arch9wavefront6targetE0EEEvSJ_.has_recursion, 0
	.set _ZN7rocprim17ROCPRIM_400000_NS6detail17trampoline_kernelINS0_14default_configENS1_38merge_sort_block_merge_config_selectorIiNS0_10empty_typeEEEZZNS1_27merge_sort_block_merge_implIS3_N6thrust23THRUST_200600_302600_NS6detail15normal_iteratorINS9_10device_ptrIiEEEEPS5_m17evens_before_oddsEE10hipError_tT0_T1_T2_jT3_P12ihipStream_tbPNSt15iterator_traitsISI_E10value_typeEPNSO_ISJ_E10value_typeEPSK_NS1_7vsmem_tEENKUlT_SI_SJ_SK_E_clISE_PiSF_SF_EESH_SX_SI_SJ_SK_EUlSX_E_NS1_11comp_targetILNS1_3genE10ELNS1_11target_archE1201ELNS1_3gpuE5ELNS1_3repE0EEENS1_48merge_mergepath_partition_config_static_selectorELNS0_4arch9wavefront6targetE0EEEvSJ_.has_indirect_call, 0
	.section	.AMDGPU.csdata,"",@progbits
; Kernel info:
; codeLenInByte = 0
; TotalNumSgprs: 0
; NumVgprs: 0
; ScratchSize: 0
; MemoryBound: 0
; FloatMode: 240
; IeeeMode: 1
; LDSByteSize: 0 bytes/workgroup (compile time only)
; SGPRBlocks: 0
; VGPRBlocks: 0
; NumSGPRsForWavesPerEU: 1
; NumVGPRsForWavesPerEU: 1
; Occupancy: 16
; WaveLimiterHint : 0
; COMPUTE_PGM_RSRC2:SCRATCH_EN: 0
; COMPUTE_PGM_RSRC2:USER_SGPR: 6
; COMPUTE_PGM_RSRC2:TRAP_HANDLER: 0
; COMPUTE_PGM_RSRC2:TGID_X_EN: 1
; COMPUTE_PGM_RSRC2:TGID_Y_EN: 0
; COMPUTE_PGM_RSRC2:TGID_Z_EN: 0
; COMPUTE_PGM_RSRC2:TIDIG_COMP_CNT: 0
	.section	.text._ZN7rocprim17ROCPRIM_400000_NS6detail17trampoline_kernelINS0_14default_configENS1_38merge_sort_block_merge_config_selectorIiNS0_10empty_typeEEEZZNS1_27merge_sort_block_merge_implIS3_N6thrust23THRUST_200600_302600_NS6detail15normal_iteratorINS9_10device_ptrIiEEEEPS5_m17evens_before_oddsEE10hipError_tT0_T1_T2_jT3_P12ihipStream_tbPNSt15iterator_traitsISI_E10value_typeEPNSO_ISJ_E10value_typeEPSK_NS1_7vsmem_tEENKUlT_SI_SJ_SK_E_clISE_PiSF_SF_EESH_SX_SI_SJ_SK_EUlSX_E_NS1_11comp_targetILNS1_3genE5ELNS1_11target_archE942ELNS1_3gpuE9ELNS1_3repE0EEENS1_48merge_mergepath_partition_config_static_selectorELNS0_4arch9wavefront6targetE0EEEvSJ_,"axG",@progbits,_ZN7rocprim17ROCPRIM_400000_NS6detail17trampoline_kernelINS0_14default_configENS1_38merge_sort_block_merge_config_selectorIiNS0_10empty_typeEEEZZNS1_27merge_sort_block_merge_implIS3_N6thrust23THRUST_200600_302600_NS6detail15normal_iteratorINS9_10device_ptrIiEEEEPS5_m17evens_before_oddsEE10hipError_tT0_T1_T2_jT3_P12ihipStream_tbPNSt15iterator_traitsISI_E10value_typeEPNSO_ISJ_E10value_typeEPSK_NS1_7vsmem_tEENKUlT_SI_SJ_SK_E_clISE_PiSF_SF_EESH_SX_SI_SJ_SK_EUlSX_E_NS1_11comp_targetILNS1_3genE5ELNS1_11target_archE942ELNS1_3gpuE9ELNS1_3repE0EEENS1_48merge_mergepath_partition_config_static_selectorELNS0_4arch9wavefront6targetE0EEEvSJ_,comdat
	.protected	_ZN7rocprim17ROCPRIM_400000_NS6detail17trampoline_kernelINS0_14default_configENS1_38merge_sort_block_merge_config_selectorIiNS0_10empty_typeEEEZZNS1_27merge_sort_block_merge_implIS3_N6thrust23THRUST_200600_302600_NS6detail15normal_iteratorINS9_10device_ptrIiEEEEPS5_m17evens_before_oddsEE10hipError_tT0_T1_T2_jT3_P12ihipStream_tbPNSt15iterator_traitsISI_E10value_typeEPNSO_ISJ_E10value_typeEPSK_NS1_7vsmem_tEENKUlT_SI_SJ_SK_E_clISE_PiSF_SF_EESH_SX_SI_SJ_SK_EUlSX_E_NS1_11comp_targetILNS1_3genE5ELNS1_11target_archE942ELNS1_3gpuE9ELNS1_3repE0EEENS1_48merge_mergepath_partition_config_static_selectorELNS0_4arch9wavefront6targetE0EEEvSJ_ ; -- Begin function _ZN7rocprim17ROCPRIM_400000_NS6detail17trampoline_kernelINS0_14default_configENS1_38merge_sort_block_merge_config_selectorIiNS0_10empty_typeEEEZZNS1_27merge_sort_block_merge_implIS3_N6thrust23THRUST_200600_302600_NS6detail15normal_iteratorINS9_10device_ptrIiEEEEPS5_m17evens_before_oddsEE10hipError_tT0_T1_T2_jT3_P12ihipStream_tbPNSt15iterator_traitsISI_E10value_typeEPNSO_ISJ_E10value_typeEPSK_NS1_7vsmem_tEENKUlT_SI_SJ_SK_E_clISE_PiSF_SF_EESH_SX_SI_SJ_SK_EUlSX_E_NS1_11comp_targetILNS1_3genE5ELNS1_11target_archE942ELNS1_3gpuE9ELNS1_3repE0EEENS1_48merge_mergepath_partition_config_static_selectorELNS0_4arch9wavefront6targetE0EEEvSJ_
	.globl	_ZN7rocprim17ROCPRIM_400000_NS6detail17trampoline_kernelINS0_14default_configENS1_38merge_sort_block_merge_config_selectorIiNS0_10empty_typeEEEZZNS1_27merge_sort_block_merge_implIS3_N6thrust23THRUST_200600_302600_NS6detail15normal_iteratorINS9_10device_ptrIiEEEEPS5_m17evens_before_oddsEE10hipError_tT0_T1_T2_jT3_P12ihipStream_tbPNSt15iterator_traitsISI_E10value_typeEPNSO_ISJ_E10value_typeEPSK_NS1_7vsmem_tEENKUlT_SI_SJ_SK_E_clISE_PiSF_SF_EESH_SX_SI_SJ_SK_EUlSX_E_NS1_11comp_targetILNS1_3genE5ELNS1_11target_archE942ELNS1_3gpuE9ELNS1_3repE0EEENS1_48merge_mergepath_partition_config_static_selectorELNS0_4arch9wavefront6targetE0EEEvSJ_
	.p2align	8
	.type	_ZN7rocprim17ROCPRIM_400000_NS6detail17trampoline_kernelINS0_14default_configENS1_38merge_sort_block_merge_config_selectorIiNS0_10empty_typeEEEZZNS1_27merge_sort_block_merge_implIS3_N6thrust23THRUST_200600_302600_NS6detail15normal_iteratorINS9_10device_ptrIiEEEEPS5_m17evens_before_oddsEE10hipError_tT0_T1_T2_jT3_P12ihipStream_tbPNSt15iterator_traitsISI_E10value_typeEPNSO_ISJ_E10value_typeEPSK_NS1_7vsmem_tEENKUlT_SI_SJ_SK_E_clISE_PiSF_SF_EESH_SX_SI_SJ_SK_EUlSX_E_NS1_11comp_targetILNS1_3genE5ELNS1_11target_archE942ELNS1_3gpuE9ELNS1_3repE0EEENS1_48merge_mergepath_partition_config_static_selectorELNS0_4arch9wavefront6targetE0EEEvSJ_,@function
_ZN7rocprim17ROCPRIM_400000_NS6detail17trampoline_kernelINS0_14default_configENS1_38merge_sort_block_merge_config_selectorIiNS0_10empty_typeEEEZZNS1_27merge_sort_block_merge_implIS3_N6thrust23THRUST_200600_302600_NS6detail15normal_iteratorINS9_10device_ptrIiEEEEPS5_m17evens_before_oddsEE10hipError_tT0_T1_T2_jT3_P12ihipStream_tbPNSt15iterator_traitsISI_E10value_typeEPNSO_ISJ_E10value_typeEPSK_NS1_7vsmem_tEENKUlT_SI_SJ_SK_E_clISE_PiSF_SF_EESH_SX_SI_SJ_SK_EUlSX_E_NS1_11comp_targetILNS1_3genE5ELNS1_11target_archE942ELNS1_3gpuE9ELNS1_3repE0EEENS1_48merge_mergepath_partition_config_static_selectorELNS0_4arch9wavefront6targetE0EEEvSJ_: ; @_ZN7rocprim17ROCPRIM_400000_NS6detail17trampoline_kernelINS0_14default_configENS1_38merge_sort_block_merge_config_selectorIiNS0_10empty_typeEEEZZNS1_27merge_sort_block_merge_implIS3_N6thrust23THRUST_200600_302600_NS6detail15normal_iteratorINS9_10device_ptrIiEEEEPS5_m17evens_before_oddsEE10hipError_tT0_T1_T2_jT3_P12ihipStream_tbPNSt15iterator_traitsISI_E10value_typeEPNSO_ISJ_E10value_typeEPSK_NS1_7vsmem_tEENKUlT_SI_SJ_SK_E_clISE_PiSF_SF_EESH_SX_SI_SJ_SK_EUlSX_E_NS1_11comp_targetILNS1_3genE5ELNS1_11target_archE942ELNS1_3gpuE9ELNS1_3repE0EEENS1_48merge_mergepath_partition_config_static_selectorELNS0_4arch9wavefront6targetE0EEEvSJ_
; %bb.0:
	.section	.rodata,"a",@progbits
	.p2align	6, 0x0
	.amdhsa_kernel _ZN7rocprim17ROCPRIM_400000_NS6detail17trampoline_kernelINS0_14default_configENS1_38merge_sort_block_merge_config_selectorIiNS0_10empty_typeEEEZZNS1_27merge_sort_block_merge_implIS3_N6thrust23THRUST_200600_302600_NS6detail15normal_iteratorINS9_10device_ptrIiEEEEPS5_m17evens_before_oddsEE10hipError_tT0_T1_T2_jT3_P12ihipStream_tbPNSt15iterator_traitsISI_E10value_typeEPNSO_ISJ_E10value_typeEPSK_NS1_7vsmem_tEENKUlT_SI_SJ_SK_E_clISE_PiSF_SF_EESH_SX_SI_SJ_SK_EUlSX_E_NS1_11comp_targetILNS1_3genE5ELNS1_11target_archE942ELNS1_3gpuE9ELNS1_3repE0EEENS1_48merge_mergepath_partition_config_static_selectorELNS0_4arch9wavefront6targetE0EEEvSJ_
		.amdhsa_group_segment_fixed_size 0
		.amdhsa_private_segment_fixed_size 0
		.amdhsa_kernarg_size 48
		.amdhsa_user_sgpr_count 6
		.amdhsa_user_sgpr_private_segment_buffer 1
		.amdhsa_user_sgpr_dispatch_ptr 0
		.amdhsa_user_sgpr_queue_ptr 0
		.amdhsa_user_sgpr_kernarg_segment_ptr 1
		.amdhsa_user_sgpr_dispatch_id 0
		.amdhsa_user_sgpr_flat_scratch_init 0
		.amdhsa_user_sgpr_private_segment_size 0
		.amdhsa_wavefront_size32 1
		.amdhsa_uses_dynamic_stack 0
		.amdhsa_system_sgpr_private_segment_wavefront_offset 0
		.amdhsa_system_sgpr_workgroup_id_x 1
		.amdhsa_system_sgpr_workgroup_id_y 0
		.amdhsa_system_sgpr_workgroup_id_z 0
		.amdhsa_system_sgpr_workgroup_info 0
		.amdhsa_system_vgpr_workitem_id 0
		.amdhsa_next_free_vgpr 1
		.amdhsa_next_free_sgpr 1
		.amdhsa_reserve_vcc 0
		.amdhsa_reserve_flat_scratch 0
		.amdhsa_float_round_mode_32 0
		.amdhsa_float_round_mode_16_64 0
		.amdhsa_float_denorm_mode_32 3
		.amdhsa_float_denorm_mode_16_64 3
		.amdhsa_dx10_clamp 1
		.amdhsa_ieee_mode 1
		.amdhsa_fp16_overflow 0
		.amdhsa_workgroup_processor_mode 1
		.amdhsa_memory_ordered 1
		.amdhsa_forward_progress 1
		.amdhsa_shared_vgpr_count 0
		.amdhsa_exception_fp_ieee_invalid_op 0
		.amdhsa_exception_fp_denorm_src 0
		.amdhsa_exception_fp_ieee_div_zero 0
		.amdhsa_exception_fp_ieee_overflow 0
		.amdhsa_exception_fp_ieee_underflow 0
		.amdhsa_exception_fp_ieee_inexact 0
		.amdhsa_exception_int_div_zero 0
	.end_amdhsa_kernel
	.section	.text._ZN7rocprim17ROCPRIM_400000_NS6detail17trampoline_kernelINS0_14default_configENS1_38merge_sort_block_merge_config_selectorIiNS0_10empty_typeEEEZZNS1_27merge_sort_block_merge_implIS3_N6thrust23THRUST_200600_302600_NS6detail15normal_iteratorINS9_10device_ptrIiEEEEPS5_m17evens_before_oddsEE10hipError_tT0_T1_T2_jT3_P12ihipStream_tbPNSt15iterator_traitsISI_E10value_typeEPNSO_ISJ_E10value_typeEPSK_NS1_7vsmem_tEENKUlT_SI_SJ_SK_E_clISE_PiSF_SF_EESH_SX_SI_SJ_SK_EUlSX_E_NS1_11comp_targetILNS1_3genE5ELNS1_11target_archE942ELNS1_3gpuE9ELNS1_3repE0EEENS1_48merge_mergepath_partition_config_static_selectorELNS0_4arch9wavefront6targetE0EEEvSJ_,"axG",@progbits,_ZN7rocprim17ROCPRIM_400000_NS6detail17trampoline_kernelINS0_14default_configENS1_38merge_sort_block_merge_config_selectorIiNS0_10empty_typeEEEZZNS1_27merge_sort_block_merge_implIS3_N6thrust23THRUST_200600_302600_NS6detail15normal_iteratorINS9_10device_ptrIiEEEEPS5_m17evens_before_oddsEE10hipError_tT0_T1_T2_jT3_P12ihipStream_tbPNSt15iterator_traitsISI_E10value_typeEPNSO_ISJ_E10value_typeEPSK_NS1_7vsmem_tEENKUlT_SI_SJ_SK_E_clISE_PiSF_SF_EESH_SX_SI_SJ_SK_EUlSX_E_NS1_11comp_targetILNS1_3genE5ELNS1_11target_archE942ELNS1_3gpuE9ELNS1_3repE0EEENS1_48merge_mergepath_partition_config_static_selectorELNS0_4arch9wavefront6targetE0EEEvSJ_,comdat
.Lfunc_end434:
	.size	_ZN7rocprim17ROCPRIM_400000_NS6detail17trampoline_kernelINS0_14default_configENS1_38merge_sort_block_merge_config_selectorIiNS0_10empty_typeEEEZZNS1_27merge_sort_block_merge_implIS3_N6thrust23THRUST_200600_302600_NS6detail15normal_iteratorINS9_10device_ptrIiEEEEPS5_m17evens_before_oddsEE10hipError_tT0_T1_T2_jT3_P12ihipStream_tbPNSt15iterator_traitsISI_E10value_typeEPNSO_ISJ_E10value_typeEPSK_NS1_7vsmem_tEENKUlT_SI_SJ_SK_E_clISE_PiSF_SF_EESH_SX_SI_SJ_SK_EUlSX_E_NS1_11comp_targetILNS1_3genE5ELNS1_11target_archE942ELNS1_3gpuE9ELNS1_3repE0EEENS1_48merge_mergepath_partition_config_static_selectorELNS0_4arch9wavefront6targetE0EEEvSJ_, .Lfunc_end434-_ZN7rocprim17ROCPRIM_400000_NS6detail17trampoline_kernelINS0_14default_configENS1_38merge_sort_block_merge_config_selectorIiNS0_10empty_typeEEEZZNS1_27merge_sort_block_merge_implIS3_N6thrust23THRUST_200600_302600_NS6detail15normal_iteratorINS9_10device_ptrIiEEEEPS5_m17evens_before_oddsEE10hipError_tT0_T1_T2_jT3_P12ihipStream_tbPNSt15iterator_traitsISI_E10value_typeEPNSO_ISJ_E10value_typeEPSK_NS1_7vsmem_tEENKUlT_SI_SJ_SK_E_clISE_PiSF_SF_EESH_SX_SI_SJ_SK_EUlSX_E_NS1_11comp_targetILNS1_3genE5ELNS1_11target_archE942ELNS1_3gpuE9ELNS1_3repE0EEENS1_48merge_mergepath_partition_config_static_selectorELNS0_4arch9wavefront6targetE0EEEvSJ_
                                        ; -- End function
	.set _ZN7rocprim17ROCPRIM_400000_NS6detail17trampoline_kernelINS0_14default_configENS1_38merge_sort_block_merge_config_selectorIiNS0_10empty_typeEEEZZNS1_27merge_sort_block_merge_implIS3_N6thrust23THRUST_200600_302600_NS6detail15normal_iteratorINS9_10device_ptrIiEEEEPS5_m17evens_before_oddsEE10hipError_tT0_T1_T2_jT3_P12ihipStream_tbPNSt15iterator_traitsISI_E10value_typeEPNSO_ISJ_E10value_typeEPSK_NS1_7vsmem_tEENKUlT_SI_SJ_SK_E_clISE_PiSF_SF_EESH_SX_SI_SJ_SK_EUlSX_E_NS1_11comp_targetILNS1_3genE5ELNS1_11target_archE942ELNS1_3gpuE9ELNS1_3repE0EEENS1_48merge_mergepath_partition_config_static_selectorELNS0_4arch9wavefront6targetE0EEEvSJ_.num_vgpr, 0
	.set _ZN7rocprim17ROCPRIM_400000_NS6detail17trampoline_kernelINS0_14default_configENS1_38merge_sort_block_merge_config_selectorIiNS0_10empty_typeEEEZZNS1_27merge_sort_block_merge_implIS3_N6thrust23THRUST_200600_302600_NS6detail15normal_iteratorINS9_10device_ptrIiEEEEPS5_m17evens_before_oddsEE10hipError_tT0_T1_T2_jT3_P12ihipStream_tbPNSt15iterator_traitsISI_E10value_typeEPNSO_ISJ_E10value_typeEPSK_NS1_7vsmem_tEENKUlT_SI_SJ_SK_E_clISE_PiSF_SF_EESH_SX_SI_SJ_SK_EUlSX_E_NS1_11comp_targetILNS1_3genE5ELNS1_11target_archE942ELNS1_3gpuE9ELNS1_3repE0EEENS1_48merge_mergepath_partition_config_static_selectorELNS0_4arch9wavefront6targetE0EEEvSJ_.num_agpr, 0
	.set _ZN7rocprim17ROCPRIM_400000_NS6detail17trampoline_kernelINS0_14default_configENS1_38merge_sort_block_merge_config_selectorIiNS0_10empty_typeEEEZZNS1_27merge_sort_block_merge_implIS3_N6thrust23THRUST_200600_302600_NS6detail15normal_iteratorINS9_10device_ptrIiEEEEPS5_m17evens_before_oddsEE10hipError_tT0_T1_T2_jT3_P12ihipStream_tbPNSt15iterator_traitsISI_E10value_typeEPNSO_ISJ_E10value_typeEPSK_NS1_7vsmem_tEENKUlT_SI_SJ_SK_E_clISE_PiSF_SF_EESH_SX_SI_SJ_SK_EUlSX_E_NS1_11comp_targetILNS1_3genE5ELNS1_11target_archE942ELNS1_3gpuE9ELNS1_3repE0EEENS1_48merge_mergepath_partition_config_static_selectorELNS0_4arch9wavefront6targetE0EEEvSJ_.numbered_sgpr, 0
	.set _ZN7rocprim17ROCPRIM_400000_NS6detail17trampoline_kernelINS0_14default_configENS1_38merge_sort_block_merge_config_selectorIiNS0_10empty_typeEEEZZNS1_27merge_sort_block_merge_implIS3_N6thrust23THRUST_200600_302600_NS6detail15normal_iteratorINS9_10device_ptrIiEEEEPS5_m17evens_before_oddsEE10hipError_tT0_T1_T2_jT3_P12ihipStream_tbPNSt15iterator_traitsISI_E10value_typeEPNSO_ISJ_E10value_typeEPSK_NS1_7vsmem_tEENKUlT_SI_SJ_SK_E_clISE_PiSF_SF_EESH_SX_SI_SJ_SK_EUlSX_E_NS1_11comp_targetILNS1_3genE5ELNS1_11target_archE942ELNS1_3gpuE9ELNS1_3repE0EEENS1_48merge_mergepath_partition_config_static_selectorELNS0_4arch9wavefront6targetE0EEEvSJ_.num_named_barrier, 0
	.set _ZN7rocprim17ROCPRIM_400000_NS6detail17trampoline_kernelINS0_14default_configENS1_38merge_sort_block_merge_config_selectorIiNS0_10empty_typeEEEZZNS1_27merge_sort_block_merge_implIS3_N6thrust23THRUST_200600_302600_NS6detail15normal_iteratorINS9_10device_ptrIiEEEEPS5_m17evens_before_oddsEE10hipError_tT0_T1_T2_jT3_P12ihipStream_tbPNSt15iterator_traitsISI_E10value_typeEPNSO_ISJ_E10value_typeEPSK_NS1_7vsmem_tEENKUlT_SI_SJ_SK_E_clISE_PiSF_SF_EESH_SX_SI_SJ_SK_EUlSX_E_NS1_11comp_targetILNS1_3genE5ELNS1_11target_archE942ELNS1_3gpuE9ELNS1_3repE0EEENS1_48merge_mergepath_partition_config_static_selectorELNS0_4arch9wavefront6targetE0EEEvSJ_.private_seg_size, 0
	.set _ZN7rocprim17ROCPRIM_400000_NS6detail17trampoline_kernelINS0_14default_configENS1_38merge_sort_block_merge_config_selectorIiNS0_10empty_typeEEEZZNS1_27merge_sort_block_merge_implIS3_N6thrust23THRUST_200600_302600_NS6detail15normal_iteratorINS9_10device_ptrIiEEEEPS5_m17evens_before_oddsEE10hipError_tT0_T1_T2_jT3_P12ihipStream_tbPNSt15iterator_traitsISI_E10value_typeEPNSO_ISJ_E10value_typeEPSK_NS1_7vsmem_tEENKUlT_SI_SJ_SK_E_clISE_PiSF_SF_EESH_SX_SI_SJ_SK_EUlSX_E_NS1_11comp_targetILNS1_3genE5ELNS1_11target_archE942ELNS1_3gpuE9ELNS1_3repE0EEENS1_48merge_mergepath_partition_config_static_selectorELNS0_4arch9wavefront6targetE0EEEvSJ_.uses_vcc, 0
	.set _ZN7rocprim17ROCPRIM_400000_NS6detail17trampoline_kernelINS0_14default_configENS1_38merge_sort_block_merge_config_selectorIiNS0_10empty_typeEEEZZNS1_27merge_sort_block_merge_implIS3_N6thrust23THRUST_200600_302600_NS6detail15normal_iteratorINS9_10device_ptrIiEEEEPS5_m17evens_before_oddsEE10hipError_tT0_T1_T2_jT3_P12ihipStream_tbPNSt15iterator_traitsISI_E10value_typeEPNSO_ISJ_E10value_typeEPSK_NS1_7vsmem_tEENKUlT_SI_SJ_SK_E_clISE_PiSF_SF_EESH_SX_SI_SJ_SK_EUlSX_E_NS1_11comp_targetILNS1_3genE5ELNS1_11target_archE942ELNS1_3gpuE9ELNS1_3repE0EEENS1_48merge_mergepath_partition_config_static_selectorELNS0_4arch9wavefront6targetE0EEEvSJ_.uses_flat_scratch, 0
	.set _ZN7rocprim17ROCPRIM_400000_NS6detail17trampoline_kernelINS0_14default_configENS1_38merge_sort_block_merge_config_selectorIiNS0_10empty_typeEEEZZNS1_27merge_sort_block_merge_implIS3_N6thrust23THRUST_200600_302600_NS6detail15normal_iteratorINS9_10device_ptrIiEEEEPS5_m17evens_before_oddsEE10hipError_tT0_T1_T2_jT3_P12ihipStream_tbPNSt15iterator_traitsISI_E10value_typeEPNSO_ISJ_E10value_typeEPSK_NS1_7vsmem_tEENKUlT_SI_SJ_SK_E_clISE_PiSF_SF_EESH_SX_SI_SJ_SK_EUlSX_E_NS1_11comp_targetILNS1_3genE5ELNS1_11target_archE942ELNS1_3gpuE9ELNS1_3repE0EEENS1_48merge_mergepath_partition_config_static_selectorELNS0_4arch9wavefront6targetE0EEEvSJ_.has_dyn_sized_stack, 0
	.set _ZN7rocprim17ROCPRIM_400000_NS6detail17trampoline_kernelINS0_14default_configENS1_38merge_sort_block_merge_config_selectorIiNS0_10empty_typeEEEZZNS1_27merge_sort_block_merge_implIS3_N6thrust23THRUST_200600_302600_NS6detail15normal_iteratorINS9_10device_ptrIiEEEEPS5_m17evens_before_oddsEE10hipError_tT0_T1_T2_jT3_P12ihipStream_tbPNSt15iterator_traitsISI_E10value_typeEPNSO_ISJ_E10value_typeEPSK_NS1_7vsmem_tEENKUlT_SI_SJ_SK_E_clISE_PiSF_SF_EESH_SX_SI_SJ_SK_EUlSX_E_NS1_11comp_targetILNS1_3genE5ELNS1_11target_archE942ELNS1_3gpuE9ELNS1_3repE0EEENS1_48merge_mergepath_partition_config_static_selectorELNS0_4arch9wavefront6targetE0EEEvSJ_.has_recursion, 0
	.set _ZN7rocprim17ROCPRIM_400000_NS6detail17trampoline_kernelINS0_14default_configENS1_38merge_sort_block_merge_config_selectorIiNS0_10empty_typeEEEZZNS1_27merge_sort_block_merge_implIS3_N6thrust23THRUST_200600_302600_NS6detail15normal_iteratorINS9_10device_ptrIiEEEEPS5_m17evens_before_oddsEE10hipError_tT0_T1_T2_jT3_P12ihipStream_tbPNSt15iterator_traitsISI_E10value_typeEPNSO_ISJ_E10value_typeEPSK_NS1_7vsmem_tEENKUlT_SI_SJ_SK_E_clISE_PiSF_SF_EESH_SX_SI_SJ_SK_EUlSX_E_NS1_11comp_targetILNS1_3genE5ELNS1_11target_archE942ELNS1_3gpuE9ELNS1_3repE0EEENS1_48merge_mergepath_partition_config_static_selectorELNS0_4arch9wavefront6targetE0EEEvSJ_.has_indirect_call, 0
	.section	.AMDGPU.csdata,"",@progbits
; Kernel info:
; codeLenInByte = 0
; TotalNumSgprs: 0
; NumVgprs: 0
; ScratchSize: 0
; MemoryBound: 0
; FloatMode: 240
; IeeeMode: 1
; LDSByteSize: 0 bytes/workgroup (compile time only)
; SGPRBlocks: 0
; VGPRBlocks: 0
; NumSGPRsForWavesPerEU: 1
; NumVGPRsForWavesPerEU: 1
; Occupancy: 16
; WaveLimiterHint : 0
; COMPUTE_PGM_RSRC2:SCRATCH_EN: 0
; COMPUTE_PGM_RSRC2:USER_SGPR: 6
; COMPUTE_PGM_RSRC2:TRAP_HANDLER: 0
; COMPUTE_PGM_RSRC2:TGID_X_EN: 1
; COMPUTE_PGM_RSRC2:TGID_Y_EN: 0
; COMPUTE_PGM_RSRC2:TGID_Z_EN: 0
; COMPUTE_PGM_RSRC2:TIDIG_COMP_CNT: 0
	.section	.text._ZN7rocprim17ROCPRIM_400000_NS6detail17trampoline_kernelINS0_14default_configENS1_38merge_sort_block_merge_config_selectorIiNS0_10empty_typeEEEZZNS1_27merge_sort_block_merge_implIS3_N6thrust23THRUST_200600_302600_NS6detail15normal_iteratorINS9_10device_ptrIiEEEEPS5_m17evens_before_oddsEE10hipError_tT0_T1_T2_jT3_P12ihipStream_tbPNSt15iterator_traitsISI_E10value_typeEPNSO_ISJ_E10value_typeEPSK_NS1_7vsmem_tEENKUlT_SI_SJ_SK_E_clISE_PiSF_SF_EESH_SX_SI_SJ_SK_EUlSX_E_NS1_11comp_targetILNS1_3genE4ELNS1_11target_archE910ELNS1_3gpuE8ELNS1_3repE0EEENS1_48merge_mergepath_partition_config_static_selectorELNS0_4arch9wavefront6targetE0EEEvSJ_,"axG",@progbits,_ZN7rocprim17ROCPRIM_400000_NS6detail17trampoline_kernelINS0_14default_configENS1_38merge_sort_block_merge_config_selectorIiNS0_10empty_typeEEEZZNS1_27merge_sort_block_merge_implIS3_N6thrust23THRUST_200600_302600_NS6detail15normal_iteratorINS9_10device_ptrIiEEEEPS5_m17evens_before_oddsEE10hipError_tT0_T1_T2_jT3_P12ihipStream_tbPNSt15iterator_traitsISI_E10value_typeEPNSO_ISJ_E10value_typeEPSK_NS1_7vsmem_tEENKUlT_SI_SJ_SK_E_clISE_PiSF_SF_EESH_SX_SI_SJ_SK_EUlSX_E_NS1_11comp_targetILNS1_3genE4ELNS1_11target_archE910ELNS1_3gpuE8ELNS1_3repE0EEENS1_48merge_mergepath_partition_config_static_selectorELNS0_4arch9wavefront6targetE0EEEvSJ_,comdat
	.protected	_ZN7rocprim17ROCPRIM_400000_NS6detail17trampoline_kernelINS0_14default_configENS1_38merge_sort_block_merge_config_selectorIiNS0_10empty_typeEEEZZNS1_27merge_sort_block_merge_implIS3_N6thrust23THRUST_200600_302600_NS6detail15normal_iteratorINS9_10device_ptrIiEEEEPS5_m17evens_before_oddsEE10hipError_tT0_T1_T2_jT3_P12ihipStream_tbPNSt15iterator_traitsISI_E10value_typeEPNSO_ISJ_E10value_typeEPSK_NS1_7vsmem_tEENKUlT_SI_SJ_SK_E_clISE_PiSF_SF_EESH_SX_SI_SJ_SK_EUlSX_E_NS1_11comp_targetILNS1_3genE4ELNS1_11target_archE910ELNS1_3gpuE8ELNS1_3repE0EEENS1_48merge_mergepath_partition_config_static_selectorELNS0_4arch9wavefront6targetE0EEEvSJ_ ; -- Begin function _ZN7rocprim17ROCPRIM_400000_NS6detail17trampoline_kernelINS0_14default_configENS1_38merge_sort_block_merge_config_selectorIiNS0_10empty_typeEEEZZNS1_27merge_sort_block_merge_implIS3_N6thrust23THRUST_200600_302600_NS6detail15normal_iteratorINS9_10device_ptrIiEEEEPS5_m17evens_before_oddsEE10hipError_tT0_T1_T2_jT3_P12ihipStream_tbPNSt15iterator_traitsISI_E10value_typeEPNSO_ISJ_E10value_typeEPSK_NS1_7vsmem_tEENKUlT_SI_SJ_SK_E_clISE_PiSF_SF_EESH_SX_SI_SJ_SK_EUlSX_E_NS1_11comp_targetILNS1_3genE4ELNS1_11target_archE910ELNS1_3gpuE8ELNS1_3repE0EEENS1_48merge_mergepath_partition_config_static_selectorELNS0_4arch9wavefront6targetE0EEEvSJ_
	.globl	_ZN7rocprim17ROCPRIM_400000_NS6detail17trampoline_kernelINS0_14default_configENS1_38merge_sort_block_merge_config_selectorIiNS0_10empty_typeEEEZZNS1_27merge_sort_block_merge_implIS3_N6thrust23THRUST_200600_302600_NS6detail15normal_iteratorINS9_10device_ptrIiEEEEPS5_m17evens_before_oddsEE10hipError_tT0_T1_T2_jT3_P12ihipStream_tbPNSt15iterator_traitsISI_E10value_typeEPNSO_ISJ_E10value_typeEPSK_NS1_7vsmem_tEENKUlT_SI_SJ_SK_E_clISE_PiSF_SF_EESH_SX_SI_SJ_SK_EUlSX_E_NS1_11comp_targetILNS1_3genE4ELNS1_11target_archE910ELNS1_3gpuE8ELNS1_3repE0EEENS1_48merge_mergepath_partition_config_static_selectorELNS0_4arch9wavefront6targetE0EEEvSJ_
	.p2align	8
	.type	_ZN7rocprim17ROCPRIM_400000_NS6detail17trampoline_kernelINS0_14default_configENS1_38merge_sort_block_merge_config_selectorIiNS0_10empty_typeEEEZZNS1_27merge_sort_block_merge_implIS3_N6thrust23THRUST_200600_302600_NS6detail15normal_iteratorINS9_10device_ptrIiEEEEPS5_m17evens_before_oddsEE10hipError_tT0_T1_T2_jT3_P12ihipStream_tbPNSt15iterator_traitsISI_E10value_typeEPNSO_ISJ_E10value_typeEPSK_NS1_7vsmem_tEENKUlT_SI_SJ_SK_E_clISE_PiSF_SF_EESH_SX_SI_SJ_SK_EUlSX_E_NS1_11comp_targetILNS1_3genE4ELNS1_11target_archE910ELNS1_3gpuE8ELNS1_3repE0EEENS1_48merge_mergepath_partition_config_static_selectorELNS0_4arch9wavefront6targetE0EEEvSJ_,@function
_ZN7rocprim17ROCPRIM_400000_NS6detail17trampoline_kernelINS0_14default_configENS1_38merge_sort_block_merge_config_selectorIiNS0_10empty_typeEEEZZNS1_27merge_sort_block_merge_implIS3_N6thrust23THRUST_200600_302600_NS6detail15normal_iteratorINS9_10device_ptrIiEEEEPS5_m17evens_before_oddsEE10hipError_tT0_T1_T2_jT3_P12ihipStream_tbPNSt15iterator_traitsISI_E10value_typeEPNSO_ISJ_E10value_typeEPSK_NS1_7vsmem_tEENKUlT_SI_SJ_SK_E_clISE_PiSF_SF_EESH_SX_SI_SJ_SK_EUlSX_E_NS1_11comp_targetILNS1_3genE4ELNS1_11target_archE910ELNS1_3gpuE8ELNS1_3repE0EEENS1_48merge_mergepath_partition_config_static_selectorELNS0_4arch9wavefront6targetE0EEEvSJ_: ; @_ZN7rocprim17ROCPRIM_400000_NS6detail17trampoline_kernelINS0_14default_configENS1_38merge_sort_block_merge_config_selectorIiNS0_10empty_typeEEEZZNS1_27merge_sort_block_merge_implIS3_N6thrust23THRUST_200600_302600_NS6detail15normal_iteratorINS9_10device_ptrIiEEEEPS5_m17evens_before_oddsEE10hipError_tT0_T1_T2_jT3_P12ihipStream_tbPNSt15iterator_traitsISI_E10value_typeEPNSO_ISJ_E10value_typeEPSK_NS1_7vsmem_tEENKUlT_SI_SJ_SK_E_clISE_PiSF_SF_EESH_SX_SI_SJ_SK_EUlSX_E_NS1_11comp_targetILNS1_3genE4ELNS1_11target_archE910ELNS1_3gpuE8ELNS1_3repE0EEENS1_48merge_mergepath_partition_config_static_selectorELNS0_4arch9wavefront6targetE0EEEvSJ_
; %bb.0:
	.section	.rodata,"a",@progbits
	.p2align	6, 0x0
	.amdhsa_kernel _ZN7rocprim17ROCPRIM_400000_NS6detail17trampoline_kernelINS0_14default_configENS1_38merge_sort_block_merge_config_selectorIiNS0_10empty_typeEEEZZNS1_27merge_sort_block_merge_implIS3_N6thrust23THRUST_200600_302600_NS6detail15normal_iteratorINS9_10device_ptrIiEEEEPS5_m17evens_before_oddsEE10hipError_tT0_T1_T2_jT3_P12ihipStream_tbPNSt15iterator_traitsISI_E10value_typeEPNSO_ISJ_E10value_typeEPSK_NS1_7vsmem_tEENKUlT_SI_SJ_SK_E_clISE_PiSF_SF_EESH_SX_SI_SJ_SK_EUlSX_E_NS1_11comp_targetILNS1_3genE4ELNS1_11target_archE910ELNS1_3gpuE8ELNS1_3repE0EEENS1_48merge_mergepath_partition_config_static_selectorELNS0_4arch9wavefront6targetE0EEEvSJ_
		.amdhsa_group_segment_fixed_size 0
		.amdhsa_private_segment_fixed_size 0
		.amdhsa_kernarg_size 48
		.amdhsa_user_sgpr_count 6
		.amdhsa_user_sgpr_private_segment_buffer 1
		.amdhsa_user_sgpr_dispatch_ptr 0
		.amdhsa_user_sgpr_queue_ptr 0
		.amdhsa_user_sgpr_kernarg_segment_ptr 1
		.amdhsa_user_sgpr_dispatch_id 0
		.amdhsa_user_sgpr_flat_scratch_init 0
		.amdhsa_user_sgpr_private_segment_size 0
		.amdhsa_wavefront_size32 1
		.amdhsa_uses_dynamic_stack 0
		.amdhsa_system_sgpr_private_segment_wavefront_offset 0
		.amdhsa_system_sgpr_workgroup_id_x 1
		.amdhsa_system_sgpr_workgroup_id_y 0
		.amdhsa_system_sgpr_workgroup_id_z 0
		.amdhsa_system_sgpr_workgroup_info 0
		.amdhsa_system_vgpr_workitem_id 0
		.amdhsa_next_free_vgpr 1
		.amdhsa_next_free_sgpr 1
		.amdhsa_reserve_vcc 0
		.amdhsa_reserve_flat_scratch 0
		.amdhsa_float_round_mode_32 0
		.amdhsa_float_round_mode_16_64 0
		.amdhsa_float_denorm_mode_32 3
		.amdhsa_float_denorm_mode_16_64 3
		.amdhsa_dx10_clamp 1
		.amdhsa_ieee_mode 1
		.amdhsa_fp16_overflow 0
		.amdhsa_workgroup_processor_mode 1
		.amdhsa_memory_ordered 1
		.amdhsa_forward_progress 1
		.amdhsa_shared_vgpr_count 0
		.amdhsa_exception_fp_ieee_invalid_op 0
		.amdhsa_exception_fp_denorm_src 0
		.amdhsa_exception_fp_ieee_div_zero 0
		.amdhsa_exception_fp_ieee_overflow 0
		.amdhsa_exception_fp_ieee_underflow 0
		.amdhsa_exception_fp_ieee_inexact 0
		.amdhsa_exception_int_div_zero 0
	.end_amdhsa_kernel
	.section	.text._ZN7rocprim17ROCPRIM_400000_NS6detail17trampoline_kernelINS0_14default_configENS1_38merge_sort_block_merge_config_selectorIiNS0_10empty_typeEEEZZNS1_27merge_sort_block_merge_implIS3_N6thrust23THRUST_200600_302600_NS6detail15normal_iteratorINS9_10device_ptrIiEEEEPS5_m17evens_before_oddsEE10hipError_tT0_T1_T2_jT3_P12ihipStream_tbPNSt15iterator_traitsISI_E10value_typeEPNSO_ISJ_E10value_typeEPSK_NS1_7vsmem_tEENKUlT_SI_SJ_SK_E_clISE_PiSF_SF_EESH_SX_SI_SJ_SK_EUlSX_E_NS1_11comp_targetILNS1_3genE4ELNS1_11target_archE910ELNS1_3gpuE8ELNS1_3repE0EEENS1_48merge_mergepath_partition_config_static_selectorELNS0_4arch9wavefront6targetE0EEEvSJ_,"axG",@progbits,_ZN7rocprim17ROCPRIM_400000_NS6detail17trampoline_kernelINS0_14default_configENS1_38merge_sort_block_merge_config_selectorIiNS0_10empty_typeEEEZZNS1_27merge_sort_block_merge_implIS3_N6thrust23THRUST_200600_302600_NS6detail15normal_iteratorINS9_10device_ptrIiEEEEPS5_m17evens_before_oddsEE10hipError_tT0_T1_T2_jT3_P12ihipStream_tbPNSt15iterator_traitsISI_E10value_typeEPNSO_ISJ_E10value_typeEPSK_NS1_7vsmem_tEENKUlT_SI_SJ_SK_E_clISE_PiSF_SF_EESH_SX_SI_SJ_SK_EUlSX_E_NS1_11comp_targetILNS1_3genE4ELNS1_11target_archE910ELNS1_3gpuE8ELNS1_3repE0EEENS1_48merge_mergepath_partition_config_static_selectorELNS0_4arch9wavefront6targetE0EEEvSJ_,comdat
.Lfunc_end435:
	.size	_ZN7rocprim17ROCPRIM_400000_NS6detail17trampoline_kernelINS0_14default_configENS1_38merge_sort_block_merge_config_selectorIiNS0_10empty_typeEEEZZNS1_27merge_sort_block_merge_implIS3_N6thrust23THRUST_200600_302600_NS6detail15normal_iteratorINS9_10device_ptrIiEEEEPS5_m17evens_before_oddsEE10hipError_tT0_T1_T2_jT3_P12ihipStream_tbPNSt15iterator_traitsISI_E10value_typeEPNSO_ISJ_E10value_typeEPSK_NS1_7vsmem_tEENKUlT_SI_SJ_SK_E_clISE_PiSF_SF_EESH_SX_SI_SJ_SK_EUlSX_E_NS1_11comp_targetILNS1_3genE4ELNS1_11target_archE910ELNS1_3gpuE8ELNS1_3repE0EEENS1_48merge_mergepath_partition_config_static_selectorELNS0_4arch9wavefront6targetE0EEEvSJ_, .Lfunc_end435-_ZN7rocprim17ROCPRIM_400000_NS6detail17trampoline_kernelINS0_14default_configENS1_38merge_sort_block_merge_config_selectorIiNS0_10empty_typeEEEZZNS1_27merge_sort_block_merge_implIS3_N6thrust23THRUST_200600_302600_NS6detail15normal_iteratorINS9_10device_ptrIiEEEEPS5_m17evens_before_oddsEE10hipError_tT0_T1_T2_jT3_P12ihipStream_tbPNSt15iterator_traitsISI_E10value_typeEPNSO_ISJ_E10value_typeEPSK_NS1_7vsmem_tEENKUlT_SI_SJ_SK_E_clISE_PiSF_SF_EESH_SX_SI_SJ_SK_EUlSX_E_NS1_11comp_targetILNS1_3genE4ELNS1_11target_archE910ELNS1_3gpuE8ELNS1_3repE0EEENS1_48merge_mergepath_partition_config_static_selectorELNS0_4arch9wavefront6targetE0EEEvSJ_
                                        ; -- End function
	.set _ZN7rocprim17ROCPRIM_400000_NS6detail17trampoline_kernelINS0_14default_configENS1_38merge_sort_block_merge_config_selectorIiNS0_10empty_typeEEEZZNS1_27merge_sort_block_merge_implIS3_N6thrust23THRUST_200600_302600_NS6detail15normal_iteratorINS9_10device_ptrIiEEEEPS5_m17evens_before_oddsEE10hipError_tT0_T1_T2_jT3_P12ihipStream_tbPNSt15iterator_traitsISI_E10value_typeEPNSO_ISJ_E10value_typeEPSK_NS1_7vsmem_tEENKUlT_SI_SJ_SK_E_clISE_PiSF_SF_EESH_SX_SI_SJ_SK_EUlSX_E_NS1_11comp_targetILNS1_3genE4ELNS1_11target_archE910ELNS1_3gpuE8ELNS1_3repE0EEENS1_48merge_mergepath_partition_config_static_selectorELNS0_4arch9wavefront6targetE0EEEvSJ_.num_vgpr, 0
	.set _ZN7rocprim17ROCPRIM_400000_NS6detail17trampoline_kernelINS0_14default_configENS1_38merge_sort_block_merge_config_selectorIiNS0_10empty_typeEEEZZNS1_27merge_sort_block_merge_implIS3_N6thrust23THRUST_200600_302600_NS6detail15normal_iteratorINS9_10device_ptrIiEEEEPS5_m17evens_before_oddsEE10hipError_tT0_T1_T2_jT3_P12ihipStream_tbPNSt15iterator_traitsISI_E10value_typeEPNSO_ISJ_E10value_typeEPSK_NS1_7vsmem_tEENKUlT_SI_SJ_SK_E_clISE_PiSF_SF_EESH_SX_SI_SJ_SK_EUlSX_E_NS1_11comp_targetILNS1_3genE4ELNS1_11target_archE910ELNS1_3gpuE8ELNS1_3repE0EEENS1_48merge_mergepath_partition_config_static_selectorELNS0_4arch9wavefront6targetE0EEEvSJ_.num_agpr, 0
	.set _ZN7rocprim17ROCPRIM_400000_NS6detail17trampoline_kernelINS0_14default_configENS1_38merge_sort_block_merge_config_selectorIiNS0_10empty_typeEEEZZNS1_27merge_sort_block_merge_implIS3_N6thrust23THRUST_200600_302600_NS6detail15normal_iteratorINS9_10device_ptrIiEEEEPS5_m17evens_before_oddsEE10hipError_tT0_T1_T2_jT3_P12ihipStream_tbPNSt15iterator_traitsISI_E10value_typeEPNSO_ISJ_E10value_typeEPSK_NS1_7vsmem_tEENKUlT_SI_SJ_SK_E_clISE_PiSF_SF_EESH_SX_SI_SJ_SK_EUlSX_E_NS1_11comp_targetILNS1_3genE4ELNS1_11target_archE910ELNS1_3gpuE8ELNS1_3repE0EEENS1_48merge_mergepath_partition_config_static_selectorELNS0_4arch9wavefront6targetE0EEEvSJ_.numbered_sgpr, 0
	.set _ZN7rocprim17ROCPRIM_400000_NS6detail17trampoline_kernelINS0_14default_configENS1_38merge_sort_block_merge_config_selectorIiNS0_10empty_typeEEEZZNS1_27merge_sort_block_merge_implIS3_N6thrust23THRUST_200600_302600_NS6detail15normal_iteratorINS9_10device_ptrIiEEEEPS5_m17evens_before_oddsEE10hipError_tT0_T1_T2_jT3_P12ihipStream_tbPNSt15iterator_traitsISI_E10value_typeEPNSO_ISJ_E10value_typeEPSK_NS1_7vsmem_tEENKUlT_SI_SJ_SK_E_clISE_PiSF_SF_EESH_SX_SI_SJ_SK_EUlSX_E_NS1_11comp_targetILNS1_3genE4ELNS1_11target_archE910ELNS1_3gpuE8ELNS1_3repE0EEENS1_48merge_mergepath_partition_config_static_selectorELNS0_4arch9wavefront6targetE0EEEvSJ_.num_named_barrier, 0
	.set _ZN7rocprim17ROCPRIM_400000_NS6detail17trampoline_kernelINS0_14default_configENS1_38merge_sort_block_merge_config_selectorIiNS0_10empty_typeEEEZZNS1_27merge_sort_block_merge_implIS3_N6thrust23THRUST_200600_302600_NS6detail15normal_iteratorINS9_10device_ptrIiEEEEPS5_m17evens_before_oddsEE10hipError_tT0_T1_T2_jT3_P12ihipStream_tbPNSt15iterator_traitsISI_E10value_typeEPNSO_ISJ_E10value_typeEPSK_NS1_7vsmem_tEENKUlT_SI_SJ_SK_E_clISE_PiSF_SF_EESH_SX_SI_SJ_SK_EUlSX_E_NS1_11comp_targetILNS1_3genE4ELNS1_11target_archE910ELNS1_3gpuE8ELNS1_3repE0EEENS1_48merge_mergepath_partition_config_static_selectorELNS0_4arch9wavefront6targetE0EEEvSJ_.private_seg_size, 0
	.set _ZN7rocprim17ROCPRIM_400000_NS6detail17trampoline_kernelINS0_14default_configENS1_38merge_sort_block_merge_config_selectorIiNS0_10empty_typeEEEZZNS1_27merge_sort_block_merge_implIS3_N6thrust23THRUST_200600_302600_NS6detail15normal_iteratorINS9_10device_ptrIiEEEEPS5_m17evens_before_oddsEE10hipError_tT0_T1_T2_jT3_P12ihipStream_tbPNSt15iterator_traitsISI_E10value_typeEPNSO_ISJ_E10value_typeEPSK_NS1_7vsmem_tEENKUlT_SI_SJ_SK_E_clISE_PiSF_SF_EESH_SX_SI_SJ_SK_EUlSX_E_NS1_11comp_targetILNS1_3genE4ELNS1_11target_archE910ELNS1_3gpuE8ELNS1_3repE0EEENS1_48merge_mergepath_partition_config_static_selectorELNS0_4arch9wavefront6targetE0EEEvSJ_.uses_vcc, 0
	.set _ZN7rocprim17ROCPRIM_400000_NS6detail17trampoline_kernelINS0_14default_configENS1_38merge_sort_block_merge_config_selectorIiNS0_10empty_typeEEEZZNS1_27merge_sort_block_merge_implIS3_N6thrust23THRUST_200600_302600_NS6detail15normal_iteratorINS9_10device_ptrIiEEEEPS5_m17evens_before_oddsEE10hipError_tT0_T1_T2_jT3_P12ihipStream_tbPNSt15iterator_traitsISI_E10value_typeEPNSO_ISJ_E10value_typeEPSK_NS1_7vsmem_tEENKUlT_SI_SJ_SK_E_clISE_PiSF_SF_EESH_SX_SI_SJ_SK_EUlSX_E_NS1_11comp_targetILNS1_3genE4ELNS1_11target_archE910ELNS1_3gpuE8ELNS1_3repE0EEENS1_48merge_mergepath_partition_config_static_selectorELNS0_4arch9wavefront6targetE0EEEvSJ_.uses_flat_scratch, 0
	.set _ZN7rocprim17ROCPRIM_400000_NS6detail17trampoline_kernelINS0_14default_configENS1_38merge_sort_block_merge_config_selectorIiNS0_10empty_typeEEEZZNS1_27merge_sort_block_merge_implIS3_N6thrust23THRUST_200600_302600_NS6detail15normal_iteratorINS9_10device_ptrIiEEEEPS5_m17evens_before_oddsEE10hipError_tT0_T1_T2_jT3_P12ihipStream_tbPNSt15iterator_traitsISI_E10value_typeEPNSO_ISJ_E10value_typeEPSK_NS1_7vsmem_tEENKUlT_SI_SJ_SK_E_clISE_PiSF_SF_EESH_SX_SI_SJ_SK_EUlSX_E_NS1_11comp_targetILNS1_3genE4ELNS1_11target_archE910ELNS1_3gpuE8ELNS1_3repE0EEENS1_48merge_mergepath_partition_config_static_selectorELNS0_4arch9wavefront6targetE0EEEvSJ_.has_dyn_sized_stack, 0
	.set _ZN7rocprim17ROCPRIM_400000_NS6detail17trampoline_kernelINS0_14default_configENS1_38merge_sort_block_merge_config_selectorIiNS0_10empty_typeEEEZZNS1_27merge_sort_block_merge_implIS3_N6thrust23THRUST_200600_302600_NS6detail15normal_iteratorINS9_10device_ptrIiEEEEPS5_m17evens_before_oddsEE10hipError_tT0_T1_T2_jT3_P12ihipStream_tbPNSt15iterator_traitsISI_E10value_typeEPNSO_ISJ_E10value_typeEPSK_NS1_7vsmem_tEENKUlT_SI_SJ_SK_E_clISE_PiSF_SF_EESH_SX_SI_SJ_SK_EUlSX_E_NS1_11comp_targetILNS1_3genE4ELNS1_11target_archE910ELNS1_3gpuE8ELNS1_3repE0EEENS1_48merge_mergepath_partition_config_static_selectorELNS0_4arch9wavefront6targetE0EEEvSJ_.has_recursion, 0
	.set _ZN7rocprim17ROCPRIM_400000_NS6detail17trampoline_kernelINS0_14default_configENS1_38merge_sort_block_merge_config_selectorIiNS0_10empty_typeEEEZZNS1_27merge_sort_block_merge_implIS3_N6thrust23THRUST_200600_302600_NS6detail15normal_iteratorINS9_10device_ptrIiEEEEPS5_m17evens_before_oddsEE10hipError_tT0_T1_T2_jT3_P12ihipStream_tbPNSt15iterator_traitsISI_E10value_typeEPNSO_ISJ_E10value_typeEPSK_NS1_7vsmem_tEENKUlT_SI_SJ_SK_E_clISE_PiSF_SF_EESH_SX_SI_SJ_SK_EUlSX_E_NS1_11comp_targetILNS1_3genE4ELNS1_11target_archE910ELNS1_3gpuE8ELNS1_3repE0EEENS1_48merge_mergepath_partition_config_static_selectorELNS0_4arch9wavefront6targetE0EEEvSJ_.has_indirect_call, 0
	.section	.AMDGPU.csdata,"",@progbits
; Kernel info:
; codeLenInByte = 0
; TotalNumSgprs: 0
; NumVgprs: 0
; ScratchSize: 0
; MemoryBound: 0
; FloatMode: 240
; IeeeMode: 1
; LDSByteSize: 0 bytes/workgroup (compile time only)
; SGPRBlocks: 0
; VGPRBlocks: 0
; NumSGPRsForWavesPerEU: 1
; NumVGPRsForWavesPerEU: 1
; Occupancy: 16
; WaveLimiterHint : 0
; COMPUTE_PGM_RSRC2:SCRATCH_EN: 0
; COMPUTE_PGM_RSRC2:USER_SGPR: 6
; COMPUTE_PGM_RSRC2:TRAP_HANDLER: 0
; COMPUTE_PGM_RSRC2:TGID_X_EN: 1
; COMPUTE_PGM_RSRC2:TGID_Y_EN: 0
; COMPUTE_PGM_RSRC2:TGID_Z_EN: 0
; COMPUTE_PGM_RSRC2:TIDIG_COMP_CNT: 0
	.section	.text._ZN7rocprim17ROCPRIM_400000_NS6detail17trampoline_kernelINS0_14default_configENS1_38merge_sort_block_merge_config_selectorIiNS0_10empty_typeEEEZZNS1_27merge_sort_block_merge_implIS3_N6thrust23THRUST_200600_302600_NS6detail15normal_iteratorINS9_10device_ptrIiEEEEPS5_m17evens_before_oddsEE10hipError_tT0_T1_T2_jT3_P12ihipStream_tbPNSt15iterator_traitsISI_E10value_typeEPNSO_ISJ_E10value_typeEPSK_NS1_7vsmem_tEENKUlT_SI_SJ_SK_E_clISE_PiSF_SF_EESH_SX_SI_SJ_SK_EUlSX_E_NS1_11comp_targetILNS1_3genE3ELNS1_11target_archE908ELNS1_3gpuE7ELNS1_3repE0EEENS1_48merge_mergepath_partition_config_static_selectorELNS0_4arch9wavefront6targetE0EEEvSJ_,"axG",@progbits,_ZN7rocprim17ROCPRIM_400000_NS6detail17trampoline_kernelINS0_14default_configENS1_38merge_sort_block_merge_config_selectorIiNS0_10empty_typeEEEZZNS1_27merge_sort_block_merge_implIS3_N6thrust23THRUST_200600_302600_NS6detail15normal_iteratorINS9_10device_ptrIiEEEEPS5_m17evens_before_oddsEE10hipError_tT0_T1_T2_jT3_P12ihipStream_tbPNSt15iterator_traitsISI_E10value_typeEPNSO_ISJ_E10value_typeEPSK_NS1_7vsmem_tEENKUlT_SI_SJ_SK_E_clISE_PiSF_SF_EESH_SX_SI_SJ_SK_EUlSX_E_NS1_11comp_targetILNS1_3genE3ELNS1_11target_archE908ELNS1_3gpuE7ELNS1_3repE0EEENS1_48merge_mergepath_partition_config_static_selectorELNS0_4arch9wavefront6targetE0EEEvSJ_,comdat
	.protected	_ZN7rocprim17ROCPRIM_400000_NS6detail17trampoline_kernelINS0_14default_configENS1_38merge_sort_block_merge_config_selectorIiNS0_10empty_typeEEEZZNS1_27merge_sort_block_merge_implIS3_N6thrust23THRUST_200600_302600_NS6detail15normal_iteratorINS9_10device_ptrIiEEEEPS5_m17evens_before_oddsEE10hipError_tT0_T1_T2_jT3_P12ihipStream_tbPNSt15iterator_traitsISI_E10value_typeEPNSO_ISJ_E10value_typeEPSK_NS1_7vsmem_tEENKUlT_SI_SJ_SK_E_clISE_PiSF_SF_EESH_SX_SI_SJ_SK_EUlSX_E_NS1_11comp_targetILNS1_3genE3ELNS1_11target_archE908ELNS1_3gpuE7ELNS1_3repE0EEENS1_48merge_mergepath_partition_config_static_selectorELNS0_4arch9wavefront6targetE0EEEvSJ_ ; -- Begin function _ZN7rocprim17ROCPRIM_400000_NS6detail17trampoline_kernelINS0_14default_configENS1_38merge_sort_block_merge_config_selectorIiNS0_10empty_typeEEEZZNS1_27merge_sort_block_merge_implIS3_N6thrust23THRUST_200600_302600_NS6detail15normal_iteratorINS9_10device_ptrIiEEEEPS5_m17evens_before_oddsEE10hipError_tT0_T1_T2_jT3_P12ihipStream_tbPNSt15iterator_traitsISI_E10value_typeEPNSO_ISJ_E10value_typeEPSK_NS1_7vsmem_tEENKUlT_SI_SJ_SK_E_clISE_PiSF_SF_EESH_SX_SI_SJ_SK_EUlSX_E_NS1_11comp_targetILNS1_3genE3ELNS1_11target_archE908ELNS1_3gpuE7ELNS1_3repE0EEENS1_48merge_mergepath_partition_config_static_selectorELNS0_4arch9wavefront6targetE0EEEvSJ_
	.globl	_ZN7rocprim17ROCPRIM_400000_NS6detail17trampoline_kernelINS0_14default_configENS1_38merge_sort_block_merge_config_selectorIiNS0_10empty_typeEEEZZNS1_27merge_sort_block_merge_implIS3_N6thrust23THRUST_200600_302600_NS6detail15normal_iteratorINS9_10device_ptrIiEEEEPS5_m17evens_before_oddsEE10hipError_tT0_T1_T2_jT3_P12ihipStream_tbPNSt15iterator_traitsISI_E10value_typeEPNSO_ISJ_E10value_typeEPSK_NS1_7vsmem_tEENKUlT_SI_SJ_SK_E_clISE_PiSF_SF_EESH_SX_SI_SJ_SK_EUlSX_E_NS1_11comp_targetILNS1_3genE3ELNS1_11target_archE908ELNS1_3gpuE7ELNS1_3repE0EEENS1_48merge_mergepath_partition_config_static_selectorELNS0_4arch9wavefront6targetE0EEEvSJ_
	.p2align	8
	.type	_ZN7rocprim17ROCPRIM_400000_NS6detail17trampoline_kernelINS0_14default_configENS1_38merge_sort_block_merge_config_selectorIiNS0_10empty_typeEEEZZNS1_27merge_sort_block_merge_implIS3_N6thrust23THRUST_200600_302600_NS6detail15normal_iteratorINS9_10device_ptrIiEEEEPS5_m17evens_before_oddsEE10hipError_tT0_T1_T2_jT3_P12ihipStream_tbPNSt15iterator_traitsISI_E10value_typeEPNSO_ISJ_E10value_typeEPSK_NS1_7vsmem_tEENKUlT_SI_SJ_SK_E_clISE_PiSF_SF_EESH_SX_SI_SJ_SK_EUlSX_E_NS1_11comp_targetILNS1_3genE3ELNS1_11target_archE908ELNS1_3gpuE7ELNS1_3repE0EEENS1_48merge_mergepath_partition_config_static_selectorELNS0_4arch9wavefront6targetE0EEEvSJ_,@function
_ZN7rocprim17ROCPRIM_400000_NS6detail17trampoline_kernelINS0_14default_configENS1_38merge_sort_block_merge_config_selectorIiNS0_10empty_typeEEEZZNS1_27merge_sort_block_merge_implIS3_N6thrust23THRUST_200600_302600_NS6detail15normal_iteratorINS9_10device_ptrIiEEEEPS5_m17evens_before_oddsEE10hipError_tT0_T1_T2_jT3_P12ihipStream_tbPNSt15iterator_traitsISI_E10value_typeEPNSO_ISJ_E10value_typeEPSK_NS1_7vsmem_tEENKUlT_SI_SJ_SK_E_clISE_PiSF_SF_EESH_SX_SI_SJ_SK_EUlSX_E_NS1_11comp_targetILNS1_3genE3ELNS1_11target_archE908ELNS1_3gpuE7ELNS1_3repE0EEENS1_48merge_mergepath_partition_config_static_selectorELNS0_4arch9wavefront6targetE0EEEvSJ_: ; @_ZN7rocprim17ROCPRIM_400000_NS6detail17trampoline_kernelINS0_14default_configENS1_38merge_sort_block_merge_config_selectorIiNS0_10empty_typeEEEZZNS1_27merge_sort_block_merge_implIS3_N6thrust23THRUST_200600_302600_NS6detail15normal_iteratorINS9_10device_ptrIiEEEEPS5_m17evens_before_oddsEE10hipError_tT0_T1_T2_jT3_P12ihipStream_tbPNSt15iterator_traitsISI_E10value_typeEPNSO_ISJ_E10value_typeEPSK_NS1_7vsmem_tEENKUlT_SI_SJ_SK_E_clISE_PiSF_SF_EESH_SX_SI_SJ_SK_EUlSX_E_NS1_11comp_targetILNS1_3genE3ELNS1_11target_archE908ELNS1_3gpuE7ELNS1_3repE0EEENS1_48merge_mergepath_partition_config_static_selectorELNS0_4arch9wavefront6targetE0EEEvSJ_
; %bb.0:
	.section	.rodata,"a",@progbits
	.p2align	6, 0x0
	.amdhsa_kernel _ZN7rocprim17ROCPRIM_400000_NS6detail17trampoline_kernelINS0_14default_configENS1_38merge_sort_block_merge_config_selectorIiNS0_10empty_typeEEEZZNS1_27merge_sort_block_merge_implIS3_N6thrust23THRUST_200600_302600_NS6detail15normal_iteratorINS9_10device_ptrIiEEEEPS5_m17evens_before_oddsEE10hipError_tT0_T1_T2_jT3_P12ihipStream_tbPNSt15iterator_traitsISI_E10value_typeEPNSO_ISJ_E10value_typeEPSK_NS1_7vsmem_tEENKUlT_SI_SJ_SK_E_clISE_PiSF_SF_EESH_SX_SI_SJ_SK_EUlSX_E_NS1_11comp_targetILNS1_3genE3ELNS1_11target_archE908ELNS1_3gpuE7ELNS1_3repE0EEENS1_48merge_mergepath_partition_config_static_selectorELNS0_4arch9wavefront6targetE0EEEvSJ_
		.amdhsa_group_segment_fixed_size 0
		.amdhsa_private_segment_fixed_size 0
		.amdhsa_kernarg_size 48
		.amdhsa_user_sgpr_count 6
		.amdhsa_user_sgpr_private_segment_buffer 1
		.amdhsa_user_sgpr_dispatch_ptr 0
		.amdhsa_user_sgpr_queue_ptr 0
		.amdhsa_user_sgpr_kernarg_segment_ptr 1
		.amdhsa_user_sgpr_dispatch_id 0
		.amdhsa_user_sgpr_flat_scratch_init 0
		.amdhsa_user_sgpr_private_segment_size 0
		.amdhsa_wavefront_size32 1
		.amdhsa_uses_dynamic_stack 0
		.amdhsa_system_sgpr_private_segment_wavefront_offset 0
		.amdhsa_system_sgpr_workgroup_id_x 1
		.amdhsa_system_sgpr_workgroup_id_y 0
		.amdhsa_system_sgpr_workgroup_id_z 0
		.amdhsa_system_sgpr_workgroup_info 0
		.amdhsa_system_vgpr_workitem_id 0
		.amdhsa_next_free_vgpr 1
		.amdhsa_next_free_sgpr 1
		.amdhsa_reserve_vcc 0
		.amdhsa_reserve_flat_scratch 0
		.amdhsa_float_round_mode_32 0
		.amdhsa_float_round_mode_16_64 0
		.amdhsa_float_denorm_mode_32 3
		.amdhsa_float_denorm_mode_16_64 3
		.amdhsa_dx10_clamp 1
		.amdhsa_ieee_mode 1
		.amdhsa_fp16_overflow 0
		.amdhsa_workgroup_processor_mode 1
		.amdhsa_memory_ordered 1
		.amdhsa_forward_progress 1
		.amdhsa_shared_vgpr_count 0
		.amdhsa_exception_fp_ieee_invalid_op 0
		.amdhsa_exception_fp_denorm_src 0
		.amdhsa_exception_fp_ieee_div_zero 0
		.amdhsa_exception_fp_ieee_overflow 0
		.amdhsa_exception_fp_ieee_underflow 0
		.amdhsa_exception_fp_ieee_inexact 0
		.amdhsa_exception_int_div_zero 0
	.end_amdhsa_kernel
	.section	.text._ZN7rocprim17ROCPRIM_400000_NS6detail17trampoline_kernelINS0_14default_configENS1_38merge_sort_block_merge_config_selectorIiNS0_10empty_typeEEEZZNS1_27merge_sort_block_merge_implIS3_N6thrust23THRUST_200600_302600_NS6detail15normal_iteratorINS9_10device_ptrIiEEEEPS5_m17evens_before_oddsEE10hipError_tT0_T1_T2_jT3_P12ihipStream_tbPNSt15iterator_traitsISI_E10value_typeEPNSO_ISJ_E10value_typeEPSK_NS1_7vsmem_tEENKUlT_SI_SJ_SK_E_clISE_PiSF_SF_EESH_SX_SI_SJ_SK_EUlSX_E_NS1_11comp_targetILNS1_3genE3ELNS1_11target_archE908ELNS1_3gpuE7ELNS1_3repE0EEENS1_48merge_mergepath_partition_config_static_selectorELNS0_4arch9wavefront6targetE0EEEvSJ_,"axG",@progbits,_ZN7rocprim17ROCPRIM_400000_NS6detail17trampoline_kernelINS0_14default_configENS1_38merge_sort_block_merge_config_selectorIiNS0_10empty_typeEEEZZNS1_27merge_sort_block_merge_implIS3_N6thrust23THRUST_200600_302600_NS6detail15normal_iteratorINS9_10device_ptrIiEEEEPS5_m17evens_before_oddsEE10hipError_tT0_T1_T2_jT3_P12ihipStream_tbPNSt15iterator_traitsISI_E10value_typeEPNSO_ISJ_E10value_typeEPSK_NS1_7vsmem_tEENKUlT_SI_SJ_SK_E_clISE_PiSF_SF_EESH_SX_SI_SJ_SK_EUlSX_E_NS1_11comp_targetILNS1_3genE3ELNS1_11target_archE908ELNS1_3gpuE7ELNS1_3repE0EEENS1_48merge_mergepath_partition_config_static_selectorELNS0_4arch9wavefront6targetE0EEEvSJ_,comdat
.Lfunc_end436:
	.size	_ZN7rocprim17ROCPRIM_400000_NS6detail17trampoline_kernelINS0_14default_configENS1_38merge_sort_block_merge_config_selectorIiNS0_10empty_typeEEEZZNS1_27merge_sort_block_merge_implIS3_N6thrust23THRUST_200600_302600_NS6detail15normal_iteratorINS9_10device_ptrIiEEEEPS5_m17evens_before_oddsEE10hipError_tT0_T1_T2_jT3_P12ihipStream_tbPNSt15iterator_traitsISI_E10value_typeEPNSO_ISJ_E10value_typeEPSK_NS1_7vsmem_tEENKUlT_SI_SJ_SK_E_clISE_PiSF_SF_EESH_SX_SI_SJ_SK_EUlSX_E_NS1_11comp_targetILNS1_3genE3ELNS1_11target_archE908ELNS1_3gpuE7ELNS1_3repE0EEENS1_48merge_mergepath_partition_config_static_selectorELNS0_4arch9wavefront6targetE0EEEvSJ_, .Lfunc_end436-_ZN7rocprim17ROCPRIM_400000_NS6detail17trampoline_kernelINS0_14default_configENS1_38merge_sort_block_merge_config_selectorIiNS0_10empty_typeEEEZZNS1_27merge_sort_block_merge_implIS3_N6thrust23THRUST_200600_302600_NS6detail15normal_iteratorINS9_10device_ptrIiEEEEPS5_m17evens_before_oddsEE10hipError_tT0_T1_T2_jT3_P12ihipStream_tbPNSt15iterator_traitsISI_E10value_typeEPNSO_ISJ_E10value_typeEPSK_NS1_7vsmem_tEENKUlT_SI_SJ_SK_E_clISE_PiSF_SF_EESH_SX_SI_SJ_SK_EUlSX_E_NS1_11comp_targetILNS1_3genE3ELNS1_11target_archE908ELNS1_3gpuE7ELNS1_3repE0EEENS1_48merge_mergepath_partition_config_static_selectorELNS0_4arch9wavefront6targetE0EEEvSJ_
                                        ; -- End function
	.set _ZN7rocprim17ROCPRIM_400000_NS6detail17trampoline_kernelINS0_14default_configENS1_38merge_sort_block_merge_config_selectorIiNS0_10empty_typeEEEZZNS1_27merge_sort_block_merge_implIS3_N6thrust23THRUST_200600_302600_NS6detail15normal_iteratorINS9_10device_ptrIiEEEEPS5_m17evens_before_oddsEE10hipError_tT0_T1_T2_jT3_P12ihipStream_tbPNSt15iterator_traitsISI_E10value_typeEPNSO_ISJ_E10value_typeEPSK_NS1_7vsmem_tEENKUlT_SI_SJ_SK_E_clISE_PiSF_SF_EESH_SX_SI_SJ_SK_EUlSX_E_NS1_11comp_targetILNS1_3genE3ELNS1_11target_archE908ELNS1_3gpuE7ELNS1_3repE0EEENS1_48merge_mergepath_partition_config_static_selectorELNS0_4arch9wavefront6targetE0EEEvSJ_.num_vgpr, 0
	.set _ZN7rocprim17ROCPRIM_400000_NS6detail17trampoline_kernelINS0_14default_configENS1_38merge_sort_block_merge_config_selectorIiNS0_10empty_typeEEEZZNS1_27merge_sort_block_merge_implIS3_N6thrust23THRUST_200600_302600_NS6detail15normal_iteratorINS9_10device_ptrIiEEEEPS5_m17evens_before_oddsEE10hipError_tT0_T1_T2_jT3_P12ihipStream_tbPNSt15iterator_traitsISI_E10value_typeEPNSO_ISJ_E10value_typeEPSK_NS1_7vsmem_tEENKUlT_SI_SJ_SK_E_clISE_PiSF_SF_EESH_SX_SI_SJ_SK_EUlSX_E_NS1_11comp_targetILNS1_3genE3ELNS1_11target_archE908ELNS1_3gpuE7ELNS1_3repE0EEENS1_48merge_mergepath_partition_config_static_selectorELNS0_4arch9wavefront6targetE0EEEvSJ_.num_agpr, 0
	.set _ZN7rocprim17ROCPRIM_400000_NS6detail17trampoline_kernelINS0_14default_configENS1_38merge_sort_block_merge_config_selectorIiNS0_10empty_typeEEEZZNS1_27merge_sort_block_merge_implIS3_N6thrust23THRUST_200600_302600_NS6detail15normal_iteratorINS9_10device_ptrIiEEEEPS5_m17evens_before_oddsEE10hipError_tT0_T1_T2_jT3_P12ihipStream_tbPNSt15iterator_traitsISI_E10value_typeEPNSO_ISJ_E10value_typeEPSK_NS1_7vsmem_tEENKUlT_SI_SJ_SK_E_clISE_PiSF_SF_EESH_SX_SI_SJ_SK_EUlSX_E_NS1_11comp_targetILNS1_3genE3ELNS1_11target_archE908ELNS1_3gpuE7ELNS1_3repE0EEENS1_48merge_mergepath_partition_config_static_selectorELNS0_4arch9wavefront6targetE0EEEvSJ_.numbered_sgpr, 0
	.set _ZN7rocprim17ROCPRIM_400000_NS6detail17trampoline_kernelINS0_14default_configENS1_38merge_sort_block_merge_config_selectorIiNS0_10empty_typeEEEZZNS1_27merge_sort_block_merge_implIS3_N6thrust23THRUST_200600_302600_NS6detail15normal_iteratorINS9_10device_ptrIiEEEEPS5_m17evens_before_oddsEE10hipError_tT0_T1_T2_jT3_P12ihipStream_tbPNSt15iterator_traitsISI_E10value_typeEPNSO_ISJ_E10value_typeEPSK_NS1_7vsmem_tEENKUlT_SI_SJ_SK_E_clISE_PiSF_SF_EESH_SX_SI_SJ_SK_EUlSX_E_NS1_11comp_targetILNS1_3genE3ELNS1_11target_archE908ELNS1_3gpuE7ELNS1_3repE0EEENS1_48merge_mergepath_partition_config_static_selectorELNS0_4arch9wavefront6targetE0EEEvSJ_.num_named_barrier, 0
	.set _ZN7rocprim17ROCPRIM_400000_NS6detail17trampoline_kernelINS0_14default_configENS1_38merge_sort_block_merge_config_selectorIiNS0_10empty_typeEEEZZNS1_27merge_sort_block_merge_implIS3_N6thrust23THRUST_200600_302600_NS6detail15normal_iteratorINS9_10device_ptrIiEEEEPS5_m17evens_before_oddsEE10hipError_tT0_T1_T2_jT3_P12ihipStream_tbPNSt15iterator_traitsISI_E10value_typeEPNSO_ISJ_E10value_typeEPSK_NS1_7vsmem_tEENKUlT_SI_SJ_SK_E_clISE_PiSF_SF_EESH_SX_SI_SJ_SK_EUlSX_E_NS1_11comp_targetILNS1_3genE3ELNS1_11target_archE908ELNS1_3gpuE7ELNS1_3repE0EEENS1_48merge_mergepath_partition_config_static_selectorELNS0_4arch9wavefront6targetE0EEEvSJ_.private_seg_size, 0
	.set _ZN7rocprim17ROCPRIM_400000_NS6detail17trampoline_kernelINS0_14default_configENS1_38merge_sort_block_merge_config_selectorIiNS0_10empty_typeEEEZZNS1_27merge_sort_block_merge_implIS3_N6thrust23THRUST_200600_302600_NS6detail15normal_iteratorINS9_10device_ptrIiEEEEPS5_m17evens_before_oddsEE10hipError_tT0_T1_T2_jT3_P12ihipStream_tbPNSt15iterator_traitsISI_E10value_typeEPNSO_ISJ_E10value_typeEPSK_NS1_7vsmem_tEENKUlT_SI_SJ_SK_E_clISE_PiSF_SF_EESH_SX_SI_SJ_SK_EUlSX_E_NS1_11comp_targetILNS1_3genE3ELNS1_11target_archE908ELNS1_3gpuE7ELNS1_3repE0EEENS1_48merge_mergepath_partition_config_static_selectorELNS0_4arch9wavefront6targetE0EEEvSJ_.uses_vcc, 0
	.set _ZN7rocprim17ROCPRIM_400000_NS6detail17trampoline_kernelINS0_14default_configENS1_38merge_sort_block_merge_config_selectorIiNS0_10empty_typeEEEZZNS1_27merge_sort_block_merge_implIS3_N6thrust23THRUST_200600_302600_NS6detail15normal_iteratorINS9_10device_ptrIiEEEEPS5_m17evens_before_oddsEE10hipError_tT0_T1_T2_jT3_P12ihipStream_tbPNSt15iterator_traitsISI_E10value_typeEPNSO_ISJ_E10value_typeEPSK_NS1_7vsmem_tEENKUlT_SI_SJ_SK_E_clISE_PiSF_SF_EESH_SX_SI_SJ_SK_EUlSX_E_NS1_11comp_targetILNS1_3genE3ELNS1_11target_archE908ELNS1_3gpuE7ELNS1_3repE0EEENS1_48merge_mergepath_partition_config_static_selectorELNS0_4arch9wavefront6targetE0EEEvSJ_.uses_flat_scratch, 0
	.set _ZN7rocprim17ROCPRIM_400000_NS6detail17trampoline_kernelINS0_14default_configENS1_38merge_sort_block_merge_config_selectorIiNS0_10empty_typeEEEZZNS1_27merge_sort_block_merge_implIS3_N6thrust23THRUST_200600_302600_NS6detail15normal_iteratorINS9_10device_ptrIiEEEEPS5_m17evens_before_oddsEE10hipError_tT0_T1_T2_jT3_P12ihipStream_tbPNSt15iterator_traitsISI_E10value_typeEPNSO_ISJ_E10value_typeEPSK_NS1_7vsmem_tEENKUlT_SI_SJ_SK_E_clISE_PiSF_SF_EESH_SX_SI_SJ_SK_EUlSX_E_NS1_11comp_targetILNS1_3genE3ELNS1_11target_archE908ELNS1_3gpuE7ELNS1_3repE0EEENS1_48merge_mergepath_partition_config_static_selectorELNS0_4arch9wavefront6targetE0EEEvSJ_.has_dyn_sized_stack, 0
	.set _ZN7rocprim17ROCPRIM_400000_NS6detail17trampoline_kernelINS0_14default_configENS1_38merge_sort_block_merge_config_selectorIiNS0_10empty_typeEEEZZNS1_27merge_sort_block_merge_implIS3_N6thrust23THRUST_200600_302600_NS6detail15normal_iteratorINS9_10device_ptrIiEEEEPS5_m17evens_before_oddsEE10hipError_tT0_T1_T2_jT3_P12ihipStream_tbPNSt15iterator_traitsISI_E10value_typeEPNSO_ISJ_E10value_typeEPSK_NS1_7vsmem_tEENKUlT_SI_SJ_SK_E_clISE_PiSF_SF_EESH_SX_SI_SJ_SK_EUlSX_E_NS1_11comp_targetILNS1_3genE3ELNS1_11target_archE908ELNS1_3gpuE7ELNS1_3repE0EEENS1_48merge_mergepath_partition_config_static_selectorELNS0_4arch9wavefront6targetE0EEEvSJ_.has_recursion, 0
	.set _ZN7rocprim17ROCPRIM_400000_NS6detail17trampoline_kernelINS0_14default_configENS1_38merge_sort_block_merge_config_selectorIiNS0_10empty_typeEEEZZNS1_27merge_sort_block_merge_implIS3_N6thrust23THRUST_200600_302600_NS6detail15normal_iteratorINS9_10device_ptrIiEEEEPS5_m17evens_before_oddsEE10hipError_tT0_T1_T2_jT3_P12ihipStream_tbPNSt15iterator_traitsISI_E10value_typeEPNSO_ISJ_E10value_typeEPSK_NS1_7vsmem_tEENKUlT_SI_SJ_SK_E_clISE_PiSF_SF_EESH_SX_SI_SJ_SK_EUlSX_E_NS1_11comp_targetILNS1_3genE3ELNS1_11target_archE908ELNS1_3gpuE7ELNS1_3repE0EEENS1_48merge_mergepath_partition_config_static_selectorELNS0_4arch9wavefront6targetE0EEEvSJ_.has_indirect_call, 0
	.section	.AMDGPU.csdata,"",@progbits
; Kernel info:
; codeLenInByte = 0
; TotalNumSgprs: 0
; NumVgprs: 0
; ScratchSize: 0
; MemoryBound: 0
; FloatMode: 240
; IeeeMode: 1
; LDSByteSize: 0 bytes/workgroup (compile time only)
; SGPRBlocks: 0
; VGPRBlocks: 0
; NumSGPRsForWavesPerEU: 1
; NumVGPRsForWavesPerEU: 1
; Occupancy: 16
; WaveLimiterHint : 0
; COMPUTE_PGM_RSRC2:SCRATCH_EN: 0
; COMPUTE_PGM_RSRC2:USER_SGPR: 6
; COMPUTE_PGM_RSRC2:TRAP_HANDLER: 0
; COMPUTE_PGM_RSRC2:TGID_X_EN: 1
; COMPUTE_PGM_RSRC2:TGID_Y_EN: 0
; COMPUTE_PGM_RSRC2:TGID_Z_EN: 0
; COMPUTE_PGM_RSRC2:TIDIG_COMP_CNT: 0
	.section	.text._ZN7rocprim17ROCPRIM_400000_NS6detail17trampoline_kernelINS0_14default_configENS1_38merge_sort_block_merge_config_selectorIiNS0_10empty_typeEEEZZNS1_27merge_sort_block_merge_implIS3_N6thrust23THRUST_200600_302600_NS6detail15normal_iteratorINS9_10device_ptrIiEEEEPS5_m17evens_before_oddsEE10hipError_tT0_T1_T2_jT3_P12ihipStream_tbPNSt15iterator_traitsISI_E10value_typeEPNSO_ISJ_E10value_typeEPSK_NS1_7vsmem_tEENKUlT_SI_SJ_SK_E_clISE_PiSF_SF_EESH_SX_SI_SJ_SK_EUlSX_E_NS1_11comp_targetILNS1_3genE2ELNS1_11target_archE906ELNS1_3gpuE6ELNS1_3repE0EEENS1_48merge_mergepath_partition_config_static_selectorELNS0_4arch9wavefront6targetE0EEEvSJ_,"axG",@progbits,_ZN7rocprim17ROCPRIM_400000_NS6detail17trampoline_kernelINS0_14default_configENS1_38merge_sort_block_merge_config_selectorIiNS0_10empty_typeEEEZZNS1_27merge_sort_block_merge_implIS3_N6thrust23THRUST_200600_302600_NS6detail15normal_iteratorINS9_10device_ptrIiEEEEPS5_m17evens_before_oddsEE10hipError_tT0_T1_T2_jT3_P12ihipStream_tbPNSt15iterator_traitsISI_E10value_typeEPNSO_ISJ_E10value_typeEPSK_NS1_7vsmem_tEENKUlT_SI_SJ_SK_E_clISE_PiSF_SF_EESH_SX_SI_SJ_SK_EUlSX_E_NS1_11comp_targetILNS1_3genE2ELNS1_11target_archE906ELNS1_3gpuE6ELNS1_3repE0EEENS1_48merge_mergepath_partition_config_static_selectorELNS0_4arch9wavefront6targetE0EEEvSJ_,comdat
	.protected	_ZN7rocprim17ROCPRIM_400000_NS6detail17trampoline_kernelINS0_14default_configENS1_38merge_sort_block_merge_config_selectorIiNS0_10empty_typeEEEZZNS1_27merge_sort_block_merge_implIS3_N6thrust23THRUST_200600_302600_NS6detail15normal_iteratorINS9_10device_ptrIiEEEEPS5_m17evens_before_oddsEE10hipError_tT0_T1_T2_jT3_P12ihipStream_tbPNSt15iterator_traitsISI_E10value_typeEPNSO_ISJ_E10value_typeEPSK_NS1_7vsmem_tEENKUlT_SI_SJ_SK_E_clISE_PiSF_SF_EESH_SX_SI_SJ_SK_EUlSX_E_NS1_11comp_targetILNS1_3genE2ELNS1_11target_archE906ELNS1_3gpuE6ELNS1_3repE0EEENS1_48merge_mergepath_partition_config_static_selectorELNS0_4arch9wavefront6targetE0EEEvSJ_ ; -- Begin function _ZN7rocprim17ROCPRIM_400000_NS6detail17trampoline_kernelINS0_14default_configENS1_38merge_sort_block_merge_config_selectorIiNS0_10empty_typeEEEZZNS1_27merge_sort_block_merge_implIS3_N6thrust23THRUST_200600_302600_NS6detail15normal_iteratorINS9_10device_ptrIiEEEEPS5_m17evens_before_oddsEE10hipError_tT0_T1_T2_jT3_P12ihipStream_tbPNSt15iterator_traitsISI_E10value_typeEPNSO_ISJ_E10value_typeEPSK_NS1_7vsmem_tEENKUlT_SI_SJ_SK_E_clISE_PiSF_SF_EESH_SX_SI_SJ_SK_EUlSX_E_NS1_11comp_targetILNS1_3genE2ELNS1_11target_archE906ELNS1_3gpuE6ELNS1_3repE0EEENS1_48merge_mergepath_partition_config_static_selectorELNS0_4arch9wavefront6targetE0EEEvSJ_
	.globl	_ZN7rocprim17ROCPRIM_400000_NS6detail17trampoline_kernelINS0_14default_configENS1_38merge_sort_block_merge_config_selectorIiNS0_10empty_typeEEEZZNS1_27merge_sort_block_merge_implIS3_N6thrust23THRUST_200600_302600_NS6detail15normal_iteratorINS9_10device_ptrIiEEEEPS5_m17evens_before_oddsEE10hipError_tT0_T1_T2_jT3_P12ihipStream_tbPNSt15iterator_traitsISI_E10value_typeEPNSO_ISJ_E10value_typeEPSK_NS1_7vsmem_tEENKUlT_SI_SJ_SK_E_clISE_PiSF_SF_EESH_SX_SI_SJ_SK_EUlSX_E_NS1_11comp_targetILNS1_3genE2ELNS1_11target_archE906ELNS1_3gpuE6ELNS1_3repE0EEENS1_48merge_mergepath_partition_config_static_selectorELNS0_4arch9wavefront6targetE0EEEvSJ_
	.p2align	8
	.type	_ZN7rocprim17ROCPRIM_400000_NS6detail17trampoline_kernelINS0_14default_configENS1_38merge_sort_block_merge_config_selectorIiNS0_10empty_typeEEEZZNS1_27merge_sort_block_merge_implIS3_N6thrust23THRUST_200600_302600_NS6detail15normal_iteratorINS9_10device_ptrIiEEEEPS5_m17evens_before_oddsEE10hipError_tT0_T1_T2_jT3_P12ihipStream_tbPNSt15iterator_traitsISI_E10value_typeEPNSO_ISJ_E10value_typeEPSK_NS1_7vsmem_tEENKUlT_SI_SJ_SK_E_clISE_PiSF_SF_EESH_SX_SI_SJ_SK_EUlSX_E_NS1_11comp_targetILNS1_3genE2ELNS1_11target_archE906ELNS1_3gpuE6ELNS1_3repE0EEENS1_48merge_mergepath_partition_config_static_selectorELNS0_4arch9wavefront6targetE0EEEvSJ_,@function
_ZN7rocprim17ROCPRIM_400000_NS6detail17trampoline_kernelINS0_14default_configENS1_38merge_sort_block_merge_config_selectorIiNS0_10empty_typeEEEZZNS1_27merge_sort_block_merge_implIS3_N6thrust23THRUST_200600_302600_NS6detail15normal_iteratorINS9_10device_ptrIiEEEEPS5_m17evens_before_oddsEE10hipError_tT0_T1_T2_jT3_P12ihipStream_tbPNSt15iterator_traitsISI_E10value_typeEPNSO_ISJ_E10value_typeEPSK_NS1_7vsmem_tEENKUlT_SI_SJ_SK_E_clISE_PiSF_SF_EESH_SX_SI_SJ_SK_EUlSX_E_NS1_11comp_targetILNS1_3genE2ELNS1_11target_archE906ELNS1_3gpuE6ELNS1_3repE0EEENS1_48merge_mergepath_partition_config_static_selectorELNS0_4arch9wavefront6targetE0EEEvSJ_: ; @_ZN7rocprim17ROCPRIM_400000_NS6detail17trampoline_kernelINS0_14default_configENS1_38merge_sort_block_merge_config_selectorIiNS0_10empty_typeEEEZZNS1_27merge_sort_block_merge_implIS3_N6thrust23THRUST_200600_302600_NS6detail15normal_iteratorINS9_10device_ptrIiEEEEPS5_m17evens_before_oddsEE10hipError_tT0_T1_T2_jT3_P12ihipStream_tbPNSt15iterator_traitsISI_E10value_typeEPNSO_ISJ_E10value_typeEPSK_NS1_7vsmem_tEENKUlT_SI_SJ_SK_E_clISE_PiSF_SF_EESH_SX_SI_SJ_SK_EUlSX_E_NS1_11comp_targetILNS1_3genE2ELNS1_11target_archE906ELNS1_3gpuE6ELNS1_3repE0EEENS1_48merge_mergepath_partition_config_static_selectorELNS0_4arch9wavefront6targetE0EEEvSJ_
; %bb.0:
	.section	.rodata,"a",@progbits
	.p2align	6, 0x0
	.amdhsa_kernel _ZN7rocprim17ROCPRIM_400000_NS6detail17trampoline_kernelINS0_14default_configENS1_38merge_sort_block_merge_config_selectorIiNS0_10empty_typeEEEZZNS1_27merge_sort_block_merge_implIS3_N6thrust23THRUST_200600_302600_NS6detail15normal_iteratorINS9_10device_ptrIiEEEEPS5_m17evens_before_oddsEE10hipError_tT0_T1_T2_jT3_P12ihipStream_tbPNSt15iterator_traitsISI_E10value_typeEPNSO_ISJ_E10value_typeEPSK_NS1_7vsmem_tEENKUlT_SI_SJ_SK_E_clISE_PiSF_SF_EESH_SX_SI_SJ_SK_EUlSX_E_NS1_11comp_targetILNS1_3genE2ELNS1_11target_archE906ELNS1_3gpuE6ELNS1_3repE0EEENS1_48merge_mergepath_partition_config_static_selectorELNS0_4arch9wavefront6targetE0EEEvSJ_
		.amdhsa_group_segment_fixed_size 0
		.amdhsa_private_segment_fixed_size 0
		.amdhsa_kernarg_size 48
		.amdhsa_user_sgpr_count 6
		.amdhsa_user_sgpr_private_segment_buffer 1
		.amdhsa_user_sgpr_dispatch_ptr 0
		.amdhsa_user_sgpr_queue_ptr 0
		.amdhsa_user_sgpr_kernarg_segment_ptr 1
		.amdhsa_user_sgpr_dispatch_id 0
		.amdhsa_user_sgpr_flat_scratch_init 0
		.amdhsa_user_sgpr_private_segment_size 0
		.amdhsa_wavefront_size32 1
		.amdhsa_uses_dynamic_stack 0
		.amdhsa_system_sgpr_private_segment_wavefront_offset 0
		.amdhsa_system_sgpr_workgroup_id_x 1
		.amdhsa_system_sgpr_workgroup_id_y 0
		.amdhsa_system_sgpr_workgroup_id_z 0
		.amdhsa_system_sgpr_workgroup_info 0
		.amdhsa_system_vgpr_workitem_id 0
		.amdhsa_next_free_vgpr 1
		.amdhsa_next_free_sgpr 1
		.amdhsa_reserve_vcc 0
		.amdhsa_reserve_flat_scratch 0
		.amdhsa_float_round_mode_32 0
		.amdhsa_float_round_mode_16_64 0
		.amdhsa_float_denorm_mode_32 3
		.amdhsa_float_denorm_mode_16_64 3
		.amdhsa_dx10_clamp 1
		.amdhsa_ieee_mode 1
		.amdhsa_fp16_overflow 0
		.amdhsa_workgroup_processor_mode 1
		.amdhsa_memory_ordered 1
		.amdhsa_forward_progress 1
		.amdhsa_shared_vgpr_count 0
		.amdhsa_exception_fp_ieee_invalid_op 0
		.amdhsa_exception_fp_denorm_src 0
		.amdhsa_exception_fp_ieee_div_zero 0
		.amdhsa_exception_fp_ieee_overflow 0
		.amdhsa_exception_fp_ieee_underflow 0
		.amdhsa_exception_fp_ieee_inexact 0
		.amdhsa_exception_int_div_zero 0
	.end_amdhsa_kernel
	.section	.text._ZN7rocprim17ROCPRIM_400000_NS6detail17trampoline_kernelINS0_14default_configENS1_38merge_sort_block_merge_config_selectorIiNS0_10empty_typeEEEZZNS1_27merge_sort_block_merge_implIS3_N6thrust23THRUST_200600_302600_NS6detail15normal_iteratorINS9_10device_ptrIiEEEEPS5_m17evens_before_oddsEE10hipError_tT0_T1_T2_jT3_P12ihipStream_tbPNSt15iterator_traitsISI_E10value_typeEPNSO_ISJ_E10value_typeEPSK_NS1_7vsmem_tEENKUlT_SI_SJ_SK_E_clISE_PiSF_SF_EESH_SX_SI_SJ_SK_EUlSX_E_NS1_11comp_targetILNS1_3genE2ELNS1_11target_archE906ELNS1_3gpuE6ELNS1_3repE0EEENS1_48merge_mergepath_partition_config_static_selectorELNS0_4arch9wavefront6targetE0EEEvSJ_,"axG",@progbits,_ZN7rocprim17ROCPRIM_400000_NS6detail17trampoline_kernelINS0_14default_configENS1_38merge_sort_block_merge_config_selectorIiNS0_10empty_typeEEEZZNS1_27merge_sort_block_merge_implIS3_N6thrust23THRUST_200600_302600_NS6detail15normal_iteratorINS9_10device_ptrIiEEEEPS5_m17evens_before_oddsEE10hipError_tT0_T1_T2_jT3_P12ihipStream_tbPNSt15iterator_traitsISI_E10value_typeEPNSO_ISJ_E10value_typeEPSK_NS1_7vsmem_tEENKUlT_SI_SJ_SK_E_clISE_PiSF_SF_EESH_SX_SI_SJ_SK_EUlSX_E_NS1_11comp_targetILNS1_3genE2ELNS1_11target_archE906ELNS1_3gpuE6ELNS1_3repE0EEENS1_48merge_mergepath_partition_config_static_selectorELNS0_4arch9wavefront6targetE0EEEvSJ_,comdat
.Lfunc_end437:
	.size	_ZN7rocprim17ROCPRIM_400000_NS6detail17trampoline_kernelINS0_14default_configENS1_38merge_sort_block_merge_config_selectorIiNS0_10empty_typeEEEZZNS1_27merge_sort_block_merge_implIS3_N6thrust23THRUST_200600_302600_NS6detail15normal_iteratorINS9_10device_ptrIiEEEEPS5_m17evens_before_oddsEE10hipError_tT0_T1_T2_jT3_P12ihipStream_tbPNSt15iterator_traitsISI_E10value_typeEPNSO_ISJ_E10value_typeEPSK_NS1_7vsmem_tEENKUlT_SI_SJ_SK_E_clISE_PiSF_SF_EESH_SX_SI_SJ_SK_EUlSX_E_NS1_11comp_targetILNS1_3genE2ELNS1_11target_archE906ELNS1_3gpuE6ELNS1_3repE0EEENS1_48merge_mergepath_partition_config_static_selectorELNS0_4arch9wavefront6targetE0EEEvSJ_, .Lfunc_end437-_ZN7rocprim17ROCPRIM_400000_NS6detail17trampoline_kernelINS0_14default_configENS1_38merge_sort_block_merge_config_selectorIiNS0_10empty_typeEEEZZNS1_27merge_sort_block_merge_implIS3_N6thrust23THRUST_200600_302600_NS6detail15normal_iteratorINS9_10device_ptrIiEEEEPS5_m17evens_before_oddsEE10hipError_tT0_T1_T2_jT3_P12ihipStream_tbPNSt15iterator_traitsISI_E10value_typeEPNSO_ISJ_E10value_typeEPSK_NS1_7vsmem_tEENKUlT_SI_SJ_SK_E_clISE_PiSF_SF_EESH_SX_SI_SJ_SK_EUlSX_E_NS1_11comp_targetILNS1_3genE2ELNS1_11target_archE906ELNS1_3gpuE6ELNS1_3repE0EEENS1_48merge_mergepath_partition_config_static_selectorELNS0_4arch9wavefront6targetE0EEEvSJ_
                                        ; -- End function
	.set _ZN7rocprim17ROCPRIM_400000_NS6detail17trampoline_kernelINS0_14default_configENS1_38merge_sort_block_merge_config_selectorIiNS0_10empty_typeEEEZZNS1_27merge_sort_block_merge_implIS3_N6thrust23THRUST_200600_302600_NS6detail15normal_iteratorINS9_10device_ptrIiEEEEPS5_m17evens_before_oddsEE10hipError_tT0_T1_T2_jT3_P12ihipStream_tbPNSt15iterator_traitsISI_E10value_typeEPNSO_ISJ_E10value_typeEPSK_NS1_7vsmem_tEENKUlT_SI_SJ_SK_E_clISE_PiSF_SF_EESH_SX_SI_SJ_SK_EUlSX_E_NS1_11comp_targetILNS1_3genE2ELNS1_11target_archE906ELNS1_3gpuE6ELNS1_3repE0EEENS1_48merge_mergepath_partition_config_static_selectorELNS0_4arch9wavefront6targetE0EEEvSJ_.num_vgpr, 0
	.set _ZN7rocprim17ROCPRIM_400000_NS6detail17trampoline_kernelINS0_14default_configENS1_38merge_sort_block_merge_config_selectorIiNS0_10empty_typeEEEZZNS1_27merge_sort_block_merge_implIS3_N6thrust23THRUST_200600_302600_NS6detail15normal_iteratorINS9_10device_ptrIiEEEEPS5_m17evens_before_oddsEE10hipError_tT0_T1_T2_jT3_P12ihipStream_tbPNSt15iterator_traitsISI_E10value_typeEPNSO_ISJ_E10value_typeEPSK_NS1_7vsmem_tEENKUlT_SI_SJ_SK_E_clISE_PiSF_SF_EESH_SX_SI_SJ_SK_EUlSX_E_NS1_11comp_targetILNS1_3genE2ELNS1_11target_archE906ELNS1_3gpuE6ELNS1_3repE0EEENS1_48merge_mergepath_partition_config_static_selectorELNS0_4arch9wavefront6targetE0EEEvSJ_.num_agpr, 0
	.set _ZN7rocprim17ROCPRIM_400000_NS6detail17trampoline_kernelINS0_14default_configENS1_38merge_sort_block_merge_config_selectorIiNS0_10empty_typeEEEZZNS1_27merge_sort_block_merge_implIS3_N6thrust23THRUST_200600_302600_NS6detail15normal_iteratorINS9_10device_ptrIiEEEEPS5_m17evens_before_oddsEE10hipError_tT0_T1_T2_jT3_P12ihipStream_tbPNSt15iterator_traitsISI_E10value_typeEPNSO_ISJ_E10value_typeEPSK_NS1_7vsmem_tEENKUlT_SI_SJ_SK_E_clISE_PiSF_SF_EESH_SX_SI_SJ_SK_EUlSX_E_NS1_11comp_targetILNS1_3genE2ELNS1_11target_archE906ELNS1_3gpuE6ELNS1_3repE0EEENS1_48merge_mergepath_partition_config_static_selectorELNS0_4arch9wavefront6targetE0EEEvSJ_.numbered_sgpr, 0
	.set _ZN7rocprim17ROCPRIM_400000_NS6detail17trampoline_kernelINS0_14default_configENS1_38merge_sort_block_merge_config_selectorIiNS0_10empty_typeEEEZZNS1_27merge_sort_block_merge_implIS3_N6thrust23THRUST_200600_302600_NS6detail15normal_iteratorINS9_10device_ptrIiEEEEPS5_m17evens_before_oddsEE10hipError_tT0_T1_T2_jT3_P12ihipStream_tbPNSt15iterator_traitsISI_E10value_typeEPNSO_ISJ_E10value_typeEPSK_NS1_7vsmem_tEENKUlT_SI_SJ_SK_E_clISE_PiSF_SF_EESH_SX_SI_SJ_SK_EUlSX_E_NS1_11comp_targetILNS1_3genE2ELNS1_11target_archE906ELNS1_3gpuE6ELNS1_3repE0EEENS1_48merge_mergepath_partition_config_static_selectorELNS0_4arch9wavefront6targetE0EEEvSJ_.num_named_barrier, 0
	.set _ZN7rocprim17ROCPRIM_400000_NS6detail17trampoline_kernelINS0_14default_configENS1_38merge_sort_block_merge_config_selectorIiNS0_10empty_typeEEEZZNS1_27merge_sort_block_merge_implIS3_N6thrust23THRUST_200600_302600_NS6detail15normal_iteratorINS9_10device_ptrIiEEEEPS5_m17evens_before_oddsEE10hipError_tT0_T1_T2_jT3_P12ihipStream_tbPNSt15iterator_traitsISI_E10value_typeEPNSO_ISJ_E10value_typeEPSK_NS1_7vsmem_tEENKUlT_SI_SJ_SK_E_clISE_PiSF_SF_EESH_SX_SI_SJ_SK_EUlSX_E_NS1_11comp_targetILNS1_3genE2ELNS1_11target_archE906ELNS1_3gpuE6ELNS1_3repE0EEENS1_48merge_mergepath_partition_config_static_selectorELNS0_4arch9wavefront6targetE0EEEvSJ_.private_seg_size, 0
	.set _ZN7rocprim17ROCPRIM_400000_NS6detail17trampoline_kernelINS0_14default_configENS1_38merge_sort_block_merge_config_selectorIiNS0_10empty_typeEEEZZNS1_27merge_sort_block_merge_implIS3_N6thrust23THRUST_200600_302600_NS6detail15normal_iteratorINS9_10device_ptrIiEEEEPS5_m17evens_before_oddsEE10hipError_tT0_T1_T2_jT3_P12ihipStream_tbPNSt15iterator_traitsISI_E10value_typeEPNSO_ISJ_E10value_typeEPSK_NS1_7vsmem_tEENKUlT_SI_SJ_SK_E_clISE_PiSF_SF_EESH_SX_SI_SJ_SK_EUlSX_E_NS1_11comp_targetILNS1_3genE2ELNS1_11target_archE906ELNS1_3gpuE6ELNS1_3repE0EEENS1_48merge_mergepath_partition_config_static_selectorELNS0_4arch9wavefront6targetE0EEEvSJ_.uses_vcc, 0
	.set _ZN7rocprim17ROCPRIM_400000_NS6detail17trampoline_kernelINS0_14default_configENS1_38merge_sort_block_merge_config_selectorIiNS0_10empty_typeEEEZZNS1_27merge_sort_block_merge_implIS3_N6thrust23THRUST_200600_302600_NS6detail15normal_iteratorINS9_10device_ptrIiEEEEPS5_m17evens_before_oddsEE10hipError_tT0_T1_T2_jT3_P12ihipStream_tbPNSt15iterator_traitsISI_E10value_typeEPNSO_ISJ_E10value_typeEPSK_NS1_7vsmem_tEENKUlT_SI_SJ_SK_E_clISE_PiSF_SF_EESH_SX_SI_SJ_SK_EUlSX_E_NS1_11comp_targetILNS1_3genE2ELNS1_11target_archE906ELNS1_3gpuE6ELNS1_3repE0EEENS1_48merge_mergepath_partition_config_static_selectorELNS0_4arch9wavefront6targetE0EEEvSJ_.uses_flat_scratch, 0
	.set _ZN7rocprim17ROCPRIM_400000_NS6detail17trampoline_kernelINS0_14default_configENS1_38merge_sort_block_merge_config_selectorIiNS0_10empty_typeEEEZZNS1_27merge_sort_block_merge_implIS3_N6thrust23THRUST_200600_302600_NS6detail15normal_iteratorINS9_10device_ptrIiEEEEPS5_m17evens_before_oddsEE10hipError_tT0_T1_T2_jT3_P12ihipStream_tbPNSt15iterator_traitsISI_E10value_typeEPNSO_ISJ_E10value_typeEPSK_NS1_7vsmem_tEENKUlT_SI_SJ_SK_E_clISE_PiSF_SF_EESH_SX_SI_SJ_SK_EUlSX_E_NS1_11comp_targetILNS1_3genE2ELNS1_11target_archE906ELNS1_3gpuE6ELNS1_3repE0EEENS1_48merge_mergepath_partition_config_static_selectorELNS0_4arch9wavefront6targetE0EEEvSJ_.has_dyn_sized_stack, 0
	.set _ZN7rocprim17ROCPRIM_400000_NS6detail17trampoline_kernelINS0_14default_configENS1_38merge_sort_block_merge_config_selectorIiNS0_10empty_typeEEEZZNS1_27merge_sort_block_merge_implIS3_N6thrust23THRUST_200600_302600_NS6detail15normal_iteratorINS9_10device_ptrIiEEEEPS5_m17evens_before_oddsEE10hipError_tT0_T1_T2_jT3_P12ihipStream_tbPNSt15iterator_traitsISI_E10value_typeEPNSO_ISJ_E10value_typeEPSK_NS1_7vsmem_tEENKUlT_SI_SJ_SK_E_clISE_PiSF_SF_EESH_SX_SI_SJ_SK_EUlSX_E_NS1_11comp_targetILNS1_3genE2ELNS1_11target_archE906ELNS1_3gpuE6ELNS1_3repE0EEENS1_48merge_mergepath_partition_config_static_selectorELNS0_4arch9wavefront6targetE0EEEvSJ_.has_recursion, 0
	.set _ZN7rocprim17ROCPRIM_400000_NS6detail17trampoline_kernelINS0_14default_configENS1_38merge_sort_block_merge_config_selectorIiNS0_10empty_typeEEEZZNS1_27merge_sort_block_merge_implIS3_N6thrust23THRUST_200600_302600_NS6detail15normal_iteratorINS9_10device_ptrIiEEEEPS5_m17evens_before_oddsEE10hipError_tT0_T1_T2_jT3_P12ihipStream_tbPNSt15iterator_traitsISI_E10value_typeEPNSO_ISJ_E10value_typeEPSK_NS1_7vsmem_tEENKUlT_SI_SJ_SK_E_clISE_PiSF_SF_EESH_SX_SI_SJ_SK_EUlSX_E_NS1_11comp_targetILNS1_3genE2ELNS1_11target_archE906ELNS1_3gpuE6ELNS1_3repE0EEENS1_48merge_mergepath_partition_config_static_selectorELNS0_4arch9wavefront6targetE0EEEvSJ_.has_indirect_call, 0
	.section	.AMDGPU.csdata,"",@progbits
; Kernel info:
; codeLenInByte = 0
; TotalNumSgprs: 0
; NumVgprs: 0
; ScratchSize: 0
; MemoryBound: 0
; FloatMode: 240
; IeeeMode: 1
; LDSByteSize: 0 bytes/workgroup (compile time only)
; SGPRBlocks: 0
; VGPRBlocks: 0
; NumSGPRsForWavesPerEU: 1
; NumVGPRsForWavesPerEU: 1
; Occupancy: 16
; WaveLimiterHint : 0
; COMPUTE_PGM_RSRC2:SCRATCH_EN: 0
; COMPUTE_PGM_RSRC2:USER_SGPR: 6
; COMPUTE_PGM_RSRC2:TRAP_HANDLER: 0
; COMPUTE_PGM_RSRC2:TGID_X_EN: 1
; COMPUTE_PGM_RSRC2:TGID_Y_EN: 0
; COMPUTE_PGM_RSRC2:TGID_Z_EN: 0
; COMPUTE_PGM_RSRC2:TIDIG_COMP_CNT: 0
	.section	.text._ZN7rocprim17ROCPRIM_400000_NS6detail17trampoline_kernelINS0_14default_configENS1_38merge_sort_block_merge_config_selectorIiNS0_10empty_typeEEEZZNS1_27merge_sort_block_merge_implIS3_N6thrust23THRUST_200600_302600_NS6detail15normal_iteratorINS9_10device_ptrIiEEEEPS5_m17evens_before_oddsEE10hipError_tT0_T1_T2_jT3_P12ihipStream_tbPNSt15iterator_traitsISI_E10value_typeEPNSO_ISJ_E10value_typeEPSK_NS1_7vsmem_tEENKUlT_SI_SJ_SK_E_clISE_PiSF_SF_EESH_SX_SI_SJ_SK_EUlSX_E_NS1_11comp_targetILNS1_3genE9ELNS1_11target_archE1100ELNS1_3gpuE3ELNS1_3repE0EEENS1_48merge_mergepath_partition_config_static_selectorELNS0_4arch9wavefront6targetE0EEEvSJ_,"axG",@progbits,_ZN7rocprim17ROCPRIM_400000_NS6detail17trampoline_kernelINS0_14default_configENS1_38merge_sort_block_merge_config_selectorIiNS0_10empty_typeEEEZZNS1_27merge_sort_block_merge_implIS3_N6thrust23THRUST_200600_302600_NS6detail15normal_iteratorINS9_10device_ptrIiEEEEPS5_m17evens_before_oddsEE10hipError_tT0_T1_T2_jT3_P12ihipStream_tbPNSt15iterator_traitsISI_E10value_typeEPNSO_ISJ_E10value_typeEPSK_NS1_7vsmem_tEENKUlT_SI_SJ_SK_E_clISE_PiSF_SF_EESH_SX_SI_SJ_SK_EUlSX_E_NS1_11comp_targetILNS1_3genE9ELNS1_11target_archE1100ELNS1_3gpuE3ELNS1_3repE0EEENS1_48merge_mergepath_partition_config_static_selectorELNS0_4arch9wavefront6targetE0EEEvSJ_,comdat
	.protected	_ZN7rocprim17ROCPRIM_400000_NS6detail17trampoline_kernelINS0_14default_configENS1_38merge_sort_block_merge_config_selectorIiNS0_10empty_typeEEEZZNS1_27merge_sort_block_merge_implIS3_N6thrust23THRUST_200600_302600_NS6detail15normal_iteratorINS9_10device_ptrIiEEEEPS5_m17evens_before_oddsEE10hipError_tT0_T1_T2_jT3_P12ihipStream_tbPNSt15iterator_traitsISI_E10value_typeEPNSO_ISJ_E10value_typeEPSK_NS1_7vsmem_tEENKUlT_SI_SJ_SK_E_clISE_PiSF_SF_EESH_SX_SI_SJ_SK_EUlSX_E_NS1_11comp_targetILNS1_3genE9ELNS1_11target_archE1100ELNS1_3gpuE3ELNS1_3repE0EEENS1_48merge_mergepath_partition_config_static_selectorELNS0_4arch9wavefront6targetE0EEEvSJ_ ; -- Begin function _ZN7rocprim17ROCPRIM_400000_NS6detail17trampoline_kernelINS0_14default_configENS1_38merge_sort_block_merge_config_selectorIiNS0_10empty_typeEEEZZNS1_27merge_sort_block_merge_implIS3_N6thrust23THRUST_200600_302600_NS6detail15normal_iteratorINS9_10device_ptrIiEEEEPS5_m17evens_before_oddsEE10hipError_tT0_T1_T2_jT3_P12ihipStream_tbPNSt15iterator_traitsISI_E10value_typeEPNSO_ISJ_E10value_typeEPSK_NS1_7vsmem_tEENKUlT_SI_SJ_SK_E_clISE_PiSF_SF_EESH_SX_SI_SJ_SK_EUlSX_E_NS1_11comp_targetILNS1_3genE9ELNS1_11target_archE1100ELNS1_3gpuE3ELNS1_3repE0EEENS1_48merge_mergepath_partition_config_static_selectorELNS0_4arch9wavefront6targetE0EEEvSJ_
	.globl	_ZN7rocprim17ROCPRIM_400000_NS6detail17trampoline_kernelINS0_14default_configENS1_38merge_sort_block_merge_config_selectorIiNS0_10empty_typeEEEZZNS1_27merge_sort_block_merge_implIS3_N6thrust23THRUST_200600_302600_NS6detail15normal_iteratorINS9_10device_ptrIiEEEEPS5_m17evens_before_oddsEE10hipError_tT0_T1_T2_jT3_P12ihipStream_tbPNSt15iterator_traitsISI_E10value_typeEPNSO_ISJ_E10value_typeEPSK_NS1_7vsmem_tEENKUlT_SI_SJ_SK_E_clISE_PiSF_SF_EESH_SX_SI_SJ_SK_EUlSX_E_NS1_11comp_targetILNS1_3genE9ELNS1_11target_archE1100ELNS1_3gpuE3ELNS1_3repE0EEENS1_48merge_mergepath_partition_config_static_selectorELNS0_4arch9wavefront6targetE0EEEvSJ_
	.p2align	8
	.type	_ZN7rocprim17ROCPRIM_400000_NS6detail17trampoline_kernelINS0_14default_configENS1_38merge_sort_block_merge_config_selectorIiNS0_10empty_typeEEEZZNS1_27merge_sort_block_merge_implIS3_N6thrust23THRUST_200600_302600_NS6detail15normal_iteratorINS9_10device_ptrIiEEEEPS5_m17evens_before_oddsEE10hipError_tT0_T1_T2_jT3_P12ihipStream_tbPNSt15iterator_traitsISI_E10value_typeEPNSO_ISJ_E10value_typeEPSK_NS1_7vsmem_tEENKUlT_SI_SJ_SK_E_clISE_PiSF_SF_EESH_SX_SI_SJ_SK_EUlSX_E_NS1_11comp_targetILNS1_3genE9ELNS1_11target_archE1100ELNS1_3gpuE3ELNS1_3repE0EEENS1_48merge_mergepath_partition_config_static_selectorELNS0_4arch9wavefront6targetE0EEEvSJ_,@function
_ZN7rocprim17ROCPRIM_400000_NS6detail17trampoline_kernelINS0_14default_configENS1_38merge_sort_block_merge_config_selectorIiNS0_10empty_typeEEEZZNS1_27merge_sort_block_merge_implIS3_N6thrust23THRUST_200600_302600_NS6detail15normal_iteratorINS9_10device_ptrIiEEEEPS5_m17evens_before_oddsEE10hipError_tT0_T1_T2_jT3_P12ihipStream_tbPNSt15iterator_traitsISI_E10value_typeEPNSO_ISJ_E10value_typeEPSK_NS1_7vsmem_tEENKUlT_SI_SJ_SK_E_clISE_PiSF_SF_EESH_SX_SI_SJ_SK_EUlSX_E_NS1_11comp_targetILNS1_3genE9ELNS1_11target_archE1100ELNS1_3gpuE3ELNS1_3repE0EEENS1_48merge_mergepath_partition_config_static_selectorELNS0_4arch9wavefront6targetE0EEEvSJ_: ; @_ZN7rocprim17ROCPRIM_400000_NS6detail17trampoline_kernelINS0_14default_configENS1_38merge_sort_block_merge_config_selectorIiNS0_10empty_typeEEEZZNS1_27merge_sort_block_merge_implIS3_N6thrust23THRUST_200600_302600_NS6detail15normal_iteratorINS9_10device_ptrIiEEEEPS5_m17evens_before_oddsEE10hipError_tT0_T1_T2_jT3_P12ihipStream_tbPNSt15iterator_traitsISI_E10value_typeEPNSO_ISJ_E10value_typeEPSK_NS1_7vsmem_tEENKUlT_SI_SJ_SK_E_clISE_PiSF_SF_EESH_SX_SI_SJ_SK_EUlSX_E_NS1_11comp_targetILNS1_3genE9ELNS1_11target_archE1100ELNS1_3gpuE3ELNS1_3repE0EEENS1_48merge_mergepath_partition_config_static_selectorELNS0_4arch9wavefront6targetE0EEEvSJ_
; %bb.0:
	.section	.rodata,"a",@progbits
	.p2align	6, 0x0
	.amdhsa_kernel _ZN7rocprim17ROCPRIM_400000_NS6detail17trampoline_kernelINS0_14default_configENS1_38merge_sort_block_merge_config_selectorIiNS0_10empty_typeEEEZZNS1_27merge_sort_block_merge_implIS3_N6thrust23THRUST_200600_302600_NS6detail15normal_iteratorINS9_10device_ptrIiEEEEPS5_m17evens_before_oddsEE10hipError_tT0_T1_T2_jT3_P12ihipStream_tbPNSt15iterator_traitsISI_E10value_typeEPNSO_ISJ_E10value_typeEPSK_NS1_7vsmem_tEENKUlT_SI_SJ_SK_E_clISE_PiSF_SF_EESH_SX_SI_SJ_SK_EUlSX_E_NS1_11comp_targetILNS1_3genE9ELNS1_11target_archE1100ELNS1_3gpuE3ELNS1_3repE0EEENS1_48merge_mergepath_partition_config_static_selectorELNS0_4arch9wavefront6targetE0EEEvSJ_
		.amdhsa_group_segment_fixed_size 0
		.amdhsa_private_segment_fixed_size 0
		.amdhsa_kernarg_size 48
		.amdhsa_user_sgpr_count 6
		.amdhsa_user_sgpr_private_segment_buffer 1
		.amdhsa_user_sgpr_dispatch_ptr 0
		.amdhsa_user_sgpr_queue_ptr 0
		.amdhsa_user_sgpr_kernarg_segment_ptr 1
		.amdhsa_user_sgpr_dispatch_id 0
		.amdhsa_user_sgpr_flat_scratch_init 0
		.amdhsa_user_sgpr_private_segment_size 0
		.amdhsa_wavefront_size32 1
		.amdhsa_uses_dynamic_stack 0
		.amdhsa_system_sgpr_private_segment_wavefront_offset 0
		.amdhsa_system_sgpr_workgroup_id_x 1
		.amdhsa_system_sgpr_workgroup_id_y 0
		.amdhsa_system_sgpr_workgroup_id_z 0
		.amdhsa_system_sgpr_workgroup_info 0
		.amdhsa_system_vgpr_workitem_id 0
		.amdhsa_next_free_vgpr 1
		.amdhsa_next_free_sgpr 1
		.amdhsa_reserve_vcc 0
		.amdhsa_reserve_flat_scratch 0
		.amdhsa_float_round_mode_32 0
		.amdhsa_float_round_mode_16_64 0
		.amdhsa_float_denorm_mode_32 3
		.amdhsa_float_denorm_mode_16_64 3
		.amdhsa_dx10_clamp 1
		.amdhsa_ieee_mode 1
		.amdhsa_fp16_overflow 0
		.amdhsa_workgroup_processor_mode 1
		.amdhsa_memory_ordered 1
		.amdhsa_forward_progress 1
		.amdhsa_shared_vgpr_count 0
		.amdhsa_exception_fp_ieee_invalid_op 0
		.amdhsa_exception_fp_denorm_src 0
		.amdhsa_exception_fp_ieee_div_zero 0
		.amdhsa_exception_fp_ieee_overflow 0
		.amdhsa_exception_fp_ieee_underflow 0
		.amdhsa_exception_fp_ieee_inexact 0
		.amdhsa_exception_int_div_zero 0
	.end_amdhsa_kernel
	.section	.text._ZN7rocprim17ROCPRIM_400000_NS6detail17trampoline_kernelINS0_14default_configENS1_38merge_sort_block_merge_config_selectorIiNS0_10empty_typeEEEZZNS1_27merge_sort_block_merge_implIS3_N6thrust23THRUST_200600_302600_NS6detail15normal_iteratorINS9_10device_ptrIiEEEEPS5_m17evens_before_oddsEE10hipError_tT0_T1_T2_jT3_P12ihipStream_tbPNSt15iterator_traitsISI_E10value_typeEPNSO_ISJ_E10value_typeEPSK_NS1_7vsmem_tEENKUlT_SI_SJ_SK_E_clISE_PiSF_SF_EESH_SX_SI_SJ_SK_EUlSX_E_NS1_11comp_targetILNS1_3genE9ELNS1_11target_archE1100ELNS1_3gpuE3ELNS1_3repE0EEENS1_48merge_mergepath_partition_config_static_selectorELNS0_4arch9wavefront6targetE0EEEvSJ_,"axG",@progbits,_ZN7rocprim17ROCPRIM_400000_NS6detail17trampoline_kernelINS0_14default_configENS1_38merge_sort_block_merge_config_selectorIiNS0_10empty_typeEEEZZNS1_27merge_sort_block_merge_implIS3_N6thrust23THRUST_200600_302600_NS6detail15normal_iteratorINS9_10device_ptrIiEEEEPS5_m17evens_before_oddsEE10hipError_tT0_T1_T2_jT3_P12ihipStream_tbPNSt15iterator_traitsISI_E10value_typeEPNSO_ISJ_E10value_typeEPSK_NS1_7vsmem_tEENKUlT_SI_SJ_SK_E_clISE_PiSF_SF_EESH_SX_SI_SJ_SK_EUlSX_E_NS1_11comp_targetILNS1_3genE9ELNS1_11target_archE1100ELNS1_3gpuE3ELNS1_3repE0EEENS1_48merge_mergepath_partition_config_static_selectorELNS0_4arch9wavefront6targetE0EEEvSJ_,comdat
.Lfunc_end438:
	.size	_ZN7rocprim17ROCPRIM_400000_NS6detail17trampoline_kernelINS0_14default_configENS1_38merge_sort_block_merge_config_selectorIiNS0_10empty_typeEEEZZNS1_27merge_sort_block_merge_implIS3_N6thrust23THRUST_200600_302600_NS6detail15normal_iteratorINS9_10device_ptrIiEEEEPS5_m17evens_before_oddsEE10hipError_tT0_T1_T2_jT3_P12ihipStream_tbPNSt15iterator_traitsISI_E10value_typeEPNSO_ISJ_E10value_typeEPSK_NS1_7vsmem_tEENKUlT_SI_SJ_SK_E_clISE_PiSF_SF_EESH_SX_SI_SJ_SK_EUlSX_E_NS1_11comp_targetILNS1_3genE9ELNS1_11target_archE1100ELNS1_3gpuE3ELNS1_3repE0EEENS1_48merge_mergepath_partition_config_static_selectorELNS0_4arch9wavefront6targetE0EEEvSJ_, .Lfunc_end438-_ZN7rocprim17ROCPRIM_400000_NS6detail17trampoline_kernelINS0_14default_configENS1_38merge_sort_block_merge_config_selectorIiNS0_10empty_typeEEEZZNS1_27merge_sort_block_merge_implIS3_N6thrust23THRUST_200600_302600_NS6detail15normal_iteratorINS9_10device_ptrIiEEEEPS5_m17evens_before_oddsEE10hipError_tT0_T1_T2_jT3_P12ihipStream_tbPNSt15iterator_traitsISI_E10value_typeEPNSO_ISJ_E10value_typeEPSK_NS1_7vsmem_tEENKUlT_SI_SJ_SK_E_clISE_PiSF_SF_EESH_SX_SI_SJ_SK_EUlSX_E_NS1_11comp_targetILNS1_3genE9ELNS1_11target_archE1100ELNS1_3gpuE3ELNS1_3repE0EEENS1_48merge_mergepath_partition_config_static_selectorELNS0_4arch9wavefront6targetE0EEEvSJ_
                                        ; -- End function
	.set _ZN7rocprim17ROCPRIM_400000_NS6detail17trampoline_kernelINS0_14default_configENS1_38merge_sort_block_merge_config_selectorIiNS0_10empty_typeEEEZZNS1_27merge_sort_block_merge_implIS3_N6thrust23THRUST_200600_302600_NS6detail15normal_iteratorINS9_10device_ptrIiEEEEPS5_m17evens_before_oddsEE10hipError_tT0_T1_T2_jT3_P12ihipStream_tbPNSt15iterator_traitsISI_E10value_typeEPNSO_ISJ_E10value_typeEPSK_NS1_7vsmem_tEENKUlT_SI_SJ_SK_E_clISE_PiSF_SF_EESH_SX_SI_SJ_SK_EUlSX_E_NS1_11comp_targetILNS1_3genE9ELNS1_11target_archE1100ELNS1_3gpuE3ELNS1_3repE0EEENS1_48merge_mergepath_partition_config_static_selectorELNS0_4arch9wavefront6targetE0EEEvSJ_.num_vgpr, 0
	.set _ZN7rocprim17ROCPRIM_400000_NS6detail17trampoline_kernelINS0_14default_configENS1_38merge_sort_block_merge_config_selectorIiNS0_10empty_typeEEEZZNS1_27merge_sort_block_merge_implIS3_N6thrust23THRUST_200600_302600_NS6detail15normal_iteratorINS9_10device_ptrIiEEEEPS5_m17evens_before_oddsEE10hipError_tT0_T1_T2_jT3_P12ihipStream_tbPNSt15iterator_traitsISI_E10value_typeEPNSO_ISJ_E10value_typeEPSK_NS1_7vsmem_tEENKUlT_SI_SJ_SK_E_clISE_PiSF_SF_EESH_SX_SI_SJ_SK_EUlSX_E_NS1_11comp_targetILNS1_3genE9ELNS1_11target_archE1100ELNS1_3gpuE3ELNS1_3repE0EEENS1_48merge_mergepath_partition_config_static_selectorELNS0_4arch9wavefront6targetE0EEEvSJ_.num_agpr, 0
	.set _ZN7rocprim17ROCPRIM_400000_NS6detail17trampoline_kernelINS0_14default_configENS1_38merge_sort_block_merge_config_selectorIiNS0_10empty_typeEEEZZNS1_27merge_sort_block_merge_implIS3_N6thrust23THRUST_200600_302600_NS6detail15normal_iteratorINS9_10device_ptrIiEEEEPS5_m17evens_before_oddsEE10hipError_tT0_T1_T2_jT3_P12ihipStream_tbPNSt15iterator_traitsISI_E10value_typeEPNSO_ISJ_E10value_typeEPSK_NS1_7vsmem_tEENKUlT_SI_SJ_SK_E_clISE_PiSF_SF_EESH_SX_SI_SJ_SK_EUlSX_E_NS1_11comp_targetILNS1_3genE9ELNS1_11target_archE1100ELNS1_3gpuE3ELNS1_3repE0EEENS1_48merge_mergepath_partition_config_static_selectorELNS0_4arch9wavefront6targetE0EEEvSJ_.numbered_sgpr, 0
	.set _ZN7rocprim17ROCPRIM_400000_NS6detail17trampoline_kernelINS0_14default_configENS1_38merge_sort_block_merge_config_selectorIiNS0_10empty_typeEEEZZNS1_27merge_sort_block_merge_implIS3_N6thrust23THRUST_200600_302600_NS6detail15normal_iteratorINS9_10device_ptrIiEEEEPS5_m17evens_before_oddsEE10hipError_tT0_T1_T2_jT3_P12ihipStream_tbPNSt15iterator_traitsISI_E10value_typeEPNSO_ISJ_E10value_typeEPSK_NS1_7vsmem_tEENKUlT_SI_SJ_SK_E_clISE_PiSF_SF_EESH_SX_SI_SJ_SK_EUlSX_E_NS1_11comp_targetILNS1_3genE9ELNS1_11target_archE1100ELNS1_3gpuE3ELNS1_3repE0EEENS1_48merge_mergepath_partition_config_static_selectorELNS0_4arch9wavefront6targetE0EEEvSJ_.num_named_barrier, 0
	.set _ZN7rocprim17ROCPRIM_400000_NS6detail17trampoline_kernelINS0_14default_configENS1_38merge_sort_block_merge_config_selectorIiNS0_10empty_typeEEEZZNS1_27merge_sort_block_merge_implIS3_N6thrust23THRUST_200600_302600_NS6detail15normal_iteratorINS9_10device_ptrIiEEEEPS5_m17evens_before_oddsEE10hipError_tT0_T1_T2_jT3_P12ihipStream_tbPNSt15iterator_traitsISI_E10value_typeEPNSO_ISJ_E10value_typeEPSK_NS1_7vsmem_tEENKUlT_SI_SJ_SK_E_clISE_PiSF_SF_EESH_SX_SI_SJ_SK_EUlSX_E_NS1_11comp_targetILNS1_3genE9ELNS1_11target_archE1100ELNS1_3gpuE3ELNS1_3repE0EEENS1_48merge_mergepath_partition_config_static_selectorELNS0_4arch9wavefront6targetE0EEEvSJ_.private_seg_size, 0
	.set _ZN7rocprim17ROCPRIM_400000_NS6detail17trampoline_kernelINS0_14default_configENS1_38merge_sort_block_merge_config_selectorIiNS0_10empty_typeEEEZZNS1_27merge_sort_block_merge_implIS3_N6thrust23THRUST_200600_302600_NS6detail15normal_iteratorINS9_10device_ptrIiEEEEPS5_m17evens_before_oddsEE10hipError_tT0_T1_T2_jT3_P12ihipStream_tbPNSt15iterator_traitsISI_E10value_typeEPNSO_ISJ_E10value_typeEPSK_NS1_7vsmem_tEENKUlT_SI_SJ_SK_E_clISE_PiSF_SF_EESH_SX_SI_SJ_SK_EUlSX_E_NS1_11comp_targetILNS1_3genE9ELNS1_11target_archE1100ELNS1_3gpuE3ELNS1_3repE0EEENS1_48merge_mergepath_partition_config_static_selectorELNS0_4arch9wavefront6targetE0EEEvSJ_.uses_vcc, 0
	.set _ZN7rocprim17ROCPRIM_400000_NS6detail17trampoline_kernelINS0_14default_configENS1_38merge_sort_block_merge_config_selectorIiNS0_10empty_typeEEEZZNS1_27merge_sort_block_merge_implIS3_N6thrust23THRUST_200600_302600_NS6detail15normal_iteratorINS9_10device_ptrIiEEEEPS5_m17evens_before_oddsEE10hipError_tT0_T1_T2_jT3_P12ihipStream_tbPNSt15iterator_traitsISI_E10value_typeEPNSO_ISJ_E10value_typeEPSK_NS1_7vsmem_tEENKUlT_SI_SJ_SK_E_clISE_PiSF_SF_EESH_SX_SI_SJ_SK_EUlSX_E_NS1_11comp_targetILNS1_3genE9ELNS1_11target_archE1100ELNS1_3gpuE3ELNS1_3repE0EEENS1_48merge_mergepath_partition_config_static_selectorELNS0_4arch9wavefront6targetE0EEEvSJ_.uses_flat_scratch, 0
	.set _ZN7rocprim17ROCPRIM_400000_NS6detail17trampoline_kernelINS0_14default_configENS1_38merge_sort_block_merge_config_selectorIiNS0_10empty_typeEEEZZNS1_27merge_sort_block_merge_implIS3_N6thrust23THRUST_200600_302600_NS6detail15normal_iteratorINS9_10device_ptrIiEEEEPS5_m17evens_before_oddsEE10hipError_tT0_T1_T2_jT3_P12ihipStream_tbPNSt15iterator_traitsISI_E10value_typeEPNSO_ISJ_E10value_typeEPSK_NS1_7vsmem_tEENKUlT_SI_SJ_SK_E_clISE_PiSF_SF_EESH_SX_SI_SJ_SK_EUlSX_E_NS1_11comp_targetILNS1_3genE9ELNS1_11target_archE1100ELNS1_3gpuE3ELNS1_3repE0EEENS1_48merge_mergepath_partition_config_static_selectorELNS0_4arch9wavefront6targetE0EEEvSJ_.has_dyn_sized_stack, 0
	.set _ZN7rocprim17ROCPRIM_400000_NS6detail17trampoline_kernelINS0_14default_configENS1_38merge_sort_block_merge_config_selectorIiNS0_10empty_typeEEEZZNS1_27merge_sort_block_merge_implIS3_N6thrust23THRUST_200600_302600_NS6detail15normal_iteratorINS9_10device_ptrIiEEEEPS5_m17evens_before_oddsEE10hipError_tT0_T1_T2_jT3_P12ihipStream_tbPNSt15iterator_traitsISI_E10value_typeEPNSO_ISJ_E10value_typeEPSK_NS1_7vsmem_tEENKUlT_SI_SJ_SK_E_clISE_PiSF_SF_EESH_SX_SI_SJ_SK_EUlSX_E_NS1_11comp_targetILNS1_3genE9ELNS1_11target_archE1100ELNS1_3gpuE3ELNS1_3repE0EEENS1_48merge_mergepath_partition_config_static_selectorELNS0_4arch9wavefront6targetE0EEEvSJ_.has_recursion, 0
	.set _ZN7rocprim17ROCPRIM_400000_NS6detail17trampoline_kernelINS0_14default_configENS1_38merge_sort_block_merge_config_selectorIiNS0_10empty_typeEEEZZNS1_27merge_sort_block_merge_implIS3_N6thrust23THRUST_200600_302600_NS6detail15normal_iteratorINS9_10device_ptrIiEEEEPS5_m17evens_before_oddsEE10hipError_tT0_T1_T2_jT3_P12ihipStream_tbPNSt15iterator_traitsISI_E10value_typeEPNSO_ISJ_E10value_typeEPSK_NS1_7vsmem_tEENKUlT_SI_SJ_SK_E_clISE_PiSF_SF_EESH_SX_SI_SJ_SK_EUlSX_E_NS1_11comp_targetILNS1_3genE9ELNS1_11target_archE1100ELNS1_3gpuE3ELNS1_3repE0EEENS1_48merge_mergepath_partition_config_static_selectorELNS0_4arch9wavefront6targetE0EEEvSJ_.has_indirect_call, 0
	.section	.AMDGPU.csdata,"",@progbits
; Kernel info:
; codeLenInByte = 0
; TotalNumSgprs: 0
; NumVgprs: 0
; ScratchSize: 0
; MemoryBound: 0
; FloatMode: 240
; IeeeMode: 1
; LDSByteSize: 0 bytes/workgroup (compile time only)
; SGPRBlocks: 0
; VGPRBlocks: 0
; NumSGPRsForWavesPerEU: 1
; NumVGPRsForWavesPerEU: 1
; Occupancy: 16
; WaveLimiterHint : 0
; COMPUTE_PGM_RSRC2:SCRATCH_EN: 0
; COMPUTE_PGM_RSRC2:USER_SGPR: 6
; COMPUTE_PGM_RSRC2:TRAP_HANDLER: 0
; COMPUTE_PGM_RSRC2:TGID_X_EN: 1
; COMPUTE_PGM_RSRC2:TGID_Y_EN: 0
; COMPUTE_PGM_RSRC2:TGID_Z_EN: 0
; COMPUTE_PGM_RSRC2:TIDIG_COMP_CNT: 0
	.section	.text._ZN7rocprim17ROCPRIM_400000_NS6detail17trampoline_kernelINS0_14default_configENS1_38merge_sort_block_merge_config_selectorIiNS0_10empty_typeEEEZZNS1_27merge_sort_block_merge_implIS3_N6thrust23THRUST_200600_302600_NS6detail15normal_iteratorINS9_10device_ptrIiEEEEPS5_m17evens_before_oddsEE10hipError_tT0_T1_T2_jT3_P12ihipStream_tbPNSt15iterator_traitsISI_E10value_typeEPNSO_ISJ_E10value_typeEPSK_NS1_7vsmem_tEENKUlT_SI_SJ_SK_E_clISE_PiSF_SF_EESH_SX_SI_SJ_SK_EUlSX_E_NS1_11comp_targetILNS1_3genE8ELNS1_11target_archE1030ELNS1_3gpuE2ELNS1_3repE0EEENS1_48merge_mergepath_partition_config_static_selectorELNS0_4arch9wavefront6targetE0EEEvSJ_,"axG",@progbits,_ZN7rocprim17ROCPRIM_400000_NS6detail17trampoline_kernelINS0_14default_configENS1_38merge_sort_block_merge_config_selectorIiNS0_10empty_typeEEEZZNS1_27merge_sort_block_merge_implIS3_N6thrust23THRUST_200600_302600_NS6detail15normal_iteratorINS9_10device_ptrIiEEEEPS5_m17evens_before_oddsEE10hipError_tT0_T1_T2_jT3_P12ihipStream_tbPNSt15iterator_traitsISI_E10value_typeEPNSO_ISJ_E10value_typeEPSK_NS1_7vsmem_tEENKUlT_SI_SJ_SK_E_clISE_PiSF_SF_EESH_SX_SI_SJ_SK_EUlSX_E_NS1_11comp_targetILNS1_3genE8ELNS1_11target_archE1030ELNS1_3gpuE2ELNS1_3repE0EEENS1_48merge_mergepath_partition_config_static_selectorELNS0_4arch9wavefront6targetE0EEEvSJ_,comdat
	.protected	_ZN7rocprim17ROCPRIM_400000_NS6detail17trampoline_kernelINS0_14default_configENS1_38merge_sort_block_merge_config_selectorIiNS0_10empty_typeEEEZZNS1_27merge_sort_block_merge_implIS3_N6thrust23THRUST_200600_302600_NS6detail15normal_iteratorINS9_10device_ptrIiEEEEPS5_m17evens_before_oddsEE10hipError_tT0_T1_T2_jT3_P12ihipStream_tbPNSt15iterator_traitsISI_E10value_typeEPNSO_ISJ_E10value_typeEPSK_NS1_7vsmem_tEENKUlT_SI_SJ_SK_E_clISE_PiSF_SF_EESH_SX_SI_SJ_SK_EUlSX_E_NS1_11comp_targetILNS1_3genE8ELNS1_11target_archE1030ELNS1_3gpuE2ELNS1_3repE0EEENS1_48merge_mergepath_partition_config_static_selectorELNS0_4arch9wavefront6targetE0EEEvSJ_ ; -- Begin function _ZN7rocprim17ROCPRIM_400000_NS6detail17trampoline_kernelINS0_14default_configENS1_38merge_sort_block_merge_config_selectorIiNS0_10empty_typeEEEZZNS1_27merge_sort_block_merge_implIS3_N6thrust23THRUST_200600_302600_NS6detail15normal_iteratorINS9_10device_ptrIiEEEEPS5_m17evens_before_oddsEE10hipError_tT0_T1_T2_jT3_P12ihipStream_tbPNSt15iterator_traitsISI_E10value_typeEPNSO_ISJ_E10value_typeEPSK_NS1_7vsmem_tEENKUlT_SI_SJ_SK_E_clISE_PiSF_SF_EESH_SX_SI_SJ_SK_EUlSX_E_NS1_11comp_targetILNS1_3genE8ELNS1_11target_archE1030ELNS1_3gpuE2ELNS1_3repE0EEENS1_48merge_mergepath_partition_config_static_selectorELNS0_4arch9wavefront6targetE0EEEvSJ_
	.globl	_ZN7rocprim17ROCPRIM_400000_NS6detail17trampoline_kernelINS0_14default_configENS1_38merge_sort_block_merge_config_selectorIiNS0_10empty_typeEEEZZNS1_27merge_sort_block_merge_implIS3_N6thrust23THRUST_200600_302600_NS6detail15normal_iteratorINS9_10device_ptrIiEEEEPS5_m17evens_before_oddsEE10hipError_tT0_T1_T2_jT3_P12ihipStream_tbPNSt15iterator_traitsISI_E10value_typeEPNSO_ISJ_E10value_typeEPSK_NS1_7vsmem_tEENKUlT_SI_SJ_SK_E_clISE_PiSF_SF_EESH_SX_SI_SJ_SK_EUlSX_E_NS1_11comp_targetILNS1_3genE8ELNS1_11target_archE1030ELNS1_3gpuE2ELNS1_3repE0EEENS1_48merge_mergepath_partition_config_static_selectorELNS0_4arch9wavefront6targetE0EEEvSJ_
	.p2align	8
	.type	_ZN7rocprim17ROCPRIM_400000_NS6detail17trampoline_kernelINS0_14default_configENS1_38merge_sort_block_merge_config_selectorIiNS0_10empty_typeEEEZZNS1_27merge_sort_block_merge_implIS3_N6thrust23THRUST_200600_302600_NS6detail15normal_iteratorINS9_10device_ptrIiEEEEPS5_m17evens_before_oddsEE10hipError_tT0_T1_T2_jT3_P12ihipStream_tbPNSt15iterator_traitsISI_E10value_typeEPNSO_ISJ_E10value_typeEPSK_NS1_7vsmem_tEENKUlT_SI_SJ_SK_E_clISE_PiSF_SF_EESH_SX_SI_SJ_SK_EUlSX_E_NS1_11comp_targetILNS1_3genE8ELNS1_11target_archE1030ELNS1_3gpuE2ELNS1_3repE0EEENS1_48merge_mergepath_partition_config_static_selectorELNS0_4arch9wavefront6targetE0EEEvSJ_,@function
_ZN7rocprim17ROCPRIM_400000_NS6detail17trampoline_kernelINS0_14default_configENS1_38merge_sort_block_merge_config_selectorIiNS0_10empty_typeEEEZZNS1_27merge_sort_block_merge_implIS3_N6thrust23THRUST_200600_302600_NS6detail15normal_iteratorINS9_10device_ptrIiEEEEPS5_m17evens_before_oddsEE10hipError_tT0_T1_T2_jT3_P12ihipStream_tbPNSt15iterator_traitsISI_E10value_typeEPNSO_ISJ_E10value_typeEPSK_NS1_7vsmem_tEENKUlT_SI_SJ_SK_E_clISE_PiSF_SF_EESH_SX_SI_SJ_SK_EUlSX_E_NS1_11comp_targetILNS1_3genE8ELNS1_11target_archE1030ELNS1_3gpuE2ELNS1_3repE0EEENS1_48merge_mergepath_partition_config_static_selectorELNS0_4arch9wavefront6targetE0EEEvSJ_: ; @_ZN7rocprim17ROCPRIM_400000_NS6detail17trampoline_kernelINS0_14default_configENS1_38merge_sort_block_merge_config_selectorIiNS0_10empty_typeEEEZZNS1_27merge_sort_block_merge_implIS3_N6thrust23THRUST_200600_302600_NS6detail15normal_iteratorINS9_10device_ptrIiEEEEPS5_m17evens_before_oddsEE10hipError_tT0_T1_T2_jT3_P12ihipStream_tbPNSt15iterator_traitsISI_E10value_typeEPNSO_ISJ_E10value_typeEPSK_NS1_7vsmem_tEENKUlT_SI_SJ_SK_E_clISE_PiSF_SF_EESH_SX_SI_SJ_SK_EUlSX_E_NS1_11comp_targetILNS1_3genE8ELNS1_11target_archE1030ELNS1_3gpuE2ELNS1_3repE0EEENS1_48merge_mergepath_partition_config_static_selectorELNS0_4arch9wavefront6targetE0EEEvSJ_
; %bb.0:
	s_load_dword s0, s[4:5], 0x0
	v_lshl_or_b32 v0, s6, 7, v0
	s_waitcnt lgkmcnt(0)
	v_cmp_gt_u32_e32 vcc_lo, s0, v0
	s_and_saveexec_b32 s0, vcc_lo
	s_cbranch_execz .LBB439_6
; %bb.1:
	s_load_dwordx4 s[0:3], s[4:5], 0x8
	v_mov_b32_e32 v2, 0
	v_mov_b32_e32 v11, v2
	s_waitcnt lgkmcnt(0)
	s_lshr_b64 s[6:7], s[0:1], 9
	s_and_b32 s6, s6, -2
	s_sub_i32 s7, 0, s6
	s_add_i32 s6, s6, -1
	v_and_b32_e32 v1, s7, v0
	v_and_b32_e32 v10, s6, v0
	v_lshlrev_b64 v[4:5], 10, v[1:2]
	v_add_co_u32 v6, vcc_lo, v4, s0
	v_add_co_ci_u32_e64 v7, null, s1, v5, vcc_lo
	v_cmp_lt_u64_e32 vcc_lo, s[2:3], v[6:7]
	v_cndmask_b32_e64 v8, v6, s2, vcc_lo
	v_cndmask_b32_e64 v9, v7, s3, vcc_lo
	v_add_co_u32 v6, vcc_lo, v8, s0
	v_add_co_ci_u32_e64 v7, null, s1, v9, vcc_lo
	v_cmp_lt_u64_e32 vcc_lo, s[2:3], v[4:5]
	s_mov_b32 s1, 0
	v_cmp_lt_u64_e64 s0, s[2:3], v[6:7]
	v_cndmask_b32_e64 v2, v4, s2, vcc_lo
	v_cndmask_b32_e64 v3, v5, s3, vcc_lo
	v_lshlrev_b64 v[4:5], 10, v[10:11]
	v_cndmask_b32_e64 v12, v6, s2, s0
	v_cndmask_b32_e64 v1, v7, s3, s0
	s_load_dwordx2 s[2:3], s[4:5], 0x28
	v_sub_co_u32 v6, vcc_lo, v12, v2
	v_sub_co_ci_u32_e64 v7, null, v1, v3, vcc_lo
	v_cmp_lt_u64_e32 vcc_lo, v[6:7], v[4:5]
	v_cndmask_b32_e32 v11, v5, v7, vcc_lo
	v_cndmask_b32_e32 v10, v4, v6, vcc_lo
	v_sub_co_u32 v4, vcc_lo, v8, v12
	v_sub_co_ci_u32_e64 v1, null, v9, v1, vcc_lo
	v_add_co_u32 v4, vcc_lo, v10, v4
	v_add_co_ci_u32_e64 v5, null, v11, v1, vcc_lo
	v_sub_co_u32 v6, vcc_lo, v8, v2
	v_sub_co_ci_u32_e64 v7, null, v9, v3, vcc_lo
	v_cmp_gt_u64_e32 vcc_lo, v[4:5], v[10:11]
	v_cmp_lt_u64_e64 s0, v[10:11], v[6:7]
	v_cndmask_b32_e64 v5, v5, 0, vcc_lo
	v_cndmask_b32_e64 v4, v4, 0, vcc_lo
	v_cndmask_b32_e64 v7, v7, v11, s0
	v_cndmask_b32_e64 v6, v6, v10, s0
	s_mov_b32 s0, exec_lo
	v_cmpx_lt_u64_e64 v[4:5], v[6:7]
	s_cbranch_execz .LBB439_5
; %bb.2:
	s_load_dwordx2 s[4:5], s[4:5], 0x18
	v_lshlrev_b64 v[8:9], 2, v[8:9]
	v_lshlrev_b64 v[12:13], 2, v[2:3]
	;; [unrolled: 1-line block ×3, first 2 shown]
	s_waitcnt lgkmcnt(0)
	v_add_co_u32 v14, vcc_lo, s4, v8
	v_add_co_ci_u32_e64 v15, null, s5, v9, vcc_lo
	v_add_co_u32 v1, vcc_lo, s4, v12
	v_add_co_ci_u32_e64 v8, null, s5, v13, vcc_lo
	;; [unrolled: 2-line block ×3, first 2 shown]
.LBB439_3:                              ; =>This Inner Loop Header: Depth=1
	v_add_co_u32 v11, vcc_lo, v6, v4
	v_add_co_ci_u32_e64 v12, null, v7, v5, vcc_lo
	v_lshrrev_b64 v[11:12], 1, v[11:12]
	v_lshlrev_b64 v[13:14], 2, v[11:12]
	v_xor_b32_e32 v15, -4, v13
	v_xor_b32_e32 v16, -1, v14
	v_add_co_u32 v13, vcc_lo, v1, v13
	v_add_co_ci_u32_e64 v14, null, v8, v14, vcc_lo
	v_add_co_u32 v15, vcc_lo, v9, v15
	v_add_co_ci_u32_e64 v16, null, v10, v16, vcc_lo
	flat_load_dword v15, v[15:16]
	flat_load_dword v13, v[13:14]
	s_waitcnt vmcnt(1) lgkmcnt(1)
	v_lshrrev_b32_e32 v16, 31, v15
	s_waitcnt vmcnt(0) lgkmcnt(0)
	v_lshrrev_b32_e32 v14, 31, v13
	v_cmp_lt_i32_e32 vcc_lo, v15, v13
	v_add_nc_u32_e32 v16, v15, v16
	v_add_nc_u32_e32 v14, v13, v14
	v_cndmask_b32_e64 v17, 0, 1, vcc_lo
	v_and_b32_e32 v16, -2, v16
	v_and_b32_e32 v14, -2, v14
	v_sub_nc_u32_e32 v15, v15, v16
	v_sub_nc_u32_e32 v13, v13, v14
	v_cmp_eq_u32_e32 vcc_lo, 0, v15
	v_cndmask_b32_e64 v14, 0, 1, vcc_lo
	v_cmp_eq_u32_e32 vcc_lo, v15, v13
	v_cndmask_b32_e32 v13, v14, v17, vcc_lo
	v_add_co_u32 v14, vcc_lo, v11, 1
	v_add_co_ci_u32_e64 v15, null, 0, v12, vcc_lo
	v_and_b32_e32 v13, 1, v13
	v_cmp_eq_u32_e32 vcc_lo, 1, v13
	v_cndmask_b32_e32 v7, v7, v12, vcc_lo
	v_cndmask_b32_e32 v6, v6, v11, vcc_lo
	;; [unrolled: 1-line block ×4, first 2 shown]
	v_cmp_ge_u64_e32 vcc_lo, v[4:5], v[6:7]
	s_or_b32 s1, vcc_lo, s1
	s_andn2_b32 exec_lo, exec_lo, s1
	s_cbranch_execnz .LBB439_3
; %bb.4:
	s_or_b32 exec_lo, exec_lo, s1
.LBB439_5:
	s_or_b32 exec_lo, exec_lo, s0
	v_mov_b32_e32 v1, 0
	v_add_co_u32 v2, vcc_lo, v4, v2
	v_add_co_ci_u32_e64 v3, null, v5, v3, vcc_lo
	v_lshlrev_b64 v[0:1], 3, v[0:1]
	s_waitcnt lgkmcnt(0)
	v_add_co_u32 v0, vcc_lo, s2, v0
	v_add_co_ci_u32_e64 v1, null, s3, v1, vcc_lo
	global_store_dwordx2 v[0:1], v[2:3], off
.LBB439_6:
	s_endpgm
	.section	.rodata,"a",@progbits
	.p2align	6, 0x0
	.amdhsa_kernel _ZN7rocprim17ROCPRIM_400000_NS6detail17trampoline_kernelINS0_14default_configENS1_38merge_sort_block_merge_config_selectorIiNS0_10empty_typeEEEZZNS1_27merge_sort_block_merge_implIS3_N6thrust23THRUST_200600_302600_NS6detail15normal_iteratorINS9_10device_ptrIiEEEEPS5_m17evens_before_oddsEE10hipError_tT0_T1_T2_jT3_P12ihipStream_tbPNSt15iterator_traitsISI_E10value_typeEPNSO_ISJ_E10value_typeEPSK_NS1_7vsmem_tEENKUlT_SI_SJ_SK_E_clISE_PiSF_SF_EESH_SX_SI_SJ_SK_EUlSX_E_NS1_11comp_targetILNS1_3genE8ELNS1_11target_archE1030ELNS1_3gpuE2ELNS1_3repE0EEENS1_48merge_mergepath_partition_config_static_selectorELNS0_4arch9wavefront6targetE0EEEvSJ_
		.amdhsa_group_segment_fixed_size 0
		.amdhsa_private_segment_fixed_size 0
		.amdhsa_kernarg_size 48
		.amdhsa_user_sgpr_count 6
		.amdhsa_user_sgpr_private_segment_buffer 1
		.amdhsa_user_sgpr_dispatch_ptr 0
		.amdhsa_user_sgpr_queue_ptr 0
		.amdhsa_user_sgpr_kernarg_segment_ptr 1
		.amdhsa_user_sgpr_dispatch_id 0
		.amdhsa_user_sgpr_flat_scratch_init 0
		.amdhsa_user_sgpr_private_segment_size 0
		.amdhsa_wavefront_size32 1
		.amdhsa_uses_dynamic_stack 0
		.amdhsa_system_sgpr_private_segment_wavefront_offset 0
		.amdhsa_system_sgpr_workgroup_id_x 1
		.amdhsa_system_sgpr_workgroup_id_y 0
		.amdhsa_system_sgpr_workgroup_id_z 0
		.amdhsa_system_sgpr_workgroup_info 0
		.amdhsa_system_vgpr_workitem_id 0
		.amdhsa_next_free_vgpr 18
		.amdhsa_next_free_sgpr 8
		.amdhsa_reserve_vcc 1
		.amdhsa_reserve_flat_scratch 0
		.amdhsa_float_round_mode_32 0
		.amdhsa_float_round_mode_16_64 0
		.amdhsa_float_denorm_mode_32 3
		.amdhsa_float_denorm_mode_16_64 3
		.amdhsa_dx10_clamp 1
		.amdhsa_ieee_mode 1
		.amdhsa_fp16_overflow 0
		.amdhsa_workgroup_processor_mode 1
		.amdhsa_memory_ordered 1
		.amdhsa_forward_progress 1
		.amdhsa_shared_vgpr_count 0
		.amdhsa_exception_fp_ieee_invalid_op 0
		.amdhsa_exception_fp_denorm_src 0
		.amdhsa_exception_fp_ieee_div_zero 0
		.amdhsa_exception_fp_ieee_overflow 0
		.amdhsa_exception_fp_ieee_underflow 0
		.amdhsa_exception_fp_ieee_inexact 0
		.amdhsa_exception_int_div_zero 0
	.end_amdhsa_kernel
	.section	.text._ZN7rocprim17ROCPRIM_400000_NS6detail17trampoline_kernelINS0_14default_configENS1_38merge_sort_block_merge_config_selectorIiNS0_10empty_typeEEEZZNS1_27merge_sort_block_merge_implIS3_N6thrust23THRUST_200600_302600_NS6detail15normal_iteratorINS9_10device_ptrIiEEEEPS5_m17evens_before_oddsEE10hipError_tT0_T1_T2_jT3_P12ihipStream_tbPNSt15iterator_traitsISI_E10value_typeEPNSO_ISJ_E10value_typeEPSK_NS1_7vsmem_tEENKUlT_SI_SJ_SK_E_clISE_PiSF_SF_EESH_SX_SI_SJ_SK_EUlSX_E_NS1_11comp_targetILNS1_3genE8ELNS1_11target_archE1030ELNS1_3gpuE2ELNS1_3repE0EEENS1_48merge_mergepath_partition_config_static_selectorELNS0_4arch9wavefront6targetE0EEEvSJ_,"axG",@progbits,_ZN7rocprim17ROCPRIM_400000_NS6detail17trampoline_kernelINS0_14default_configENS1_38merge_sort_block_merge_config_selectorIiNS0_10empty_typeEEEZZNS1_27merge_sort_block_merge_implIS3_N6thrust23THRUST_200600_302600_NS6detail15normal_iteratorINS9_10device_ptrIiEEEEPS5_m17evens_before_oddsEE10hipError_tT0_T1_T2_jT3_P12ihipStream_tbPNSt15iterator_traitsISI_E10value_typeEPNSO_ISJ_E10value_typeEPSK_NS1_7vsmem_tEENKUlT_SI_SJ_SK_E_clISE_PiSF_SF_EESH_SX_SI_SJ_SK_EUlSX_E_NS1_11comp_targetILNS1_3genE8ELNS1_11target_archE1030ELNS1_3gpuE2ELNS1_3repE0EEENS1_48merge_mergepath_partition_config_static_selectorELNS0_4arch9wavefront6targetE0EEEvSJ_,comdat
.Lfunc_end439:
	.size	_ZN7rocprim17ROCPRIM_400000_NS6detail17trampoline_kernelINS0_14default_configENS1_38merge_sort_block_merge_config_selectorIiNS0_10empty_typeEEEZZNS1_27merge_sort_block_merge_implIS3_N6thrust23THRUST_200600_302600_NS6detail15normal_iteratorINS9_10device_ptrIiEEEEPS5_m17evens_before_oddsEE10hipError_tT0_T1_T2_jT3_P12ihipStream_tbPNSt15iterator_traitsISI_E10value_typeEPNSO_ISJ_E10value_typeEPSK_NS1_7vsmem_tEENKUlT_SI_SJ_SK_E_clISE_PiSF_SF_EESH_SX_SI_SJ_SK_EUlSX_E_NS1_11comp_targetILNS1_3genE8ELNS1_11target_archE1030ELNS1_3gpuE2ELNS1_3repE0EEENS1_48merge_mergepath_partition_config_static_selectorELNS0_4arch9wavefront6targetE0EEEvSJ_, .Lfunc_end439-_ZN7rocprim17ROCPRIM_400000_NS6detail17trampoline_kernelINS0_14default_configENS1_38merge_sort_block_merge_config_selectorIiNS0_10empty_typeEEEZZNS1_27merge_sort_block_merge_implIS3_N6thrust23THRUST_200600_302600_NS6detail15normal_iteratorINS9_10device_ptrIiEEEEPS5_m17evens_before_oddsEE10hipError_tT0_T1_T2_jT3_P12ihipStream_tbPNSt15iterator_traitsISI_E10value_typeEPNSO_ISJ_E10value_typeEPSK_NS1_7vsmem_tEENKUlT_SI_SJ_SK_E_clISE_PiSF_SF_EESH_SX_SI_SJ_SK_EUlSX_E_NS1_11comp_targetILNS1_3genE8ELNS1_11target_archE1030ELNS1_3gpuE2ELNS1_3repE0EEENS1_48merge_mergepath_partition_config_static_selectorELNS0_4arch9wavefront6targetE0EEEvSJ_
                                        ; -- End function
	.set _ZN7rocprim17ROCPRIM_400000_NS6detail17trampoline_kernelINS0_14default_configENS1_38merge_sort_block_merge_config_selectorIiNS0_10empty_typeEEEZZNS1_27merge_sort_block_merge_implIS3_N6thrust23THRUST_200600_302600_NS6detail15normal_iteratorINS9_10device_ptrIiEEEEPS5_m17evens_before_oddsEE10hipError_tT0_T1_T2_jT3_P12ihipStream_tbPNSt15iterator_traitsISI_E10value_typeEPNSO_ISJ_E10value_typeEPSK_NS1_7vsmem_tEENKUlT_SI_SJ_SK_E_clISE_PiSF_SF_EESH_SX_SI_SJ_SK_EUlSX_E_NS1_11comp_targetILNS1_3genE8ELNS1_11target_archE1030ELNS1_3gpuE2ELNS1_3repE0EEENS1_48merge_mergepath_partition_config_static_selectorELNS0_4arch9wavefront6targetE0EEEvSJ_.num_vgpr, 18
	.set _ZN7rocprim17ROCPRIM_400000_NS6detail17trampoline_kernelINS0_14default_configENS1_38merge_sort_block_merge_config_selectorIiNS0_10empty_typeEEEZZNS1_27merge_sort_block_merge_implIS3_N6thrust23THRUST_200600_302600_NS6detail15normal_iteratorINS9_10device_ptrIiEEEEPS5_m17evens_before_oddsEE10hipError_tT0_T1_T2_jT3_P12ihipStream_tbPNSt15iterator_traitsISI_E10value_typeEPNSO_ISJ_E10value_typeEPSK_NS1_7vsmem_tEENKUlT_SI_SJ_SK_E_clISE_PiSF_SF_EESH_SX_SI_SJ_SK_EUlSX_E_NS1_11comp_targetILNS1_3genE8ELNS1_11target_archE1030ELNS1_3gpuE2ELNS1_3repE0EEENS1_48merge_mergepath_partition_config_static_selectorELNS0_4arch9wavefront6targetE0EEEvSJ_.num_agpr, 0
	.set _ZN7rocprim17ROCPRIM_400000_NS6detail17trampoline_kernelINS0_14default_configENS1_38merge_sort_block_merge_config_selectorIiNS0_10empty_typeEEEZZNS1_27merge_sort_block_merge_implIS3_N6thrust23THRUST_200600_302600_NS6detail15normal_iteratorINS9_10device_ptrIiEEEEPS5_m17evens_before_oddsEE10hipError_tT0_T1_T2_jT3_P12ihipStream_tbPNSt15iterator_traitsISI_E10value_typeEPNSO_ISJ_E10value_typeEPSK_NS1_7vsmem_tEENKUlT_SI_SJ_SK_E_clISE_PiSF_SF_EESH_SX_SI_SJ_SK_EUlSX_E_NS1_11comp_targetILNS1_3genE8ELNS1_11target_archE1030ELNS1_3gpuE2ELNS1_3repE0EEENS1_48merge_mergepath_partition_config_static_selectorELNS0_4arch9wavefront6targetE0EEEvSJ_.numbered_sgpr, 8
	.set _ZN7rocprim17ROCPRIM_400000_NS6detail17trampoline_kernelINS0_14default_configENS1_38merge_sort_block_merge_config_selectorIiNS0_10empty_typeEEEZZNS1_27merge_sort_block_merge_implIS3_N6thrust23THRUST_200600_302600_NS6detail15normal_iteratorINS9_10device_ptrIiEEEEPS5_m17evens_before_oddsEE10hipError_tT0_T1_T2_jT3_P12ihipStream_tbPNSt15iterator_traitsISI_E10value_typeEPNSO_ISJ_E10value_typeEPSK_NS1_7vsmem_tEENKUlT_SI_SJ_SK_E_clISE_PiSF_SF_EESH_SX_SI_SJ_SK_EUlSX_E_NS1_11comp_targetILNS1_3genE8ELNS1_11target_archE1030ELNS1_3gpuE2ELNS1_3repE0EEENS1_48merge_mergepath_partition_config_static_selectorELNS0_4arch9wavefront6targetE0EEEvSJ_.num_named_barrier, 0
	.set _ZN7rocprim17ROCPRIM_400000_NS6detail17trampoline_kernelINS0_14default_configENS1_38merge_sort_block_merge_config_selectorIiNS0_10empty_typeEEEZZNS1_27merge_sort_block_merge_implIS3_N6thrust23THRUST_200600_302600_NS6detail15normal_iteratorINS9_10device_ptrIiEEEEPS5_m17evens_before_oddsEE10hipError_tT0_T1_T2_jT3_P12ihipStream_tbPNSt15iterator_traitsISI_E10value_typeEPNSO_ISJ_E10value_typeEPSK_NS1_7vsmem_tEENKUlT_SI_SJ_SK_E_clISE_PiSF_SF_EESH_SX_SI_SJ_SK_EUlSX_E_NS1_11comp_targetILNS1_3genE8ELNS1_11target_archE1030ELNS1_3gpuE2ELNS1_3repE0EEENS1_48merge_mergepath_partition_config_static_selectorELNS0_4arch9wavefront6targetE0EEEvSJ_.private_seg_size, 0
	.set _ZN7rocprim17ROCPRIM_400000_NS6detail17trampoline_kernelINS0_14default_configENS1_38merge_sort_block_merge_config_selectorIiNS0_10empty_typeEEEZZNS1_27merge_sort_block_merge_implIS3_N6thrust23THRUST_200600_302600_NS6detail15normal_iteratorINS9_10device_ptrIiEEEEPS5_m17evens_before_oddsEE10hipError_tT0_T1_T2_jT3_P12ihipStream_tbPNSt15iterator_traitsISI_E10value_typeEPNSO_ISJ_E10value_typeEPSK_NS1_7vsmem_tEENKUlT_SI_SJ_SK_E_clISE_PiSF_SF_EESH_SX_SI_SJ_SK_EUlSX_E_NS1_11comp_targetILNS1_3genE8ELNS1_11target_archE1030ELNS1_3gpuE2ELNS1_3repE0EEENS1_48merge_mergepath_partition_config_static_selectorELNS0_4arch9wavefront6targetE0EEEvSJ_.uses_vcc, 1
	.set _ZN7rocprim17ROCPRIM_400000_NS6detail17trampoline_kernelINS0_14default_configENS1_38merge_sort_block_merge_config_selectorIiNS0_10empty_typeEEEZZNS1_27merge_sort_block_merge_implIS3_N6thrust23THRUST_200600_302600_NS6detail15normal_iteratorINS9_10device_ptrIiEEEEPS5_m17evens_before_oddsEE10hipError_tT0_T1_T2_jT3_P12ihipStream_tbPNSt15iterator_traitsISI_E10value_typeEPNSO_ISJ_E10value_typeEPSK_NS1_7vsmem_tEENKUlT_SI_SJ_SK_E_clISE_PiSF_SF_EESH_SX_SI_SJ_SK_EUlSX_E_NS1_11comp_targetILNS1_3genE8ELNS1_11target_archE1030ELNS1_3gpuE2ELNS1_3repE0EEENS1_48merge_mergepath_partition_config_static_selectorELNS0_4arch9wavefront6targetE0EEEvSJ_.uses_flat_scratch, 0
	.set _ZN7rocprim17ROCPRIM_400000_NS6detail17trampoline_kernelINS0_14default_configENS1_38merge_sort_block_merge_config_selectorIiNS0_10empty_typeEEEZZNS1_27merge_sort_block_merge_implIS3_N6thrust23THRUST_200600_302600_NS6detail15normal_iteratorINS9_10device_ptrIiEEEEPS5_m17evens_before_oddsEE10hipError_tT0_T1_T2_jT3_P12ihipStream_tbPNSt15iterator_traitsISI_E10value_typeEPNSO_ISJ_E10value_typeEPSK_NS1_7vsmem_tEENKUlT_SI_SJ_SK_E_clISE_PiSF_SF_EESH_SX_SI_SJ_SK_EUlSX_E_NS1_11comp_targetILNS1_3genE8ELNS1_11target_archE1030ELNS1_3gpuE2ELNS1_3repE0EEENS1_48merge_mergepath_partition_config_static_selectorELNS0_4arch9wavefront6targetE0EEEvSJ_.has_dyn_sized_stack, 0
	.set _ZN7rocprim17ROCPRIM_400000_NS6detail17trampoline_kernelINS0_14default_configENS1_38merge_sort_block_merge_config_selectorIiNS0_10empty_typeEEEZZNS1_27merge_sort_block_merge_implIS3_N6thrust23THRUST_200600_302600_NS6detail15normal_iteratorINS9_10device_ptrIiEEEEPS5_m17evens_before_oddsEE10hipError_tT0_T1_T2_jT3_P12ihipStream_tbPNSt15iterator_traitsISI_E10value_typeEPNSO_ISJ_E10value_typeEPSK_NS1_7vsmem_tEENKUlT_SI_SJ_SK_E_clISE_PiSF_SF_EESH_SX_SI_SJ_SK_EUlSX_E_NS1_11comp_targetILNS1_3genE8ELNS1_11target_archE1030ELNS1_3gpuE2ELNS1_3repE0EEENS1_48merge_mergepath_partition_config_static_selectorELNS0_4arch9wavefront6targetE0EEEvSJ_.has_recursion, 0
	.set _ZN7rocprim17ROCPRIM_400000_NS6detail17trampoline_kernelINS0_14default_configENS1_38merge_sort_block_merge_config_selectorIiNS0_10empty_typeEEEZZNS1_27merge_sort_block_merge_implIS3_N6thrust23THRUST_200600_302600_NS6detail15normal_iteratorINS9_10device_ptrIiEEEEPS5_m17evens_before_oddsEE10hipError_tT0_T1_T2_jT3_P12ihipStream_tbPNSt15iterator_traitsISI_E10value_typeEPNSO_ISJ_E10value_typeEPSK_NS1_7vsmem_tEENKUlT_SI_SJ_SK_E_clISE_PiSF_SF_EESH_SX_SI_SJ_SK_EUlSX_E_NS1_11comp_targetILNS1_3genE8ELNS1_11target_archE1030ELNS1_3gpuE2ELNS1_3repE0EEENS1_48merge_mergepath_partition_config_static_selectorELNS0_4arch9wavefront6targetE0EEEvSJ_.has_indirect_call, 0
	.section	.AMDGPU.csdata,"",@progbits
; Kernel info:
; codeLenInByte = 704
; TotalNumSgprs: 10
; NumVgprs: 18
; ScratchSize: 0
; MemoryBound: 0
; FloatMode: 240
; IeeeMode: 1
; LDSByteSize: 0 bytes/workgroup (compile time only)
; SGPRBlocks: 0
; VGPRBlocks: 2
; NumSGPRsForWavesPerEU: 10
; NumVGPRsForWavesPerEU: 18
; Occupancy: 16
; WaveLimiterHint : 0
; COMPUTE_PGM_RSRC2:SCRATCH_EN: 0
; COMPUTE_PGM_RSRC2:USER_SGPR: 6
; COMPUTE_PGM_RSRC2:TRAP_HANDLER: 0
; COMPUTE_PGM_RSRC2:TGID_X_EN: 1
; COMPUTE_PGM_RSRC2:TGID_Y_EN: 0
; COMPUTE_PGM_RSRC2:TGID_Z_EN: 0
; COMPUTE_PGM_RSRC2:TIDIG_COMP_CNT: 0
	.section	.text._ZN7rocprim17ROCPRIM_400000_NS6detail17trampoline_kernelINS0_14default_configENS1_38merge_sort_block_merge_config_selectorIiNS0_10empty_typeEEEZZNS1_27merge_sort_block_merge_implIS3_N6thrust23THRUST_200600_302600_NS6detail15normal_iteratorINS9_10device_ptrIiEEEEPS5_m17evens_before_oddsEE10hipError_tT0_T1_T2_jT3_P12ihipStream_tbPNSt15iterator_traitsISI_E10value_typeEPNSO_ISJ_E10value_typeEPSK_NS1_7vsmem_tEENKUlT_SI_SJ_SK_E_clISE_PiSF_SF_EESH_SX_SI_SJ_SK_EUlSX_E0_NS1_11comp_targetILNS1_3genE0ELNS1_11target_archE4294967295ELNS1_3gpuE0ELNS1_3repE0EEENS1_38merge_mergepath_config_static_selectorELNS0_4arch9wavefront6targetE0EEEvSJ_,"axG",@progbits,_ZN7rocprim17ROCPRIM_400000_NS6detail17trampoline_kernelINS0_14default_configENS1_38merge_sort_block_merge_config_selectorIiNS0_10empty_typeEEEZZNS1_27merge_sort_block_merge_implIS3_N6thrust23THRUST_200600_302600_NS6detail15normal_iteratorINS9_10device_ptrIiEEEEPS5_m17evens_before_oddsEE10hipError_tT0_T1_T2_jT3_P12ihipStream_tbPNSt15iterator_traitsISI_E10value_typeEPNSO_ISJ_E10value_typeEPSK_NS1_7vsmem_tEENKUlT_SI_SJ_SK_E_clISE_PiSF_SF_EESH_SX_SI_SJ_SK_EUlSX_E0_NS1_11comp_targetILNS1_3genE0ELNS1_11target_archE4294967295ELNS1_3gpuE0ELNS1_3repE0EEENS1_38merge_mergepath_config_static_selectorELNS0_4arch9wavefront6targetE0EEEvSJ_,comdat
	.protected	_ZN7rocprim17ROCPRIM_400000_NS6detail17trampoline_kernelINS0_14default_configENS1_38merge_sort_block_merge_config_selectorIiNS0_10empty_typeEEEZZNS1_27merge_sort_block_merge_implIS3_N6thrust23THRUST_200600_302600_NS6detail15normal_iteratorINS9_10device_ptrIiEEEEPS5_m17evens_before_oddsEE10hipError_tT0_T1_T2_jT3_P12ihipStream_tbPNSt15iterator_traitsISI_E10value_typeEPNSO_ISJ_E10value_typeEPSK_NS1_7vsmem_tEENKUlT_SI_SJ_SK_E_clISE_PiSF_SF_EESH_SX_SI_SJ_SK_EUlSX_E0_NS1_11comp_targetILNS1_3genE0ELNS1_11target_archE4294967295ELNS1_3gpuE0ELNS1_3repE0EEENS1_38merge_mergepath_config_static_selectorELNS0_4arch9wavefront6targetE0EEEvSJ_ ; -- Begin function _ZN7rocprim17ROCPRIM_400000_NS6detail17trampoline_kernelINS0_14default_configENS1_38merge_sort_block_merge_config_selectorIiNS0_10empty_typeEEEZZNS1_27merge_sort_block_merge_implIS3_N6thrust23THRUST_200600_302600_NS6detail15normal_iteratorINS9_10device_ptrIiEEEEPS5_m17evens_before_oddsEE10hipError_tT0_T1_T2_jT3_P12ihipStream_tbPNSt15iterator_traitsISI_E10value_typeEPNSO_ISJ_E10value_typeEPSK_NS1_7vsmem_tEENKUlT_SI_SJ_SK_E_clISE_PiSF_SF_EESH_SX_SI_SJ_SK_EUlSX_E0_NS1_11comp_targetILNS1_3genE0ELNS1_11target_archE4294967295ELNS1_3gpuE0ELNS1_3repE0EEENS1_38merge_mergepath_config_static_selectorELNS0_4arch9wavefront6targetE0EEEvSJ_
	.globl	_ZN7rocprim17ROCPRIM_400000_NS6detail17trampoline_kernelINS0_14default_configENS1_38merge_sort_block_merge_config_selectorIiNS0_10empty_typeEEEZZNS1_27merge_sort_block_merge_implIS3_N6thrust23THRUST_200600_302600_NS6detail15normal_iteratorINS9_10device_ptrIiEEEEPS5_m17evens_before_oddsEE10hipError_tT0_T1_T2_jT3_P12ihipStream_tbPNSt15iterator_traitsISI_E10value_typeEPNSO_ISJ_E10value_typeEPSK_NS1_7vsmem_tEENKUlT_SI_SJ_SK_E_clISE_PiSF_SF_EESH_SX_SI_SJ_SK_EUlSX_E0_NS1_11comp_targetILNS1_3genE0ELNS1_11target_archE4294967295ELNS1_3gpuE0ELNS1_3repE0EEENS1_38merge_mergepath_config_static_selectorELNS0_4arch9wavefront6targetE0EEEvSJ_
	.p2align	8
	.type	_ZN7rocprim17ROCPRIM_400000_NS6detail17trampoline_kernelINS0_14default_configENS1_38merge_sort_block_merge_config_selectorIiNS0_10empty_typeEEEZZNS1_27merge_sort_block_merge_implIS3_N6thrust23THRUST_200600_302600_NS6detail15normal_iteratorINS9_10device_ptrIiEEEEPS5_m17evens_before_oddsEE10hipError_tT0_T1_T2_jT3_P12ihipStream_tbPNSt15iterator_traitsISI_E10value_typeEPNSO_ISJ_E10value_typeEPSK_NS1_7vsmem_tEENKUlT_SI_SJ_SK_E_clISE_PiSF_SF_EESH_SX_SI_SJ_SK_EUlSX_E0_NS1_11comp_targetILNS1_3genE0ELNS1_11target_archE4294967295ELNS1_3gpuE0ELNS1_3repE0EEENS1_38merge_mergepath_config_static_selectorELNS0_4arch9wavefront6targetE0EEEvSJ_,@function
_ZN7rocprim17ROCPRIM_400000_NS6detail17trampoline_kernelINS0_14default_configENS1_38merge_sort_block_merge_config_selectorIiNS0_10empty_typeEEEZZNS1_27merge_sort_block_merge_implIS3_N6thrust23THRUST_200600_302600_NS6detail15normal_iteratorINS9_10device_ptrIiEEEEPS5_m17evens_before_oddsEE10hipError_tT0_T1_T2_jT3_P12ihipStream_tbPNSt15iterator_traitsISI_E10value_typeEPNSO_ISJ_E10value_typeEPSK_NS1_7vsmem_tEENKUlT_SI_SJ_SK_E_clISE_PiSF_SF_EESH_SX_SI_SJ_SK_EUlSX_E0_NS1_11comp_targetILNS1_3genE0ELNS1_11target_archE4294967295ELNS1_3gpuE0ELNS1_3repE0EEENS1_38merge_mergepath_config_static_selectorELNS0_4arch9wavefront6targetE0EEEvSJ_: ; @_ZN7rocprim17ROCPRIM_400000_NS6detail17trampoline_kernelINS0_14default_configENS1_38merge_sort_block_merge_config_selectorIiNS0_10empty_typeEEEZZNS1_27merge_sort_block_merge_implIS3_N6thrust23THRUST_200600_302600_NS6detail15normal_iteratorINS9_10device_ptrIiEEEEPS5_m17evens_before_oddsEE10hipError_tT0_T1_T2_jT3_P12ihipStream_tbPNSt15iterator_traitsISI_E10value_typeEPNSO_ISJ_E10value_typeEPSK_NS1_7vsmem_tEENKUlT_SI_SJ_SK_E_clISE_PiSF_SF_EESH_SX_SI_SJ_SK_EUlSX_E0_NS1_11comp_targetILNS1_3genE0ELNS1_11target_archE4294967295ELNS1_3gpuE0ELNS1_3repE0EEENS1_38merge_mergepath_config_static_selectorELNS0_4arch9wavefront6targetE0EEEvSJ_
; %bb.0:
	.section	.rodata,"a",@progbits
	.p2align	6, 0x0
	.amdhsa_kernel _ZN7rocprim17ROCPRIM_400000_NS6detail17trampoline_kernelINS0_14default_configENS1_38merge_sort_block_merge_config_selectorIiNS0_10empty_typeEEEZZNS1_27merge_sort_block_merge_implIS3_N6thrust23THRUST_200600_302600_NS6detail15normal_iteratorINS9_10device_ptrIiEEEEPS5_m17evens_before_oddsEE10hipError_tT0_T1_T2_jT3_P12ihipStream_tbPNSt15iterator_traitsISI_E10value_typeEPNSO_ISJ_E10value_typeEPSK_NS1_7vsmem_tEENKUlT_SI_SJ_SK_E_clISE_PiSF_SF_EESH_SX_SI_SJ_SK_EUlSX_E0_NS1_11comp_targetILNS1_3genE0ELNS1_11target_archE4294967295ELNS1_3gpuE0ELNS1_3repE0EEENS1_38merge_mergepath_config_static_selectorELNS0_4arch9wavefront6targetE0EEEvSJ_
		.amdhsa_group_segment_fixed_size 0
		.amdhsa_private_segment_fixed_size 0
		.amdhsa_kernarg_size 72
		.amdhsa_user_sgpr_count 6
		.amdhsa_user_sgpr_private_segment_buffer 1
		.amdhsa_user_sgpr_dispatch_ptr 0
		.amdhsa_user_sgpr_queue_ptr 0
		.amdhsa_user_sgpr_kernarg_segment_ptr 1
		.amdhsa_user_sgpr_dispatch_id 0
		.amdhsa_user_sgpr_flat_scratch_init 0
		.amdhsa_user_sgpr_private_segment_size 0
		.amdhsa_wavefront_size32 1
		.amdhsa_uses_dynamic_stack 0
		.amdhsa_system_sgpr_private_segment_wavefront_offset 0
		.amdhsa_system_sgpr_workgroup_id_x 1
		.amdhsa_system_sgpr_workgroup_id_y 0
		.amdhsa_system_sgpr_workgroup_id_z 0
		.amdhsa_system_sgpr_workgroup_info 0
		.amdhsa_system_vgpr_workitem_id 0
		.amdhsa_next_free_vgpr 1
		.amdhsa_next_free_sgpr 1
		.amdhsa_reserve_vcc 0
		.amdhsa_reserve_flat_scratch 0
		.amdhsa_float_round_mode_32 0
		.amdhsa_float_round_mode_16_64 0
		.amdhsa_float_denorm_mode_32 3
		.amdhsa_float_denorm_mode_16_64 3
		.amdhsa_dx10_clamp 1
		.amdhsa_ieee_mode 1
		.amdhsa_fp16_overflow 0
		.amdhsa_workgroup_processor_mode 1
		.amdhsa_memory_ordered 1
		.amdhsa_forward_progress 1
		.amdhsa_shared_vgpr_count 0
		.amdhsa_exception_fp_ieee_invalid_op 0
		.amdhsa_exception_fp_denorm_src 0
		.amdhsa_exception_fp_ieee_div_zero 0
		.amdhsa_exception_fp_ieee_overflow 0
		.amdhsa_exception_fp_ieee_underflow 0
		.amdhsa_exception_fp_ieee_inexact 0
		.amdhsa_exception_int_div_zero 0
	.end_amdhsa_kernel
	.section	.text._ZN7rocprim17ROCPRIM_400000_NS6detail17trampoline_kernelINS0_14default_configENS1_38merge_sort_block_merge_config_selectorIiNS0_10empty_typeEEEZZNS1_27merge_sort_block_merge_implIS3_N6thrust23THRUST_200600_302600_NS6detail15normal_iteratorINS9_10device_ptrIiEEEEPS5_m17evens_before_oddsEE10hipError_tT0_T1_T2_jT3_P12ihipStream_tbPNSt15iterator_traitsISI_E10value_typeEPNSO_ISJ_E10value_typeEPSK_NS1_7vsmem_tEENKUlT_SI_SJ_SK_E_clISE_PiSF_SF_EESH_SX_SI_SJ_SK_EUlSX_E0_NS1_11comp_targetILNS1_3genE0ELNS1_11target_archE4294967295ELNS1_3gpuE0ELNS1_3repE0EEENS1_38merge_mergepath_config_static_selectorELNS0_4arch9wavefront6targetE0EEEvSJ_,"axG",@progbits,_ZN7rocprim17ROCPRIM_400000_NS6detail17trampoline_kernelINS0_14default_configENS1_38merge_sort_block_merge_config_selectorIiNS0_10empty_typeEEEZZNS1_27merge_sort_block_merge_implIS3_N6thrust23THRUST_200600_302600_NS6detail15normal_iteratorINS9_10device_ptrIiEEEEPS5_m17evens_before_oddsEE10hipError_tT0_T1_T2_jT3_P12ihipStream_tbPNSt15iterator_traitsISI_E10value_typeEPNSO_ISJ_E10value_typeEPSK_NS1_7vsmem_tEENKUlT_SI_SJ_SK_E_clISE_PiSF_SF_EESH_SX_SI_SJ_SK_EUlSX_E0_NS1_11comp_targetILNS1_3genE0ELNS1_11target_archE4294967295ELNS1_3gpuE0ELNS1_3repE0EEENS1_38merge_mergepath_config_static_selectorELNS0_4arch9wavefront6targetE0EEEvSJ_,comdat
.Lfunc_end440:
	.size	_ZN7rocprim17ROCPRIM_400000_NS6detail17trampoline_kernelINS0_14default_configENS1_38merge_sort_block_merge_config_selectorIiNS0_10empty_typeEEEZZNS1_27merge_sort_block_merge_implIS3_N6thrust23THRUST_200600_302600_NS6detail15normal_iteratorINS9_10device_ptrIiEEEEPS5_m17evens_before_oddsEE10hipError_tT0_T1_T2_jT3_P12ihipStream_tbPNSt15iterator_traitsISI_E10value_typeEPNSO_ISJ_E10value_typeEPSK_NS1_7vsmem_tEENKUlT_SI_SJ_SK_E_clISE_PiSF_SF_EESH_SX_SI_SJ_SK_EUlSX_E0_NS1_11comp_targetILNS1_3genE0ELNS1_11target_archE4294967295ELNS1_3gpuE0ELNS1_3repE0EEENS1_38merge_mergepath_config_static_selectorELNS0_4arch9wavefront6targetE0EEEvSJ_, .Lfunc_end440-_ZN7rocprim17ROCPRIM_400000_NS6detail17trampoline_kernelINS0_14default_configENS1_38merge_sort_block_merge_config_selectorIiNS0_10empty_typeEEEZZNS1_27merge_sort_block_merge_implIS3_N6thrust23THRUST_200600_302600_NS6detail15normal_iteratorINS9_10device_ptrIiEEEEPS5_m17evens_before_oddsEE10hipError_tT0_T1_T2_jT3_P12ihipStream_tbPNSt15iterator_traitsISI_E10value_typeEPNSO_ISJ_E10value_typeEPSK_NS1_7vsmem_tEENKUlT_SI_SJ_SK_E_clISE_PiSF_SF_EESH_SX_SI_SJ_SK_EUlSX_E0_NS1_11comp_targetILNS1_3genE0ELNS1_11target_archE4294967295ELNS1_3gpuE0ELNS1_3repE0EEENS1_38merge_mergepath_config_static_selectorELNS0_4arch9wavefront6targetE0EEEvSJ_
                                        ; -- End function
	.set _ZN7rocprim17ROCPRIM_400000_NS6detail17trampoline_kernelINS0_14default_configENS1_38merge_sort_block_merge_config_selectorIiNS0_10empty_typeEEEZZNS1_27merge_sort_block_merge_implIS3_N6thrust23THRUST_200600_302600_NS6detail15normal_iteratorINS9_10device_ptrIiEEEEPS5_m17evens_before_oddsEE10hipError_tT0_T1_T2_jT3_P12ihipStream_tbPNSt15iterator_traitsISI_E10value_typeEPNSO_ISJ_E10value_typeEPSK_NS1_7vsmem_tEENKUlT_SI_SJ_SK_E_clISE_PiSF_SF_EESH_SX_SI_SJ_SK_EUlSX_E0_NS1_11comp_targetILNS1_3genE0ELNS1_11target_archE4294967295ELNS1_3gpuE0ELNS1_3repE0EEENS1_38merge_mergepath_config_static_selectorELNS0_4arch9wavefront6targetE0EEEvSJ_.num_vgpr, 0
	.set _ZN7rocprim17ROCPRIM_400000_NS6detail17trampoline_kernelINS0_14default_configENS1_38merge_sort_block_merge_config_selectorIiNS0_10empty_typeEEEZZNS1_27merge_sort_block_merge_implIS3_N6thrust23THRUST_200600_302600_NS6detail15normal_iteratorINS9_10device_ptrIiEEEEPS5_m17evens_before_oddsEE10hipError_tT0_T1_T2_jT3_P12ihipStream_tbPNSt15iterator_traitsISI_E10value_typeEPNSO_ISJ_E10value_typeEPSK_NS1_7vsmem_tEENKUlT_SI_SJ_SK_E_clISE_PiSF_SF_EESH_SX_SI_SJ_SK_EUlSX_E0_NS1_11comp_targetILNS1_3genE0ELNS1_11target_archE4294967295ELNS1_3gpuE0ELNS1_3repE0EEENS1_38merge_mergepath_config_static_selectorELNS0_4arch9wavefront6targetE0EEEvSJ_.num_agpr, 0
	.set _ZN7rocprim17ROCPRIM_400000_NS6detail17trampoline_kernelINS0_14default_configENS1_38merge_sort_block_merge_config_selectorIiNS0_10empty_typeEEEZZNS1_27merge_sort_block_merge_implIS3_N6thrust23THRUST_200600_302600_NS6detail15normal_iteratorINS9_10device_ptrIiEEEEPS5_m17evens_before_oddsEE10hipError_tT0_T1_T2_jT3_P12ihipStream_tbPNSt15iterator_traitsISI_E10value_typeEPNSO_ISJ_E10value_typeEPSK_NS1_7vsmem_tEENKUlT_SI_SJ_SK_E_clISE_PiSF_SF_EESH_SX_SI_SJ_SK_EUlSX_E0_NS1_11comp_targetILNS1_3genE0ELNS1_11target_archE4294967295ELNS1_3gpuE0ELNS1_3repE0EEENS1_38merge_mergepath_config_static_selectorELNS0_4arch9wavefront6targetE0EEEvSJ_.numbered_sgpr, 0
	.set _ZN7rocprim17ROCPRIM_400000_NS6detail17trampoline_kernelINS0_14default_configENS1_38merge_sort_block_merge_config_selectorIiNS0_10empty_typeEEEZZNS1_27merge_sort_block_merge_implIS3_N6thrust23THRUST_200600_302600_NS6detail15normal_iteratorINS9_10device_ptrIiEEEEPS5_m17evens_before_oddsEE10hipError_tT0_T1_T2_jT3_P12ihipStream_tbPNSt15iterator_traitsISI_E10value_typeEPNSO_ISJ_E10value_typeEPSK_NS1_7vsmem_tEENKUlT_SI_SJ_SK_E_clISE_PiSF_SF_EESH_SX_SI_SJ_SK_EUlSX_E0_NS1_11comp_targetILNS1_3genE0ELNS1_11target_archE4294967295ELNS1_3gpuE0ELNS1_3repE0EEENS1_38merge_mergepath_config_static_selectorELNS0_4arch9wavefront6targetE0EEEvSJ_.num_named_barrier, 0
	.set _ZN7rocprim17ROCPRIM_400000_NS6detail17trampoline_kernelINS0_14default_configENS1_38merge_sort_block_merge_config_selectorIiNS0_10empty_typeEEEZZNS1_27merge_sort_block_merge_implIS3_N6thrust23THRUST_200600_302600_NS6detail15normal_iteratorINS9_10device_ptrIiEEEEPS5_m17evens_before_oddsEE10hipError_tT0_T1_T2_jT3_P12ihipStream_tbPNSt15iterator_traitsISI_E10value_typeEPNSO_ISJ_E10value_typeEPSK_NS1_7vsmem_tEENKUlT_SI_SJ_SK_E_clISE_PiSF_SF_EESH_SX_SI_SJ_SK_EUlSX_E0_NS1_11comp_targetILNS1_3genE0ELNS1_11target_archE4294967295ELNS1_3gpuE0ELNS1_3repE0EEENS1_38merge_mergepath_config_static_selectorELNS0_4arch9wavefront6targetE0EEEvSJ_.private_seg_size, 0
	.set _ZN7rocprim17ROCPRIM_400000_NS6detail17trampoline_kernelINS0_14default_configENS1_38merge_sort_block_merge_config_selectorIiNS0_10empty_typeEEEZZNS1_27merge_sort_block_merge_implIS3_N6thrust23THRUST_200600_302600_NS6detail15normal_iteratorINS9_10device_ptrIiEEEEPS5_m17evens_before_oddsEE10hipError_tT0_T1_T2_jT3_P12ihipStream_tbPNSt15iterator_traitsISI_E10value_typeEPNSO_ISJ_E10value_typeEPSK_NS1_7vsmem_tEENKUlT_SI_SJ_SK_E_clISE_PiSF_SF_EESH_SX_SI_SJ_SK_EUlSX_E0_NS1_11comp_targetILNS1_3genE0ELNS1_11target_archE4294967295ELNS1_3gpuE0ELNS1_3repE0EEENS1_38merge_mergepath_config_static_selectorELNS0_4arch9wavefront6targetE0EEEvSJ_.uses_vcc, 0
	.set _ZN7rocprim17ROCPRIM_400000_NS6detail17trampoline_kernelINS0_14default_configENS1_38merge_sort_block_merge_config_selectorIiNS0_10empty_typeEEEZZNS1_27merge_sort_block_merge_implIS3_N6thrust23THRUST_200600_302600_NS6detail15normal_iteratorINS9_10device_ptrIiEEEEPS5_m17evens_before_oddsEE10hipError_tT0_T1_T2_jT3_P12ihipStream_tbPNSt15iterator_traitsISI_E10value_typeEPNSO_ISJ_E10value_typeEPSK_NS1_7vsmem_tEENKUlT_SI_SJ_SK_E_clISE_PiSF_SF_EESH_SX_SI_SJ_SK_EUlSX_E0_NS1_11comp_targetILNS1_3genE0ELNS1_11target_archE4294967295ELNS1_3gpuE0ELNS1_3repE0EEENS1_38merge_mergepath_config_static_selectorELNS0_4arch9wavefront6targetE0EEEvSJ_.uses_flat_scratch, 0
	.set _ZN7rocprim17ROCPRIM_400000_NS6detail17trampoline_kernelINS0_14default_configENS1_38merge_sort_block_merge_config_selectorIiNS0_10empty_typeEEEZZNS1_27merge_sort_block_merge_implIS3_N6thrust23THRUST_200600_302600_NS6detail15normal_iteratorINS9_10device_ptrIiEEEEPS5_m17evens_before_oddsEE10hipError_tT0_T1_T2_jT3_P12ihipStream_tbPNSt15iterator_traitsISI_E10value_typeEPNSO_ISJ_E10value_typeEPSK_NS1_7vsmem_tEENKUlT_SI_SJ_SK_E_clISE_PiSF_SF_EESH_SX_SI_SJ_SK_EUlSX_E0_NS1_11comp_targetILNS1_3genE0ELNS1_11target_archE4294967295ELNS1_3gpuE0ELNS1_3repE0EEENS1_38merge_mergepath_config_static_selectorELNS0_4arch9wavefront6targetE0EEEvSJ_.has_dyn_sized_stack, 0
	.set _ZN7rocprim17ROCPRIM_400000_NS6detail17trampoline_kernelINS0_14default_configENS1_38merge_sort_block_merge_config_selectorIiNS0_10empty_typeEEEZZNS1_27merge_sort_block_merge_implIS3_N6thrust23THRUST_200600_302600_NS6detail15normal_iteratorINS9_10device_ptrIiEEEEPS5_m17evens_before_oddsEE10hipError_tT0_T1_T2_jT3_P12ihipStream_tbPNSt15iterator_traitsISI_E10value_typeEPNSO_ISJ_E10value_typeEPSK_NS1_7vsmem_tEENKUlT_SI_SJ_SK_E_clISE_PiSF_SF_EESH_SX_SI_SJ_SK_EUlSX_E0_NS1_11comp_targetILNS1_3genE0ELNS1_11target_archE4294967295ELNS1_3gpuE0ELNS1_3repE0EEENS1_38merge_mergepath_config_static_selectorELNS0_4arch9wavefront6targetE0EEEvSJ_.has_recursion, 0
	.set _ZN7rocprim17ROCPRIM_400000_NS6detail17trampoline_kernelINS0_14default_configENS1_38merge_sort_block_merge_config_selectorIiNS0_10empty_typeEEEZZNS1_27merge_sort_block_merge_implIS3_N6thrust23THRUST_200600_302600_NS6detail15normal_iteratorINS9_10device_ptrIiEEEEPS5_m17evens_before_oddsEE10hipError_tT0_T1_T2_jT3_P12ihipStream_tbPNSt15iterator_traitsISI_E10value_typeEPNSO_ISJ_E10value_typeEPSK_NS1_7vsmem_tEENKUlT_SI_SJ_SK_E_clISE_PiSF_SF_EESH_SX_SI_SJ_SK_EUlSX_E0_NS1_11comp_targetILNS1_3genE0ELNS1_11target_archE4294967295ELNS1_3gpuE0ELNS1_3repE0EEENS1_38merge_mergepath_config_static_selectorELNS0_4arch9wavefront6targetE0EEEvSJ_.has_indirect_call, 0
	.section	.AMDGPU.csdata,"",@progbits
; Kernel info:
; codeLenInByte = 0
; TotalNumSgprs: 0
; NumVgprs: 0
; ScratchSize: 0
; MemoryBound: 0
; FloatMode: 240
; IeeeMode: 1
; LDSByteSize: 0 bytes/workgroup (compile time only)
; SGPRBlocks: 0
; VGPRBlocks: 0
; NumSGPRsForWavesPerEU: 1
; NumVGPRsForWavesPerEU: 1
; Occupancy: 16
; WaveLimiterHint : 0
; COMPUTE_PGM_RSRC2:SCRATCH_EN: 0
; COMPUTE_PGM_RSRC2:USER_SGPR: 6
; COMPUTE_PGM_RSRC2:TRAP_HANDLER: 0
; COMPUTE_PGM_RSRC2:TGID_X_EN: 1
; COMPUTE_PGM_RSRC2:TGID_Y_EN: 0
; COMPUTE_PGM_RSRC2:TGID_Z_EN: 0
; COMPUTE_PGM_RSRC2:TIDIG_COMP_CNT: 0
	.section	.text._ZN7rocprim17ROCPRIM_400000_NS6detail17trampoline_kernelINS0_14default_configENS1_38merge_sort_block_merge_config_selectorIiNS0_10empty_typeEEEZZNS1_27merge_sort_block_merge_implIS3_N6thrust23THRUST_200600_302600_NS6detail15normal_iteratorINS9_10device_ptrIiEEEEPS5_m17evens_before_oddsEE10hipError_tT0_T1_T2_jT3_P12ihipStream_tbPNSt15iterator_traitsISI_E10value_typeEPNSO_ISJ_E10value_typeEPSK_NS1_7vsmem_tEENKUlT_SI_SJ_SK_E_clISE_PiSF_SF_EESH_SX_SI_SJ_SK_EUlSX_E0_NS1_11comp_targetILNS1_3genE10ELNS1_11target_archE1201ELNS1_3gpuE5ELNS1_3repE0EEENS1_38merge_mergepath_config_static_selectorELNS0_4arch9wavefront6targetE0EEEvSJ_,"axG",@progbits,_ZN7rocprim17ROCPRIM_400000_NS6detail17trampoline_kernelINS0_14default_configENS1_38merge_sort_block_merge_config_selectorIiNS0_10empty_typeEEEZZNS1_27merge_sort_block_merge_implIS3_N6thrust23THRUST_200600_302600_NS6detail15normal_iteratorINS9_10device_ptrIiEEEEPS5_m17evens_before_oddsEE10hipError_tT0_T1_T2_jT3_P12ihipStream_tbPNSt15iterator_traitsISI_E10value_typeEPNSO_ISJ_E10value_typeEPSK_NS1_7vsmem_tEENKUlT_SI_SJ_SK_E_clISE_PiSF_SF_EESH_SX_SI_SJ_SK_EUlSX_E0_NS1_11comp_targetILNS1_3genE10ELNS1_11target_archE1201ELNS1_3gpuE5ELNS1_3repE0EEENS1_38merge_mergepath_config_static_selectorELNS0_4arch9wavefront6targetE0EEEvSJ_,comdat
	.protected	_ZN7rocprim17ROCPRIM_400000_NS6detail17trampoline_kernelINS0_14default_configENS1_38merge_sort_block_merge_config_selectorIiNS0_10empty_typeEEEZZNS1_27merge_sort_block_merge_implIS3_N6thrust23THRUST_200600_302600_NS6detail15normal_iteratorINS9_10device_ptrIiEEEEPS5_m17evens_before_oddsEE10hipError_tT0_T1_T2_jT3_P12ihipStream_tbPNSt15iterator_traitsISI_E10value_typeEPNSO_ISJ_E10value_typeEPSK_NS1_7vsmem_tEENKUlT_SI_SJ_SK_E_clISE_PiSF_SF_EESH_SX_SI_SJ_SK_EUlSX_E0_NS1_11comp_targetILNS1_3genE10ELNS1_11target_archE1201ELNS1_3gpuE5ELNS1_3repE0EEENS1_38merge_mergepath_config_static_selectorELNS0_4arch9wavefront6targetE0EEEvSJ_ ; -- Begin function _ZN7rocprim17ROCPRIM_400000_NS6detail17trampoline_kernelINS0_14default_configENS1_38merge_sort_block_merge_config_selectorIiNS0_10empty_typeEEEZZNS1_27merge_sort_block_merge_implIS3_N6thrust23THRUST_200600_302600_NS6detail15normal_iteratorINS9_10device_ptrIiEEEEPS5_m17evens_before_oddsEE10hipError_tT0_T1_T2_jT3_P12ihipStream_tbPNSt15iterator_traitsISI_E10value_typeEPNSO_ISJ_E10value_typeEPSK_NS1_7vsmem_tEENKUlT_SI_SJ_SK_E_clISE_PiSF_SF_EESH_SX_SI_SJ_SK_EUlSX_E0_NS1_11comp_targetILNS1_3genE10ELNS1_11target_archE1201ELNS1_3gpuE5ELNS1_3repE0EEENS1_38merge_mergepath_config_static_selectorELNS0_4arch9wavefront6targetE0EEEvSJ_
	.globl	_ZN7rocprim17ROCPRIM_400000_NS6detail17trampoline_kernelINS0_14default_configENS1_38merge_sort_block_merge_config_selectorIiNS0_10empty_typeEEEZZNS1_27merge_sort_block_merge_implIS3_N6thrust23THRUST_200600_302600_NS6detail15normal_iteratorINS9_10device_ptrIiEEEEPS5_m17evens_before_oddsEE10hipError_tT0_T1_T2_jT3_P12ihipStream_tbPNSt15iterator_traitsISI_E10value_typeEPNSO_ISJ_E10value_typeEPSK_NS1_7vsmem_tEENKUlT_SI_SJ_SK_E_clISE_PiSF_SF_EESH_SX_SI_SJ_SK_EUlSX_E0_NS1_11comp_targetILNS1_3genE10ELNS1_11target_archE1201ELNS1_3gpuE5ELNS1_3repE0EEENS1_38merge_mergepath_config_static_selectorELNS0_4arch9wavefront6targetE0EEEvSJ_
	.p2align	8
	.type	_ZN7rocprim17ROCPRIM_400000_NS6detail17trampoline_kernelINS0_14default_configENS1_38merge_sort_block_merge_config_selectorIiNS0_10empty_typeEEEZZNS1_27merge_sort_block_merge_implIS3_N6thrust23THRUST_200600_302600_NS6detail15normal_iteratorINS9_10device_ptrIiEEEEPS5_m17evens_before_oddsEE10hipError_tT0_T1_T2_jT3_P12ihipStream_tbPNSt15iterator_traitsISI_E10value_typeEPNSO_ISJ_E10value_typeEPSK_NS1_7vsmem_tEENKUlT_SI_SJ_SK_E_clISE_PiSF_SF_EESH_SX_SI_SJ_SK_EUlSX_E0_NS1_11comp_targetILNS1_3genE10ELNS1_11target_archE1201ELNS1_3gpuE5ELNS1_3repE0EEENS1_38merge_mergepath_config_static_selectorELNS0_4arch9wavefront6targetE0EEEvSJ_,@function
_ZN7rocprim17ROCPRIM_400000_NS6detail17trampoline_kernelINS0_14default_configENS1_38merge_sort_block_merge_config_selectorIiNS0_10empty_typeEEEZZNS1_27merge_sort_block_merge_implIS3_N6thrust23THRUST_200600_302600_NS6detail15normal_iteratorINS9_10device_ptrIiEEEEPS5_m17evens_before_oddsEE10hipError_tT0_T1_T2_jT3_P12ihipStream_tbPNSt15iterator_traitsISI_E10value_typeEPNSO_ISJ_E10value_typeEPSK_NS1_7vsmem_tEENKUlT_SI_SJ_SK_E_clISE_PiSF_SF_EESH_SX_SI_SJ_SK_EUlSX_E0_NS1_11comp_targetILNS1_3genE10ELNS1_11target_archE1201ELNS1_3gpuE5ELNS1_3repE0EEENS1_38merge_mergepath_config_static_selectorELNS0_4arch9wavefront6targetE0EEEvSJ_: ; @_ZN7rocprim17ROCPRIM_400000_NS6detail17trampoline_kernelINS0_14default_configENS1_38merge_sort_block_merge_config_selectorIiNS0_10empty_typeEEEZZNS1_27merge_sort_block_merge_implIS3_N6thrust23THRUST_200600_302600_NS6detail15normal_iteratorINS9_10device_ptrIiEEEEPS5_m17evens_before_oddsEE10hipError_tT0_T1_T2_jT3_P12ihipStream_tbPNSt15iterator_traitsISI_E10value_typeEPNSO_ISJ_E10value_typeEPSK_NS1_7vsmem_tEENKUlT_SI_SJ_SK_E_clISE_PiSF_SF_EESH_SX_SI_SJ_SK_EUlSX_E0_NS1_11comp_targetILNS1_3genE10ELNS1_11target_archE1201ELNS1_3gpuE5ELNS1_3repE0EEENS1_38merge_mergepath_config_static_selectorELNS0_4arch9wavefront6targetE0EEEvSJ_
; %bb.0:
	.section	.rodata,"a",@progbits
	.p2align	6, 0x0
	.amdhsa_kernel _ZN7rocprim17ROCPRIM_400000_NS6detail17trampoline_kernelINS0_14default_configENS1_38merge_sort_block_merge_config_selectorIiNS0_10empty_typeEEEZZNS1_27merge_sort_block_merge_implIS3_N6thrust23THRUST_200600_302600_NS6detail15normal_iteratorINS9_10device_ptrIiEEEEPS5_m17evens_before_oddsEE10hipError_tT0_T1_T2_jT3_P12ihipStream_tbPNSt15iterator_traitsISI_E10value_typeEPNSO_ISJ_E10value_typeEPSK_NS1_7vsmem_tEENKUlT_SI_SJ_SK_E_clISE_PiSF_SF_EESH_SX_SI_SJ_SK_EUlSX_E0_NS1_11comp_targetILNS1_3genE10ELNS1_11target_archE1201ELNS1_3gpuE5ELNS1_3repE0EEENS1_38merge_mergepath_config_static_selectorELNS0_4arch9wavefront6targetE0EEEvSJ_
		.amdhsa_group_segment_fixed_size 0
		.amdhsa_private_segment_fixed_size 0
		.amdhsa_kernarg_size 72
		.amdhsa_user_sgpr_count 6
		.amdhsa_user_sgpr_private_segment_buffer 1
		.amdhsa_user_sgpr_dispatch_ptr 0
		.amdhsa_user_sgpr_queue_ptr 0
		.amdhsa_user_sgpr_kernarg_segment_ptr 1
		.amdhsa_user_sgpr_dispatch_id 0
		.amdhsa_user_sgpr_flat_scratch_init 0
		.amdhsa_user_sgpr_private_segment_size 0
		.amdhsa_wavefront_size32 1
		.amdhsa_uses_dynamic_stack 0
		.amdhsa_system_sgpr_private_segment_wavefront_offset 0
		.amdhsa_system_sgpr_workgroup_id_x 1
		.amdhsa_system_sgpr_workgroup_id_y 0
		.amdhsa_system_sgpr_workgroup_id_z 0
		.amdhsa_system_sgpr_workgroup_info 0
		.amdhsa_system_vgpr_workitem_id 0
		.amdhsa_next_free_vgpr 1
		.amdhsa_next_free_sgpr 1
		.amdhsa_reserve_vcc 0
		.amdhsa_reserve_flat_scratch 0
		.amdhsa_float_round_mode_32 0
		.amdhsa_float_round_mode_16_64 0
		.amdhsa_float_denorm_mode_32 3
		.amdhsa_float_denorm_mode_16_64 3
		.amdhsa_dx10_clamp 1
		.amdhsa_ieee_mode 1
		.amdhsa_fp16_overflow 0
		.amdhsa_workgroup_processor_mode 1
		.amdhsa_memory_ordered 1
		.amdhsa_forward_progress 1
		.amdhsa_shared_vgpr_count 0
		.amdhsa_exception_fp_ieee_invalid_op 0
		.amdhsa_exception_fp_denorm_src 0
		.amdhsa_exception_fp_ieee_div_zero 0
		.amdhsa_exception_fp_ieee_overflow 0
		.amdhsa_exception_fp_ieee_underflow 0
		.amdhsa_exception_fp_ieee_inexact 0
		.amdhsa_exception_int_div_zero 0
	.end_amdhsa_kernel
	.section	.text._ZN7rocprim17ROCPRIM_400000_NS6detail17trampoline_kernelINS0_14default_configENS1_38merge_sort_block_merge_config_selectorIiNS0_10empty_typeEEEZZNS1_27merge_sort_block_merge_implIS3_N6thrust23THRUST_200600_302600_NS6detail15normal_iteratorINS9_10device_ptrIiEEEEPS5_m17evens_before_oddsEE10hipError_tT0_T1_T2_jT3_P12ihipStream_tbPNSt15iterator_traitsISI_E10value_typeEPNSO_ISJ_E10value_typeEPSK_NS1_7vsmem_tEENKUlT_SI_SJ_SK_E_clISE_PiSF_SF_EESH_SX_SI_SJ_SK_EUlSX_E0_NS1_11comp_targetILNS1_3genE10ELNS1_11target_archE1201ELNS1_3gpuE5ELNS1_3repE0EEENS1_38merge_mergepath_config_static_selectorELNS0_4arch9wavefront6targetE0EEEvSJ_,"axG",@progbits,_ZN7rocprim17ROCPRIM_400000_NS6detail17trampoline_kernelINS0_14default_configENS1_38merge_sort_block_merge_config_selectorIiNS0_10empty_typeEEEZZNS1_27merge_sort_block_merge_implIS3_N6thrust23THRUST_200600_302600_NS6detail15normal_iteratorINS9_10device_ptrIiEEEEPS5_m17evens_before_oddsEE10hipError_tT0_T1_T2_jT3_P12ihipStream_tbPNSt15iterator_traitsISI_E10value_typeEPNSO_ISJ_E10value_typeEPSK_NS1_7vsmem_tEENKUlT_SI_SJ_SK_E_clISE_PiSF_SF_EESH_SX_SI_SJ_SK_EUlSX_E0_NS1_11comp_targetILNS1_3genE10ELNS1_11target_archE1201ELNS1_3gpuE5ELNS1_3repE0EEENS1_38merge_mergepath_config_static_selectorELNS0_4arch9wavefront6targetE0EEEvSJ_,comdat
.Lfunc_end441:
	.size	_ZN7rocprim17ROCPRIM_400000_NS6detail17trampoline_kernelINS0_14default_configENS1_38merge_sort_block_merge_config_selectorIiNS0_10empty_typeEEEZZNS1_27merge_sort_block_merge_implIS3_N6thrust23THRUST_200600_302600_NS6detail15normal_iteratorINS9_10device_ptrIiEEEEPS5_m17evens_before_oddsEE10hipError_tT0_T1_T2_jT3_P12ihipStream_tbPNSt15iterator_traitsISI_E10value_typeEPNSO_ISJ_E10value_typeEPSK_NS1_7vsmem_tEENKUlT_SI_SJ_SK_E_clISE_PiSF_SF_EESH_SX_SI_SJ_SK_EUlSX_E0_NS1_11comp_targetILNS1_3genE10ELNS1_11target_archE1201ELNS1_3gpuE5ELNS1_3repE0EEENS1_38merge_mergepath_config_static_selectorELNS0_4arch9wavefront6targetE0EEEvSJ_, .Lfunc_end441-_ZN7rocprim17ROCPRIM_400000_NS6detail17trampoline_kernelINS0_14default_configENS1_38merge_sort_block_merge_config_selectorIiNS0_10empty_typeEEEZZNS1_27merge_sort_block_merge_implIS3_N6thrust23THRUST_200600_302600_NS6detail15normal_iteratorINS9_10device_ptrIiEEEEPS5_m17evens_before_oddsEE10hipError_tT0_T1_T2_jT3_P12ihipStream_tbPNSt15iterator_traitsISI_E10value_typeEPNSO_ISJ_E10value_typeEPSK_NS1_7vsmem_tEENKUlT_SI_SJ_SK_E_clISE_PiSF_SF_EESH_SX_SI_SJ_SK_EUlSX_E0_NS1_11comp_targetILNS1_3genE10ELNS1_11target_archE1201ELNS1_3gpuE5ELNS1_3repE0EEENS1_38merge_mergepath_config_static_selectorELNS0_4arch9wavefront6targetE0EEEvSJ_
                                        ; -- End function
	.set _ZN7rocprim17ROCPRIM_400000_NS6detail17trampoline_kernelINS0_14default_configENS1_38merge_sort_block_merge_config_selectorIiNS0_10empty_typeEEEZZNS1_27merge_sort_block_merge_implIS3_N6thrust23THRUST_200600_302600_NS6detail15normal_iteratorINS9_10device_ptrIiEEEEPS5_m17evens_before_oddsEE10hipError_tT0_T1_T2_jT3_P12ihipStream_tbPNSt15iterator_traitsISI_E10value_typeEPNSO_ISJ_E10value_typeEPSK_NS1_7vsmem_tEENKUlT_SI_SJ_SK_E_clISE_PiSF_SF_EESH_SX_SI_SJ_SK_EUlSX_E0_NS1_11comp_targetILNS1_3genE10ELNS1_11target_archE1201ELNS1_3gpuE5ELNS1_3repE0EEENS1_38merge_mergepath_config_static_selectorELNS0_4arch9wavefront6targetE0EEEvSJ_.num_vgpr, 0
	.set _ZN7rocprim17ROCPRIM_400000_NS6detail17trampoline_kernelINS0_14default_configENS1_38merge_sort_block_merge_config_selectorIiNS0_10empty_typeEEEZZNS1_27merge_sort_block_merge_implIS3_N6thrust23THRUST_200600_302600_NS6detail15normal_iteratorINS9_10device_ptrIiEEEEPS5_m17evens_before_oddsEE10hipError_tT0_T1_T2_jT3_P12ihipStream_tbPNSt15iterator_traitsISI_E10value_typeEPNSO_ISJ_E10value_typeEPSK_NS1_7vsmem_tEENKUlT_SI_SJ_SK_E_clISE_PiSF_SF_EESH_SX_SI_SJ_SK_EUlSX_E0_NS1_11comp_targetILNS1_3genE10ELNS1_11target_archE1201ELNS1_3gpuE5ELNS1_3repE0EEENS1_38merge_mergepath_config_static_selectorELNS0_4arch9wavefront6targetE0EEEvSJ_.num_agpr, 0
	.set _ZN7rocprim17ROCPRIM_400000_NS6detail17trampoline_kernelINS0_14default_configENS1_38merge_sort_block_merge_config_selectorIiNS0_10empty_typeEEEZZNS1_27merge_sort_block_merge_implIS3_N6thrust23THRUST_200600_302600_NS6detail15normal_iteratorINS9_10device_ptrIiEEEEPS5_m17evens_before_oddsEE10hipError_tT0_T1_T2_jT3_P12ihipStream_tbPNSt15iterator_traitsISI_E10value_typeEPNSO_ISJ_E10value_typeEPSK_NS1_7vsmem_tEENKUlT_SI_SJ_SK_E_clISE_PiSF_SF_EESH_SX_SI_SJ_SK_EUlSX_E0_NS1_11comp_targetILNS1_3genE10ELNS1_11target_archE1201ELNS1_3gpuE5ELNS1_3repE0EEENS1_38merge_mergepath_config_static_selectorELNS0_4arch9wavefront6targetE0EEEvSJ_.numbered_sgpr, 0
	.set _ZN7rocprim17ROCPRIM_400000_NS6detail17trampoline_kernelINS0_14default_configENS1_38merge_sort_block_merge_config_selectorIiNS0_10empty_typeEEEZZNS1_27merge_sort_block_merge_implIS3_N6thrust23THRUST_200600_302600_NS6detail15normal_iteratorINS9_10device_ptrIiEEEEPS5_m17evens_before_oddsEE10hipError_tT0_T1_T2_jT3_P12ihipStream_tbPNSt15iterator_traitsISI_E10value_typeEPNSO_ISJ_E10value_typeEPSK_NS1_7vsmem_tEENKUlT_SI_SJ_SK_E_clISE_PiSF_SF_EESH_SX_SI_SJ_SK_EUlSX_E0_NS1_11comp_targetILNS1_3genE10ELNS1_11target_archE1201ELNS1_3gpuE5ELNS1_3repE0EEENS1_38merge_mergepath_config_static_selectorELNS0_4arch9wavefront6targetE0EEEvSJ_.num_named_barrier, 0
	.set _ZN7rocprim17ROCPRIM_400000_NS6detail17trampoline_kernelINS0_14default_configENS1_38merge_sort_block_merge_config_selectorIiNS0_10empty_typeEEEZZNS1_27merge_sort_block_merge_implIS3_N6thrust23THRUST_200600_302600_NS6detail15normal_iteratorINS9_10device_ptrIiEEEEPS5_m17evens_before_oddsEE10hipError_tT0_T1_T2_jT3_P12ihipStream_tbPNSt15iterator_traitsISI_E10value_typeEPNSO_ISJ_E10value_typeEPSK_NS1_7vsmem_tEENKUlT_SI_SJ_SK_E_clISE_PiSF_SF_EESH_SX_SI_SJ_SK_EUlSX_E0_NS1_11comp_targetILNS1_3genE10ELNS1_11target_archE1201ELNS1_3gpuE5ELNS1_3repE0EEENS1_38merge_mergepath_config_static_selectorELNS0_4arch9wavefront6targetE0EEEvSJ_.private_seg_size, 0
	.set _ZN7rocprim17ROCPRIM_400000_NS6detail17trampoline_kernelINS0_14default_configENS1_38merge_sort_block_merge_config_selectorIiNS0_10empty_typeEEEZZNS1_27merge_sort_block_merge_implIS3_N6thrust23THRUST_200600_302600_NS6detail15normal_iteratorINS9_10device_ptrIiEEEEPS5_m17evens_before_oddsEE10hipError_tT0_T1_T2_jT3_P12ihipStream_tbPNSt15iterator_traitsISI_E10value_typeEPNSO_ISJ_E10value_typeEPSK_NS1_7vsmem_tEENKUlT_SI_SJ_SK_E_clISE_PiSF_SF_EESH_SX_SI_SJ_SK_EUlSX_E0_NS1_11comp_targetILNS1_3genE10ELNS1_11target_archE1201ELNS1_3gpuE5ELNS1_3repE0EEENS1_38merge_mergepath_config_static_selectorELNS0_4arch9wavefront6targetE0EEEvSJ_.uses_vcc, 0
	.set _ZN7rocprim17ROCPRIM_400000_NS6detail17trampoline_kernelINS0_14default_configENS1_38merge_sort_block_merge_config_selectorIiNS0_10empty_typeEEEZZNS1_27merge_sort_block_merge_implIS3_N6thrust23THRUST_200600_302600_NS6detail15normal_iteratorINS9_10device_ptrIiEEEEPS5_m17evens_before_oddsEE10hipError_tT0_T1_T2_jT3_P12ihipStream_tbPNSt15iterator_traitsISI_E10value_typeEPNSO_ISJ_E10value_typeEPSK_NS1_7vsmem_tEENKUlT_SI_SJ_SK_E_clISE_PiSF_SF_EESH_SX_SI_SJ_SK_EUlSX_E0_NS1_11comp_targetILNS1_3genE10ELNS1_11target_archE1201ELNS1_3gpuE5ELNS1_3repE0EEENS1_38merge_mergepath_config_static_selectorELNS0_4arch9wavefront6targetE0EEEvSJ_.uses_flat_scratch, 0
	.set _ZN7rocprim17ROCPRIM_400000_NS6detail17trampoline_kernelINS0_14default_configENS1_38merge_sort_block_merge_config_selectorIiNS0_10empty_typeEEEZZNS1_27merge_sort_block_merge_implIS3_N6thrust23THRUST_200600_302600_NS6detail15normal_iteratorINS9_10device_ptrIiEEEEPS5_m17evens_before_oddsEE10hipError_tT0_T1_T2_jT3_P12ihipStream_tbPNSt15iterator_traitsISI_E10value_typeEPNSO_ISJ_E10value_typeEPSK_NS1_7vsmem_tEENKUlT_SI_SJ_SK_E_clISE_PiSF_SF_EESH_SX_SI_SJ_SK_EUlSX_E0_NS1_11comp_targetILNS1_3genE10ELNS1_11target_archE1201ELNS1_3gpuE5ELNS1_3repE0EEENS1_38merge_mergepath_config_static_selectorELNS0_4arch9wavefront6targetE0EEEvSJ_.has_dyn_sized_stack, 0
	.set _ZN7rocprim17ROCPRIM_400000_NS6detail17trampoline_kernelINS0_14default_configENS1_38merge_sort_block_merge_config_selectorIiNS0_10empty_typeEEEZZNS1_27merge_sort_block_merge_implIS3_N6thrust23THRUST_200600_302600_NS6detail15normal_iteratorINS9_10device_ptrIiEEEEPS5_m17evens_before_oddsEE10hipError_tT0_T1_T2_jT3_P12ihipStream_tbPNSt15iterator_traitsISI_E10value_typeEPNSO_ISJ_E10value_typeEPSK_NS1_7vsmem_tEENKUlT_SI_SJ_SK_E_clISE_PiSF_SF_EESH_SX_SI_SJ_SK_EUlSX_E0_NS1_11comp_targetILNS1_3genE10ELNS1_11target_archE1201ELNS1_3gpuE5ELNS1_3repE0EEENS1_38merge_mergepath_config_static_selectorELNS0_4arch9wavefront6targetE0EEEvSJ_.has_recursion, 0
	.set _ZN7rocprim17ROCPRIM_400000_NS6detail17trampoline_kernelINS0_14default_configENS1_38merge_sort_block_merge_config_selectorIiNS0_10empty_typeEEEZZNS1_27merge_sort_block_merge_implIS3_N6thrust23THRUST_200600_302600_NS6detail15normal_iteratorINS9_10device_ptrIiEEEEPS5_m17evens_before_oddsEE10hipError_tT0_T1_T2_jT3_P12ihipStream_tbPNSt15iterator_traitsISI_E10value_typeEPNSO_ISJ_E10value_typeEPSK_NS1_7vsmem_tEENKUlT_SI_SJ_SK_E_clISE_PiSF_SF_EESH_SX_SI_SJ_SK_EUlSX_E0_NS1_11comp_targetILNS1_3genE10ELNS1_11target_archE1201ELNS1_3gpuE5ELNS1_3repE0EEENS1_38merge_mergepath_config_static_selectorELNS0_4arch9wavefront6targetE0EEEvSJ_.has_indirect_call, 0
	.section	.AMDGPU.csdata,"",@progbits
; Kernel info:
; codeLenInByte = 0
; TotalNumSgprs: 0
; NumVgprs: 0
; ScratchSize: 0
; MemoryBound: 0
; FloatMode: 240
; IeeeMode: 1
; LDSByteSize: 0 bytes/workgroup (compile time only)
; SGPRBlocks: 0
; VGPRBlocks: 0
; NumSGPRsForWavesPerEU: 1
; NumVGPRsForWavesPerEU: 1
; Occupancy: 16
; WaveLimiterHint : 0
; COMPUTE_PGM_RSRC2:SCRATCH_EN: 0
; COMPUTE_PGM_RSRC2:USER_SGPR: 6
; COMPUTE_PGM_RSRC2:TRAP_HANDLER: 0
; COMPUTE_PGM_RSRC2:TGID_X_EN: 1
; COMPUTE_PGM_RSRC2:TGID_Y_EN: 0
; COMPUTE_PGM_RSRC2:TGID_Z_EN: 0
; COMPUTE_PGM_RSRC2:TIDIG_COMP_CNT: 0
	.section	.text._ZN7rocprim17ROCPRIM_400000_NS6detail17trampoline_kernelINS0_14default_configENS1_38merge_sort_block_merge_config_selectorIiNS0_10empty_typeEEEZZNS1_27merge_sort_block_merge_implIS3_N6thrust23THRUST_200600_302600_NS6detail15normal_iteratorINS9_10device_ptrIiEEEEPS5_m17evens_before_oddsEE10hipError_tT0_T1_T2_jT3_P12ihipStream_tbPNSt15iterator_traitsISI_E10value_typeEPNSO_ISJ_E10value_typeEPSK_NS1_7vsmem_tEENKUlT_SI_SJ_SK_E_clISE_PiSF_SF_EESH_SX_SI_SJ_SK_EUlSX_E0_NS1_11comp_targetILNS1_3genE5ELNS1_11target_archE942ELNS1_3gpuE9ELNS1_3repE0EEENS1_38merge_mergepath_config_static_selectorELNS0_4arch9wavefront6targetE0EEEvSJ_,"axG",@progbits,_ZN7rocprim17ROCPRIM_400000_NS6detail17trampoline_kernelINS0_14default_configENS1_38merge_sort_block_merge_config_selectorIiNS0_10empty_typeEEEZZNS1_27merge_sort_block_merge_implIS3_N6thrust23THRUST_200600_302600_NS6detail15normal_iteratorINS9_10device_ptrIiEEEEPS5_m17evens_before_oddsEE10hipError_tT0_T1_T2_jT3_P12ihipStream_tbPNSt15iterator_traitsISI_E10value_typeEPNSO_ISJ_E10value_typeEPSK_NS1_7vsmem_tEENKUlT_SI_SJ_SK_E_clISE_PiSF_SF_EESH_SX_SI_SJ_SK_EUlSX_E0_NS1_11comp_targetILNS1_3genE5ELNS1_11target_archE942ELNS1_3gpuE9ELNS1_3repE0EEENS1_38merge_mergepath_config_static_selectorELNS0_4arch9wavefront6targetE0EEEvSJ_,comdat
	.protected	_ZN7rocprim17ROCPRIM_400000_NS6detail17trampoline_kernelINS0_14default_configENS1_38merge_sort_block_merge_config_selectorIiNS0_10empty_typeEEEZZNS1_27merge_sort_block_merge_implIS3_N6thrust23THRUST_200600_302600_NS6detail15normal_iteratorINS9_10device_ptrIiEEEEPS5_m17evens_before_oddsEE10hipError_tT0_T1_T2_jT3_P12ihipStream_tbPNSt15iterator_traitsISI_E10value_typeEPNSO_ISJ_E10value_typeEPSK_NS1_7vsmem_tEENKUlT_SI_SJ_SK_E_clISE_PiSF_SF_EESH_SX_SI_SJ_SK_EUlSX_E0_NS1_11comp_targetILNS1_3genE5ELNS1_11target_archE942ELNS1_3gpuE9ELNS1_3repE0EEENS1_38merge_mergepath_config_static_selectorELNS0_4arch9wavefront6targetE0EEEvSJ_ ; -- Begin function _ZN7rocprim17ROCPRIM_400000_NS6detail17trampoline_kernelINS0_14default_configENS1_38merge_sort_block_merge_config_selectorIiNS0_10empty_typeEEEZZNS1_27merge_sort_block_merge_implIS3_N6thrust23THRUST_200600_302600_NS6detail15normal_iteratorINS9_10device_ptrIiEEEEPS5_m17evens_before_oddsEE10hipError_tT0_T1_T2_jT3_P12ihipStream_tbPNSt15iterator_traitsISI_E10value_typeEPNSO_ISJ_E10value_typeEPSK_NS1_7vsmem_tEENKUlT_SI_SJ_SK_E_clISE_PiSF_SF_EESH_SX_SI_SJ_SK_EUlSX_E0_NS1_11comp_targetILNS1_3genE5ELNS1_11target_archE942ELNS1_3gpuE9ELNS1_3repE0EEENS1_38merge_mergepath_config_static_selectorELNS0_4arch9wavefront6targetE0EEEvSJ_
	.globl	_ZN7rocprim17ROCPRIM_400000_NS6detail17trampoline_kernelINS0_14default_configENS1_38merge_sort_block_merge_config_selectorIiNS0_10empty_typeEEEZZNS1_27merge_sort_block_merge_implIS3_N6thrust23THRUST_200600_302600_NS6detail15normal_iteratorINS9_10device_ptrIiEEEEPS5_m17evens_before_oddsEE10hipError_tT0_T1_T2_jT3_P12ihipStream_tbPNSt15iterator_traitsISI_E10value_typeEPNSO_ISJ_E10value_typeEPSK_NS1_7vsmem_tEENKUlT_SI_SJ_SK_E_clISE_PiSF_SF_EESH_SX_SI_SJ_SK_EUlSX_E0_NS1_11comp_targetILNS1_3genE5ELNS1_11target_archE942ELNS1_3gpuE9ELNS1_3repE0EEENS1_38merge_mergepath_config_static_selectorELNS0_4arch9wavefront6targetE0EEEvSJ_
	.p2align	8
	.type	_ZN7rocprim17ROCPRIM_400000_NS6detail17trampoline_kernelINS0_14default_configENS1_38merge_sort_block_merge_config_selectorIiNS0_10empty_typeEEEZZNS1_27merge_sort_block_merge_implIS3_N6thrust23THRUST_200600_302600_NS6detail15normal_iteratorINS9_10device_ptrIiEEEEPS5_m17evens_before_oddsEE10hipError_tT0_T1_T2_jT3_P12ihipStream_tbPNSt15iterator_traitsISI_E10value_typeEPNSO_ISJ_E10value_typeEPSK_NS1_7vsmem_tEENKUlT_SI_SJ_SK_E_clISE_PiSF_SF_EESH_SX_SI_SJ_SK_EUlSX_E0_NS1_11comp_targetILNS1_3genE5ELNS1_11target_archE942ELNS1_3gpuE9ELNS1_3repE0EEENS1_38merge_mergepath_config_static_selectorELNS0_4arch9wavefront6targetE0EEEvSJ_,@function
_ZN7rocprim17ROCPRIM_400000_NS6detail17trampoline_kernelINS0_14default_configENS1_38merge_sort_block_merge_config_selectorIiNS0_10empty_typeEEEZZNS1_27merge_sort_block_merge_implIS3_N6thrust23THRUST_200600_302600_NS6detail15normal_iteratorINS9_10device_ptrIiEEEEPS5_m17evens_before_oddsEE10hipError_tT0_T1_T2_jT3_P12ihipStream_tbPNSt15iterator_traitsISI_E10value_typeEPNSO_ISJ_E10value_typeEPSK_NS1_7vsmem_tEENKUlT_SI_SJ_SK_E_clISE_PiSF_SF_EESH_SX_SI_SJ_SK_EUlSX_E0_NS1_11comp_targetILNS1_3genE5ELNS1_11target_archE942ELNS1_3gpuE9ELNS1_3repE0EEENS1_38merge_mergepath_config_static_selectorELNS0_4arch9wavefront6targetE0EEEvSJ_: ; @_ZN7rocprim17ROCPRIM_400000_NS6detail17trampoline_kernelINS0_14default_configENS1_38merge_sort_block_merge_config_selectorIiNS0_10empty_typeEEEZZNS1_27merge_sort_block_merge_implIS3_N6thrust23THRUST_200600_302600_NS6detail15normal_iteratorINS9_10device_ptrIiEEEEPS5_m17evens_before_oddsEE10hipError_tT0_T1_T2_jT3_P12ihipStream_tbPNSt15iterator_traitsISI_E10value_typeEPNSO_ISJ_E10value_typeEPSK_NS1_7vsmem_tEENKUlT_SI_SJ_SK_E_clISE_PiSF_SF_EESH_SX_SI_SJ_SK_EUlSX_E0_NS1_11comp_targetILNS1_3genE5ELNS1_11target_archE942ELNS1_3gpuE9ELNS1_3repE0EEENS1_38merge_mergepath_config_static_selectorELNS0_4arch9wavefront6targetE0EEEvSJ_
; %bb.0:
	.section	.rodata,"a",@progbits
	.p2align	6, 0x0
	.amdhsa_kernel _ZN7rocprim17ROCPRIM_400000_NS6detail17trampoline_kernelINS0_14default_configENS1_38merge_sort_block_merge_config_selectorIiNS0_10empty_typeEEEZZNS1_27merge_sort_block_merge_implIS3_N6thrust23THRUST_200600_302600_NS6detail15normal_iteratorINS9_10device_ptrIiEEEEPS5_m17evens_before_oddsEE10hipError_tT0_T1_T2_jT3_P12ihipStream_tbPNSt15iterator_traitsISI_E10value_typeEPNSO_ISJ_E10value_typeEPSK_NS1_7vsmem_tEENKUlT_SI_SJ_SK_E_clISE_PiSF_SF_EESH_SX_SI_SJ_SK_EUlSX_E0_NS1_11comp_targetILNS1_3genE5ELNS1_11target_archE942ELNS1_3gpuE9ELNS1_3repE0EEENS1_38merge_mergepath_config_static_selectorELNS0_4arch9wavefront6targetE0EEEvSJ_
		.amdhsa_group_segment_fixed_size 0
		.amdhsa_private_segment_fixed_size 0
		.amdhsa_kernarg_size 72
		.amdhsa_user_sgpr_count 6
		.amdhsa_user_sgpr_private_segment_buffer 1
		.amdhsa_user_sgpr_dispatch_ptr 0
		.amdhsa_user_sgpr_queue_ptr 0
		.amdhsa_user_sgpr_kernarg_segment_ptr 1
		.amdhsa_user_sgpr_dispatch_id 0
		.amdhsa_user_sgpr_flat_scratch_init 0
		.amdhsa_user_sgpr_private_segment_size 0
		.amdhsa_wavefront_size32 1
		.amdhsa_uses_dynamic_stack 0
		.amdhsa_system_sgpr_private_segment_wavefront_offset 0
		.amdhsa_system_sgpr_workgroup_id_x 1
		.amdhsa_system_sgpr_workgroup_id_y 0
		.amdhsa_system_sgpr_workgroup_id_z 0
		.amdhsa_system_sgpr_workgroup_info 0
		.amdhsa_system_vgpr_workitem_id 0
		.amdhsa_next_free_vgpr 1
		.amdhsa_next_free_sgpr 1
		.amdhsa_reserve_vcc 0
		.amdhsa_reserve_flat_scratch 0
		.amdhsa_float_round_mode_32 0
		.amdhsa_float_round_mode_16_64 0
		.amdhsa_float_denorm_mode_32 3
		.amdhsa_float_denorm_mode_16_64 3
		.amdhsa_dx10_clamp 1
		.amdhsa_ieee_mode 1
		.amdhsa_fp16_overflow 0
		.amdhsa_workgroup_processor_mode 1
		.amdhsa_memory_ordered 1
		.amdhsa_forward_progress 1
		.amdhsa_shared_vgpr_count 0
		.amdhsa_exception_fp_ieee_invalid_op 0
		.amdhsa_exception_fp_denorm_src 0
		.amdhsa_exception_fp_ieee_div_zero 0
		.amdhsa_exception_fp_ieee_overflow 0
		.amdhsa_exception_fp_ieee_underflow 0
		.amdhsa_exception_fp_ieee_inexact 0
		.amdhsa_exception_int_div_zero 0
	.end_amdhsa_kernel
	.section	.text._ZN7rocprim17ROCPRIM_400000_NS6detail17trampoline_kernelINS0_14default_configENS1_38merge_sort_block_merge_config_selectorIiNS0_10empty_typeEEEZZNS1_27merge_sort_block_merge_implIS3_N6thrust23THRUST_200600_302600_NS6detail15normal_iteratorINS9_10device_ptrIiEEEEPS5_m17evens_before_oddsEE10hipError_tT0_T1_T2_jT3_P12ihipStream_tbPNSt15iterator_traitsISI_E10value_typeEPNSO_ISJ_E10value_typeEPSK_NS1_7vsmem_tEENKUlT_SI_SJ_SK_E_clISE_PiSF_SF_EESH_SX_SI_SJ_SK_EUlSX_E0_NS1_11comp_targetILNS1_3genE5ELNS1_11target_archE942ELNS1_3gpuE9ELNS1_3repE0EEENS1_38merge_mergepath_config_static_selectorELNS0_4arch9wavefront6targetE0EEEvSJ_,"axG",@progbits,_ZN7rocprim17ROCPRIM_400000_NS6detail17trampoline_kernelINS0_14default_configENS1_38merge_sort_block_merge_config_selectorIiNS0_10empty_typeEEEZZNS1_27merge_sort_block_merge_implIS3_N6thrust23THRUST_200600_302600_NS6detail15normal_iteratorINS9_10device_ptrIiEEEEPS5_m17evens_before_oddsEE10hipError_tT0_T1_T2_jT3_P12ihipStream_tbPNSt15iterator_traitsISI_E10value_typeEPNSO_ISJ_E10value_typeEPSK_NS1_7vsmem_tEENKUlT_SI_SJ_SK_E_clISE_PiSF_SF_EESH_SX_SI_SJ_SK_EUlSX_E0_NS1_11comp_targetILNS1_3genE5ELNS1_11target_archE942ELNS1_3gpuE9ELNS1_3repE0EEENS1_38merge_mergepath_config_static_selectorELNS0_4arch9wavefront6targetE0EEEvSJ_,comdat
.Lfunc_end442:
	.size	_ZN7rocprim17ROCPRIM_400000_NS6detail17trampoline_kernelINS0_14default_configENS1_38merge_sort_block_merge_config_selectorIiNS0_10empty_typeEEEZZNS1_27merge_sort_block_merge_implIS3_N6thrust23THRUST_200600_302600_NS6detail15normal_iteratorINS9_10device_ptrIiEEEEPS5_m17evens_before_oddsEE10hipError_tT0_T1_T2_jT3_P12ihipStream_tbPNSt15iterator_traitsISI_E10value_typeEPNSO_ISJ_E10value_typeEPSK_NS1_7vsmem_tEENKUlT_SI_SJ_SK_E_clISE_PiSF_SF_EESH_SX_SI_SJ_SK_EUlSX_E0_NS1_11comp_targetILNS1_3genE5ELNS1_11target_archE942ELNS1_3gpuE9ELNS1_3repE0EEENS1_38merge_mergepath_config_static_selectorELNS0_4arch9wavefront6targetE0EEEvSJ_, .Lfunc_end442-_ZN7rocprim17ROCPRIM_400000_NS6detail17trampoline_kernelINS0_14default_configENS1_38merge_sort_block_merge_config_selectorIiNS0_10empty_typeEEEZZNS1_27merge_sort_block_merge_implIS3_N6thrust23THRUST_200600_302600_NS6detail15normal_iteratorINS9_10device_ptrIiEEEEPS5_m17evens_before_oddsEE10hipError_tT0_T1_T2_jT3_P12ihipStream_tbPNSt15iterator_traitsISI_E10value_typeEPNSO_ISJ_E10value_typeEPSK_NS1_7vsmem_tEENKUlT_SI_SJ_SK_E_clISE_PiSF_SF_EESH_SX_SI_SJ_SK_EUlSX_E0_NS1_11comp_targetILNS1_3genE5ELNS1_11target_archE942ELNS1_3gpuE9ELNS1_3repE0EEENS1_38merge_mergepath_config_static_selectorELNS0_4arch9wavefront6targetE0EEEvSJ_
                                        ; -- End function
	.set _ZN7rocprim17ROCPRIM_400000_NS6detail17trampoline_kernelINS0_14default_configENS1_38merge_sort_block_merge_config_selectorIiNS0_10empty_typeEEEZZNS1_27merge_sort_block_merge_implIS3_N6thrust23THRUST_200600_302600_NS6detail15normal_iteratorINS9_10device_ptrIiEEEEPS5_m17evens_before_oddsEE10hipError_tT0_T1_T2_jT3_P12ihipStream_tbPNSt15iterator_traitsISI_E10value_typeEPNSO_ISJ_E10value_typeEPSK_NS1_7vsmem_tEENKUlT_SI_SJ_SK_E_clISE_PiSF_SF_EESH_SX_SI_SJ_SK_EUlSX_E0_NS1_11comp_targetILNS1_3genE5ELNS1_11target_archE942ELNS1_3gpuE9ELNS1_3repE0EEENS1_38merge_mergepath_config_static_selectorELNS0_4arch9wavefront6targetE0EEEvSJ_.num_vgpr, 0
	.set _ZN7rocprim17ROCPRIM_400000_NS6detail17trampoline_kernelINS0_14default_configENS1_38merge_sort_block_merge_config_selectorIiNS0_10empty_typeEEEZZNS1_27merge_sort_block_merge_implIS3_N6thrust23THRUST_200600_302600_NS6detail15normal_iteratorINS9_10device_ptrIiEEEEPS5_m17evens_before_oddsEE10hipError_tT0_T1_T2_jT3_P12ihipStream_tbPNSt15iterator_traitsISI_E10value_typeEPNSO_ISJ_E10value_typeEPSK_NS1_7vsmem_tEENKUlT_SI_SJ_SK_E_clISE_PiSF_SF_EESH_SX_SI_SJ_SK_EUlSX_E0_NS1_11comp_targetILNS1_3genE5ELNS1_11target_archE942ELNS1_3gpuE9ELNS1_3repE0EEENS1_38merge_mergepath_config_static_selectorELNS0_4arch9wavefront6targetE0EEEvSJ_.num_agpr, 0
	.set _ZN7rocprim17ROCPRIM_400000_NS6detail17trampoline_kernelINS0_14default_configENS1_38merge_sort_block_merge_config_selectorIiNS0_10empty_typeEEEZZNS1_27merge_sort_block_merge_implIS3_N6thrust23THRUST_200600_302600_NS6detail15normal_iteratorINS9_10device_ptrIiEEEEPS5_m17evens_before_oddsEE10hipError_tT0_T1_T2_jT3_P12ihipStream_tbPNSt15iterator_traitsISI_E10value_typeEPNSO_ISJ_E10value_typeEPSK_NS1_7vsmem_tEENKUlT_SI_SJ_SK_E_clISE_PiSF_SF_EESH_SX_SI_SJ_SK_EUlSX_E0_NS1_11comp_targetILNS1_3genE5ELNS1_11target_archE942ELNS1_3gpuE9ELNS1_3repE0EEENS1_38merge_mergepath_config_static_selectorELNS0_4arch9wavefront6targetE0EEEvSJ_.numbered_sgpr, 0
	.set _ZN7rocprim17ROCPRIM_400000_NS6detail17trampoline_kernelINS0_14default_configENS1_38merge_sort_block_merge_config_selectorIiNS0_10empty_typeEEEZZNS1_27merge_sort_block_merge_implIS3_N6thrust23THRUST_200600_302600_NS6detail15normal_iteratorINS9_10device_ptrIiEEEEPS5_m17evens_before_oddsEE10hipError_tT0_T1_T2_jT3_P12ihipStream_tbPNSt15iterator_traitsISI_E10value_typeEPNSO_ISJ_E10value_typeEPSK_NS1_7vsmem_tEENKUlT_SI_SJ_SK_E_clISE_PiSF_SF_EESH_SX_SI_SJ_SK_EUlSX_E0_NS1_11comp_targetILNS1_3genE5ELNS1_11target_archE942ELNS1_3gpuE9ELNS1_3repE0EEENS1_38merge_mergepath_config_static_selectorELNS0_4arch9wavefront6targetE0EEEvSJ_.num_named_barrier, 0
	.set _ZN7rocprim17ROCPRIM_400000_NS6detail17trampoline_kernelINS0_14default_configENS1_38merge_sort_block_merge_config_selectorIiNS0_10empty_typeEEEZZNS1_27merge_sort_block_merge_implIS3_N6thrust23THRUST_200600_302600_NS6detail15normal_iteratorINS9_10device_ptrIiEEEEPS5_m17evens_before_oddsEE10hipError_tT0_T1_T2_jT3_P12ihipStream_tbPNSt15iterator_traitsISI_E10value_typeEPNSO_ISJ_E10value_typeEPSK_NS1_7vsmem_tEENKUlT_SI_SJ_SK_E_clISE_PiSF_SF_EESH_SX_SI_SJ_SK_EUlSX_E0_NS1_11comp_targetILNS1_3genE5ELNS1_11target_archE942ELNS1_3gpuE9ELNS1_3repE0EEENS1_38merge_mergepath_config_static_selectorELNS0_4arch9wavefront6targetE0EEEvSJ_.private_seg_size, 0
	.set _ZN7rocprim17ROCPRIM_400000_NS6detail17trampoline_kernelINS0_14default_configENS1_38merge_sort_block_merge_config_selectorIiNS0_10empty_typeEEEZZNS1_27merge_sort_block_merge_implIS3_N6thrust23THRUST_200600_302600_NS6detail15normal_iteratorINS9_10device_ptrIiEEEEPS5_m17evens_before_oddsEE10hipError_tT0_T1_T2_jT3_P12ihipStream_tbPNSt15iterator_traitsISI_E10value_typeEPNSO_ISJ_E10value_typeEPSK_NS1_7vsmem_tEENKUlT_SI_SJ_SK_E_clISE_PiSF_SF_EESH_SX_SI_SJ_SK_EUlSX_E0_NS1_11comp_targetILNS1_3genE5ELNS1_11target_archE942ELNS1_3gpuE9ELNS1_3repE0EEENS1_38merge_mergepath_config_static_selectorELNS0_4arch9wavefront6targetE0EEEvSJ_.uses_vcc, 0
	.set _ZN7rocprim17ROCPRIM_400000_NS6detail17trampoline_kernelINS0_14default_configENS1_38merge_sort_block_merge_config_selectorIiNS0_10empty_typeEEEZZNS1_27merge_sort_block_merge_implIS3_N6thrust23THRUST_200600_302600_NS6detail15normal_iteratorINS9_10device_ptrIiEEEEPS5_m17evens_before_oddsEE10hipError_tT0_T1_T2_jT3_P12ihipStream_tbPNSt15iterator_traitsISI_E10value_typeEPNSO_ISJ_E10value_typeEPSK_NS1_7vsmem_tEENKUlT_SI_SJ_SK_E_clISE_PiSF_SF_EESH_SX_SI_SJ_SK_EUlSX_E0_NS1_11comp_targetILNS1_3genE5ELNS1_11target_archE942ELNS1_3gpuE9ELNS1_3repE0EEENS1_38merge_mergepath_config_static_selectorELNS0_4arch9wavefront6targetE0EEEvSJ_.uses_flat_scratch, 0
	.set _ZN7rocprim17ROCPRIM_400000_NS6detail17trampoline_kernelINS0_14default_configENS1_38merge_sort_block_merge_config_selectorIiNS0_10empty_typeEEEZZNS1_27merge_sort_block_merge_implIS3_N6thrust23THRUST_200600_302600_NS6detail15normal_iteratorINS9_10device_ptrIiEEEEPS5_m17evens_before_oddsEE10hipError_tT0_T1_T2_jT3_P12ihipStream_tbPNSt15iterator_traitsISI_E10value_typeEPNSO_ISJ_E10value_typeEPSK_NS1_7vsmem_tEENKUlT_SI_SJ_SK_E_clISE_PiSF_SF_EESH_SX_SI_SJ_SK_EUlSX_E0_NS1_11comp_targetILNS1_3genE5ELNS1_11target_archE942ELNS1_3gpuE9ELNS1_3repE0EEENS1_38merge_mergepath_config_static_selectorELNS0_4arch9wavefront6targetE0EEEvSJ_.has_dyn_sized_stack, 0
	.set _ZN7rocprim17ROCPRIM_400000_NS6detail17trampoline_kernelINS0_14default_configENS1_38merge_sort_block_merge_config_selectorIiNS0_10empty_typeEEEZZNS1_27merge_sort_block_merge_implIS3_N6thrust23THRUST_200600_302600_NS6detail15normal_iteratorINS9_10device_ptrIiEEEEPS5_m17evens_before_oddsEE10hipError_tT0_T1_T2_jT3_P12ihipStream_tbPNSt15iterator_traitsISI_E10value_typeEPNSO_ISJ_E10value_typeEPSK_NS1_7vsmem_tEENKUlT_SI_SJ_SK_E_clISE_PiSF_SF_EESH_SX_SI_SJ_SK_EUlSX_E0_NS1_11comp_targetILNS1_3genE5ELNS1_11target_archE942ELNS1_3gpuE9ELNS1_3repE0EEENS1_38merge_mergepath_config_static_selectorELNS0_4arch9wavefront6targetE0EEEvSJ_.has_recursion, 0
	.set _ZN7rocprim17ROCPRIM_400000_NS6detail17trampoline_kernelINS0_14default_configENS1_38merge_sort_block_merge_config_selectorIiNS0_10empty_typeEEEZZNS1_27merge_sort_block_merge_implIS3_N6thrust23THRUST_200600_302600_NS6detail15normal_iteratorINS9_10device_ptrIiEEEEPS5_m17evens_before_oddsEE10hipError_tT0_T1_T2_jT3_P12ihipStream_tbPNSt15iterator_traitsISI_E10value_typeEPNSO_ISJ_E10value_typeEPSK_NS1_7vsmem_tEENKUlT_SI_SJ_SK_E_clISE_PiSF_SF_EESH_SX_SI_SJ_SK_EUlSX_E0_NS1_11comp_targetILNS1_3genE5ELNS1_11target_archE942ELNS1_3gpuE9ELNS1_3repE0EEENS1_38merge_mergepath_config_static_selectorELNS0_4arch9wavefront6targetE0EEEvSJ_.has_indirect_call, 0
	.section	.AMDGPU.csdata,"",@progbits
; Kernel info:
; codeLenInByte = 0
; TotalNumSgprs: 0
; NumVgprs: 0
; ScratchSize: 0
; MemoryBound: 0
; FloatMode: 240
; IeeeMode: 1
; LDSByteSize: 0 bytes/workgroup (compile time only)
; SGPRBlocks: 0
; VGPRBlocks: 0
; NumSGPRsForWavesPerEU: 1
; NumVGPRsForWavesPerEU: 1
; Occupancy: 16
; WaveLimiterHint : 0
; COMPUTE_PGM_RSRC2:SCRATCH_EN: 0
; COMPUTE_PGM_RSRC2:USER_SGPR: 6
; COMPUTE_PGM_RSRC2:TRAP_HANDLER: 0
; COMPUTE_PGM_RSRC2:TGID_X_EN: 1
; COMPUTE_PGM_RSRC2:TGID_Y_EN: 0
; COMPUTE_PGM_RSRC2:TGID_Z_EN: 0
; COMPUTE_PGM_RSRC2:TIDIG_COMP_CNT: 0
	.section	.text._ZN7rocprim17ROCPRIM_400000_NS6detail17trampoline_kernelINS0_14default_configENS1_38merge_sort_block_merge_config_selectorIiNS0_10empty_typeEEEZZNS1_27merge_sort_block_merge_implIS3_N6thrust23THRUST_200600_302600_NS6detail15normal_iteratorINS9_10device_ptrIiEEEEPS5_m17evens_before_oddsEE10hipError_tT0_T1_T2_jT3_P12ihipStream_tbPNSt15iterator_traitsISI_E10value_typeEPNSO_ISJ_E10value_typeEPSK_NS1_7vsmem_tEENKUlT_SI_SJ_SK_E_clISE_PiSF_SF_EESH_SX_SI_SJ_SK_EUlSX_E0_NS1_11comp_targetILNS1_3genE4ELNS1_11target_archE910ELNS1_3gpuE8ELNS1_3repE0EEENS1_38merge_mergepath_config_static_selectorELNS0_4arch9wavefront6targetE0EEEvSJ_,"axG",@progbits,_ZN7rocprim17ROCPRIM_400000_NS6detail17trampoline_kernelINS0_14default_configENS1_38merge_sort_block_merge_config_selectorIiNS0_10empty_typeEEEZZNS1_27merge_sort_block_merge_implIS3_N6thrust23THRUST_200600_302600_NS6detail15normal_iteratorINS9_10device_ptrIiEEEEPS5_m17evens_before_oddsEE10hipError_tT0_T1_T2_jT3_P12ihipStream_tbPNSt15iterator_traitsISI_E10value_typeEPNSO_ISJ_E10value_typeEPSK_NS1_7vsmem_tEENKUlT_SI_SJ_SK_E_clISE_PiSF_SF_EESH_SX_SI_SJ_SK_EUlSX_E0_NS1_11comp_targetILNS1_3genE4ELNS1_11target_archE910ELNS1_3gpuE8ELNS1_3repE0EEENS1_38merge_mergepath_config_static_selectorELNS0_4arch9wavefront6targetE0EEEvSJ_,comdat
	.protected	_ZN7rocprim17ROCPRIM_400000_NS6detail17trampoline_kernelINS0_14default_configENS1_38merge_sort_block_merge_config_selectorIiNS0_10empty_typeEEEZZNS1_27merge_sort_block_merge_implIS3_N6thrust23THRUST_200600_302600_NS6detail15normal_iteratorINS9_10device_ptrIiEEEEPS5_m17evens_before_oddsEE10hipError_tT0_T1_T2_jT3_P12ihipStream_tbPNSt15iterator_traitsISI_E10value_typeEPNSO_ISJ_E10value_typeEPSK_NS1_7vsmem_tEENKUlT_SI_SJ_SK_E_clISE_PiSF_SF_EESH_SX_SI_SJ_SK_EUlSX_E0_NS1_11comp_targetILNS1_3genE4ELNS1_11target_archE910ELNS1_3gpuE8ELNS1_3repE0EEENS1_38merge_mergepath_config_static_selectorELNS0_4arch9wavefront6targetE0EEEvSJ_ ; -- Begin function _ZN7rocprim17ROCPRIM_400000_NS6detail17trampoline_kernelINS0_14default_configENS1_38merge_sort_block_merge_config_selectorIiNS0_10empty_typeEEEZZNS1_27merge_sort_block_merge_implIS3_N6thrust23THRUST_200600_302600_NS6detail15normal_iteratorINS9_10device_ptrIiEEEEPS5_m17evens_before_oddsEE10hipError_tT0_T1_T2_jT3_P12ihipStream_tbPNSt15iterator_traitsISI_E10value_typeEPNSO_ISJ_E10value_typeEPSK_NS1_7vsmem_tEENKUlT_SI_SJ_SK_E_clISE_PiSF_SF_EESH_SX_SI_SJ_SK_EUlSX_E0_NS1_11comp_targetILNS1_3genE4ELNS1_11target_archE910ELNS1_3gpuE8ELNS1_3repE0EEENS1_38merge_mergepath_config_static_selectorELNS0_4arch9wavefront6targetE0EEEvSJ_
	.globl	_ZN7rocprim17ROCPRIM_400000_NS6detail17trampoline_kernelINS0_14default_configENS1_38merge_sort_block_merge_config_selectorIiNS0_10empty_typeEEEZZNS1_27merge_sort_block_merge_implIS3_N6thrust23THRUST_200600_302600_NS6detail15normal_iteratorINS9_10device_ptrIiEEEEPS5_m17evens_before_oddsEE10hipError_tT0_T1_T2_jT3_P12ihipStream_tbPNSt15iterator_traitsISI_E10value_typeEPNSO_ISJ_E10value_typeEPSK_NS1_7vsmem_tEENKUlT_SI_SJ_SK_E_clISE_PiSF_SF_EESH_SX_SI_SJ_SK_EUlSX_E0_NS1_11comp_targetILNS1_3genE4ELNS1_11target_archE910ELNS1_3gpuE8ELNS1_3repE0EEENS1_38merge_mergepath_config_static_selectorELNS0_4arch9wavefront6targetE0EEEvSJ_
	.p2align	8
	.type	_ZN7rocprim17ROCPRIM_400000_NS6detail17trampoline_kernelINS0_14default_configENS1_38merge_sort_block_merge_config_selectorIiNS0_10empty_typeEEEZZNS1_27merge_sort_block_merge_implIS3_N6thrust23THRUST_200600_302600_NS6detail15normal_iteratorINS9_10device_ptrIiEEEEPS5_m17evens_before_oddsEE10hipError_tT0_T1_T2_jT3_P12ihipStream_tbPNSt15iterator_traitsISI_E10value_typeEPNSO_ISJ_E10value_typeEPSK_NS1_7vsmem_tEENKUlT_SI_SJ_SK_E_clISE_PiSF_SF_EESH_SX_SI_SJ_SK_EUlSX_E0_NS1_11comp_targetILNS1_3genE4ELNS1_11target_archE910ELNS1_3gpuE8ELNS1_3repE0EEENS1_38merge_mergepath_config_static_selectorELNS0_4arch9wavefront6targetE0EEEvSJ_,@function
_ZN7rocprim17ROCPRIM_400000_NS6detail17trampoline_kernelINS0_14default_configENS1_38merge_sort_block_merge_config_selectorIiNS0_10empty_typeEEEZZNS1_27merge_sort_block_merge_implIS3_N6thrust23THRUST_200600_302600_NS6detail15normal_iteratorINS9_10device_ptrIiEEEEPS5_m17evens_before_oddsEE10hipError_tT0_T1_T2_jT3_P12ihipStream_tbPNSt15iterator_traitsISI_E10value_typeEPNSO_ISJ_E10value_typeEPSK_NS1_7vsmem_tEENKUlT_SI_SJ_SK_E_clISE_PiSF_SF_EESH_SX_SI_SJ_SK_EUlSX_E0_NS1_11comp_targetILNS1_3genE4ELNS1_11target_archE910ELNS1_3gpuE8ELNS1_3repE0EEENS1_38merge_mergepath_config_static_selectorELNS0_4arch9wavefront6targetE0EEEvSJ_: ; @_ZN7rocprim17ROCPRIM_400000_NS6detail17trampoline_kernelINS0_14default_configENS1_38merge_sort_block_merge_config_selectorIiNS0_10empty_typeEEEZZNS1_27merge_sort_block_merge_implIS3_N6thrust23THRUST_200600_302600_NS6detail15normal_iteratorINS9_10device_ptrIiEEEEPS5_m17evens_before_oddsEE10hipError_tT0_T1_T2_jT3_P12ihipStream_tbPNSt15iterator_traitsISI_E10value_typeEPNSO_ISJ_E10value_typeEPSK_NS1_7vsmem_tEENKUlT_SI_SJ_SK_E_clISE_PiSF_SF_EESH_SX_SI_SJ_SK_EUlSX_E0_NS1_11comp_targetILNS1_3genE4ELNS1_11target_archE910ELNS1_3gpuE8ELNS1_3repE0EEENS1_38merge_mergepath_config_static_selectorELNS0_4arch9wavefront6targetE0EEEvSJ_
; %bb.0:
	.section	.rodata,"a",@progbits
	.p2align	6, 0x0
	.amdhsa_kernel _ZN7rocprim17ROCPRIM_400000_NS6detail17trampoline_kernelINS0_14default_configENS1_38merge_sort_block_merge_config_selectorIiNS0_10empty_typeEEEZZNS1_27merge_sort_block_merge_implIS3_N6thrust23THRUST_200600_302600_NS6detail15normal_iteratorINS9_10device_ptrIiEEEEPS5_m17evens_before_oddsEE10hipError_tT0_T1_T2_jT3_P12ihipStream_tbPNSt15iterator_traitsISI_E10value_typeEPNSO_ISJ_E10value_typeEPSK_NS1_7vsmem_tEENKUlT_SI_SJ_SK_E_clISE_PiSF_SF_EESH_SX_SI_SJ_SK_EUlSX_E0_NS1_11comp_targetILNS1_3genE4ELNS1_11target_archE910ELNS1_3gpuE8ELNS1_3repE0EEENS1_38merge_mergepath_config_static_selectorELNS0_4arch9wavefront6targetE0EEEvSJ_
		.amdhsa_group_segment_fixed_size 0
		.amdhsa_private_segment_fixed_size 0
		.amdhsa_kernarg_size 72
		.amdhsa_user_sgpr_count 6
		.amdhsa_user_sgpr_private_segment_buffer 1
		.amdhsa_user_sgpr_dispatch_ptr 0
		.amdhsa_user_sgpr_queue_ptr 0
		.amdhsa_user_sgpr_kernarg_segment_ptr 1
		.amdhsa_user_sgpr_dispatch_id 0
		.amdhsa_user_sgpr_flat_scratch_init 0
		.amdhsa_user_sgpr_private_segment_size 0
		.amdhsa_wavefront_size32 1
		.amdhsa_uses_dynamic_stack 0
		.amdhsa_system_sgpr_private_segment_wavefront_offset 0
		.amdhsa_system_sgpr_workgroup_id_x 1
		.amdhsa_system_sgpr_workgroup_id_y 0
		.amdhsa_system_sgpr_workgroup_id_z 0
		.amdhsa_system_sgpr_workgroup_info 0
		.amdhsa_system_vgpr_workitem_id 0
		.amdhsa_next_free_vgpr 1
		.amdhsa_next_free_sgpr 1
		.amdhsa_reserve_vcc 0
		.amdhsa_reserve_flat_scratch 0
		.amdhsa_float_round_mode_32 0
		.amdhsa_float_round_mode_16_64 0
		.amdhsa_float_denorm_mode_32 3
		.amdhsa_float_denorm_mode_16_64 3
		.amdhsa_dx10_clamp 1
		.amdhsa_ieee_mode 1
		.amdhsa_fp16_overflow 0
		.amdhsa_workgroup_processor_mode 1
		.amdhsa_memory_ordered 1
		.amdhsa_forward_progress 1
		.amdhsa_shared_vgpr_count 0
		.amdhsa_exception_fp_ieee_invalid_op 0
		.amdhsa_exception_fp_denorm_src 0
		.amdhsa_exception_fp_ieee_div_zero 0
		.amdhsa_exception_fp_ieee_overflow 0
		.amdhsa_exception_fp_ieee_underflow 0
		.amdhsa_exception_fp_ieee_inexact 0
		.amdhsa_exception_int_div_zero 0
	.end_amdhsa_kernel
	.section	.text._ZN7rocprim17ROCPRIM_400000_NS6detail17trampoline_kernelINS0_14default_configENS1_38merge_sort_block_merge_config_selectorIiNS0_10empty_typeEEEZZNS1_27merge_sort_block_merge_implIS3_N6thrust23THRUST_200600_302600_NS6detail15normal_iteratorINS9_10device_ptrIiEEEEPS5_m17evens_before_oddsEE10hipError_tT0_T1_T2_jT3_P12ihipStream_tbPNSt15iterator_traitsISI_E10value_typeEPNSO_ISJ_E10value_typeEPSK_NS1_7vsmem_tEENKUlT_SI_SJ_SK_E_clISE_PiSF_SF_EESH_SX_SI_SJ_SK_EUlSX_E0_NS1_11comp_targetILNS1_3genE4ELNS1_11target_archE910ELNS1_3gpuE8ELNS1_3repE0EEENS1_38merge_mergepath_config_static_selectorELNS0_4arch9wavefront6targetE0EEEvSJ_,"axG",@progbits,_ZN7rocprim17ROCPRIM_400000_NS6detail17trampoline_kernelINS0_14default_configENS1_38merge_sort_block_merge_config_selectorIiNS0_10empty_typeEEEZZNS1_27merge_sort_block_merge_implIS3_N6thrust23THRUST_200600_302600_NS6detail15normal_iteratorINS9_10device_ptrIiEEEEPS5_m17evens_before_oddsEE10hipError_tT0_T1_T2_jT3_P12ihipStream_tbPNSt15iterator_traitsISI_E10value_typeEPNSO_ISJ_E10value_typeEPSK_NS1_7vsmem_tEENKUlT_SI_SJ_SK_E_clISE_PiSF_SF_EESH_SX_SI_SJ_SK_EUlSX_E0_NS1_11comp_targetILNS1_3genE4ELNS1_11target_archE910ELNS1_3gpuE8ELNS1_3repE0EEENS1_38merge_mergepath_config_static_selectorELNS0_4arch9wavefront6targetE0EEEvSJ_,comdat
.Lfunc_end443:
	.size	_ZN7rocprim17ROCPRIM_400000_NS6detail17trampoline_kernelINS0_14default_configENS1_38merge_sort_block_merge_config_selectorIiNS0_10empty_typeEEEZZNS1_27merge_sort_block_merge_implIS3_N6thrust23THRUST_200600_302600_NS6detail15normal_iteratorINS9_10device_ptrIiEEEEPS5_m17evens_before_oddsEE10hipError_tT0_T1_T2_jT3_P12ihipStream_tbPNSt15iterator_traitsISI_E10value_typeEPNSO_ISJ_E10value_typeEPSK_NS1_7vsmem_tEENKUlT_SI_SJ_SK_E_clISE_PiSF_SF_EESH_SX_SI_SJ_SK_EUlSX_E0_NS1_11comp_targetILNS1_3genE4ELNS1_11target_archE910ELNS1_3gpuE8ELNS1_3repE0EEENS1_38merge_mergepath_config_static_selectorELNS0_4arch9wavefront6targetE0EEEvSJ_, .Lfunc_end443-_ZN7rocprim17ROCPRIM_400000_NS6detail17trampoline_kernelINS0_14default_configENS1_38merge_sort_block_merge_config_selectorIiNS0_10empty_typeEEEZZNS1_27merge_sort_block_merge_implIS3_N6thrust23THRUST_200600_302600_NS6detail15normal_iteratorINS9_10device_ptrIiEEEEPS5_m17evens_before_oddsEE10hipError_tT0_T1_T2_jT3_P12ihipStream_tbPNSt15iterator_traitsISI_E10value_typeEPNSO_ISJ_E10value_typeEPSK_NS1_7vsmem_tEENKUlT_SI_SJ_SK_E_clISE_PiSF_SF_EESH_SX_SI_SJ_SK_EUlSX_E0_NS1_11comp_targetILNS1_3genE4ELNS1_11target_archE910ELNS1_3gpuE8ELNS1_3repE0EEENS1_38merge_mergepath_config_static_selectorELNS0_4arch9wavefront6targetE0EEEvSJ_
                                        ; -- End function
	.set _ZN7rocprim17ROCPRIM_400000_NS6detail17trampoline_kernelINS0_14default_configENS1_38merge_sort_block_merge_config_selectorIiNS0_10empty_typeEEEZZNS1_27merge_sort_block_merge_implIS3_N6thrust23THRUST_200600_302600_NS6detail15normal_iteratorINS9_10device_ptrIiEEEEPS5_m17evens_before_oddsEE10hipError_tT0_T1_T2_jT3_P12ihipStream_tbPNSt15iterator_traitsISI_E10value_typeEPNSO_ISJ_E10value_typeEPSK_NS1_7vsmem_tEENKUlT_SI_SJ_SK_E_clISE_PiSF_SF_EESH_SX_SI_SJ_SK_EUlSX_E0_NS1_11comp_targetILNS1_3genE4ELNS1_11target_archE910ELNS1_3gpuE8ELNS1_3repE0EEENS1_38merge_mergepath_config_static_selectorELNS0_4arch9wavefront6targetE0EEEvSJ_.num_vgpr, 0
	.set _ZN7rocprim17ROCPRIM_400000_NS6detail17trampoline_kernelINS0_14default_configENS1_38merge_sort_block_merge_config_selectorIiNS0_10empty_typeEEEZZNS1_27merge_sort_block_merge_implIS3_N6thrust23THRUST_200600_302600_NS6detail15normal_iteratorINS9_10device_ptrIiEEEEPS5_m17evens_before_oddsEE10hipError_tT0_T1_T2_jT3_P12ihipStream_tbPNSt15iterator_traitsISI_E10value_typeEPNSO_ISJ_E10value_typeEPSK_NS1_7vsmem_tEENKUlT_SI_SJ_SK_E_clISE_PiSF_SF_EESH_SX_SI_SJ_SK_EUlSX_E0_NS1_11comp_targetILNS1_3genE4ELNS1_11target_archE910ELNS1_3gpuE8ELNS1_3repE0EEENS1_38merge_mergepath_config_static_selectorELNS0_4arch9wavefront6targetE0EEEvSJ_.num_agpr, 0
	.set _ZN7rocprim17ROCPRIM_400000_NS6detail17trampoline_kernelINS0_14default_configENS1_38merge_sort_block_merge_config_selectorIiNS0_10empty_typeEEEZZNS1_27merge_sort_block_merge_implIS3_N6thrust23THRUST_200600_302600_NS6detail15normal_iteratorINS9_10device_ptrIiEEEEPS5_m17evens_before_oddsEE10hipError_tT0_T1_T2_jT3_P12ihipStream_tbPNSt15iterator_traitsISI_E10value_typeEPNSO_ISJ_E10value_typeEPSK_NS1_7vsmem_tEENKUlT_SI_SJ_SK_E_clISE_PiSF_SF_EESH_SX_SI_SJ_SK_EUlSX_E0_NS1_11comp_targetILNS1_3genE4ELNS1_11target_archE910ELNS1_3gpuE8ELNS1_3repE0EEENS1_38merge_mergepath_config_static_selectorELNS0_4arch9wavefront6targetE0EEEvSJ_.numbered_sgpr, 0
	.set _ZN7rocprim17ROCPRIM_400000_NS6detail17trampoline_kernelINS0_14default_configENS1_38merge_sort_block_merge_config_selectorIiNS0_10empty_typeEEEZZNS1_27merge_sort_block_merge_implIS3_N6thrust23THRUST_200600_302600_NS6detail15normal_iteratorINS9_10device_ptrIiEEEEPS5_m17evens_before_oddsEE10hipError_tT0_T1_T2_jT3_P12ihipStream_tbPNSt15iterator_traitsISI_E10value_typeEPNSO_ISJ_E10value_typeEPSK_NS1_7vsmem_tEENKUlT_SI_SJ_SK_E_clISE_PiSF_SF_EESH_SX_SI_SJ_SK_EUlSX_E0_NS1_11comp_targetILNS1_3genE4ELNS1_11target_archE910ELNS1_3gpuE8ELNS1_3repE0EEENS1_38merge_mergepath_config_static_selectorELNS0_4arch9wavefront6targetE0EEEvSJ_.num_named_barrier, 0
	.set _ZN7rocprim17ROCPRIM_400000_NS6detail17trampoline_kernelINS0_14default_configENS1_38merge_sort_block_merge_config_selectorIiNS0_10empty_typeEEEZZNS1_27merge_sort_block_merge_implIS3_N6thrust23THRUST_200600_302600_NS6detail15normal_iteratorINS9_10device_ptrIiEEEEPS5_m17evens_before_oddsEE10hipError_tT0_T1_T2_jT3_P12ihipStream_tbPNSt15iterator_traitsISI_E10value_typeEPNSO_ISJ_E10value_typeEPSK_NS1_7vsmem_tEENKUlT_SI_SJ_SK_E_clISE_PiSF_SF_EESH_SX_SI_SJ_SK_EUlSX_E0_NS1_11comp_targetILNS1_3genE4ELNS1_11target_archE910ELNS1_3gpuE8ELNS1_3repE0EEENS1_38merge_mergepath_config_static_selectorELNS0_4arch9wavefront6targetE0EEEvSJ_.private_seg_size, 0
	.set _ZN7rocprim17ROCPRIM_400000_NS6detail17trampoline_kernelINS0_14default_configENS1_38merge_sort_block_merge_config_selectorIiNS0_10empty_typeEEEZZNS1_27merge_sort_block_merge_implIS3_N6thrust23THRUST_200600_302600_NS6detail15normal_iteratorINS9_10device_ptrIiEEEEPS5_m17evens_before_oddsEE10hipError_tT0_T1_T2_jT3_P12ihipStream_tbPNSt15iterator_traitsISI_E10value_typeEPNSO_ISJ_E10value_typeEPSK_NS1_7vsmem_tEENKUlT_SI_SJ_SK_E_clISE_PiSF_SF_EESH_SX_SI_SJ_SK_EUlSX_E0_NS1_11comp_targetILNS1_3genE4ELNS1_11target_archE910ELNS1_3gpuE8ELNS1_3repE0EEENS1_38merge_mergepath_config_static_selectorELNS0_4arch9wavefront6targetE0EEEvSJ_.uses_vcc, 0
	.set _ZN7rocprim17ROCPRIM_400000_NS6detail17trampoline_kernelINS0_14default_configENS1_38merge_sort_block_merge_config_selectorIiNS0_10empty_typeEEEZZNS1_27merge_sort_block_merge_implIS3_N6thrust23THRUST_200600_302600_NS6detail15normal_iteratorINS9_10device_ptrIiEEEEPS5_m17evens_before_oddsEE10hipError_tT0_T1_T2_jT3_P12ihipStream_tbPNSt15iterator_traitsISI_E10value_typeEPNSO_ISJ_E10value_typeEPSK_NS1_7vsmem_tEENKUlT_SI_SJ_SK_E_clISE_PiSF_SF_EESH_SX_SI_SJ_SK_EUlSX_E0_NS1_11comp_targetILNS1_3genE4ELNS1_11target_archE910ELNS1_3gpuE8ELNS1_3repE0EEENS1_38merge_mergepath_config_static_selectorELNS0_4arch9wavefront6targetE0EEEvSJ_.uses_flat_scratch, 0
	.set _ZN7rocprim17ROCPRIM_400000_NS6detail17trampoline_kernelINS0_14default_configENS1_38merge_sort_block_merge_config_selectorIiNS0_10empty_typeEEEZZNS1_27merge_sort_block_merge_implIS3_N6thrust23THRUST_200600_302600_NS6detail15normal_iteratorINS9_10device_ptrIiEEEEPS5_m17evens_before_oddsEE10hipError_tT0_T1_T2_jT3_P12ihipStream_tbPNSt15iterator_traitsISI_E10value_typeEPNSO_ISJ_E10value_typeEPSK_NS1_7vsmem_tEENKUlT_SI_SJ_SK_E_clISE_PiSF_SF_EESH_SX_SI_SJ_SK_EUlSX_E0_NS1_11comp_targetILNS1_3genE4ELNS1_11target_archE910ELNS1_3gpuE8ELNS1_3repE0EEENS1_38merge_mergepath_config_static_selectorELNS0_4arch9wavefront6targetE0EEEvSJ_.has_dyn_sized_stack, 0
	.set _ZN7rocprim17ROCPRIM_400000_NS6detail17trampoline_kernelINS0_14default_configENS1_38merge_sort_block_merge_config_selectorIiNS0_10empty_typeEEEZZNS1_27merge_sort_block_merge_implIS3_N6thrust23THRUST_200600_302600_NS6detail15normal_iteratorINS9_10device_ptrIiEEEEPS5_m17evens_before_oddsEE10hipError_tT0_T1_T2_jT3_P12ihipStream_tbPNSt15iterator_traitsISI_E10value_typeEPNSO_ISJ_E10value_typeEPSK_NS1_7vsmem_tEENKUlT_SI_SJ_SK_E_clISE_PiSF_SF_EESH_SX_SI_SJ_SK_EUlSX_E0_NS1_11comp_targetILNS1_3genE4ELNS1_11target_archE910ELNS1_3gpuE8ELNS1_3repE0EEENS1_38merge_mergepath_config_static_selectorELNS0_4arch9wavefront6targetE0EEEvSJ_.has_recursion, 0
	.set _ZN7rocprim17ROCPRIM_400000_NS6detail17trampoline_kernelINS0_14default_configENS1_38merge_sort_block_merge_config_selectorIiNS0_10empty_typeEEEZZNS1_27merge_sort_block_merge_implIS3_N6thrust23THRUST_200600_302600_NS6detail15normal_iteratorINS9_10device_ptrIiEEEEPS5_m17evens_before_oddsEE10hipError_tT0_T1_T2_jT3_P12ihipStream_tbPNSt15iterator_traitsISI_E10value_typeEPNSO_ISJ_E10value_typeEPSK_NS1_7vsmem_tEENKUlT_SI_SJ_SK_E_clISE_PiSF_SF_EESH_SX_SI_SJ_SK_EUlSX_E0_NS1_11comp_targetILNS1_3genE4ELNS1_11target_archE910ELNS1_3gpuE8ELNS1_3repE0EEENS1_38merge_mergepath_config_static_selectorELNS0_4arch9wavefront6targetE0EEEvSJ_.has_indirect_call, 0
	.section	.AMDGPU.csdata,"",@progbits
; Kernel info:
; codeLenInByte = 0
; TotalNumSgprs: 0
; NumVgprs: 0
; ScratchSize: 0
; MemoryBound: 0
; FloatMode: 240
; IeeeMode: 1
; LDSByteSize: 0 bytes/workgroup (compile time only)
; SGPRBlocks: 0
; VGPRBlocks: 0
; NumSGPRsForWavesPerEU: 1
; NumVGPRsForWavesPerEU: 1
; Occupancy: 16
; WaveLimiterHint : 0
; COMPUTE_PGM_RSRC2:SCRATCH_EN: 0
; COMPUTE_PGM_RSRC2:USER_SGPR: 6
; COMPUTE_PGM_RSRC2:TRAP_HANDLER: 0
; COMPUTE_PGM_RSRC2:TGID_X_EN: 1
; COMPUTE_PGM_RSRC2:TGID_Y_EN: 0
; COMPUTE_PGM_RSRC2:TGID_Z_EN: 0
; COMPUTE_PGM_RSRC2:TIDIG_COMP_CNT: 0
	.section	.text._ZN7rocprim17ROCPRIM_400000_NS6detail17trampoline_kernelINS0_14default_configENS1_38merge_sort_block_merge_config_selectorIiNS0_10empty_typeEEEZZNS1_27merge_sort_block_merge_implIS3_N6thrust23THRUST_200600_302600_NS6detail15normal_iteratorINS9_10device_ptrIiEEEEPS5_m17evens_before_oddsEE10hipError_tT0_T1_T2_jT3_P12ihipStream_tbPNSt15iterator_traitsISI_E10value_typeEPNSO_ISJ_E10value_typeEPSK_NS1_7vsmem_tEENKUlT_SI_SJ_SK_E_clISE_PiSF_SF_EESH_SX_SI_SJ_SK_EUlSX_E0_NS1_11comp_targetILNS1_3genE3ELNS1_11target_archE908ELNS1_3gpuE7ELNS1_3repE0EEENS1_38merge_mergepath_config_static_selectorELNS0_4arch9wavefront6targetE0EEEvSJ_,"axG",@progbits,_ZN7rocprim17ROCPRIM_400000_NS6detail17trampoline_kernelINS0_14default_configENS1_38merge_sort_block_merge_config_selectorIiNS0_10empty_typeEEEZZNS1_27merge_sort_block_merge_implIS3_N6thrust23THRUST_200600_302600_NS6detail15normal_iteratorINS9_10device_ptrIiEEEEPS5_m17evens_before_oddsEE10hipError_tT0_T1_T2_jT3_P12ihipStream_tbPNSt15iterator_traitsISI_E10value_typeEPNSO_ISJ_E10value_typeEPSK_NS1_7vsmem_tEENKUlT_SI_SJ_SK_E_clISE_PiSF_SF_EESH_SX_SI_SJ_SK_EUlSX_E0_NS1_11comp_targetILNS1_3genE3ELNS1_11target_archE908ELNS1_3gpuE7ELNS1_3repE0EEENS1_38merge_mergepath_config_static_selectorELNS0_4arch9wavefront6targetE0EEEvSJ_,comdat
	.protected	_ZN7rocprim17ROCPRIM_400000_NS6detail17trampoline_kernelINS0_14default_configENS1_38merge_sort_block_merge_config_selectorIiNS0_10empty_typeEEEZZNS1_27merge_sort_block_merge_implIS3_N6thrust23THRUST_200600_302600_NS6detail15normal_iteratorINS9_10device_ptrIiEEEEPS5_m17evens_before_oddsEE10hipError_tT0_T1_T2_jT3_P12ihipStream_tbPNSt15iterator_traitsISI_E10value_typeEPNSO_ISJ_E10value_typeEPSK_NS1_7vsmem_tEENKUlT_SI_SJ_SK_E_clISE_PiSF_SF_EESH_SX_SI_SJ_SK_EUlSX_E0_NS1_11comp_targetILNS1_3genE3ELNS1_11target_archE908ELNS1_3gpuE7ELNS1_3repE0EEENS1_38merge_mergepath_config_static_selectorELNS0_4arch9wavefront6targetE0EEEvSJ_ ; -- Begin function _ZN7rocprim17ROCPRIM_400000_NS6detail17trampoline_kernelINS0_14default_configENS1_38merge_sort_block_merge_config_selectorIiNS0_10empty_typeEEEZZNS1_27merge_sort_block_merge_implIS3_N6thrust23THRUST_200600_302600_NS6detail15normal_iteratorINS9_10device_ptrIiEEEEPS5_m17evens_before_oddsEE10hipError_tT0_T1_T2_jT3_P12ihipStream_tbPNSt15iterator_traitsISI_E10value_typeEPNSO_ISJ_E10value_typeEPSK_NS1_7vsmem_tEENKUlT_SI_SJ_SK_E_clISE_PiSF_SF_EESH_SX_SI_SJ_SK_EUlSX_E0_NS1_11comp_targetILNS1_3genE3ELNS1_11target_archE908ELNS1_3gpuE7ELNS1_3repE0EEENS1_38merge_mergepath_config_static_selectorELNS0_4arch9wavefront6targetE0EEEvSJ_
	.globl	_ZN7rocprim17ROCPRIM_400000_NS6detail17trampoline_kernelINS0_14default_configENS1_38merge_sort_block_merge_config_selectorIiNS0_10empty_typeEEEZZNS1_27merge_sort_block_merge_implIS3_N6thrust23THRUST_200600_302600_NS6detail15normal_iteratorINS9_10device_ptrIiEEEEPS5_m17evens_before_oddsEE10hipError_tT0_T1_T2_jT3_P12ihipStream_tbPNSt15iterator_traitsISI_E10value_typeEPNSO_ISJ_E10value_typeEPSK_NS1_7vsmem_tEENKUlT_SI_SJ_SK_E_clISE_PiSF_SF_EESH_SX_SI_SJ_SK_EUlSX_E0_NS1_11comp_targetILNS1_3genE3ELNS1_11target_archE908ELNS1_3gpuE7ELNS1_3repE0EEENS1_38merge_mergepath_config_static_selectorELNS0_4arch9wavefront6targetE0EEEvSJ_
	.p2align	8
	.type	_ZN7rocprim17ROCPRIM_400000_NS6detail17trampoline_kernelINS0_14default_configENS1_38merge_sort_block_merge_config_selectorIiNS0_10empty_typeEEEZZNS1_27merge_sort_block_merge_implIS3_N6thrust23THRUST_200600_302600_NS6detail15normal_iteratorINS9_10device_ptrIiEEEEPS5_m17evens_before_oddsEE10hipError_tT0_T1_T2_jT3_P12ihipStream_tbPNSt15iterator_traitsISI_E10value_typeEPNSO_ISJ_E10value_typeEPSK_NS1_7vsmem_tEENKUlT_SI_SJ_SK_E_clISE_PiSF_SF_EESH_SX_SI_SJ_SK_EUlSX_E0_NS1_11comp_targetILNS1_3genE3ELNS1_11target_archE908ELNS1_3gpuE7ELNS1_3repE0EEENS1_38merge_mergepath_config_static_selectorELNS0_4arch9wavefront6targetE0EEEvSJ_,@function
_ZN7rocprim17ROCPRIM_400000_NS6detail17trampoline_kernelINS0_14default_configENS1_38merge_sort_block_merge_config_selectorIiNS0_10empty_typeEEEZZNS1_27merge_sort_block_merge_implIS3_N6thrust23THRUST_200600_302600_NS6detail15normal_iteratorINS9_10device_ptrIiEEEEPS5_m17evens_before_oddsEE10hipError_tT0_T1_T2_jT3_P12ihipStream_tbPNSt15iterator_traitsISI_E10value_typeEPNSO_ISJ_E10value_typeEPSK_NS1_7vsmem_tEENKUlT_SI_SJ_SK_E_clISE_PiSF_SF_EESH_SX_SI_SJ_SK_EUlSX_E0_NS1_11comp_targetILNS1_3genE3ELNS1_11target_archE908ELNS1_3gpuE7ELNS1_3repE0EEENS1_38merge_mergepath_config_static_selectorELNS0_4arch9wavefront6targetE0EEEvSJ_: ; @_ZN7rocprim17ROCPRIM_400000_NS6detail17trampoline_kernelINS0_14default_configENS1_38merge_sort_block_merge_config_selectorIiNS0_10empty_typeEEEZZNS1_27merge_sort_block_merge_implIS3_N6thrust23THRUST_200600_302600_NS6detail15normal_iteratorINS9_10device_ptrIiEEEEPS5_m17evens_before_oddsEE10hipError_tT0_T1_T2_jT3_P12ihipStream_tbPNSt15iterator_traitsISI_E10value_typeEPNSO_ISJ_E10value_typeEPSK_NS1_7vsmem_tEENKUlT_SI_SJ_SK_E_clISE_PiSF_SF_EESH_SX_SI_SJ_SK_EUlSX_E0_NS1_11comp_targetILNS1_3genE3ELNS1_11target_archE908ELNS1_3gpuE7ELNS1_3repE0EEENS1_38merge_mergepath_config_static_selectorELNS0_4arch9wavefront6targetE0EEEvSJ_
; %bb.0:
	.section	.rodata,"a",@progbits
	.p2align	6, 0x0
	.amdhsa_kernel _ZN7rocprim17ROCPRIM_400000_NS6detail17trampoline_kernelINS0_14default_configENS1_38merge_sort_block_merge_config_selectorIiNS0_10empty_typeEEEZZNS1_27merge_sort_block_merge_implIS3_N6thrust23THRUST_200600_302600_NS6detail15normal_iteratorINS9_10device_ptrIiEEEEPS5_m17evens_before_oddsEE10hipError_tT0_T1_T2_jT3_P12ihipStream_tbPNSt15iterator_traitsISI_E10value_typeEPNSO_ISJ_E10value_typeEPSK_NS1_7vsmem_tEENKUlT_SI_SJ_SK_E_clISE_PiSF_SF_EESH_SX_SI_SJ_SK_EUlSX_E0_NS1_11comp_targetILNS1_3genE3ELNS1_11target_archE908ELNS1_3gpuE7ELNS1_3repE0EEENS1_38merge_mergepath_config_static_selectorELNS0_4arch9wavefront6targetE0EEEvSJ_
		.amdhsa_group_segment_fixed_size 0
		.amdhsa_private_segment_fixed_size 0
		.amdhsa_kernarg_size 72
		.amdhsa_user_sgpr_count 6
		.amdhsa_user_sgpr_private_segment_buffer 1
		.amdhsa_user_sgpr_dispatch_ptr 0
		.amdhsa_user_sgpr_queue_ptr 0
		.amdhsa_user_sgpr_kernarg_segment_ptr 1
		.amdhsa_user_sgpr_dispatch_id 0
		.amdhsa_user_sgpr_flat_scratch_init 0
		.amdhsa_user_sgpr_private_segment_size 0
		.amdhsa_wavefront_size32 1
		.amdhsa_uses_dynamic_stack 0
		.amdhsa_system_sgpr_private_segment_wavefront_offset 0
		.amdhsa_system_sgpr_workgroup_id_x 1
		.amdhsa_system_sgpr_workgroup_id_y 0
		.amdhsa_system_sgpr_workgroup_id_z 0
		.amdhsa_system_sgpr_workgroup_info 0
		.amdhsa_system_vgpr_workitem_id 0
		.amdhsa_next_free_vgpr 1
		.amdhsa_next_free_sgpr 1
		.amdhsa_reserve_vcc 0
		.amdhsa_reserve_flat_scratch 0
		.amdhsa_float_round_mode_32 0
		.amdhsa_float_round_mode_16_64 0
		.amdhsa_float_denorm_mode_32 3
		.amdhsa_float_denorm_mode_16_64 3
		.amdhsa_dx10_clamp 1
		.amdhsa_ieee_mode 1
		.amdhsa_fp16_overflow 0
		.amdhsa_workgroup_processor_mode 1
		.amdhsa_memory_ordered 1
		.amdhsa_forward_progress 1
		.amdhsa_shared_vgpr_count 0
		.amdhsa_exception_fp_ieee_invalid_op 0
		.amdhsa_exception_fp_denorm_src 0
		.amdhsa_exception_fp_ieee_div_zero 0
		.amdhsa_exception_fp_ieee_overflow 0
		.amdhsa_exception_fp_ieee_underflow 0
		.amdhsa_exception_fp_ieee_inexact 0
		.amdhsa_exception_int_div_zero 0
	.end_amdhsa_kernel
	.section	.text._ZN7rocprim17ROCPRIM_400000_NS6detail17trampoline_kernelINS0_14default_configENS1_38merge_sort_block_merge_config_selectorIiNS0_10empty_typeEEEZZNS1_27merge_sort_block_merge_implIS3_N6thrust23THRUST_200600_302600_NS6detail15normal_iteratorINS9_10device_ptrIiEEEEPS5_m17evens_before_oddsEE10hipError_tT0_T1_T2_jT3_P12ihipStream_tbPNSt15iterator_traitsISI_E10value_typeEPNSO_ISJ_E10value_typeEPSK_NS1_7vsmem_tEENKUlT_SI_SJ_SK_E_clISE_PiSF_SF_EESH_SX_SI_SJ_SK_EUlSX_E0_NS1_11comp_targetILNS1_3genE3ELNS1_11target_archE908ELNS1_3gpuE7ELNS1_3repE0EEENS1_38merge_mergepath_config_static_selectorELNS0_4arch9wavefront6targetE0EEEvSJ_,"axG",@progbits,_ZN7rocprim17ROCPRIM_400000_NS6detail17trampoline_kernelINS0_14default_configENS1_38merge_sort_block_merge_config_selectorIiNS0_10empty_typeEEEZZNS1_27merge_sort_block_merge_implIS3_N6thrust23THRUST_200600_302600_NS6detail15normal_iteratorINS9_10device_ptrIiEEEEPS5_m17evens_before_oddsEE10hipError_tT0_T1_T2_jT3_P12ihipStream_tbPNSt15iterator_traitsISI_E10value_typeEPNSO_ISJ_E10value_typeEPSK_NS1_7vsmem_tEENKUlT_SI_SJ_SK_E_clISE_PiSF_SF_EESH_SX_SI_SJ_SK_EUlSX_E0_NS1_11comp_targetILNS1_3genE3ELNS1_11target_archE908ELNS1_3gpuE7ELNS1_3repE0EEENS1_38merge_mergepath_config_static_selectorELNS0_4arch9wavefront6targetE0EEEvSJ_,comdat
.Lfunc_end444:
	.size	_ZN7rocprim17ROCPRIM_400000_NS6detail17trampoline_kernelINS0_14default_configENS1_38merge_sort_block_merge_config_selectorIiNS0_10empty_typeEEEZZNS1_27merge_sort_block_merge_implIS3_N6thrust23THRUST_200600_302600_NS6detail15normal_iteratorINS9_10device_ptrIiEEEEPS5_m17evens_before_oddsEE10hipError_tT0_T1_T2_jT3_P12ihipStream_tbPNSt15iterator_traitsISI_E10value_typeEPNSO_ISJ_E10value_typeEPSK_NS1_7vsmem_tEENKUlT_SI_SJ_SK_E_clISE_PiSF_SF_EESH_SX_SI_SJ_SK_EUlSX_E0_NS1_11comp_targetILNS1_3genE3ELNS1_11target_archE908ELNS1_3gpuE7ELNS1_3repE0EEENS1_38merge_mergepath_config_static_selectorELNS0_4arch9wavefront6targetE0EEEvSJ_, .Lfunc_end444-_ZN7rocprim17ROCPRIM_400000_NS6detail17trampoline_kernelINS0_14default_configENS1_38merge_sort_block_merge_config_selectorIiNS0_10empty_typeEEEZZNS1_27merge_sort_block_merge_implIS3_N6thrust23THRUST_200600_302600_NS6detail15normal_iteratorINS9_10device_ptrIiEEEEPS5_m17evens_before_oddsEE10hipError_tT0_T1_T2_jT3_P12ihipStream_tbPNSt15iterator_traitsISI_E10value_typeEPNSO_ISJ_E10value_typeEPSK_NS1_7vsmem_tEENKUlT_SI_SJ_SK_E_clISE_PiSF_SF_EESH_SX_SI_SJ_SK_EUlSX_E0_NS1_11comp_targetILNS1_3genE3ELNS1_11target_archE908ELNS1_3gpuE7ELNS1_3repE0EEENS1_38merge_mergepath_config_static_selectorELNS0_4arch9wavefront6targetE0EEEvSJ_
                                        ; -- End function
	.set _ZN7rocprim17ROCPRIM_400000_NS6detail17trampoline_kernelINS0_14default_configENS1_38merge_sort_block_merge_config_selectorIiNS0_10empty_typeEEEZZNS1_27merge_sort_block_merge_implIS3_N6thrust23THRUST_200600_302600_NS6detail15normal_iteratorINS9_10device_ptrIiEEEEPS5_m17evens_before_oddsEE10hipError_tT0_T1_T2_jT3_P12ihipStream_tbPNSt15iterator_traitsISI_E10value_typeEPNSO_ISJ_E10value_typeEPSK_NS1_7vsmem_tEENKUlT_SI_SJ_SK_E_clISE_PiSF_SF_EESH_SX_SI_SJ_SK_EUlSX_E0_NS1_11comp_targetILNS1_3genE3ELNS1_11target_archE908ELNS1_3gpuE7ELNS1_3repE0EEENS1_38merge_mergepath_config_static_selectorELNS0_4arch9wavefront6targetE0EEEvSJ_.num_vgpr, 0
	.set _ZN7rocprim17ROCPRIM_400000_NS6detail17trampoline_kernelINS0_14default_configENS1_38merge_sort_block_merge_config_selectorIiNS0_10empty_typeEEEZZNS1_27merge_sort_block_merge_implIS3_N6thrust23THRUST_200600_302600_NS6detail15normal_iteratorINS9_10device_ptrIiEEEEPS5_m17evens_before_oddsEE10hipError_tT0_T1_T2_jT3_P12ihipStream_tbPNSt15iterator_traitsISI_E10value_typeEPNSO_ISJ_E10value_typeEPSK_NS1_7vsmem_tEENKUlT_SI_SJ_SK_E_clISE_PiSF_SF_EESH_SX_SI_SJ_SK_EUlSX_E0_NS1_11comp_targetILNS1_3genE3ELNS1_11target_archE908ELNS1_3gpuE7ELNS1_3repE0EEENS1_38merge_mergepath_config_static_selectorELNS0_4arch9wavefront6targetE0EEEvSJ_.num_agpr, 0
	.set _ZN7rocprim17ROCPRIM_400000_NS6detail17trampoline_kernelINS0_14default_configENS1_38merge_sort_block_merge_config_selectorIiNS0_10empty_typeEEEZZNS1_27merge_sort_block_merge_implIS3_N6thrust23THRUST_200600_302600_NS6detail15normal_iteratorINS9_10device_ptrIiEEEEPS5_m17evens_before_oddsEE10hipError_tT0_T1_T2_jT3_P12ihipStream_tbPNSt15iterator_traitsISI_E10value_typeEPNSO_ISJ_E10value_typeEPSK_NS1_7vsmem_tEENKUlT_SI_SJ_SK_E_clISE_PiSF_SF_EESH_SX_SI_SJ_SK_EUlSX_E0_NS1_11comp_targetILNS1_3genE3ELNS1_11target_archE908ELNS1_3gpuE7ELNS1_3repE0EEENS1_38merge_mergepath_config_static_selectorELNS0_4arch9wavefront6targetE0EEEvSJ_.numbered_sgpr, 0
	.set _ZN7rocprim17ROCPRIM_400000_NS6detail17trampoline_kernelINS0_14default_configENS1_38merge_sort_block_merge_config_selectorIiNS0_10empty_typeEEEZZNS1_27merge_sort_block_merge_implIS3_N6thrust23THRUST_200600_302600_NS6detail15normal_iteratorINS9_10device_ptrIiEEEEPS5_m17evens_before_oddsEE10hipError_tT0_T1_T2_jT3_P12ihipStream_tbPNSt15iterator_traitsISI_E10value_typeEPNSO_ISJ_E10value_typeEPSK_NS1_7vsmem_tEENKUlT_SI_SJ_SK_E_clISE_PiSF_SF_EESH_SX_SI_SJ_SK_EUlSX_E0_NS1_11comp_targetILNS1_3genE3ELNS1_11target_archE908ELNS1_3gpuE7ELNS1_3repE0EEENS1_38merge_mergepath_config_static_selectorELNS0_4arch9wavefront6targetE0EEEvSJ_.num_named_barrier, 0
	.set _ZN7rocprim17ROCPRIM_400000_NS6detail17trampoline_kernelINS0_14default_configENS1_38merge_sort_block_merge_config_selectorIiNS0_10empty_typeEEEZZNS1_27merge_sort_block_merge_implIS3_N6thrust23THRUST_200600_302600_NS6detail15normal_iteratorINS9_10device_ptrIiEEEEPS5_m17evens_before_oddsEE10hipError_tT0_T1_T2_jT3_P12ihipStream_tbPNSt15iterator_traitsISI_E10value_typeEPNSO_ISJ_E10value_typeEPSK_NS1_7vsmem_tEENKUlT_SI_SJ_SK_E_clISE_PiSF_SF_EESH_SX_SI_SJ_SK_EUlSX_E0_NS1_11comp_targetILNS1_3genE3ELNS1_11target_archE908ELNS1_3gpuE7ELNS1_3repE0EEENS1_38merge_mergepath_config_static_selectorELNS0_4arch9wavefront6targetE0EEEvSJ_.private_seg_size, 0
	.set _ZN7rocprim17ROCPRIM_400000_NS6detail17trampoline_kernelINS0_14default_configENS1_38merge_sort_block_merge_config_selectorIiNS0_10empty_typeEEEZZNS1_27merge_sort_block_merge_implIS3_N6thrust23THRUST_200600_302600_NS6detail15normal_iteratorINS9_10device_ptrIiEEEEPS5_m17evens_before_oddsEE10hipError_tT0_T1_T2_jT3_P12ihipStream_tbPNSt15iterator_traitsISI_E10value_typeEPNSO_ISJ_E10value_typeEPSK_NS1_7vsmem_tEENKUlT_SI_SJ_SK_E_clISE_PiSF_SF_EESH_SX_SI_SJ_SK_EUlSX_E0_NS1_11comp_targetILNS1_3genE3ELNS1_11target_archE908ELNS1_3gpuE7ELNS1_3repE0EEENS1_38merge_mergepath_config_static_selectorELNS0_4arch9wavefront6targetE0EEEvSJ_.uses_vcc, 0
	.set _ZN7rocprim17ROCPRIM_400000_NS6detail17trampoline_kernelINS0_14default_configENS1_38merge_sort_block_merge_config_selectorIiNS0_10empty_typeEEEZZNS1_27merge_sort_block_merge_implIS3_N6thrust23THRUST_200600_302600_NS6detail15normal_iteratorINS9_10device_ptrIiEEEEPS5_m17evens_before_oddsEE10hipError_tT0_T1_T2_jT3_P12ihipStream_tbPNSt15iterator_traitsISI_E10value_typeEPNSO_ISJ_E10value_typeEPSK_NS1_7vsmem_tEENKUlT_SI_SJ_SK_E_clISE_PiSF_SF_EESH_SX_SI_SJ_SK_EUlSX_E0_NS1_11comp_targetILNS1_3genE3ELNS1_11target_archE908ELNS1_3gpuE7ELNS1_3repE0EEENS1_38merge_mergepath_config_static_selectorELNS0_4arch9wavefront6targetE0EEEvSJ_.uses_flat_scratch, 0
	.set _ZN7rocprim17ROCPRIM_400000_NS6detail17trampoline_kernelINS0_14default_configENS1_38merge_sort_block_merge_config_selectorIiNS0_10empty_typeEEEZZNS1_27merge_sort_block_merge_implIS3_N6thrust23THRUST_200600_302600_NS6detail15normal_iteratorINS9_10device_ptrIiEEEEPS5_m17evens_before_oddsEE10hipError_tT0_T1_T2_jT3_P12ihipStream_tbPNSt15iterator_traitsISI_E10value_typeEPNSO_ISJ_E10value_typeEPSK_NS1_7vsmem_tEENKUlT_SI_SJ_SK_E_clISE_PiSF_SF_EESH_SX_SI_SJ_SK_EUlSX_E0_NS1_11comp_targetILNS1_3genE3ELNS1_11target_archE908ELNS1_3gpuE7ELNS1_3repE0EEENS1_38merge_mergepath_config_static_selectorELNS0_4arch9wavefront6targetE0EEEvSJ_.has_dyn_sized_stack, 0
	.set _ZN7rocprim17ROCPRIM_400000_NS6detail17trampoline_kernelINS0_14default_configENS1_38merge_sort_block_merge_config_selectorIiNS0_10empty_typeEEEZZNS1_27merge_sort_block_merge_implIS3_N6thrust23THRUST_200600_302600_NS6detail15normal_iteratorINS9_10device_ptrIiEEEEPS5_m17evens_before_oddsEE10hipError_tT0_T1_T2_jT3_P12ihipStream_tbPNSt15iterator_traitsISI_E10value_typeEPNSO_ISJ_E10value_typeEPSK_NS1_7vsmem_tEENKUlT_SI_SJ_SK_E_clISE_PiSF_SF_EESH_SX_SI_SJ_SK_EUlSX_E0_NS1_11comp_targetILNS1_3genE3ELNS1_11target_archE908ELNS1_3gpuE7ELNS1_3repE0EEENS1_38merge_mergepath_config_static_selectorELNS0_4arch9wavefront6targetE0EEEvSJ_.has_recursion, 0
	.set _ZN7rocprim17ROCPRIM_400000_NS6detail17trampoline_kernelINS0_14default_configENS1_38merge_sort_block_merge_config_selectorIiNS0_10empty_typeEEEZZNS1_27merge_sort_block_merge_implIS3_N6thrust23THRUST_200600_302600_NS6detail15normal_iteratorINS9_10device_ptrIiEEEEPS5_m17evens_before_oddsEE10hipError_tT0_T1_T2_jT3_P12ihipStream_tbPNSt15iterator_traitsISI_E10value_typeEPNSO_ISJ_E10value_typeEPSK_NS1_7vsmem_tEENKUlT_SI_SJ_SK_E_clISE_PiSF_SF_EESH_SX_SI_SJ_SK_EUlSX_E0_NS1_11comp_targetILNS1_3genE3ELNS1_11target_archE908ELNS1_3gpuE7ELNS1_3repE0EEENS1_38merge_mergepath_config_static_selectorELNS0_4arch9wavefront6targetE0EEEvSJ_.has_indirect_call, 0
	.section	.AMDGPU.csdata,"",@progbits
; Kernel info:
; codeLenInByte = 0
; TotalNumSgprs: 0
; NumVgprs: 0
; ScratchSize: 0
; MemoryBound: 0
; FloatMode: 240
; IeeeMode: 1
; LDSByteSize: 0 bytes/workgroup (compile time only)
; SGPRBlocks: 0
; VGPRBlocks: 0
; NumSGPRsForWavesPerEU: 1
; NumVGPRsForWavesPerEU: 1
; Occupancy: 16
; WaveLimiterHint : 0
; COMPUTE_PGM_RSRC2:SCRATCH_EN: 0
; COMPUTE_PGM_RSRC2:USER_SGPR: 6
; COMPUTE_PGM_RSRC2:TRAP_HANDLER: 0
; COMPUTE_PGM_RSRC2:TGID_X_EN: 1
; COMPUTE_PGM_RSRC2:TGID_Y_EN: 0
; COMPUTE_PGM_RSRC2:TGID_Z_EN: 0
; COMPUTE_PGM_RSRC2:TIDIG_COMP_CNT: 0
	.section	.text._ZN7rocprim17ROCPRIM_400000_NS6detail17trampoline_kernelINS0_14default_configENS1_38merge_sort_block_merge_config_selectorIiNS0_10empty_typeEEEZZNS1_27merge_sort_block_merge_implIS3_N6thrust23THRUST_200600_302600_NS6detail15normal_iteratorINS9_10device_ptrIiEEEEPS5_m17evens_before_oddsEE10hipError_tT0_T1_T2_jT3_P12ihipStream_tbPNSt15iterator_traitsISI_E10value_typeEPNSO_ISJ_E10value_typeEPSK_NS1_7vsmem_tEENKUlT_SI_SJ_SK_E_clISE_PiSF_SF_EESH_SX_SI_SJ_SK_EUlSX_E0_NS1_11comp_targetILNS1_3genE2ELNS1_11target_archE906ELNS1_3gpuE6ELNS1_3repE0EEENS1_38merge_mergepath_config_static_selectorELNS0_4arch9wavefront6targetE0EEEvSJ_,"axG",@progbits,_ZN7rocprim17ROCPRIM_400000_NS6detail17trampoline_kernelINS0_14default_configENS1_38merge_sort_block_merge_config_selectorIiNS0_10empty_typeEEEZZNS1_27merge_sort_block_merge_implIS3_N6thrust23THRUST_200600_302600_NS6detail15normal_iteratorINS9_10device_ptrIiEEEEPS5_m17evens_before_oddsEE10hipError_tT0_T1_T2_jT3_P12ihipStream_tbPNSt15iterator_traitsISI_E10value_typeEPNSO_ISJ_E10value_typeEPSK_NS1_7vsmem_tEENKUlT_SI_SJ_SK_E_clISE_PiSF_SF_EESH_SX_SI_SJ_SK_EUlSX_E0_NS1_11comp_targetILNS1_3genE2ELNS1_11target_archE906ELNS1_3gpuE6ELNS1_3repE0EEENS1_38merge_mergepath_config_static_selectorELNS0_4arch9wavefront6targetE0EEEvSJ_,comdat
	.protected	_ZN7rocprim17ROCPRIM_400000_NS6detail17trampoline_kernelINS0_14default_configENS1_38merge_sort_block_merge_config_selectorIiNS0_10empty_typeEEEZZNS1_27merge_sort_block_merge_implIS3_N6thrust23THRUST_200600_302600_NS6detail15normal_iteratorINS9_10device_ptrIiEEEEPS5_m17evens_before_oddsEE10hipError_tT0_T1_T2_jT3_P12ihipStream_tbPNSt15iterator_traitsISI_E10value_typeEPNSO_ISJ_E10value_typeEPSK_NS1_7vsmem_tEENKUlT_SI_SJ_SK_E_clISE_PiSF_SF_EESH_SX_SI_SJ_SK_EUlSX_E0_NS1_11comp_targetILNS1_3genE2ELNS1_11target_archE906ELNS1_3gpuE6ELNS1_3repE0EEENS1_38merge_mergepath_config_static_selectorELNS0_4arch9wavefront6targetE0EEEvSJ_ ; -- Begin function _ZN7rocprim17ROCPRIM_400000_NS6detail17trampoline_kernelINS0_14default_configENS1_38merge_sort_block_merge_config_selectorIiNS0_10empty_typeEEEZZNS1_27merge_sort_block_merge_implIS3_N6thrust23THRUST_200600_302600_NS6detail15normal_iteratorINS9_10device_ptrIiEEEEPS5_m17evens_before_oddsEE10hipError_tT0_T1_T2_jT3_P12ihipStream_tbPNSt15iterator_traitsISI_E10value_typeEPNSO_ISJ_E10value_typeEPSK_NS1_7vsmem_tEENKUlT_SI_SJ_SK_E_clISE_PiSF_SF_EESH_SX_SI_SJ_SK_EUlSX_E0_NS1_11comp_targetILNS1_3genE2ELNS1_11target_archE906ELNS1_3gpuE6ELNS1_3repE0EEENS1_38merge_mergepath_config_static_selectorELNS0_4arch9wavefront6targetE0EEEvSJ_
	.globl	_ZN7rocprim17ROCPRIM_400000_NS6detail17trampoline_kernelINS0_14default_configENS1_38merge_sort_block_merge_config_selectorIiNS0_10empty_typeEEEZZNS1_27merge_sort_block_merge_implIS3_N6thrust23THRUST_200600_302600_NS6detail15normal_iteratorINS9_10device_ptrIiEEEEPS5_m17evens_before_oddsEE10hipError_tT0_T1_T2_jT3_P12ihipStream_tbPNSt15iterator_traitsISI_E10value_typeEPNSO_ISJ_E10value_typeEPSK_NS1_7vsmem_tEENKUlT_SI_SJ_SK_E_clISE_PiSF_SF_EESH_SX_SI_SJ_SK_EUlSX_E0_NS1_11comp_targetILNS1_3genE2ELNS1_11target_archE906ELNS1_3gpuE6ELNS1_3repE0EEENS1_38merge_mergepath_config_static_selectorELNS0_4arch9wavefront6targetE0EEEvSJ_
	.p2align	8
	.type	_ZN7rocprim17ROCPRIM_400000_NS6detail17trampoline_kernelINS0_14default_configENS1_38merge_sort_block_merge_config_selectorIiNS0_10empty_typeEEEZZNS1_27merge_sort_block_merge_implIS3_N6thrust23THRUST_200600_302600_NS6detail15normal_iteratorINS9_10device_ptrIiEEEEPS5_m17evens_before_oddsEE10hipError_tT0_T1_T2_jT3_P12ihipStream_tbPNSt15iterator_traitsISI_E10value_typeEPNSO_ISJ_E10value_typeEPSK_NS1_7vsmem_tEENKUlT_SI_SJ_SK_E_clISE_PiSF_SF_EESH_SX_SI_SJ_SK_EUlSX_E0_NS1_11comp_targetILNS1_3genE2ELNS1_11target_archE906ELNS1_3gpuE6ELNS1_3repE0EEENS1_38merge_mergepath_config_static_selectorELNS0_4arch9wavefront6targetE0EEEvSJ_,@function
_ZN7rocprim17ROCPRIM_400000_NS6detail17trampoline_kernelINS0_14default_configENS1_38merge_sort_block_merge_config_selectorIiNS0_10empty_typeEEEZZNS1_27merge_sort_block_merge_implIS3_N6thrust23THRUST_200600_302600_NS6detail15normal_iteratorINS9_10device_ptrIiEEEEPS5_m17evens_before_oddsEE10hipError_tT0_T1_T2_jT3_P12ihipStream_tbPNSt15iterator_traitsISI_E10value_typeEPNSO_ISJ_E10value_typeEPSK_NS1_7vsmem_tEENKUlT_SI_SJ_SK_E_clISE_PiSF_SF_EESH_SX_SI_SJ_SK_EUlSX_E0_NS1_11comp_targetILNS1_3genE2ELNS1_11target_archE906ELNS1_3gpuE6ELNS1_3repE0EEENS1_38merge_mergepath_config_static_selectorELNS0_4arch9wavefront6targetE0EEEvSJ_: ; @_ZN7rocprim17ROCPRIM_400000_NS6detail17trampoline_kernelINS0_14default_configENS1_38merge_sort_block_merge_config_selectorIiNS0_10empty_typeEEEZZNS1_27merge_sort_block_merge_implIS3_N6thrust23THRUST_200600_302600_NS6detail15normal_iteratorINS9_10device_ptrIiEEEEPS5_m17evens_before_oddsEE10hipError_tT0_T1_T2_jT3_P12ihipStream_tbPNSt15iterator_traitsISI_E10value_typeEPNSO_ISJ_E10value_typeEPSK_NS1_7vsmem_tEENKUlT_SI_SJ_SK_E_clISE_PiSF_SF_EESH_SX_SI_SJ_SK_EUlSX_E0_NS1_11comp_targetILNS1_3genE2ELNS1_11target_archE906ELNS1_3gpuE6ELNS1_3repE0EEENS1_38merge_mergepath_config_static_selectorELNS0_4arch9wavefront6targetE0EEEvSJ_
; %bb.0:
	.section	.rodata,"a",@progbits
	.p2align	6, 0x0
	.amdhsa_kernel _ZN7rocprim17ROCPRIM_400000_NS6detail17trampoline_kernelINS0_14default_configENS1_38merge_sort_block_merge_config_selectorIiNS0_10empty_typeEEEZZNS1_27merge_sort_block_merge_implIS3_N6thrust23THRUST_200600_302600_NS6detail15normal_iteratorINS9_10device_ptrIiEEEEPS5_m17evens_before_oddsEE10hipError_tT0_T1_T2_jT3_P12ihipStream_tbPNSt15iterator_traitsISI_E10value_typeEPNSO_ISJ_E10value_typeEPSK_NS1_7vsmem_tEENKUlT_SI_SJ_SK_E_clISE_PiSF_SF_EESH_SX_SI_SJ_SK_EUlSX_E0_NS1_11comp_targetILNS1_3genE2ELNS1_11target_archE906ELNS1_3gpuE6ELNS1_3repE0EEENS1_38merge_mergepath_config_static_selectorELNS0_4arch9wavefront6targetE0EEEvSJ_
		.amdhsa_group_segment_fixed_size 0
		.amdhsa_private_segment_fixed_size 0
		.amdhsa_kernarg_size 72
		.amdhsa_user_sgpr_count 6
		.amdhsa_user_sgpr_private_segment_buffer 1
		.amdhsa_user_sgpr_dispatch_ptr 0
		.amdhsa_user_sgpr_queue_ptr 0
		.amdhsa_user_sgpr_kernarg_segment_ptr 1
		.amdhsa_user_sgpr_dispatch_id 0
		.amdhsa_user_sgpr_flat_scratch_init 0
		.amdhsa_user_sgpr_private_segment_size 0
		.amdhsa_wavefront_size32 1
		.amdhsa_uses_dynamic_stack 0
		.amdhsa_system_sgpr_private_segment_wavefront_offset 0
		.amdhsa_system_sgpr_workgroup_id_x 1
		.amdhsa_system_sgpr_workgroup_id_y 0
		.amdhsa_system_sgpr_workgroup_id_z 0
		.amdhsa_system_sgpr_workgroup_info 0
		.amdhsa_system_vgpr_workitem_id 0
		.amdhsa_next_free_vgpr 1
		.amdhsa_next_free_sgpr 1
		.amdhsa_reserve_vcc 0
		.amdhsa_reserve_flat_scratch 0
		.amdhsa_float_round_mode_32 0
		.amdhsa_float_round_mode_16_64 0
		.amdhsa_float_denorm_mode_32 3
		.amdhsa_float_denorm_mode_16_64 3
		.amdhsa_dx10_clamp 1
		.amdhsa_ieee_mode 1
		.amdhsa_fp16_overflow 0
		.amdhsa_workgroup_processor_mode 1
		.amdhsa_memory_ordered 1
		.amdhsa_forward_progress 1
		.amdhsa_shared_vgpr_count 0
		.amdhsa_exception_fp_ieee_invalid_op 0
		.amdhsa_exception_fp_denorm_src 0
		.amdhsa_exception_fp_ieee_div_zero 0
		.amdhsa_exception_fp_ieee_overflow 0
		.amdhsa_exception_fp_ieee_underflow 0
		.amdhsa_exception_fp_ieee_inexact 0
		.amdhsa_exception_int_div_zero 0
	.end_amdhsa_kernel
	.section	.text._ZN7rocprim17ROCPRIM_400000_NS6detail17trampoline_kernelINS0_14default_configENS1_38merge_sort_block_merge_config_selectorIiNS0_10empty_typeEEEZZNS1_27merge_sort_block_merge_implIS3_N6thrust23THRUST_200600_302600_NS6detail15normal_iteratorINS9_10device_ptrIiEEEEPS5_m17evens_before_oddsEE10hipError_tT0_T1_T2_jT3_P12ihipStream_tbPNSt15iterator_traitsISI_E10value_typeEPNSO_ISJ_E10value_typeEPSK_NS1_7vsmem_tEENKUlT_SI_SJ_SK_E_clISE_PiSF_SF_EESH_SX_SI_SJ_SK_EUlSX_E0_NS1_11comp_targetILNS1_3genE2ELNS1_11target_archE906ELNS1_3gpuE6ELNS1_3repE0EEENS1_38merge_mergepath_config_static_selectorELNS0_4arch9wavefront6targetE0EEEvSJ_,"axG",@progbits,_ZN7rocprim17ROCPRIM_400000_NS6detail17trampoline_kernelINS0_14default_configENS1_38merge_sort_block_merge_config_selectorIiNS0_10empty_typeEEEZZNS1_27merge_sort_block_merge_implIS3_N6thrust23THRUST_200600_302600_NS6detail15normal_iteratorINS9_10device_ptrIiEEEEPS5_m17evens_before_oddsEE10hipError_tT0_T1_T2_jT3_P12ihipStream_tbPNSt15iterator_traitsISI_E10value_typeEPNSO_ISJ_E10value_typeEPSK_NS1_7vsmem_tEENKUlT_SI_SJ_SK_E_clISE_PiSF_SF_EESH_SX_SI_SJ_SK_EUlSX_E0_NS1_11comp_targetILNS1_3genE2ELNS1_11target_archE906ELNS1_3gpuE6ELNS1_3repE0EEENS1_38merge_mergepath_config_static_selectorELNS0_4arch9wavefront6targetE0EEEvSJ_,comdat
.Lfunc_end445:
	.size	_ZN7rocprim17ROCPRIM_400000_NS6detail17trampoline_kernelINS0_14default_configENS1_38merge_sort_block_merge_config_selectorIiNS0_10empty_typeEEEZZNS1_27merge_sort_block_merge_implIS3_N6thrust23THRUST_200600_302600_NS6detail15normal_iteratorINS9_10device_ptrIiEEEEPS5_m17evens_before_oddsEE10hipError_tT0_T1_T2_jT3_P12ihipStream_tbPNSt15iterator_traitsISI_E10value_typeEPNSO_ISJ_E10value_typeEPSK_NS1_7vsmem_tEENKUlT_SI_SJ_SK_E_clISE_PiSF_SF_EESH_SX_SI_SJ_SK_EUlSX_E0_NS1_11comp_targetILNS1_3genE2ELNS1_11target_archE906ELNS1_3gpuE6ELNS1_3repE0EEENS1_38merge_mergepath_config_static_selectorELNS0_4arch9wavefront6targetE0EEEvSJ_, .Lfunc_end445-_ZN7rocprim17ROCPRIM_400000_NS6detail17trampoline_kernelINS0_14default_configENS1_38merge_sort_block_merge_config_selectorIiNS0_10empty_typeEEEZZNS1_27merge_sort_block_merge_implIS3_N6thrust23THRUST_200600_302600_NS6detail15normal_iteratorINS9_10device_ptrIiEEEEPS5_m17evens_before_oddsEE10hipError_tT0_T1_T2_jT3_P12ihipStream_tbPNSt15iterator_traitsISI_E10value_typeEPNSO_ISJ_E10value_typeEPSK_NS1_7vsmem_tEENKUlT_SI_SJ_SK_E_clISE_PiSF_SF_EESH_SX_SI_SJ_SK_EUlSX_E0_NS1_11comp_targetILNS1_3genE2ELNS1_11target_archE906ELNS1_3gpuE6ELNS1_3repE0EEENS1_38merge_mergepath_config_static_selectorELNS0_4arch9wavefront6targetE0EEEvSJ_
                                        ; -- End function
	.set _ZN7rocprim17ROCPRIM_400000_NS6detail17trampoline_kernelINS0_14default_configENS1_38merge_sort_block_merge_config_selectorIiNS0_10empty_typeEEEZZNS1_27merge_sort_block_merge_implIS3_N6thrust23THRUST_200600_302600_NS6detail15normal_iteratorINS9_10device_ptrIiEEEEPS5_m17evens_before_oddsEE10hipError_tT0_T1_T2_jT3_P12ihipStream_tbPNSt15iterator_traitsISI_E10value_typeEPNSO_ISJ_E10value_typeEPSK_NS1_7vsmem_tEENKUlT_SI_SJ_SK_E_clISE_PiSF_SF_EESH_SX_SI_SJ_SK_EUlSX_E0_NS1_11comp_targetILNS1_3genE2ELNS1_11target_archE906ELNS1_3gpuE6ELNS1_3repE0EEENS1_38merge_mergepath_config_static_selectorELNS0_4arch9wavefront6targetE0EEEvSJ_.num_vgpr, 0
	.set _ZN7rocprim17ROCPRIM_400000_NS6detail17trampoline_kernelINS0_14default_configENS1_38merge_sort_block_merge_config_selectorIiNS0_10empty_typeEEEZZNS1_27merge_sort_block_merge_implIS3_N6thrust23THRUST_200600_302600_NS6detail15normal_iteratorINS9_10device_ptrIiEEEEPS5_m17evens_before_oddsEE10hipError_tT0_T1_T2_jT3_P12ihipStream_tbPNSt15iterator_traitsISI_E10value_typeEPNSO_ISJ_E10value_typeEPSK_NS1_7vsmem_tEENKUlT_SI_SJ_SK_E_clISE_PiSF_SF_EESH_SX_SI_SJ_SK_EUlSX_E0_NS1_11comp_targetILNS1_3genE2ELNS1_11target_archE906ELNS1_3gpuE6ELNS1_3repE0EEENS1_38merge_mergepath_config_static_selectorELNS0_4arch9wavefront6targetE0EEEvSJ_.num_agpr, 0
	.set _ZN7rocprim17ROCPRIM_400000_NS6detail17trampoline_kernelINS0_14default_configENS1_38merge_sort_block_merge_config_selectorIiNS0_10empty_typeEEEZZNS1_27merge_sort_block_merge_implIS3_N6thrust23THRUST_200600_302600_NS6detail15normal_iteratorINS9_10device_ptrIiEEEEPS5_m17evens_before_oddsEE10hipError_tT0_T1_T2_jT3_P12ihipStream_tbPNSt15iterator_traitsISI_E10value_typeEPNSO_ISJ_E10value_typeEPSK_NS1_7vsmem_tEENKUlT_SI_SJ_SK_E_clISE_PiSF_SF_EESH_SX_SI_SJ_SK_EUlSX_E0_NS1_11comp_targetILNS1_3genE2ELNS1_11target_archE906ELNS1_3gpuE6ELNS1_3repE0EEENS1_38merge_mergepath_config_static_selectorELNS0_4arch9wavefront6targetE0EEEvSJ_.numbered_sgpr, 0
	.set _ZN7rocprim17ROCPRIM_400000_NS6detail17trampoline_kernelINS0_14default_configENS1_38merge_sort_block_merge_config_selectorIiNS0_10empty_typeEEEZZNS1_27merge_sort_block_merge_implIS3_N6thrust23THRUST_200600_302600_NS6detail15normal_iteratorINS9_10device_ptrIiEEEEPS5_m17evens_before_oddsEE10hipError_tT0_T1_T2_jT3_P12ihipStream_tbPNSt15iterator_traitsISI_E10value_typeEPNSO_ISJ_E10value_typeEPSK_NS1_7vsmem_tEENKUlT_SI_SJ_SK_E_clISE_PiSF_SF_EESH_SX_SI_SJ_SK_EUlSX_E0_NS1_11comp_targetILNS1_3genE2ELNS1_11target_archE906ELNS1_3gpuE6ELNS1_3repE0EEENS1_38merge_mergepath_config_static_selectorELNS0_4arch9wavefront6targetE0EEEvSJ_.num_named_barrier, 0
	.set _ZN7rocprim17ROCPRIM_400000_NS6detail17trampoline_kernelINS0_14default_configENS1_38merge_sort_block_merge_config_selectorIiNS0_10empty_typeEEEZZNS1_27merge_sort_block_merge_implIS3_N6thrust23THRUST_200600_302600_NS6detail15normal_iteratorINS9_10device_ptrIiEEEEPS5_m17evens_before_oddsEE10hipError_tT0_T1_T2_jT3_P12ihipStream_tbPNSt15iterator_traitsISI_E10value_typeEPNSO_ISJ_E10value_typeEPSK_NS1_7vsmem_tEENKUlT_SI_SJ_SK_E_clISE_PiSF_SF_EESH_SX_SI_SJ_SK_EUlSX_E0_NS1_11comp_targetILNS1_3genE2ELNS1_11target_archE906ELNS1_3gpuE6ELNS1_3repE0EEENS1_38merge_mergepath_config_static_selectorELNS0_4arch9wavefront6targetE0EEEvSJ_.private_seg_size, 0
	.set _ZN7rocprim17ROCPRIM_400000_NS6detail17trampoline_kernelINS0_14default_configENS1_38merge_sort_block_merge_config_selectorIiNS0_10empty_typeEEEZZNS1_27merge_sort_block_merge_implIS3_N6thrust23THRUST_200600_302600_NS6detail15normal_iteratorINS9_10device_ptrIiEEEEPS5_m17evens_before_oddsEE10hipError_tT0_T1_T2_jT3_P12ihipStream_tbPNSt15iterator_traitsISI_E10value_typeEPNSO_ISJ_E10value_typeEPSK_NS1_7vsmem_tEENKUlT_SI_SJ_SK_E_clISE_PiSF_SF_EESH_SX_SI_SJ_SK_EUlSX_E0_NS1_11comp_targetILNS1_3genE2ELNS1_11target_archE906ELNS1_3gpuE6ELNS1_3repE0EEENS1_38merge_mergepath_config_static_selectorELNS0_4arch9wavefront6targetE0EEEvSJ_.uses_vcc, 0
	.set _ZN7rocprim17ROCPRIM_400000_NS6detail17trampoline_kernelINS0_14default_configENS1_38merge_sort_block_merge_config_selectorIiNS0_10empty_typeEEEZZNS1_27merge_sort_block_merge_implIS3_N6thrust23THRUST_200600_302600_NS6detail15normal_iteratorINS9_10device_ptrIiEEEEPS5_m17evens_before_oddsEE10hipError_tT0_T1_T2_jT3_P12ihipStream_tbPNSt15iterator_traitsISI_E10value_typeEPNSO_ISJ_E10value_typeEPSK_NS1_7vsmem_tEENKUlT_SI_SJ_SK_E_clISE_PiSF_SF_EESH_SX_SI_SJ_SK_EUlSX_E0_NS1_11comp_targetILNS1_3genE2ELNS1_11target_archE906ELNS1_3gpuE6ELNS1_3repE0EEENS1_38merge_mergepath_config_static_selectorELNS0_4arch9wavefront6targetE0EEEvSJ_.uses_flat_scratch, 0
	.set _ZN7rocprim17ROCPRIM_400000_NS6detail17trampoline_kernelINS0_14default_configENS1_38merge_sort_block_merge_config_selectorIiNS0_10empty_typeEEEZZNS1_27merge_sort_block_merge_implIS3_N6thrust23THRUST_200600_302600_NS6detail15normal_iteratorINS9_10device_ptrIiEEEEPS5_m17evens_before_oddsEE10hipError_tT0_T1_T2_jT3_P12ihipStream_tbPNSt15iterator_traitsISI_E10value_typeEPNSO_ISJ_E10value_typeEPSK_NS1_7vsmem_tEENKUlT_SI_SJ_SK_E_clISE_PiSF_SF_EESH_SX_SI_SJ_SK_EUlSX_E0_NS1_11comp_targetILNS1_3genE2ELNS1_11target_archE906ELNS1_3gpuE6ELNS1_3repE0EEENS1_38merge_mergepath_config_static_selectorELNS0_4arch9wavefront6targetE0EEEvSJ_.has_dyn_sized_stack, 0
	.set _ZN7rocprim17ROCPRIM_400000_NS6detail17trampoline_kernelINS0_14default_configENS1_38merge_sort_block_merge_config_selectorIiNS0_10empty_typeEEEZZNS1_27merge_sort_block_merge_implIS3_N6thrust23THRUST_200600_302600_NS6detail15normal_iteratorINS9_10device_ptrIiEEEEPS5_m17evens_before_oddsEE10hipError_tT0_T1_T2_jT3_P12ihipStream_tbPNSt15iterator_traitsISI_E10value_typeEPNSO_ISJ_E10value_typeEPSK_NS1_7vsmem_tEENKUlT_SI_SJ_SK_E_clISE_PiSF_SF_EESH_SX_SI_SJ_SK_EUlSX_E0_NS1_11comp_targetILNS1_3genE2ELNS1_11target_archE906ELNS1_3gpuE6ELNS1_3repE0EEENS1_38merge_mergepath_config_static_selectorELNS0_4arch9wavefront6targetE0EEEvSJ_.has_recursion, 0
	.set _ZN7rocprim17ROCPRIM_400000_NS6detail17trampoline_kernelINS0_14default_configENS1_38merge_sort_block_merge_config_selectorIiNS0_10empty_typeEEEZZNS1_27merge_sort_block_merge_implIS3_N6thrust23THRUST_200600_302600_NS6detail15normal_iteratorINS9_10device_ptrIiEEEEPS5_m17evens_before_oddsEE10hipError_tT0_T1_T2_jT3_P12ihipStream_tbPNSt15iterator_traitsISI_E10value_typeEPNSO_ISJ_E10value_typeEPSK_NS1_7vsmem_tEENKUlT_SI_SJ_SK_E_clISE_PiSF_SF_EESH_SX_SI_SJ_SK_EUlSX_E0_NS1_11comp_targetILNS1_3genE2ELNS1_11target_archE906ELNS1_3gpuE6ELNS1_3repE0EEENS1_38merge_mergepath_config_static_selectorELNS0_4arch9wavefront6targetE0EEEvSJ_.has_indirect_call, 0
	.section	.AMDGPU.csdata,"",@progbits
; Kernel info:
; codeLenInByte = 0
; TotalNumSgprs: 0
; NumVgprs: 0
; ScratchSize: 0
; MemoryBound: 0
; FloatMode: 240
; IeeeMode: 1
; LDSByteSize: 0 bytes/workgroup (compile time only)
; SGPRBlocks: 0
; VGPRBlocks: 0
; NumSGPRsForWavesPerEU: 1
; NumVGPRsForWavesPerEU: 1
; Occupancy: 16
; WaveLimiterHint : 0
; COMPUTE_PGM_RSRC2:SCRATCH_EN: 0
; COMPUTE_PGM_RSRC2:USER_SGPR: 6
; COMPUTE_PGM_RSRC2:TRAP_HANDLER: 0
; COMPUTE_PGM_RSRC2:TGID_X_EN: 1
; COMPUTE_PGM_RSRC2:TGID_Y_EN: 0
; COMPUTE_PGM_RSRC2:TGID_Z_EN: 0
; COMPUTE_PGM_RSRC2:TIDIG_COMP_CNT: 0
	.section	.text._ZN7rocprim17ROCPRIM_400000_NS6detail17trampoline_kernelINS0_14default_configENS1_38merge_sort_block_merge_config_selectorIiNS0_10empty_typeEEEZZNS1_27merge_sort_block_merge_implIS3_N6thrust23THRUST_200600_302600_NS6detail15normal_iteratorINS9_10device_ptrIiEEEEPS5_m17evens_before_oddsEE10hipError_tT0_T1_T2_jT3_P12ihipStream_tbPNSt15iterator_traitsISI_E10value_typeEPNSO_ISJ_E10value_typeEPSK_NS1_7vsmem_tEENKUlT_SI_SJ_SK_E_clISE_PiSF_SF_EESH_SX_SI_SJ_SK_EUlSX_E0_NS1_11comp_targetILNS1_3genE9ELNS1_11target_archE1100ELNS1_3gpuE3ELNS1_3repE0EEENS1_38merge_mergepath_config_static_selectorELNS0_4arch9wavefront6targetE0EEEvSJ_,"axG",@progbits,_ZN7rocprim17ROCPRIM_400000_NS6detail17trampoline_kernelINS0_14default_configENS1_38merge_sort_block_merge_config_selectorIiNS0_10empty_typeEEEZZNS1_27merge_sort_block_merge_implIS3_N6thrust23THRUST_200600_302600_NS6detail15normal_iteratorINS9_10device_ptrIiEEEEPS5_m17evens_before_oddsEE10hipError_tT0_T1_T2_jT3_P12ihipStream_tbPNSt15iterator_traitsISI_E10value_typeEPNSO_ISJ_E10value_typeEPSK_NS1_7vsmem_tEENKUlT_SI_SJ_SK_E_clISE_PiSF_SF_EESH_SX_SI_SJ_SK_EUlSX_E0_NS1_11comp_targetILNS1_3genE9ELNS1_11target_archE1100ELNS1_3gpuE3ELNS1_3repE0EEENS1_38merge_mergepath_config_static_selectorELNS0_4arch9wavefront6targetE0EEEvSJ_,comdat
	.protected	_ZN7rocprim17ROCPRIM_400000_NS6detail17trampoline_kernelINS0_14default_configENS1_38merge_sort_block_merge_config_selectorIiNS0_10empty_typeEEEZZNS1_27merge_sort_block_merge_implIS3_N6thrust23THRUST_200600_302600_NS6detail15normal_iteratorINS9_10device_ptrIiEEEEPS5_m17evens_before_oddsEE10hipError_tT0_T1_T2_jT3_P12ihipStream_tbPNSt15iterator_traitsISI_E10value_typeEPNSO_ISJ_E10value_typeEPSK_NS1_7vsmem_tEENKUlT_SI_SJ_SK_E_clISE_PiSF_SF_EESH_SX_SI_SJ_SK_EUlSX_E0_NS1_11comp_targetILNS1_3genE9ELNS1_11target_archE1100ELNS1_3gpuE3ELNS1_3repE0EEENS1_38merge_mergepath_config_static_selectorELNS0_4arch9wavefront6targetE0EEEvSJ_ ; -- Begin function _ZN7rocprim17ROCPRIM_400000_NS6detail17trampoline_kernelINS0_14default_configENS1_38merge_sort_block_merge_config_selectorIiNS0_10empty_typeEEEZZNS1_27merge_sort_block_merge_implIS3_N6thrust23THRUST_200600_302600_NS6detail15normal_iteratorINS9_10device_ptrIiEEEEPS5_m17evens_before_oddsEE10hipError_tT0_T1_T2_jT3_P12ihipStream_tbPNSt15iterator_traitsISI_E10value_typeEPNSO_ISJ_E10value_typeEPSK_NS1_7vsmem_tEENKUlT_SI_SJ_SK_E_clISE_PiSF_SF_EESH_SX_SI_SJ_SK_EUlSX_E0_NS1_11comp_targetILNS1_3genE9ELNS1_11target_archE1100ELNS1_3gpuE3ELNS1_3repE0EEENS1_38merge_mergepath_config_static_selectorELNS0_4arch9wavefront6targetE0EEEvSJ_
	.globl	_ZN7rocprim17ROCPRIM_400000_NS6detail17trampoline_kernelINS0_14default_configENS1_38merge_sort_block_merge_config_selectorIiNS0_10empty_typeEEEZZNS1_27merge_sort_block_merge_implIS3_N6thrust23THRUST_200600_302600_NS6detail15normal_iteratorINS9_10device_ptrIiEEEEPS5_m17evens_before_oddsEE10hipError_tT0_T1_T2_jT3_P12ihipStream_tbPNSt15iterator_traitsISI_E10value_typeEPNSO_ISJ_E10value_typeEPSK_NS1_7vsmem_tEENKUlT_SI_SJ_SK_E_clISE_PiSF_SF_EESH_SX_SI_SJ_SK_EUlSX_E0_NS1_11comp_targetILNS1_3genE9ELNS1_11target_archE1100ELNS1_3gpuE3ELNS1_3repE0EEENS1_38merge_mergepath_config_static_selectorELNS0_4arch9wavefront6targetE0EEEvSJ_
	.p2align	8
	.type	_ZN7rocprim17ROCPRIM_400000_NS6detail17trampoline_kernelINS0_14default_configENS1_38merge_sort_block_merge_config_selectorIiNS0_10empty_typeEEEZZNS1_27merge_sort_block_merge_implIS3_N6thrust23THRUST_200600_302600_NS6detail15normal_iteratorINS9_10device_ptrIiEEEEPS5_m17evens_before_oddsEE10hipError_tT0_T1_T2_jT3_P12ihipStream_tbPNSt15iterator_traitsISI_E10value_typeEPNSO_ISJ_E10value_typeEPSK_NS1_7vsmem_tEENKUlT_SI_SJ_SK_E_clISE_PiSF_SF_EESH_SX_SI_SJ_SK_EUlSX_E0_NS1_11comp_targetILNS1_3genE9ELNS1_11target_archE1100ELNS1_3gpuE3ELNS1_3repE0EEENS1_38merge_mergepath_config_static_selectorELNS0_4arch9wavefront6targetE0EEEvSJ_,@function
_ZN7rocprim17ROCPRIM_400000_NS6detail17trampoline_kernelINS0_14default_configENS1_38merge_sort_block_merge_config_selectorIiNS0_10empty_typeEEEZZNS1_27merge_sort_block_merge_implIS3_N6thrust23THRUST_200600_302600_NS6detail15normal_iteratorINS9_10device_ptrIiEEEEPS5_m17evens_before_oddsEE10hipError_tT0_T1_T2_jT3_P12ihipStream_tbPNSt15iterator_traitsISI_E10value_typeEPNSO_ISJ_E10value_typeEPSK_NS1_7vsmem_tEENKUlT_SI_SJ_SK_E_clISE_PiSF_SF_EESH_SX_SI_SJ_SK_EUlSX_E0_NS1_11comp_targetILNS1_3genE9ELNS1_11target_archE1100ELNS1_3gpuE3ELNS1_3repE0EEENS1_38merge_mergepath_config_static_selectorELNS0_4arch9wavefront6targetE0EEEvSJ_: ; @_ZN7rocprim17ROCPRIM_400000_NS6detail17trampoline_kernelINS0_14default_configENS1_38merge_sort_block_merge_config_selectorIiNS0_10empty_typeEEEZZNS1_27merge_sort_block_merge_implIS3_N6thrust23THRUST_200600_302600_NS6detail15normal_iteratorINS9_10device_ptrIiEEEEPS5_m17evens_before_oddsEE10hipError_tT0_T1_T2_jT3_P12ihipStream_tbPNSt15iterator_traitsISI_E10value_typeEPNSO_ISJ_E10value_typeEPSK_NS1_7vsmem_tEENKUlT_SI_SJ_SK_E_clISE_PiSF_SF_EESH_SX_SI_SJ_SK_EUlSX_E0_NS1_11comp_targetILNS1_3genE9ELNS1_11target_archE1100ELNS1_3gpuE3ELNS1_3repE0EEENS1_38merge_mergepath_config_static_selectorELNS0_4arch9wavefront6targetE0EEEvSJ_
; %bb.0:
	.section	.rodata,"a",@progbits
	.p2align	6, 0x0
	.amdhsa_kernel _ZN7rocprim17ROCPRIM_400000_NS6detail17trampoline_kernelINS0_14default_configENS1_38merge_sort_block_merge_config_selectorIiNS0_10empty_typeEEEZZNS1_27merge_sort_block_merge_implIS3_N6thrust23THRUST_200600_302600_NS6detail15normal_iteratorINS9_10device_ptrIiEEEEPS5_m17evens_before_oddsEE10hipError_tT0_T1_T2_jT3_P12ihipStream_tbPNSt15iterator_traitsISI_E10value_typeEPNSO_ISJ_E10value_typeEPSK_NS1_7vsmem_tEENKUlT_SI_SJ_SK_E_clISE_PiSF_SF_EESH_SX_SI_SJ_SK_EUlSX_E0_NS1_11comp_targetILNS1_3genE9ELNS1_11target_archE1100ELNS1_3gpuE3ELNS1_3repE0EEENS1_38merge_mergepath_config_static_selectorELNS0_4arch9wavefront6targetE0EEEvSJ_
		.amdhsa_group_segment_fixed_size 0
		.amdhsa_private_segment_fixed_size 0
		.amdhsa_kernarg_size 72
		.amdhsa_user_sgpr_count 6
		.amdhsa_user_sgpr_private_segment_buffer 1
		.amdhsa_user_sgpr_dispatch_ptr 0
		.amdhsa_user_sgpr_queue_ptr 0
		.amdhsa_user_sgpr_kernarg_segment_ptr 1
		.amdhsa_user_sgpr_dispatch_id 0
		.amdhsa_user_sgpr_flat_scratch_init 0
		.amdhsa_user_sgpr_private_segment_size 0
		.amdhsa_wavefront_size32 1
		.amdhsa_uses_dynamic_stack 0
		.amdhsa_system_sgpr_private_segment_wavefront_offset 0
		.amdhsa_system_sgpr_workgroup_id_x 1
		.amdhsa_system_sgpr_workgroup_id_y 0
		.amdhsa_system_sgpr_workgroup_id_z 0
		.amdhsa_system_sgpr_workgroup_info 0
		.amdhsa_system_vgpr_workitem_id 0
		.amdhsa_next_free_vgpr 1
		.amdhsa_next_free_sgpr 1
		.amdhsa_reserve_vcc 0
		.amdhsa_reserve_flat_scratch 0
		.amdhsa_float_round_mode_32 0
		.amdhsa_float_round_mode_16_64 0
		.amdhsa_float_denorm_mode_32 3
		.amdhsa_float_denorm_mode_16_64 3
		.amdhsa_dx10_clamp 1
		.amdhsa_ieee_mode 1
		.amdhsa_fp16_overflow 0
		.amdhsa_workgroup_processor_mode 1
		.amdhsa_memory_ordered 1
		.amdhsa_forward_progress 1
		.amdhsa_shared_vgpr_count 0
		.amdhsa_exception_fp_ieee_invalid_op 0
		.amdhsa_exception_fp_denorm_src 0
		.amdhsa_exception_fp_ieee_div_zero 0
		.amdhsa_exception_fp_ieee_overflow 0
		.amdhsa_exception_fp_ieee_underflow 0
		.amdhsa_exception_fp_ieee_inexact 0
		.amdhsa_exception_int_div_zero 0
	.end_amdhsa_kernel
	.section	.text._ZN7rocprim17ROCPRIM_400000_NS6detail17trampoline_kernelINS0_14default_configENS1_38merge_sort_block_merge_config_selectorIiNS0_10empty_typeEEEZZNS1_27merge_sort_block_merge_implIS3_N6thrust23THRUST_200600_302600_NS6detail15normal_iteratorINS9_10device_ptrIiEEEEPS5_m17evens_before_oddsEE10hipError_tT0_T1_T2_jT3_P12ihipStream_tbPNSt15iterator_traitsISI_E10value_typeEPNSO_ISJ_E10value_typeEPSK_NS1_7vsmem_tEENKUlT_SI_SJ_SK_E_clISE_PiSF_SF_EESH_SX_SI_SJ_SK_EUlSX_E0_NS1_11comp_targetILNS1_3genE9ELNS1_11target_archE1100ELNS1_3gpuE3ELNS1_3repE0EEENS1_38merge_mergepath_config_static_selectorELNS0_4arch9wavefront6targetE0EEEvSJ_,"axG",@progbits,_ZN7rocprim17ROCPRIM_400000_NS6detail17trampoline_kernelINS0_14default_configENS1_38merge_sort_block_merge_config_selectorIiNS0_10empty_typeEEEZZNS1_27merge_sort_block_merge_implIS3_N6thrust23THRUST_200600_302600_NS6detail15normal_iteratorINS9_10device_ptrIiEEEEPS5_m17evens_before_oddsEE10hipError_tT0_T1_T2_jT3_P12ihipStream_tbPNSt15iterator_traitsISI_E10value_typeEPNSO_ISJ_E10value_typeEPSK_NS1_7vsmem_tEENKUlT_SI_SJ_SK_E_clISE_PiSF_SF_EESH_SX_SI_SJ_SK_EUlSX_E0_NS1_11comp_targetILNS1_3genE9ELNS1_11target_archE1100ELNS1_3gpuE3ELNS1_3repE0EEENS1_38merge_mergepath_config_static_selectorELNS0_4arch9wavefront6targetE0EEEvSJ_,comdat
.Lfunc_end446:
	.size	_ZN7rocprim17ROCPRIM_400000_NS6detail17trampoline_kernelINS0_14default_configENS1_38merge_sort_block_merge_config_selectorIiNS0_10empty_typeEEEZZNS1_27merge_sort_block_merge_implIS3_N6thrust23THRUST_200600_302600_NS6detail15normal_iteratorINS9_10device_ptrIiEEEEPS5_m17evens_before_oddsEE10hipError_tT0_T1_T2_jT3_P12ihipStream_tbPNSt15iterator_traitsISI_E10value_typeEPNSO_ISJ_E10value_typeEPSK_NS1_7vsmem_tEENKUlT_SI_SJ_SK_E_clISE_PiSF_SF_EESH_SX_SI_SJ_SK_EUlSX_E0_NS1_11comp_targetILNS1_3genE9ELNS1_11target_archE1100ELNS1_3gpuE3ELNS1_3repE0EEENS1_38merge_mergepath_config_static_selectorELNS0_4arch9wavefront6targetE0EEEvSJ_, .Lfunc_end446-_ZN7rocprim17ROCPRIM_400000_NS6detail17trampoline_kernelINS0_14default_configENS1_38merge_sort_block_merge_config_selectorIiNS0_10empty_typeEEEZZNS1_27merge_sort_block_merge_implIS3_N6thrust23THRUST_200600_302600_NS6detail15normal_iteratorINS9_10device_ptrIiEEEEPS5_m17evens_before_oddsEE10hipError_tT0_T1_T2_jT3_P12ihipStream_tbPNSt15iterator_traitsISI_E10value_typeEPNSO_ISJ_E10value_typeEPSK_NS1_7vsmem_tEENKUlT_SI_SJ_SK_E_clISE_PiSF_SF_EESH_SX_SI_SJ_SK_EUlSX_E0_NS1_11comp_targetILNS1_3genE9ELNS1_11target_archE1100ELNS1_3gpuE3ELNS1_3repE0EEENS1_38merge_mergepath_config_static_selectorELNS0_4arch9wavefront6targetE0EEEvSJ_
                                        ; -- End function
	.set _ZN7rocprim17ROCPRIM_400000_NS6detail17trampoline_kernelINS0_14default_configENS1_38merge_sort_block_merge_config_selectorIiNS0_10empty_typeEEEZZNS1_27merge_sort_block_merge_implIS3_N6thrust23THRUST_200600_302600_NS6detail15normal_iteratorINS9_10device_ptrIiEEEEPS5_m17evens_before_oddsEE10hipError_tT0_T1_T2_jT3_P12ihipStream_tbPNSt15iterator_traitsISI_E10value_typeEPNSO_ISJ_E10value_typeEPSK_NS1_7vsmem_tEENKUlT_SI_SJ_SK_E_clISE_PiSF_SF_EESH_SX_SI_SJ_SK_EUlSX_E0_NS1_11comp_targetILNS1_3genE9ELNS1_11target_archE1100ELNS1_3gpuE3ELNS1_3repE0EEENS1_38merge_mergepath_config_static_selectorELNS0_4arch9wavefront6targetE0EEEvSJ_.num_vgpr, 0
	.set _ZN7rocprim17ROCPRIM_400000_NS6detail17trampoline_kernelINS0_14default_configENS1_38merge_sort_block_merge_config_selectorIiNS0_10empty_typeEEEZZNS1_27merge_sort_block_merge_implIS3_N6thrust23THRUST_200600_302600_NS6detail15normal_iteratorINS9_10device_ptrIiEEEEPS5_m17evens_before_oddsEE10hipError_tT0_T1_T2_jT3_P12ihipStream_tbPNSt15iterator_traitsISI_E10value_typeEPNSO_ISJ_E10value_typeEPSK_NS1_7vsmem_tEENKUlT_SI_SJ_SK_E_clISE_PiSF_SF_EESH_SX_SI_SJ_SK_EUlSX_E0_NS1_11comp_targetILNS1_3genE9ELNS1_11target_archE1100ELNS1_3gpuE3ELNS1_3repE0EEENS1_38merge_mergepath_config_static_selectorELNS0_4arch9wavefront6targetE0EEEvSJ_.num_agpr, 0
	.set _ZN7rocprim17ROCPRIM_400000_NS6detail17trampoline_kernelINS0_14default_configENS1_38merge_sort_block_merge_config_selectorIiNS0_10empty_typeEEEZZNS1_27merge_sort_block_merge_implIS3_N6thrust23THRUST_200600_302600_NS6detail15normal_iteratorINS9_10device_ptrIiEEEEPS5_m17evens_before_oddsEE10hipError_tT0_T1_T2_jT3_P12ihipStream_tbPNSt15iterator_traitsISI_E10value_typeEPNSO_ISJ_E10value_typeEPSK_NS1_7vsmem_tEENKUlT_SI_SJ_SK_E_clISE_PiSF_SF_EESH_SX_SI_SJ_SK_EUlSX_E0_NS1_11comp_targetILNS1_3genE9ELNS1_11target_archE1100ELNS1_3gpuE3ELNS1_3repE0EEENS1_38merge_mergepath_config_static_selectorELNS0_4arch9wavefront6targetE0EEEvSJ_.numbered_sgpr, 0
	.set _ZN7rocprim17ROCPRIM_400000_NS6detail17trampoline_kernelINS0_14default_configENS1_38merge_sort_block_merge_config_selectorIiNS0_10empty_typeEEEZZNS1_27merge_sort_block_merge_implIS3_N6thrust23THRUST_200600_302600_NS6detail15normal_iteratorINS9_10device_ptrIiEEEEPS5_m17evens_before_oddsEE10hipError_tT0_T1_T2_jT3_P12ihipStream_tbPNSt15iterator_traitsISI_E10value_typeEPNSO_ISJ_E10value_typeEPSK_NS1_7vsmem_tEENKUlT_SI_SJ_SK_E_clISE_PiSF_SF_EESH_SX_SI_SJ_SK_EUlSX_E0_NS1_11comp_targetILNS1_3genE9ELNS1_11target_archE1100ELNS1_3gpuE3ELNS1_3repE0EEENS1_38merge_mergepath_config_static_selectorELNS0_4arch9wavefront6targetE0EEEvSJ_.num_named_barrier, 0
	.set _ZN7rocprim17ROCPRIM_400000_NS6detail17trampoline_kernelINS0_14default_configENS1_38merge_sort_block_merge_config_selectorIiNS0_10empty_typeEEEZZNS1_27merge_sort_block_merge_implIS3_N6thrust23THRUST_200600_302600_NS6detail15normal_iteratorINS9_10device_ptrIiEEEEPS5_m17evens_before_oddsEE10hipError_tT0_T1_T2_jT3_P12ihipStream_tbPNSt15iterator_traitsISI_E10value_typeEPNSO_ISJ_E10value_typeEPSK_NS1_7vsmem_tEENKUlT_SI_SJ_SK_E_clISE_PiSF_SF_EESH_SX_SI_SJ_SK_EUlSX_E0_NS1_11comp_targetILNS1_3genE9ELNS1_11target_archE1100ELNS1_3gpuE3ELNS1_3repE0EEENS1_38merge_mergepath_config_static_selectorELNS0_4arch9wavefront6targetE0EEEvSJ_.private_seg_size, 0
	.set _ZN7rocprim17ROCPRIM_400000_NS6detail17trampoline_kernelINS0_14default_configENS1_38merge_sort_block_merge_config_selectorIiNS0_10empty_typeEEEZZNS1_27merge_sort_block_merge_implIS3_N6thrust23THRUST_200600_302600_NS6detail15normal_iteratorINS9_10device_ptrIiEEEEPS5_m17evens_before_oddsEE10hipError_tT0_T1_T2_jT3_P12ihipStream_tbPNSt15iterator_traitsISI_E10value_typeEPNSO_ISJ_E10value_typeEPSK_NS1_7vsmem_tEENKUlT_SI_SJ_SK_E_clISE_PiSF_SF_EESH_SX_SI_SJ_SK_EUlSX_E0_NS1_11comp_targetILNS1_3genE9ELNS1_11target_archE1100ELNS1_3gpuE3ELNS1_3repE0EEENS1_38merge_mergepath_config_static_selectorELNS0_4arch9wavefront6targetE0EEEvSJ_.uses_vcc, 0
	.set _ZN7rocprim17ROCPRIM_400000_NS6detail17trampoline_kernelINS0_14default_configENS1_38merge_sort_block_merge_config_selectorIiNS0_10empty_typeEEEZZNS1_27merge_sort_block_merge_implIS3_N6thrust23THRUST_200600_302600_NS6detail15normal_iteratorINS9_10device_ptrIiEEEEPS5_m17evens_before_oddsEE10hipError_tT0_T1_T2_jT3_P12ihipStream_tbPNSt15iterator_traitsISI_E10value_typeEPNSO_ISJ_E10value_typeEPSK_NS1_7vsmem_tEENKUlT_SI_SJ_SK_E_clISE_PiSF_SF_EESH_SX_SI_SJ_SK_EUlSX_E0_NS1_11comp_targetILNS1_3genE9ELNS1_11target_archE1100ELNS1_3gpuE3ELNS1_3repE0EEENS1_38merge_mergepath_config_static_selectorELNS0_4arch9wavefront6targetE0EEEvSJ_.uses_flat_scratch, 0
	.set _ZN7rocprim17ROCPRIM_400000_NS6detail17trampoline_kernelINS0_14default_configENS1_38merge_sort_block_merge_config_selectorIiNS0_10empty_typeEEEZZNS1_27merge_sort_block_merge_implIS3_N6thrust23THRUST_200600_302600_NS6detail15normal_iteratorINS9_10device_ptrIiEEEEPS5_m17evens_before_oddsEE10hipError_tT0_T1_T2_jT3_P12ihipStream_tbPNSt15iterator_traitsISI_E10value_typeEPNSO_ISJ_E10value_typeEPSK_NS1_7vsmem_tEENKUlT_SI_SJ_SK_E_clISE_PiSF_SF_EESH_SX_SI_SJ_SK_EUlSX_E0_NS1_11comp_targetILNS1_3genE9ELNS1_11target_archE1100ELNS1_3gpuE3ELNS1_3repE0EEENS1_38merge_mergepath_config_static_selectorELNS0_4arch9wavefront6targetE0EEEvSJ_.has_dyn_sized_stack, 0
	.set _ZN7rocprim17ROCPRIM_400000_NS6detail17trampoline_kernelINS0_14default_configENS1_38merge_sort_block_merge_config_selectorIiNS0_10empty_typeEEEZZNS1_27merge_sort_block_merge_implIS3_N6thrust23THRUST_200600_302600_NS6detail15normal_iteratorINS9_10device_ptrIiEEEEPS5_m17evens_before_oddsEE10hipError_tT0_T1_T2_jT3_P12ihipStream_tbPNSt15iterator_traitsISI_E10value_typeEPNSO_ISJ_E10value_typeEPSK_NS1_7vsmem_tEENKUlT_SI_SJ_SK_E_clISE_PiSF_SF_EESH_SX_SI_SJ_SK_EUlSX_E0_NS1_11comp_targetILNS1_3genE9ELNS1_11target_archE1100ELNS1_3gpuE3ELNS1_3repE0EEENS1_38merge_mergepath_config_static_selectorELNS0_4arch9wavefront6targetE0EEEvSJ_.has_recursion, 0
	.set _ZN7rocprim17ROCPRIM_400000_NS6detail17trampoline_kernelINS0_14default_configENS1_38merge_sort_block_merge_config_selectorIiNS0_10empty_typeEEEZZNS1_27merge_sort_block_merge_implIS3_N6thrust23THRUST_200600_302600_NS6detail15normal_iteratorINS9_10device_ptrIiEEEEPS5_m17evens_before_oddsEE10hipError_tT0_T1_T2_jT3_P12ihipStream_tbPNSt15iterator_traitsISI_E10value_typeEPNSO_ISJ_E10value_typeEPSK_NS1_7vsmem_tEENKUlT_SI_SJ_SK_E_clISE_PiSF_SF_EESH_SX_SI_SJ_SK_EUlSX_E0_NS1_11comp_targetILNS1_3genE9ELNS1_11target_archE1100ELNS1_3gpuE3ELNS1_3repE0EEENS1_38merge_mergepath_config_static_selectorELNS0_4arch9wavefront6targetE0EEEvSJ_.has_indirect_call, 0
	.section	.AMDGPU.csdata,"",@progbits
; Kernel info:
; codeLenInByte = 0
; TotalNumSgprs: 0
; NumVgprs: 0
; ScratchSize: 0
; MemoryBound: 0
; FloatMode: 240
; IeeeMode: 1
; LDSByteSize: 0 bytes/workgroup (compile time only)
; SGPRBlocks: 0
; VGPRBlocks: 0
; NumSGPRsForWavesPerEU: 1
; NumVGPRsForWavesPerEU: 1
; Occupancy: 16
; WaveLimiterHint : 0
; COMPUTE_PGM_RSRC2:SCRATCH_EN: 0
; COMPUTE_PGM_RSRC2:USER_SGPR: 6
; COMPUTE_PGM_RSRC2:TRAP_HANDLER: 0
; COMPUTE_PGM_RSRC2:TGID_X_EN: 1
; COMPUTE_PGM_RSRC2:TGID_Y_EN: 0
; COMPUTE_PGM_RSRC2:TGID_Z_EN: 0
; COMPUTE_PGM_RSRC2:TIDIG_COMP_CNT: 0
	.section	.text._ZN7rocprim17ROCPRIM_400000_NS6detail17trampoline_kernelINS0_14default_configENS1_38merge_sort_block_merge_config_selectorIiNS0_10empty_typeEEEZZNS1_27merge_sort_block_merge_implIS3_N6thrust23THRUST_200600_302600_NS6detail15normal_iteratorINS9_10device_ptrIiEEEEPS5_m17evens_before_oddsEE10hipError_tT0_T1_T2_jT3_P12ihipStream_tbPNSt15iterator_traitsISI_E10value_typeEPNSO_ISJ_E10value_typeEPSK_NS1_7vsmem_tEENKUlT_SI_SJ_SK_E_clISE_PiSF_SF_EESH_SX_SI_SJ_SK_EUlSX_E0_NS1_11comp_targetILNS1_3genE8ELNS1_11target_archE1030ELNS1_3gpuE2ELNS1_3repE0EEENS1_38merge_mergepath_config_static_selectorELNS0_4arch9wavefront6targetE0EEEvSJ_,"axG",@progbits,_ZN7rocprim17ROCPRIM_400000_NS6detail17trampoline_kernelINS0_14default_configENS1_38merge_sort_block_merge_config_selectorIiNS0_10empty_typeEEEZZNS1_27merge_sort_block_merge_implIS3_N6thrust23THRUST_200600_302600_NS6detail15normal_iteratorINS9_10device_ptrIiEEEEPS5_m17evens_before_oddsEE10hipError_tT0_T1_T2_jT3_P12ihipStream_tbPNSt15iterator_traitsISI_E10value_typeEPNSO_ISJ_E10value_typeEPSK_NS1_7vsmem_tEENKUlT_SI_SJ_SK_E_clISE_PiSF_SF_EESH_SX_SI_SJ_SK_EUlSX_E0_NS1_11comp_targetILNS1_3genE8ELNS1_11target_archE1030ELNS1_3gpuE2ELNS1_3repE0EEENS1_38merge_mergepath_config_static_selectorELNS0_4arch9wavefront6targetE0EEEvSJ_,comdat
	.protected	_ZN7rocprim17ROCPRIM_400000_NS6detail17trampoline_kernelINS0_14default_configENS1_38merge_sort_block_merge_config_selectorIiNS0_10empty_typeEEEZZNS1_27merge_sort_block_merge_implIS3_N6thrust23THRUST_200600_302600_NS6detail15normal_iteratorINS9_10device_ptrIiEEEEPS5_m17evens_before_oddsEE10hipError_tT0_T1_T2_jT3_P12ihipStream_tbPNSt15iterator_traitsISI_E10value_typeEPNSO_ISJ_E10value_typeEPSK_NS1_7vsmem_tEENKUlT_SI_SJ_SK_E_clISE_PiSF_SF_EESH_SX_SI_SJ_SK_EUlSX_E0_NS1_11comp_targetILNS1_3genE8ELNS1_11target_archE1030ELNS1_3gpuE2ELNS1_3repE0EEENS1_38merge_mergepath_config_static_selectorELNS0_4arch9wavefront6targetE0EEEvSJ_ ; -- Begin function _ZN7rocprim17ROCPRIM_400000_NS6detail17trampoline_kernelINS0_14default_configENS1_38merge_sort_block_merge_config_selectorIiNS0_10empty_typeEEEZZNS1_27merge_sort_block_merge_implIS3_N6thrust23THRUST_200600_302600_NS6detail15normal_iteratorINS9_10device_ptrIiEEEEPS5_m17evens_before_oddsEE10hipError_tT0_T1_T2_jT3_P12ihipStream_tbPNSt15iterator_traitsISI_E10value_typeEPNSO_ISJ_E10value_typeEPSK_NS1_7vsmem_tEENKUlT_SI_SJ_SK_E_clISE_PiSF_SF_EESH_SX_SI_SJ_SK_EUlSX_E0_NS1_11comp_targetILNS1_3genE8ELNS1_11target_archE1030ELNS1_3gpuE2ELNS1_3repE0EEENS1_38merge_mergepath_config_static_selectorELNS0_4arch9wavefront6targetE0EEEvSJ_
	.globl	_ZN7rocprim17ROCPRIM_400000_NS6detail17trampoline_kernelINS0_14default_configENS1_38merge_sort_block_merge_config_selectorIiNS0_10empty_typeEEEZZNS1_27merge_sort_block_merge_implIS3_N6thrust23THRUST_200600_302600_NS6detail15normal_iteratorINS9_10device_ptrIiEEEEPS5_m17evens_before_oddsEE10hipError_tT0_T1_T2_jT3_P12ihipStream_tbPNSt15iterator_traitsISI_E10value_typeEPNSO_ISJ_E10value_typeEPSK_NS1_7vsmem_tEENKUlT_SI_SJ_SK_E_clISE_PiSF_SF_EESH_SX_SI_SJ_SK_EUlSX_E0_NS1_11comp_targetILNS1_3genE8ELNS1_11target_archE1030ELNS1_3gpuE2ELNS1_3repE0EEENS1_38merge_mergepath_config_static_selectorELNS0_4arch9wavefront6targetE0EEEvSJ_
	.p2align	8
	.type	_ZN7rocprim17ROCPRIM_400000_NS6detail17trampoline_kernelINS0_14default_configENS1_38merge_sort_block_merge_config_selectorIiNS0_10empty_typeEEEZZNS1_27merge_sort_block_merge_implIS3_N6thrust23THRUST_200600_302600_NS6detail15normal_iteratorINS9_10device_ptrIiEEEEPS5_m17evens_before_oddsEE10hipError_tT0_T1_T2_jT3_P12ihipStream_tbPNSt15iterator_traitsISI_E10value_typeEPNSO_ISJ_E10value_typeEPSK_NS1_7vsmem_tEENKUlT_SI_SJ_SK_E_clISE_PiSF_SF_EESH_SX_SI_SJ_SK_EUlSX_E0_NS1_11comp_targetILNS1_3genE8ELNS1_11target_archE1030ELNS1_3gpuE2ELNS1_3repE0EEENS1_38merge_mergepath_config_static_selectorELNS0_4arch9wavefront6targetE0EEEvSJ_,@function
_ZN7rocprim17ROCPRIM_400000_NS6detail17trampoline_kernelINS0_14default_configENS1_38merge_sort_block_merge_config_selectorIiNS0_10empty_typeEEEZZNS1_27merge_sort_block_merge_implIS3_N6thrust23THRUST_200600_302600_NS6detail15normal_iteratorINS9_10device_ptrIiEEEEPS5_m17evens_before_oddsEE10hipError_tT0_T1_T2_jT3_P12ihipStream_tbPNSt15iterator_traitsISI_E10value_typeEPNSO_ISJ_E10value_typeEPSK_NS1_7vsmem_tEENKUlT_SI_SJ_SK_E_clISE_PiSF_SF_EESH_SX_SI_SJ_SK_EUlSX_E0_NS1_11comp_targetILNS1_3genE8ELNS1_11target_archE1030ELNS1_3gpuE2ELNS1_3repE0EEENS1_38merge_mergepath_config_static_selectorELNS0_4arch9wavefront6targetE0EEEvSJ_: ; @_ZN7rocprim17ROCPRIM_400000_NS6detail17trampoline_kernelINS0_14default_configENS1_38merge_sort_block_merge_config_selectorIiNS0_10empty_typeEEEZZNS1_27merge_sort_block_merge_implIS3_N6thrust23THRUST_200600_302600_NS6detail15normal_iteratorINS9_10device_ptrIiEEEEPS5_m17evens_before_oddsEE10hipError_tT0_T1_T2_jT3_P12ihipStream_tbPNSt15iterator_traitsISI_E10value_typeEPNSO_ISJ_E10value_typeEPSK_NS1_7vsmem_tEENKUlT_SI_SJ_SK_E_clISE_PiSF_SF_EESH_SX_SI_SJ_SK_EUlSX_E0_NS1_11comp_targetILNS1_3genE8ELNS1_11target_archE1030ELNS1_3gpuE2ELNS1_3repE0EEENS1_38merge_mergepath_config_static_selectorELNS0_4arch9wavefront6targetE0EEEvSJ_
; %bb.0:
	s_clause 0x1
	s_load_dwordx2 s[22:23], s[4:5], 0x48
	s_load_dword s0, s[4:5], 0x38
	s_add_u32 s20, s4, 0x48
	s_addc_u32 s21, s5, 0
	s_waitcnt lgkmcnt(0)
	s_mul_i32 s1, s23, s8
	s_add_i32 s1, s1, s7
	s_mul_i32 s1, s1, s22
	s_add_i32 s18, s1, s6
	s_cmp_ge_u32 s18, s0
	s_cbranch_scc1 .LBB447_35
; %bb.1:
	s_clause 0x1
	s_load_dwordx2 s[0:1], s[4:5], 0x40
	s_load_dwordx4 s[8:11], s[4:5], 0x28
	s_mov_b32 s19, 0
	s_lshl_b64 s[2:3], s[18:19], 3
	s_waitcnt lgkmcnt(0)
	s_add_u32 s0, s0, s2
	s_addc_u32 s1, s1, s3
	s_lshl_b64 s[16:17], s[18:19], 10
	s_load_dwordx4 s[12:15], s[0:1], 0x0
	s_lshr_b64 s[0:1], s[10:11], 9
	s_mov_b32 s1, s19
	s_and_b32 s0, s0, -2
	s_sub_i32 s30, 0, s0
	s_and_b32 s0, s18, s30
	s_lshl_b64 s[24:25], s[0:1], 10
	s_sub_u32 s7, s16, s24
	s_subb_u32 s23, s17, s25
	s_lshl_b64 s[26:27], s[0:1], 11
	s_load_dwordx4 s[0:3], s[4:5], 0x8
	s_add_u32 s4, s26, s10
	s_addc_u32 s26, s27, s11
	s_add_u32 s5, s4, s7
	s_addc_u32 s7, s26, s23
	s_waitcnt lgkmcnt(0)
	s_sub_u32 s23, s5, s14
	s_subb_u32 s15, s7, s15
	s_add_u32 s28, s23, 0x400
	s_addc_u32 s29, s15, 0
	v_cmp_lt_u64_e64 s15, s[8:9], s[28:29]
	s_and_b32 s15, s15, exec_lo
	s_cselect_b32 s23, s8, s28
	s_or_b32 s15, s18, s30
	s_cmp_lg_u32 s15, -1
	s_mov_b32 s15, -1
	s_cbranch_scc1 .LBB447_3
; %bb.2:
	s_sub_u32 s24, s4, s24
	s_subb_u32 s25, s26, s25
	v_cmp_lt_u64_e64 s4, s[8:9], s[24:25]
	s_and_b32 s4, s4, exec_lo
	s_cselect_b32 s14, s8, s24
	s_add_u32 s10, s24, s10
	s_addc_u32 s11, s25, s11
	v_cmp_lt_u64_e64 s4, s[8:9], s[10:11]
	s_and_b32 s4, s4, exec_lo
	s_cselect_b32 s23, s8, s10
.LBB447_3:
	s_lshr_b64 s[24:25], s[8:9], 10
	v_mov_b32_e32 v2, 0
	s_cmp_lg_u64 s[24:25], s[18:19]
                                        ; implicit-def: $vgpr5
	s_cselect_b32 s4, -1, 0
	s_sub_u32 s10, s5, s12
	s_subb_u32 s11, s7, s13
	global_load_dword v1, v2, s[20:21] offset:14
	v_cmp_lt_u64_e64 s5, s[8:9], s[10:11]
	s_and_b32 s5, s5, exec_lo
	s_cselect_b32 s26, s8, s10
	s_cselect_b32 s27, s9, s11
	s_lshl_b64 s[10:11], s[12:13], 2
	s_sub_i32 s5, s14, s12
	s_sub_i32 s7, s23, s26
	s_add_u32 s10, s0, s10
	s_addc_u32 s11, s1, s11
	s_lshl_b64 s[12:13], s[26:27], 2
	s_add_u32 s9, s0, s12
	s_addc_u32 s1, s1, s13
	s_cmp_lt_u32 s6, s22
	s_cselect_b32 s0, 12, 18
	s_add_u32 s12, s20, s0
	s_addc_u32 s13, s21, 0
	s_cmp_eq_u64 s[24:25], s[18:19]
	global_load_ushort v3, v2, s[12:13]
	s_waitcnt vmcnt(1)
	v_lshrrev_b32_e32 v4, 16, v1
	v_and_b32_e32 v1, 0xffff, v1
	v_mul_lo_u32 v1, v1, v4
                                        ; implicit-def: $vgpr4
	s_waitcnt vmcnt(0)
	v_mul_lo_u32 v7, v1, v3
	v_lshlrev_b32_e32 v3, 2, v0
                                        ; implicit-def: $vgpr1
	v_add_nc_u32_e32 v6, v7, v0
	s_cbranch_scc0 .LBB447_25
; %bb.4:
	s_andn2_b32 vcc_lo, exec_lo, s15
	s_cbranch_vccz .LBB447_26
.LBB447_5:
	v_mov_b32_e32 v2, 0
	s_and_saveexec_b32 s6, s19
	s_cbranch_execz .LBB447_7
.LBB447_6:
	v_mov_b32_e32 v7, 0
	v_mov_b32_e32 v2, v7
	v_lshlrev_b64 v[8:9], 2, v[1:2]
	v_add_co_u32 v8, vcc_lo, s10, v8
	v_add_co_ci_u32_e64 v9, null, s11, v9, vcc_lo
	v_sub_co_u32 v6, vcc_lo, v1, s5
	v_lshlrev_b64 v[1:2], 2, v[6:7]
	v_add_co_u32 v1, s0, s9, v1
	v_add_co_ci_u32_e64 v2, null, s1, v2, s0
	v_cndmask_b32_e32 v1, v1, v8, vcc_lo
	v_cndmask_b32_e32 v2, v2, v9, vcc_lo
	global_load_dword v2, v[1:2], off
.LBB447_7:
	s_or_b32 exec_lo, exec_lo, s6
	v_lshlrev_b32_e32 v1, 1, v0
	s_mov_b32 s0, exec_lo
	s_waitcnt vmcnt(0)
	ds_write2st64_b32 v3, v5, v2 offset1:8
	s_waitcnt lgkmcnt(0)
	s_barrier
	v_min_u32_e32 v7, v4, v1
	buffer_gl0_inv
	v_sub_nc_u32_e64 v6, v7, s7 clamp
	v_min_u32_e32 v8, s5, v7
	v_cmpx_lt_u32_e64 v6, v8
	s_cbranch_execz .LBB447_11
; %bb.8:
	v_lshlrev_b32_e32 v9, 2, v7
	s_mov_b32 s1, 0
	v_lshl_add_u32 v9, s5, 2, v9
	s_inst_prefetch 0x1
	.p2align	6
.LBB447_9:                              ; =>This Inner Loop Header: Depth=1
	v_add_nc_u32_e32 v10, v8, v6
	v_lshrrev_b32_e32 v10, 1, v10
	v_not_b32_e32 v11, v10
	v_lshlrev_b32_e32 v12, 2, v10
	v_lshl_add_u32 v11, v11, 2, v9
	ds_read_b32 v12, v12
	ds_read_b32 v11, v11
	s_waitcnt lgkmcnt(1)
	v_lshrrev_b32_e32 v14, 31, v12
	s_waitcnt lgkmcnt(0)
	v_lshrrev_b32_e32 v13, 31, v11
	v_cmp_lt_i32_e32 vcc_lo, v11, v12
	v_add_nc_u32_e32 v14, v12, v14
	v_add_nc_u32_e32 v13, v11, v13
	v_and_b32_e32 v14, -2, v14
	v_and_b32_e32 v13, -2, v13
	v_sub_nc_u32_e32 v12, v12, v14
	v_sub_nc_u32_e32 v13, v11, v13
	v_cndmask_b32_e64 v11, 0, 1, vcc_lo
	v_cmp_eq_u32_e32 vcc_lo, 0, v13
	v_cndmask_b32_e64 v14, 0, 1, vcc_lo
	v_cmp_eq_u32_e32 vcc_lo, v13, v12
	v_add_nc_u32_e32 v12, 1, v10
	v_cndmask_b32_e32 v11, v14, v11, vcc_lo
	v_and_b32_e32 v11, 1, v11
	v_cmp_eq_u32_e32 vcc_lo, 1, v11
	v_cndmask_b32_e32 v8, v8, v10, vcc_lo
	v_cndmask_b32_e32 v6, v12, v6, vcc_lo
	v_cmp_ge_u32_e32 vcc_lo, v6, v8
	s_or_b32 s1, vcc_lo, s1
	s_andn2_b32 exec_lo, exec_lo, s1
	s_cbranch_execnz .LBB447_9
; %bb.10:
	s_inst_prefetch 0x2
	s_or_b32 exec_lo, exec_lo, s1
.LBB447_11:
	s_or_b32 exec_lo, exec_lo, s0
	v_sub_nc_u32_e32 v7, v7, v6
	v_cmp_ge_u32_e32 vcc_lo, s5, v6
	v_add_nc_u32_e32 v8, s5, v7
	v_cmp_le_u32_e64 s0, v8, v4
	s_or_b32 s0, vcc_lo, s0
	s_and_saveexec_b32 s1, s0
	s_cbranch_execz .LBB447_23
; %bb.12:
	s_mov_b32 s6, exec_lo
	v_cmp_le_u32_e32 vcc_lo, s5, v6
                                        ; implicit-def: $vgpr5
	v_cmpx_gt_u32_e64 s5, v6
; %bb.13:
	v_lshlrev_b32_e32 v2, 2, v6
	ds_read_b32 v5, v2
; %bb.14:
	s_or_b32 exec_lo, exec_lo, s6
	v_cmp_ge_u32_e64 s6, v8, v4
	s_mov_b32 s7, exec_lo
                                        ; implicit-def: $vgpr7
	v_cmpx_lt_u32_e64 v8, v4
; %bb.15:
	v_lshlrev_b32_e32 v2, 2, v8
	ds_read_b32 v7, v2
; %bb.16:
	s_or_b32 exec_lo, exec_lo, s7
	s_nor_b32 s7, vcc_lo, s6
	s_and_saveexec_b32 s0, s7
	s_cbranch_execz .LBB447_18
; %bb.17:
	s_waitcnt lgkmcnt(0)
	v_lshrrev_b32_e32 v2, 31, v7
	v_lshrrev_b32_e32 v9, 31, v5
	v_cmp_ge_i32_e32 vcc_lo, v7, v5
	s_andn2_b32 s6, s6, exec_lo
	v_add_nc_u32_e32 v2, v7, v2
	v_add_nc_u32_e32 v9, v5, v9
	v_cndmask_b32_e64 v10, 0, 1, vcc_lo
	v_and_b32_e32 v2, -2, v2
	v_and_b32_e32 v9, -2, v9
	v_sub_nc_u32_e32 v2, v7, v2
	v_sub_nc_u32_e32 v9, v5, v9
	v_cmp_ne_u32_e32 vcc_lo, 0, v2
	v_cndmask_b32_e64 v11, 0, 1, vcc_lo
	v_cmp_eq_u32_e32 vcc_lo, v2, v9
	v_cndmask_b32_e32 v2, v11, v10, vcc_lo
	v_and_b32_e32 v2, 1, v2
	v_cmp_eq_u32_e32 vcc_lo, 1, v2
	s_and_b32 s7, vcc_lo, exec_lo
	s_or_b32 s6, s6, s7
.LBB447_18:
	s_or_b32 exec_lo, exec_lo, s0
	v_cndmask_b32_e64 v2, v8, v6, s6
	v_cndmask_b32_e64 v10, v4, s5, s6
	s_mov_b32 s0, exec_lo
	v_add_nc_u32_e32 v9, 1, v2
	v_add_nc_u32_e32 v2, -1, v10
	v_cndmask_b32_e64 v8, v9, v8, s6
	v_min_u32_e32 v2, v9, v2
	v_lshlrev_b32_e32 v2, 2, v2
	ds_read_b32 v10, v2
	s_waitcnt lgkmcnt(0)
	v_cndmask_b32_e64 v2, v5, v10, s6
	v_cmpx_lt_u32_e64 v8, v4
	s_cbranch_execz .LBB447_22
; %bb.19:
	v_cndmask_b32_e64 v6, v6, v9, s6
	v_cndmask_b32_e64 v4, v10, v7, s6
	v_cmp_gt_u32_e32 vcc_lo, s5, v6
	s_and_saveexec_b32 s5, vcc_lo
	s_cbranch_execz .LBB447_21
; %bb.20:
	v_lshrrev_b32_e32 v6, 31, v4
	v_lshrrev_b32_e32 v8, 31, v2
	v_cmp_ge_i32_e32 vcc_lo, v4, v2
	v_add_nc_u32_e32 v6, v4, v6
	v_add_nc_u32_e32 v8, v2, v8
	v_cndmask_b32_e64 v9, 0, 1, vcc_lo
	v_and_b32_e32 v6, -2, v6
	v_and_b32_e32 v8, -2, v8
	v_sub_nc_u32_e32 v6, v4, v6
	v_sub_nc_u32_e32 v8, v2, v8
	v_cmp_ne_u32_e32 vcc_lo, 0, v6
	v_cndmask_b32_e64 v10, 0, 1, vcc_lo
	v_cmp_eq_u32_e32 vcc_lo, v6, v8
	v_cndmask_b32_e32 v6, v10, v9, vcc_lo
	v_and_b32_e32 v6, 1, v6
	v_cmp_eq_u32_e32 vcc_lo, 1, v6
	v_cndmask_b32_e32 v4, v4, v2, vcc_lo
.LBB447_21:
	s_or_b32 exec_lo, exec_lo, s5
	v_mov_b32_e32 v2, v4
.LBB447_22:
	s_or_b32 exec_lo, exec_lo, s0
	v_cndmask_b32_e64 v5, v7, v5, s6
.LBB447_23:
	s_or_b32 exec_lo, exec_lo, s1
	v_lshrrev_b32_e32 v6, 2, v0
	v_or_b32_e32 v4, 0x200, v0
	v_lshrrev_b32_e32 v7, 3, v0
	s_lshl_b64 s[0:1], s[16:17], 2
	v_and_b32_e32 v6, 0x7c, v6
	v_lshrrev_b32_e32 v8, 3, v4
	s_add_u32 s0, s2, s0
	s_barrier
	buffer_gl0_inv
	v_lshl_add_u32 v1, v1, 2, v6
	v_and_b32_e32 v6, 60, v7
	v_and_b32_e32 v7, 0x7c, v8
	s_barrier
	buffer_gl0_inv
	s_addc_u32 s1, s3, s1
	ds_write2_b32 v1, v5, v2 offset1:1
	v_add_co_u32 v1, s0, s0, v3
	v_add_nc_u32_e32 v5, v6, v3
	v_add_nc_u32_e32 v6, v7, v3
	v_add_co_ci_u32_e64 v2, null, s1, 0, s0
	s_and_b32 vcc_lo, exec_lo, s4
	s_waitcnt lgkmcnt(0)
	s_cbranch_vccz .LBB447_29
; %bb.24:
	s_barrier
	buffer_gl0_inv
	ds_read_b32 v7, v5
	ds_read_b32 v3, v6 offset:2048
	s_mov_b32 s0, -1
	s_waitcnt lgkmcnt(1)
	global_store_dword v[1:2], v7, off
	s_cbranch_execz .LBB447_30
	s_branch .LBB447_33
.LBB447_25:
	v_sub_co_u32 v1, vcc_lo, v0, s5
	v_add_co_u32 v4, s0, s10, v3
	v_add_co_ci_u32_e64 v5, null, s11, 0, s0
	v_lshlrev_b64 v[1:2], 2, v[1:2]
	s_mov_b32 s19, -1
	v_add_co_u32 v1, s0, s9, v1
	v_add_co_ci_u32_e64 v2, null, s1, v2, s0
	s_add_i32 s0, s5, s7
	v_cndmask_b32_e32 v1, v1, v4, vcc_lo
	v_mov_b32_e32 v4, s0
	v_cndmask_b32_e32 v2, v2, v5, vcc_lo
	global_load_dword v5, v[1:2], off
	v_add_nc_u32_e32 v1, v7, v0
	s_cbranch_execnz .LBB447_5
.LBB447_26:
	s_waitcnt vmcnt(0)
	v_mov_b32_e32 v5, 0
	s_add_i32 s6, s5, s7
	s_mov_b32 s12, exec_lo
	v_cmpx_gt_u32_e64 s6, v0
	s_cbranch_execz .LBB447_28
; %bb.27:
	v_sub_co_u32 v1, vcc_lo, v0, s5
	v_mov_b32_e32 v2, 0
	v_add_co_u32 v4, s0, s10, v3
	v_add_co_ci_u32_e64 v5, null, s11, 0, s0
	v_lshlrev_b64 v[1:2], 2, v[1:2]
	v_add_co_u32 v1, s0, s9, v1
	v_add_co_ci_u32_e64 v2, null, s1, v2, s0
	v_cndmask_b32_e32 v1, v1, v4, vcc_lo
	v_cndmask_b32_e32 v2, v2, v5, vcc_lo
	global_load_dword v5, v[1:2], off
.LBB447_28:
	s_or_b32 exec_lo, exec_lo, s12
	v_cmp_gt_u32_e64 s19, s6, v6
	v_mov_b32_e32 v4, s6
	v_mov_b32_e32 v1, v6
	;; [unrolled: 1-line block ×3, first 2 shown]
	s_and_saveexec_b32 s6, s19
	s_cbranch_execnz .LBB447_6
	s_branch .LBB447_7
.LBB447_29:
	s_mov_b32 s0, 0
                                        ; implicit-def: $vgpr3
.LBB447_30:
	s_barrier
	s_waitcnt lgkmcnt(0)
	s_waitcnt_vscnt null, 0x0
	buffer_gl0_inv
	ds_read_b32 v3, v6 offset:2048
	s_sub_i32 s0, s8, s16
	s_mov_b32 s1, exec_lo
	v_cmpx_gt_u32_e64 s0, v0
	s_cbranch_execz .LBB447_32
; %bb.31:
	ds_read_b32 v0, v5
	s_waitcnt lgkmcnt(0)
	global_store_dword v[1:2], v0, off
.LBB447_32:
	s_or_b32 exec_lo, exec_lo, s1
	v_cmp_gt_u32_e64 s0, s0, v4
.LBB447_33:
	s_and_saveexec_b32 s1, s0
	s_cbranch_execz .LBB447_35
; %bb.34:
	v_add_co_u32 v0, vcc_lo, 0x800, v1
	v_add_co_ci_u32_e64 v1, null, 0, v2, vcc_lo
	s_waitcnt lgkmcnt(0)
	global_store_dword v[0:1], v3, off
.LBB447_35:
	s_endpgm
	.section	.rodata,"a",@progbits
	.p2align	6, 0x0
	.amdhsa_kernel _ZN7rocprim17ROCPRIM_400000_NS6detail17trampoline_kernelINS0_14default_configENS1_38merge_sort_block_merge_config_selectorIiNS0_10empty_typeEEEZZNS1_27merge_sort_block_merge_implIS3_N6thrust23THRUST_200600_302600_NS6detail15normal_iteratorINS9_10device_ptrIiEEEEPS5_m17evens_before_oddsEE10hipError_tT0_T1_T2_jT3_P12ihipStream_tbPNSt15iterator_traitsISI_E10value_typeEPNSO_ISJ_E10value_typeEPSK_NS1_7vsmem_tEENKUlT_SI_SJ_SK_E_clISE_PiSF_SF_EESH_SX_SI_SJ_SK_EUlSX_E0_NS1_11comp_targetILNS1_3genE8ELNS1_11target_archE1030ELNS1_3gpuE2ELNS1_3repE0EEENS1_38merge_mergepath_config_static_selectorELNS0_4arch9wavefront6targetE0EEEvSJ_
		.amdhsa_group_segment_fixed_size 4224
		.amdhsa_private_segment_fixed_size 0
		.amdhsa_kernarg_size 328
		.amdhsa_user_sgpr_count 6
		.amdhsa_user_sgpr_private_segment_buffer 1
		.amdhsa_user_sgpr_dispatch_ptr 0
		.amdhsa_user_sgpr_queue_ptr 0
		.amdhsa_user_sgpr_kernarg_segment_ptr 1
		.amdhsa_user_sgpr_dispatch_id 0
		.amdhsa_user_sgpr_flat_scratch_init 0
		.amdhsa_user_sgpr_private_segment_size 0
		.amdhsa_wavefront_size32 1
		.amdhsa_uses_dynamic_stack 0
		.amdhsa_system_sgpr_private_segment_wavefront_offset 0
		.amdhsa_system_sgpr_workgroup_id_x 1
		.amdhsa_system_sgpr_workgroup_id_y 1
		.amdhsa_system_sgpr_workgroup_id_z 1
		.amdhsa_system_sgpr_workgroup_info 0
		.amdhsa_system_vgpr_workitem_id 0
		.amdhsa_next_free_vgpr 15
		.amdhsa_next_free_sgpr 31
		.amdhsa_reserve_vcc 1
		.amdhsa_reserve_flat_scratch 0
		.amdhsa_float_round_mode_32 0
		.amdhsa_float_round_mode_16_64 0
		.amdhsa_float_denorm_mode_32 3
		.amdhsa_float_denorm_mode_16_64 3
		.amdhsa_dx10_clamp 1
		.amdhsa_ieee_mode 1
		.amdhsa_fp16_overflow 0
		.amdhsa_workgroup_processor_mode 1
		.amdhsa_memory_ordered 1
		.amdhsa_forward_progress 1
		.amdhsa_shared_vgpr_count 0
		.amdhsa_exception_fp_ieee_invalid_op 0
		.amdhsa_exception_fp_denorm_src 0
		.amdhsa_exception_fp_ieee_div_zero 0
		.amdhsa_exception_fp_ieee_overflow 0
		.amdhsa_exception_fp_ieee_underflow 0
		.amdhsa_exception_fp_ieee_inexact 0
		.amdhsa_exception_int_div_zero 0
	.end_amdhsa_kernel
	.section	.text._ZN7rocprim17ROCPRIM_400000_NS6detail17trampoline_kernelINS0_14default_configENS1_38merge_sort_block_merge_config_selectorIiNS0_10empty_typeEEEZZNS1_27merge_sort_block_merge_implIS3_N6thrust23THRUST_200600_302600_NS6detail15normal_iteratorINS9_10device_ptrIiEEEEPS5_m17evens_before_oddsEE10hipError_tT0_T1_T2_jT3_P12ihipStream_tbPNSt15iterator_traitsISI_E10value_typeEPNSO_ISJ_E10value_typeEPSK_NS1_7vsmem_tEENKUlT_SI_SJ_SK_E_clISE_PiSF_SF_EESH_SX_SI_SJ_SK_EUlSX_E0_NS1_11comp_targetILNS1_3genE8ELNS1_11target_archE1030ELNS1_3gpuE2ELNS1_3repE0EEENS1_38merge_mergepath_config_static_selectorELNS0_4arch9wavefront6targetE0EEEvSJ_,"axG",@progbits,_ZN7rocprim17ROCPRIM_400000_NS6detail17trampoline_kernelINS0_14default_configENS1_38merge_sort_block_merge_config_selectorIiNS0_10empty_typeEEEZZNS1_27merge_sort_block_merge_implIS3_N6thrust23THRUST_200600_302600_NS6detail15normal_iteratorINS9_10device_ptrIiEEEEPS5_m17evens_before_oddsEE10hipError_tT0_T1_T2_jT3_P12ihipStream_tbPNSt15iterator_traitsISI_E10value_typeEPNSO_ISJ_E10value_typeEPSK_NS1_7vsmem_tEENKUlT_SI_SJ_SK_E_clISE_PiSF_SF_EESH_SX_SI_SJ_SK_EUlSX_E0_NS1_11comp_targetILNS1_3genE8ELNS1_11target_archE1030ELNS1_3gpuE2ELNS1_3repE0EEENS1_38merge_mergepath_config_static_selectorELNS0_4arch9wavefront6targetE0EEEvSJ_,comdat
.Lfunc_end447:
	.size	_ZN7rocprim17ROCPRIM_400000_NS6detail17trampoline_kernelINS0_14default_configENS1_38merge_sort_block_merge_config_selectorIiNS0_10empty_typeEEEZZNS1_27merge_sort_block_merge_implIS3_N6thrust23THRUST_200600_302600_NS6detail15normal_iteratorINS9_10device_ptrIiEEEEPS5_m17evens_before_oddsEE10hipError_tT0_T1_T2_jT3_P12ihipStream_tbPNSt15iterator_traitsISI_E10value_typeEPNSO_ISJ_E10value_typeEPSK_NS1_7vsmem_tEENKUlT_SI_SJ_SK_E_clISE_PiSF_SF_EESH_SX_SI_SJ_SK_EUlSX_E0_NS1_11comp_targetILNS1_3genE8ELNS1_11target_archE1030ELNS1_3gpuE2ELNS1_3repE0EEENS1_38merge_mergepath_config_static_selectorELNS0_4arch9wavefront6targetE0EEEvSJ_, .Lfunc_end447-_ZN7rocprim17ROCPRIM_400000_NS6detail17trampoline_kernelINS0_14default_configENS1_38merge_sort_block_merge_config_selectorIiNS0_10empty_typeEEEZZNS1_27merge_sort_block_merge_implIS3_N6thrust23THRUST_200600_302600_NS6detail15normal_iteratorINS9_10device_ptrIiEEEEPS5_m17evens_before_oddsEE10hipError_tT0_T1_T2_jT3_P12ihipStream_tbPNSt15iterator_traitsISI_E10value_typeEPNSO_ISJ_E10value_typeEPSK_NS1_7vsmem_tEENKUlT_SI_SJ_SK_E_clISE_PiSF_SF_EESH_SX_SI_SJ_SK_EUlSX_E0_NS1_11comp_targetILNS1_3genE8ELNS1_11target_archE1030ELNS1_3gpuE2ELNS1_3repE0EEENS1_38merge_mergepath_config_static_selectorELNS0_4arch9wavefront6targetE0EEEvSJ_
                                        ; -- End function
	.set _ZN7rocprim17ROCPRIM_400000_NS6detail17trampoline_kernelINS0_14default_configENS1_38merge_sort_block_merge_config_selectorIiNS0_10empty_typeEEEZZNS1_27merge_sort_block_merge_implIS3_N6thrust23THRUST_200600_302600_NS6detail15normal_iteratorINS9_10device_ptrIiEEEEPS5_m17evens_before_oddsEE10hipError_tT0_T1_T2_jT3_P12ihipStream_tbPNSt15iterator_traitsISI_E10value_typeEPNSO_ISJ_E10value_typeEPSK_NS1_7vsmem_tEENKUlT_SI_SJ_SK_E_clISE_PiSF_SF_EESH_SX_SI_SJ_SK_EUlSX_E0_NS1_11comp_targetILNS1_3genE8ELNS1_11target_archE1030ELNS1_3gpuE2ELNS1_3repE0EEENS1_38merge_mergepath_config_static_selectorELNS0_4arch9wavefront6targetE0EEEvSJ_.num_vgpr, 15
	.set _ZN7rocprim17ROCPRIM_400000_NS6detail17trampoline_kernelINS0_14default_configENS1_38merge_sort_block_merge_config_selectorIiNS0_10empty_typeEEEZZNS1_27merge_sort_block_merge_implIS3_N6thrust23THRUST_200600_302600_NS6detail15normal_iteratorINS9_10device_ptrIiEEEEPS5_m17evens_before_oddsEE10hipError_tT0_T1_T2_jT3_P12ihipStream_tbPNSt15iterator_traitsISI_E10value_typeEPNSO_ISJ_E10value_typeEPSK_NS1_7vsmem_tEENKUlT_SI_SJ_SK_E_clISE_PiSF_SF_EESH_SX_SI_SJ_SK_EUlSX_E0_NS1_11comp_targetILNS1_3genE8ELNS1_11target_archE1030ELNS1_3gpuE2ELNS1_3repE0EEENS1_38merge_mergepath_config_static_selectorELNS0_4arch9wavefront6targetE0EEEvSJ_.num_agpr, 0
	.set _ZN7rocprim17ROCPRIM_400000_NS6detail17trampoline_kernelINS0_14default_configENS1_38merge_sort_block_merge_config_selectorIiNS0_10empty_typeEEEZZNS1_27merge_sort_block_merge_implIS3_N6thrust23THRUST_200600_302600_NS6detail15normal_iteratorINS9_10device_ptrIiEEEEPS5_m17evens_before_oddsEE10hipError_tT0_T1_T2_jT3_P12ihipStream_tbPNSt15iterator_traitsISI_E10value_typeEPNSO_ISJ_E10value_typeEPSK_NS1_7vsmem_tEENKUlT_SI_SJ_SK_E_clISE_PiSF_SF_EESH_SX_SI_SJ_SK_EUlSX_E0_NS1_11comp_targetILNS1_3genE8ELNS1_11target_archE1030ELNS1_3gpuE2ELNS1_3repE0EEENS1_38merge_mergepath_config_static_selectorELNS0_4arch9wavefront6targetE0EEEvSJ_.numbered_sgpr, 31
	.set _ZN7rocprim17ROCPRIM_400000_NS6detail17trampoline_kernelINS0_14default_configENS1_38merge_sort_block_merge_config_selectorIiNS0_10empty_typeEEEZZNS1_27merge_sort_block_merge_implIS3_N6thrust23THRUST_200600_302600_NS6detail15normal_iteratorINS9_10device_ptrIiEEEEPS5_m17evens_before_oddsEE10hipError_tT0_T1_T2_jT3_P12ihipStream_tbPNSt15iterator_traitsISI_E10value_typeEPNSO_ISJ_E10value_typeEPSK_NS1_7vsmem_tEENKUlT_SI_SJ_SK_E_clISE_PiSF_SF_EESH_SX_SI_SJ_SK_EUlSX_E0_NS1_11comp_targetILNS1_3genE8ELNS1_11target_archE1030ELNS1_3gpuE2ELNS1_3repE0EEENS1_38merge_mergepath_config_static_selectorELNS0_4arch9wavefront6targetE0EEEvSJ_.num_named_barrier, 0
	.set _ZN7rocprim17ROCPRIM_400000_NS6detail17trampoline_kernelINS0_14default_configENS1_38merge_sort_block_merge_config_selectorIiNS0_10empty_typeEEEZZNS1_27merge_sort_block_merge_implIS3_N6thrust23THRUST_200600_302600_NS6detail15normal_iteratorINS9_10device_ptrIiEEEEPS5_m17evens_before_oddsEE10hipError_tT0_T1_T2_jT3_P12ihipStream_tbPNSt15iterator_traitsISI_E10value_typeEPNSO_ISJ_E10value_typeEPSK_NS1_7vsmem_tEENKUlT_SI_SJ_SK_E_clISE_PiSF_SF_EESH_SX_SI_SJ_SK_EUlSX_E0_NS1_11comp_targetILNS1_3genE8ELNS1_11target_archE1030ELNS1_3gpuE2ELNS1_3repE0EEENS1_38merge_mergepath_config_static_selectorELNS0_4arch9wavefront6targetE0EEEvSJ_.private_seg_size, 0
	.set _ZN7rocprim17ROCPRIM_400000_NS6detail17trampoline_kernelINS0_14default_configENS1_38merge_sort_block_merge_config_selectorIiNS0_10empty_typeEEEZZNS1_27merge_sort_block_merge_implIS3_N6thrust23THRUST_200600_302600_NS6detail15normal_iteratorINS9_10device_ptrIiEEEEPS5_m17evens_before_oddsEE10hipError_tT0_T1_T2_jT3_P12ihipStream_tbPNSt15iterator_traitsISI_E10value_typeEPNSO_ISJ_E10value_typeEPSK_NS1_7vsmem_tEENKUlT_SI_SJ_SK_E_clISE_PiSF_SF_EESH_SX_SI_SJ_SK_EUlSX_E0_NS1_11comp_targetILNS1_3genE8ELNS1_11target_archE1030ELNS1_3gpuE2ELNS1_3repE0EEENS1_38merge_mergepath_config_static_selectorELNS0_4arch9wavefront6targetE0EEEvSJ_.uses_vcc, 1
	.set _ZN7rocprim17ROCPRIM_400000_NS6detail17trampoline_kernelINS0_14default_configENS1_38merge_sort_block_merge_config_selectorIiNS0_10empty_typeEEEZZNS1_27merge_sort_block_merge_implIS3_N6thrust23THRUST_200600_302600_NS6detail15normal_iteratorINS9_10device_ptrIiEEEEPS5_m17evens_before_oddsEE10hipError_tT0_T1_T2_jT3_P12ihipStream_tbPNSt15iterator_traitsISI_E10value_typeEPNSO_ISJ_E10value_typeEPSK_NS1_7vsmem_tEENKUlT_SI_SJ_SK_E_clISE_PiSF_SF_EESH_SX_SI_SJ_SK_EUlSX_E0_NS1_11comp_targetILNS1_3genE8ELNS1_11target_archE1030ELNS1_3gpuE2ELNS1_3repE0EEENS1_38merge_mergepath_config_static_selectorELNS0_4arch9wavefront6targetE0EEEvSJ_.uses_flat_scratch, 0
	.set _ZN7rocprim17ROCPRIM_400000_NS6detail17trampoline_kernelINS0_14default_configENS1_38merge_sort_block_merge_config_selectorIiNS0_10empty_typeEEEZZNS1_27merge_sort_block_merge_implIS3_N6thrust23THRUST_200600_302600_NS6detail15normal_iteratorINS9_10device_ptrIiEEEEPS5_m17evens_before_oddsEE10hipError_tT0_T1_T2_jT3_P12ihipStream_tbPNSt15iterator_traitsISI_E10value_typeEPNSO_ISJ_E10value_typeEPSK_NS1_7vsmem_tEENKUlT_SI_SJ_SK_E_clISE_PiSF_SF_EESH_SX_SI_SJ_SK_EUlSX_E0_NS1_11comp_targetILNS1_3genE8ELNS1_11target_archE1030ELNS1_3gpuE2ELNS1_3repE0EEENS1_38merge_mergepath_config_static_selectorELNS0_4arch9wavefront6targetE0EEEvSJ_.has_dyn_sized_stack, 0
	.set _ZN7rocprim17ROCPRIM_400000_NS6detail17trampoline_kernelINS0_14default_configENS1_38merge_sort_block_merge_config_selectorIiNS0_10empty_typeEEEZZNS1_27merge_sort_block_merge_implIS3_N6thrust23THRUST_200600_302600_NS6detail15normal_iteratorINS9_10device_ptrIiEEEEPS5_m17evens_before_oddsEE10hipError_tT0_T1_T2_jT3_P12ihipStream_tbPNSt15iterator_traitsISI_E10value_typeEPNSO_ISJ_E10value_typeEPSK_NS1_7vsmem_tEENKUlT_SI_SJ_SK_E_clISE_PiSF_SF_EESH_SX_SI_SJ_SK_EUlSX_E0_NS1_11comp_targetILNS1_3genE8ELNS1_11target_archE1030ELNS1_3gpuE2ELNS1_3repE0EEENS1_38merge_mergepath_config_static_selectorELNS0_4arch9wavefront6targetE0EEEvSJ_.has_recursion, 0
	.set _ZN7rocprim17ROCPRIM_400000_NS6detail17trampoline_kernelINS0_14default_configENS1_38merge_sort_block_merge_config_selectorIiNS0_10empty_typeEEEZZNS1_27merge_sort_block_merge_implIS3_N6thrust23THRUST_200600_302600_NS6detail15normal_iteratorINS9_10device_ptrIiEEEEPS5_m17evens_before_oddsEE10hipError_tT0_T1_T2_jT3_P12ihipStream_tbPNSt15iterator_traitsISI_E10value_typeEPNSO_ISJ_E10value_typeEPSK_NS1_7vsmem_tEENKUlT_SI_SJ_SK_E_clISE_PiSF_SF_EESH_SX_SI_SJ_SK_EUlSX_E0_NS1_11comp_targetILNS1_3genE8ELNS1_11target_archE1030ELNS1_3gpuE2ELNS1_3repE0EEENS1_38merge_mergepath_config_static_selectorELNS0_4arch9wavefront6targetE0EEEvSJ_.has_indirect_call, 0
	.section	.AMDGPU.csdata,"",@progbits
; Kernel info:
; codeLenInByte = 1732
; TotalNumSgprs: 33
; NumVgprs: 15
; ScratchSize: 0
; MemoryBound: 0
; FloatMode: 240
; IeeeMode: 1
; LDSByteSize: 4224 bytes/workgroup (compile time only)
; SGPRBlocks: 0
; VGPRBlocks: 1
; NumSGPRsForWavesPerEU: 33
; NumVGPRsForWavesPerEU: 15
; Occupancy: 16
; WaveLimiterHint : 1
; COMPUTE_PGM_RSRC2:SCRATCH_EN: 0
; COMPUTE_PGM_RSRC2:USER_SGPR: 6
; COMPUTE_PGM_RSRC2:TRAP_HANDLER: 0
; COMPUTE_PGM_RSRC2:TGID_X_EN: 1
; COMPUTE_PGM_RSRC2:TGID_Y_EN: 1
; COMPUTE_PGM_RSRC2:TGID_Z_EN: 1
; COMPUTE_PGM_RSRC2:TIDIG_COMP_CNT: 0
	.section	.text._ZN7rocprim17ROCPRIM_400000_NS6detail17trampoline_kernelINS0_14default_configENS1_38merge_sort_block_merge_config_selectorIiNS0_10empty_typeEEEZZNS1_27merge_sort_block_merge_implIS3_N6thrust23THRUST_200600_302600_NS6detail15normal_iteratorINS9_10device_ptrIiEEEEPS5_m17evens_before_oddsEE10hipError_tT0_T1_T2_jT3_P12ihipStream_tbPNSt15iterator_traitsISI_E10value_typeEPNSO_ISJ_E10value_typeEPSK_NS1_7vsmem_tEENKUlT_SI_SJ_SK_E_clISE_PiSF_SF_EESH_SX_SI_SJ_SK_EUlSX_E1_NS1_11comp_targetILNS1_3genE0ELNS1_11target_archE4294967295ELNS1_3gpuE0ELNS1_3repE0EEENS1_36merge_oddeven_config_static_selectorELNS0_4arch9wavefront6targetE0EEEvSJ_,"axG",@progbits,_ZN7rocprim17ROCPRIM_400000_NS6detail17trampoline_kernelINS0_14default_configENS1_38merge_sort_block_merge_config_selectorIiNS0_10empty_typeEEEZZNS1_27merge_sort_block_merge_implIS3_N6thrust23THRUST_200600_302600_NS6detail15normal_iteratorINS9_10device_ptrIiEEEEPS5_m17evens_before_oddsEE10hipError_tT0_T1_T2_jT3_P12ihipStream_tbPNSt15iterator_traitsISI_E10value_typeEPNSO_ISJ_E10value_typeEPSK_NS1_7vsmem_tEENKUlT_SI_SJ_SK_E_clISE_PiSF_SF_EESH_SX_SI_SJ_SK_EUlSX_E1_NS1_11comp_targetILNS1_3genE0ELNS1_11target_archE4294967295ELNS1_3gpuE0ELNS1_3repE0EEENS1_36merge_oddeven_config_static_selectorELNS0_4arch9wavefront6targetE0EEEvSJ_,comdat
	.protected	_ZN7rocprim17ROCPRIM_400000_NS6detail17trampoline_kernelINS0_14default_configENS1_38merge_sort_block_merge_config_selectorIiNS0_10empty_typeEEEZZNS1_27merge_sort_block_merge_implIS3_N6thrust23THRUST_200600_302600_NS6detail15normal_iteratorINS9_10device_ptrIiEEEEPS5_m17evens_before_oddsEE10hipError_tT0_T1_T2_jT3_P12ihipStream_tbPNSt15iterator_traitsISI_E10value_typeEPNSO_ISJ_E10value_typeEPSK_NS1_7vsmem_tEENKUlT_SI_SJ_SK_E_clISE_PiSF_SF_EESH_SX_SI_SJ_SK_EUlSX_E1_NS1_11comp_targetILNS1_3genE0ELNS1_11target_archE4294967295ELNS1_3gpuE0ELNS1_3repE0EEENS1_36merge_oddeven_config_static_selectorELNS0_4arch9wavefront6targetE0EEEvSJ_ ; -- Begin function _ZN7rocprim17ROCPRIM_400000_NS6detail17trampoline_kernelINS0_14default_configENS1_38merge_sort_block_merge_config_selectorIiNS0_10empty_typeEEEZZNS1_27merge_sort_block_merge_implIS3_N6thrust23THRUST_200600_302600_NS6detail15normal_iteratorINS9_10device_ptrIiEEEEPS5_m17evens_before_oddsEE10hipError_tT0_T1_T2_jT3_P12ihipStream_tbPNSt15iterator_traitsISI_E10value_typeEPNSO_ISJ_E10value_typeEPSK_NS1_7vsmem_tEENKUlT_SI_SJ_SK_E_clISE_PiSF_SF_EESH_SX_SI_SJ_SK_EUlSX_E1_NS1_11comp_targetILNS1_3genE0ELNS1_11target_archE4294967295ELNS1_3gpuE0ELNS1_3repE0EEENS1_36merge_oddeven_config_static_selectorELNS0_4arch9wavefront6targetE0EEEvSJ_
	.globl	_ZN7rocprim17ROCPRIM_400000_NS6detail17trampoline_kernelINS0_14default_configENS1_38merge_sort_block_merge_config_selectorIiNS0_10empty_typeEEEZZNS1_27merge_sort_block_merge_implIS3_N6thrust23THRUST_200600_302600_NS6detail15normal_iteratorINS9_10device_ptrIiEEEEPS5_m17evens_before_oddsEE10hipError_tT0_T1_T2_jT3_P12ihipStream_tbPNSt15iterator_traitsISI_E10value_typeEPNSO_ISJ_E10value_typeEPSK_NS1_7vsmem_tEENKUlT_SI_SJ_SK_E_clISE_PiSF_SF_EESH_SX_SI_SJ_SK_EUlSX_E1_NS1_11comp_targetILNS1_3genE0ELNS1_11target_archE4294967295ELNS1_3gpuE0ELNS1_3repE0EEENS1_36merge_oddeven_config_static_selectorELNS0_4arch9wavefront6targetE0EEEvSJ_
	.p2align	8
	.type	_ZN7rocprim17ROCPRIM_400000_NS6detail17trampoline_kernelINS0_14default_configENS1_38merge_sort_block_merge_config_selectorIiNS0_10empty_typeEEEZZNS1_27merge_sort_block_merge_implIS3_N6thrust23THRUST_200600_302600_NS6detail15normal_iteratorINS9_10device_ptrIiEEEEPS5_m17evens_before_oddsEE10hipError_tT0_T1_T2_jT3_P12ihipStream_tbPNSt15iterator_traitsISI_E10value_typeEPNSO_ISJ_E10value_typeEPSK_NS1_7vsmem_tEENKUlT_SI_SJ_SK_E_clISE_PiSF_SF_EESH_SX_SI_SJ_SK_EUlSX_E1_NS1_11comp_targetILNS1_3genE0ELNS1_11target_archE4294967295ELNS1_3gpuE0ELNS1_3repE0EEENS1_36merge_oddeven_config_static_selectorELNS0_4arch9wavefront6targetE0EEEvSJ_,@function
_ZN7rocprim17ROCPRIM_400000_NS6detail17trampoline_kernelINS0_14default_configENS1_38merge_sort_block_merge_config_selectorIiNS0_10empty_typeEEEZZNS1_27merge_sort_block_merge_implIS3_N6thrust23THRUST_200600_302600_NS6detail15normal_iteratorINS9_10device_ptrIiEEEEPS5_m17evens_before_oddsEE10hipError_tT0_T1_T2_jT3_P12ihipStream_tbPNSt15iterator_traitsISI_E10value_typeEPNSO_ISJ_E10value_typeEPSK_NS1_7vsmem_tEENKUlT_SI_SJ_SK_E_clISE_PiSF_SF_EESH_SX_SI_SJ_SK_EUlSX_E1_NS1_11comp_targetILNS1_3genE0ELNS1_11target_archE4294967295ELNS1_3gpuE0ELNS1_3repE0EEENS1_36merge_oddeven_config_static_selectorELNS0_4arch9wavefront6targetE0EEEvSJ_: ; @_ZN7rocprim17ROCPRIM_400000_NS6detail17trampoline_kernelINS0_14default_configENS1_38merge_sort_block_merge_config_selectorIiNS0_10empty_typeEEEZZNS1_27merge_sort_block_merge_implIS3_N6thrust23THRUST_200600_302600_NS6detail15normal_iteratorINS9_10device_ptrIiEEEEPS5_m17evens_before_oddsEE10hipError_tT0_T1_T2_jT3_P12ihipStream_tbPNSt15iterator_traitsISI_E10value_typeEPNSO_ISJ_E10value_typeEPSK_NS1_7vsmem_tEENKUlT_SI_SJ_SK_E_clISE_PiSF_SF_EESH_SX_SI_SJ_SK_EUlSX_E1_NS1_11comp_targetILNS1_3genE0ELNS1_11target_archE4294967295ELNS1_3gpuE0ELNS1_3repE0EEENS1_36merge_oddeven_config_static_selectorELNS0_4arch9wavefront6targetE0EEEvSJ_
; %bb.0:
	.section	.rodata,"a",@progbits
	.p2align	6, 0x0
	.amdhsa_kernel _ZN7rocprim17ROCPRIM_400000_NS6detail17trampoline_kernelINS0_14default_configENS1_38merge_sort_block_merge_config_selectorIiNS0_10empty_typeEEEZZNS1_27merge_sort_block_merge_implIS3_N6thrust23THRUST_200600_302600_NS6detail15normal_iteratorINS9_10device_ptrIiEEEEPS5_m17evens_before_oddsEE10hipError_tT0_T1_T2_jT3_P12ihipStream_tbPNSt15iterator_traitsISI_E10value_typeEPNSO_ISJ_E10value_typeEPSK_NS1_7vsmem_tEENKUlT_SI_SJ_SK_E_clISE_PiSF_SF_EESH_SX_SI_SJ_SK_EUlSX_E1_NS1_11comp_targetILNS1_3genE0ELNS1_11target_archE4294967295ELNS1_3gpuE0ELNS1_3repE0EEENS1_36merge_oddeven_config_static_selectorELNS0_4arch9wavefront6targetE0EEEvSJ_
		.amdhsa_group_segment_fixed_size 0
		.amdhsa_private_segment_fixed_size 0
		.amdhsa_kernarg_size 56
		.amdhsa_user_sgpr_count 6
		.amdhsa_user_sgpr_private_segment_buffer 1
		.amdhsa_user_sgpr_dispatch_ptr 0
		.amdhsa_user_sgpr_queue_ptr 0
		.amdhsa_user_sgpr_kernarg_segment_ptr 1
		.amdhsa_user_sgpr_dispatch_id 0
		.amdhsa_user_sgpr_flat_scratch_init 0
		.amdhsa_user_sgpr_private_segment_size 0
		.amdhsa_wavefront_size32 1
		.amdhsa_uses_dynamic_stack 0
		.amdhsa_system_sgpr_private_segment_wavefront_offset 0
		.amdhsa_system_sgpr_workgroup_id_x 1
		.amdhsa_system_sgpr_workgroup_id_y 0
		.amdhsa_system_sgpr_workgroup_id_z 0
		.amdhsa_system_sgpr_workgroup_info 0
		.amdhsa_system_vgpr_workitem_id 0
		.amdhsa_next_free_vgpr 1
		.amdhsa_next_free_sgpr 1
		.amdhsa_reserve_vcc 0
		.amdhsa_reserve_flat_scratch 0
		.amdhsa_float_round_mode_32 0
		.amdhsa_float_round_mode_16_64 0
		.amdhsa_float_denorm_mode_32 3
		.amdhsa_float_denorm_mode_16_64 3
		.amdhsa_dx10_clamp 1
		.amdhsa_ieee_mode 1
		.amdhsa_fp16_overflow 0
		.amdhsa_workgroup_processor_mode 1
		.amdhsa_memory_ordered 1
		.amdhsa_forward_progress 1
		.amdhsa_shared_vgpr_count 0
		.amdhsa_exception_fp_ieee_invalid_op 0
		.amdhsa_exception_fp_denorm_src 0
		.amdhsa_exception_fp_ieee_div_zero 0
		.amdhsa_exception_fp_ieee_overflow 0
		.amdhsa_exception_fp_ieee_underflow 0
		.amdhsa_exception_fp_ieee_inexact 0
		.amdhsa_exception_int_div_zero 0
	.end_amdhsa_kernel
	.section	.text._ZN7rocprim17ROCPRIM_400000_NS6detail17trampoline_kernelINS0_14default_configENS1_38merge_sort_block_merge_config_selectorIiNS0_10empty_typeEEEZZNS1_27merge_sort_block_merge_implIS3_N6thrust23THRUST_200600_302600_NS6detail15normal_iteratorINS9_10device_ptrIiEEEEPS5_m17evens_before_oddsEE10hipError_tT0_T1_T2_jT3_P12ihipStream_tbPNSt15iterator_traitsISI_E10value_typeEPNSO_ISJ_E10value_typeEPSK_NS1_7vsmem_tEENKUlT_SI_SJ_SK_E_clISE_PiSF_SF_EESH_SX_SI_SJ_SK_EUlSX_E1_NS1_11comp_targetILNS1_3genE0ELNS1_11target_archE4294967295ELNS1_3gpuE0ELNS1_3repE0EEENS1_36merge_oddeven_config_static_selectorELNS0_4arch9wavefront6targetE0EEEvSJ_,"axG",@progbits,_ZN7rocprim17ROCPRIM_400000_NS6detail17trampoline_kernelINS0_14default_configENS1_38merge_sort_block_merge_config_selectorIiNS0_10empty_typeEEEZZNS1_27merge_sort_block_merge_implIS3_N6thrust23THRUST_200600_302600_NS6detail15normal_iteratorINS9_10device_ptrIiEEEEPS5_m17evens_before_oddsEE10hipError_tT0_T1_T2_jT3_P12ihipStream_tbPNSt15iterator_traitsISI_E10value_typeEPNSO_ISJ_E10value_typeEPSK_NS1_7vsmem_tEENKUlT_SI_SJ_SK_E_clISE_PiSF_SF_EESH_SX_SI_SJ_SK_EUlSX_E1_NS1_11comp_targetILNS1_3genE0ELNS1_11target_archE4294967295ELNS1_3gpuE0ELNS1_3repE0EEENS1_36merge_oddeven_config_static_selectorELNS0_4arch9wavefront6targetE0EEEvSJ_,comdat
.Lfunc_end448:
	.size	_ZN7rocprim17ROCPRIM_400000_NS6detail17trampoline_kernelINS0_14default_configENS1_38merge_sort_block_merge_config_selectorIiNS0_10empty_typeEEEZZNS1_27merge_sort_block_merge_implIS3_N6thrust23THRUST_200600_302600_NS6detail15normal_iteratorINS9_10device_ptrIiEEEEPS5_m17evens_before_oddsEE10hipError_tT0_T1_T2_jT3_P12ihipStream_tbPNSt15iterator_traitsISI_E10value_typeEPNSO_ISJ_E10value_typeEPSK_NS1_7vsmem_tEENKUlT_SI_SJ_SK_E_clISE_PiSF_SF_EESH_SX_SI_SJ_SK_EUlSX_E1_NS1_11comp_targetILNS1_3genE0ELNS1_11target_archE4294967295ELNS1_3gpuE0ELNS1_3repE0EEENS1_36merge_oddeven_config_static_selectorELNS0_4arch9wavefront6targetE0EEEvSJ_, .Lfunc_end448-_ZN7rocprim17ROCPRIM_400000_NS6detail17trampoline_kernelINS0_14default_configENS1_38merge_sort_block_merge_config_selectorIiNS0_10empty_typeEEEZZNS1_27merge_sort_block_merge_implIS3_N6thrust23THRUST_200600_302600_NS6detail15normal_iteratorINS9_10device_ptrIiEEEEPS5_m17evens_before_oddsEE10hipError_tT0_T1_T2_jT3_P12ihipStream_tbPNSt15iterator_traitsISI_E10value_typeEPNSO_ISJ_E10value_typeEPSK_NS1_7vsmem_tEENKUlT_SI_SJ_SK_E_clISE_PiSF_SF_EESH_SX_SI_SJ_SK_EUlSX_E1_NS1_11comp_targetILNS1_3genE0ELNS1_11target_archE4294967295ELNS1_3gpuE0ELNS1_3repE0EEENS1_36merge_oddeven_config_static_selectorELNS0_4arch9wavefront6targetE0EEEvSJ_
                                        ; -- End function
	.set _ZN7rocprim17ROCPRIM_400000_NS6detail17trampoline_kernelINS0_14default_configENS1_38merge_sort_block_merge_config_selectorIiNS0_10empty_typeEEEZZNS1_27merge_sort_block_merge_implIS3_N6thrust23THRUST_200600_302600_NS6detail15normal_iteratorINS9_10device_ptrIiEEEEPS5_m17evens_before_oddsEE10hipError_tT0_T1_T2_jT3_P12ihipStream_tbPNSt15iterator_traitsISI_E10value_typeEPNSO_ISJ_E10value_typeEPSK_NS1_7vsmem_tEENKUlT_SI_SJ_SK_E_clISE_PiSF_SF_EESH_SX_SI_SJ_SK_EUlSX_E1_NS1_11comp_targetILNS1_3genE0ELNS1_11target_archE4294967295ELNS1_3gpuE0ELNS1_3repE0EEENS1_36merge_oddeven_config_static_selectorELNS0_4arch9wavefront6targetE0EEEvSJ_.num_vgpr, 0
	.set _ZN7rocprim17ROCPRIM_400000_NS6detail17trampoline_kernelINS0_14default_configENS1_38merge_sort_block_merge_config_selectorIiNS0_10empty_typeEEEZZNS1_27merge_sort_block_merge_implIS3_N6thrust23THRUST_200600_302600_NS6detail15normal_iteratorINS9_10device_ptrIiEEEEPS5_m17evens_before_oddsEE10hipError_tT0_T1_T2_jT3_P12ihipStream_tbPNSt15iterator_traitsISI_E10value_typeEPNSO_ISJ_E10value_typeEPSK_NS1_7vsmem_tEENKUlT_SI_SJ_SK_E_clISE_PiSF_SF_EESH_SX_SI_SJ_SK_EUlSX_E1_NS1_11comp_targetILNS1_3genE0ELNS1_11target_archE4294967295ELNS1_3gpuE0ELNS1_3repE0EEENS1_36merge_oddeven_config_static_selectorELNS0_4arch9wavefront6targetE0EEEvSJ_.num_agpr, 0
	.set _ZN7rocprim17ROCPRIM_400000_NS6detail17trampoline_kernelINS0_14default_configENS1_38merge_sort_block_merge_config_selectorIiNS0_10empty_typeEEEZZNS1_27merge_sort_block_merge_implIS3_N6thrust23THRUST_200600_302600_NS6detail15normal_iteratorINS9_10device_ptrIiEEEEPS5_m17evens_before_oddsEE10hipError_tT0_T1_T2_jT3_P12ihipStream_tbPNSt15iterator_traitsISI_E10value_typeEPNSO_ISJ_E10value_typeEPSK_NS1_7vsmem_tEENKUlT_SI_SJ_SK_E_clISE_PiSF_SF_EESH_SX_SI_SJ_SK_EUlSX_E1_NS1_11comp_targetILNS1_3genE0ELNS1_11target_archE4294967295ELNS1_3gpuE0ELNS1_3repE0EEENS1_36merge_oddeven_config_static_selectorELNS0_4arch9wavefront6targetE0EEEvSJ_.numbered_sgpr, 0
	.set _ZN7rocprim17ROCPRIM_400000_NS6detail17trampoline_kernelINS0_14default_configENS1_38merge_sort_block_merge_config_selectorIiNS0_10empty_typeEEEZZNS1_27merge_sort_block_merge_implIS3_N6thrust23THRUST_200600_302600_NS6detail15normal_iteratorINS9_10device_ptrIiEEEEPS5_m17evens_before_oddsEE10hipError_tT0_T1_T2_jT3_P12ihipStream_tbPNSt15iterator_traitsISI_E10value_typeEPNSO_ISJ_E10value_typeEPSK_NS1_7vsmem_tEENKUlT_SI_SJ_SK_E_clISE_PiSF_SF_EESH_SX_SI_SJ_SK_EUlSX_E1_NS1_11comp_targetILNS1_3genE0ELNS1_11target_archE4294967295ELNS1_3gpuE0ELNS1_3repE0EEENS1_36merge_oddeven_config_static_selectorELNS0_4arch9wavefront6targetE0EEEvSJ_.num_named_barrier, 0
	.set _ZN7rocprim17ROCPRIM_400000_NS6detail17trampoline_kernelINS0_14default_configENS1_38merge_sort_block_merge_config_selectorIiNS0_10empty_typeEEEZZNS1_27merge_sort_block_merge_implIS3_N6thrust23THRUST_200600_302600_NS6detail15normal_iteratorINS9_10device_ptrIiEEEEPS5_m17evens_before_oddsEE10hipError_tT0_T1_T2_jT3_P12ihipStream_tbPNSt15iterator_traitsISI_E10value_typeEPNSO_ISJ_E10value_typeEPSK_NS1_7vsmem_tEENKUlT_SI_SJ_SK_E_clISE_PiSF_SF_EESH_SX_SI_SJ_SK_EUlSX_E1_NS1_11comp_targetILNS1_3genE0ELNS1_11target_archE4294967295ELNS1_3gpuE0ELNS1_3repE0EEENS1_36merge_oddeven_config_static_selectorELNS0_4arch9wavefront6targetE0EEEvSJ_.private_seg_size, 0
	.set _ZN7rocprim17ROCPRIM_400000_NS6detail17trampoline_kernelINS0_14default_configENS1_38merge_sort_block_merge_config_selectorIiNS0_10empty_typeEEEZZNS1_27merge_sort_block_merge_implIS3_N6thrust23THRUST_200600_302600_NS6detail15normal_iteratorINS9_10device_ptrIiEEEEPS5_m17evens_before_oddsEE10hipError_tT0_T1_T2_jT3_P12ihipStream_tbPNSt15iterator_traitsISI_E10value_typeEPNSO_ISJ_E10value_typeEPSK_NS1_7vsmem_tEENKUlT_SI_SJ_SK_E_clISE_PiSF_SF_EESH_SX_SI_SJ_SK_EUlSX_E1_NS1_11comp_targetILNS1_3genE0ELNS1_11target_archE4294967295ELNS1_3gpuE0ELNS1_3repE0EEENS1_36merge_oddeven_config_static_selectorELNS0_4arch9wavefront6targetE0EEEvSJ_.uses_vcc, 0
	.set _ZN7rocprim17ROCPRIM_400000_NS6detail17trampoline_kernelINS0_14default_configENS1_38merge_sort_block_merge_config_selectorIiNS0_10empty_typeEEEZZNS1_27merge_sort_block_merge_implIS3_N6thrust23THRUST_200600_302600_NS6detail15normal_iteratorINS9_10device_ptrIiEEEEPS5_m17evens_before_oddsEE10hipError_tT0_T1_T2_jT3_P12ihipStream_tbPNSt15iterator_traitsISI_E10value_typeEPNSO_ISJ_E10value_typeEPSK_NS1_7vsmem_tEENKUlT_SI_SJ_SK_E_clISE_PiSF_SF_EESH_SX_SI_SJ_SK_EUlSX_E1_NS1_11comp_targetILNS1_3genE0ELNS1_11target_archE4294967295ELNS1_3gpuE0ELNS1_3repE0EEENS1_36merge_oddeven_config_static_selectorELNS0_4arch9wavefront6targetE0EEEvSJ_.uses_flat_scratch, 0
	.set _ZN7rocprim17ROCPRIM_400000_NS6detail17trampoline_kernelINS0_14default_configENS1_38merge_sort_block_merge_config_selectorIiNS0_10empty_typeEEEZZNS1_27merge_sort_block_merge_implIS3_N6thrust23THRUST_200600_302600_NS6detail15normal_iteratorINS9_10device_ptrIiEEEEPS5_m17evens_before_oddsEE10hipError_tT0_T1_T2_jT3_P12ihipStream_tbPNSt15iterator_traitsISI_E10value_typeEPNSO_ISJ_E10value_typeEPSK_NS1_7vsmem_tEENKUlT_SI_SJ_SK_E_clISE_PiSF_SF_EESH_SX_SI_SJ_SK_EUlSX_E1_NS1_11comp_targetILNS1_3genE0ELNS1_11target_archE4294967295ELNS1_3gpuE0ELNS1_3repE0EEENS1_36merge_oddeven_config_static_selectorELNS0_4arch9wavefront6targetE0EEEvSJ_.has_dyn_sized_stack, 0
	.set _ZN7rocprim17ROCPRIM_400000_NS6detail17trampoline_kernelINS0_14default_configENS1_38merge_sort_block_merge_config_selectorIiNS0_10empty_typeEEEZZNS1_27merge_sort_block_merge_implIS3_N6thrust23THRUST_200600_302600_NS6detail15normal_iteratorINS9_10device_ptrIiEEEEPS5_m17evens_before_oddsEE10hipError_tT0_T1_T2_jT3_P12ihipStream_tbPNSt15iterator_traitsISI_E10value_typeEPNSO_ISJ_E10value_typeEPSK_NS1_7vsmem_tEENKUlT_SI_SJ_SK_E_clISE_PiSF_SF_EESH_SX_SI_SJ_SK_EUlSX_E1_NS1_11comp_targetILNS1_3genE0ELNS1_11target_archE4294967295ELNS1_3gpuE0ELNS1_3repE0EEENS1_36merge_oddeven_config_static_selectorELNS0_4arch9wavefront6targetE0EEEvSJ_.has_recursion, 0
	.set _ZN7rocprim17ROCPRIM_400000_NS6detail17trampoline_kernelINS0_14default_configENS1_38merge_sort_block_merge_config_selectorIiNS0_10empty_typeEEEZZNS1_27merge_sort_block_merge_implIS3_N6thrust23THRUST_200600_302600_NS6detail15normal_iteratorINS9_10device_ptrIiEEEEPS5_m17evens_before_oddsEE10hipError_tT0_T1_T2_jT3_P12ihipStream_tbPNSt15iterator_traitsISI_E10value_typeEPNSO_ISJ_E10value_typeEPSK_NS1_7vsmem_tEENKUlT_SI_SJ_SK_E_clISE_PiSF_SF_EESH_SX_SI_SJ_SK_EUlSX_E1_NS1_11comp_targetILNS1_3genE0ELNS1_11target_archE4294967295ELNS1_3gpuE0ELNS1_3repE0EEENS1_36merge_oddeven_config_static_selectorELNS0_4arch9wavefront6targetE0EEEvSJ_.has_indirect_call, 0
	.section	.AMDGPU.csdata,"",@progbits
; Kernel info:
; codeLenInByte = 0
; TotalNumSgprs: 0
; NumVgprs: 0
; ScratchSize: 0
; MemoryBound: 0
; FloatMode: 240
; IeeeMode: 1
; LDSByteSize: 0 bytes/workgroup (compile time only)
; SGPRBlocks: 0
; VGPRBlocks: 0
; NumSGPRsForWavesPerEU: 1
; NumVGPRsForWavesPerEU: 1
; Occupancy: 16
; WaveLimiterHint : 0
; COMPUTE_PGM_RSRC2:SCRATCH_EN: 0
; COMPUTE_PGM_RSRC2:USER_SGPR: 6
; COMPUTE_PGM_RSRC2:TRAP_HANDLER: 0
; COMPUTE_PGM_RSRC2:TGID_X_EN: 1
; COMPUTE_PGM_RSRC2:TGID_Y_EN: 0
; COMPUTE_PGM_RSRC2:TGID_Z_EN: 0
; COMPUTE_PGM_RSRC2:TIDIG_COMP_CNT: 0
	.section	.text._ZN7rocprim17ROCPRIM_400000_NS6detail17trampoline_kernelINS0_14default_configENS1_38merge_sort_block_merge_config_selectorIiNS0_10empty_typeEEEZZNS1_27merge_sort_block_merge_implIS3_N6thrust23THRUST_200600_302600_NS6detail15normal_iteratorINS9_10device_ptrIiEEEEPS5_m17evens_before_oddsEE10hipError_tT0_T1_T2_jT3_P12ihipStream_tbPNSt15iterator_traitsISI_E10value_typeEPNSO_ISJ_E10value_typeEPSK_NS1_7vsmem_tEENKUlT_SI_SJ_SK_E_clISE_PiSF_SF_EESH_SX_SI_SJ_SK_EUlSX_E1_NS1_11comp_targetILNS1_3genE10ELNS1_11target_archE1201ELNS1_3gpuE5ELNS1_3repE0EEENS1_36merge_oddeven_config_static_selectorELNS0_4arch9wavefront6targetE0EEEvSJ_,"axG",@progbits,_ZN7rocprim17ROCPRIM_400000_NS6detail17trampoline_kernelINS0_14default_configENS1_38merge_sort_block_merge_config_selectorIiNS0_10empty_typeEEEZZNS1_27merge_sort_block_merge_implIS3_N6thrust23THRUST_200600_302600_NS6detail15normal_iteratorINS9_10device_ptrIiEEEEPS5_m17evens_before_oddsEE10hipError_tT0_T1_T2_jT3_P12ihipStream_tbPNSt15iterator_traitsISI_E10value_typeEPNSO_ISJ_E10value_typeEPSK_NS1_7vsmem_tEENKUlT_SI_SJ_SK_E_clISE_PiSF_SF_EESH_SX_SI_SJ_SK_EUlSX_E1_NS1_11comp_targetILNS1_3genE10ELNS1_11target_archE1201ELNS1_3gpuE5ELNS1_3repE0EEENS1_36merge_oddeven_config_static_selectorELNS0_4arch9wavefront6targetE0EEEvSJ_,comdat
	.protected	_ZN7rocprim17ROCPRIM_400000_NS6detail17trampoline_kernelINS0_14default_configENS1_38merge_sort_block_merge_config_selectorIiNS0_10empty_typeEEEZZNS1_27merge_sort_block_merge_implIS3_N6thrust23THRUST_200600_302600_NS6detail15normal_iteratorINS9_10device_ptrIiEEEEPS5_m17evens_before_oddsEE10hipError_tT0_T1_T2_jT3_P12ihipStream_tbPNSt15iterator_traitsISI_E10value_typeEPNSO_ISJ_E10value_typeEPSK_NS1_7vsmem_tEENKUlT_SI_SJ_SK_E_clISE_PiSF_SF_EESH_SX_SI_SJ_SK_EUlSX_E1_NS1_11comp_targetILNS1_3genE10ELNS1_11target_archE1201ELNS1_3gpuE5ELNS1_3repE0EEENS1_36merge_oddeven_config_static_selectorELNS0_4arch9wavefront6targetE0EEEvSJ_ ; -- Begin function _ZN7rocprim17ROCPRIM_400000_NS6detail17trampoline_kernelINS0_14default_configENS1_38merge_sort_block_merge_config_selectorIiNS0_10empty_typeEEEZZNS1_27merge_sort_block_merge_implIS3_N6thrust23THRUST_200600_302600_NS6detail15normal_iteratorINS9_10device_ptrIiEEEEPS5_m17evens_before_oddsEE10hipError_tT0_T1_T2_jT3_P12ihipStream_tbPNSt15iterator_traitsISI_E10value_typeEPNSO_ISJ_E10value_typeEPSK_NS1_7vsmem_tEENKUlT_SI_SJ_SK_E_clISE_PiSF_SF_EESH_SX_SI_SJ_SK_EUlSX_E1_NS1_11comp_targetILNS1_3genE10ELNS1_11target_archE1201ELNS1_3gpuE5ELNS1_3repE0EEENS1_36merge_oddeven_config_static_selectorELNS0_4arch9wavefront6targetE0EEEvSJ_
	.globl	_ZN7rocprim17ROCPRIM_400000_NS6detail17trampoline_kernelINS0_14default_configENS1_38merge_sort_block_merge_config_selectorIiNS0_10empty_typeEEEZZNS1_27merge_sort_block_merge_implIS3_N6thrust23THRUST_200600_302600_NS6detail15normal_iteratorINS9_10device_ptrIiEEEEPS5_m17evens_before_oddsEE10hipError_tT0_T1_T2_jT3_P12ihipStream_tbPNSt15iterator_traitsISI_E10value_typeEPNSO_ISJ_E10value_typeEPSK_NS1_7vsmem_tEENKUlT_SI_SJ_SK_E_clISE_PiSF_SF_EESH_SX_SI_SJ_SK_EUlSX_E1_NS1_11comp_targetILNS1_3genE10ELNS1_11target_archE1201ELNS1_3gpuE5ELNS1_3repE0EEENS1_36merge_oddeven_config_static_selectorELNS0_4arch9wavefront6targetE0EEEvSJ_
	.p2align	8
	.type	_ZN7rocprim17ROCPRIM_400000_NS6detail17trampoline_kernelINS0_14default_configENS1_38merge_sort_block_merge_config_selectorIiNS0_10empty_typeEEEZZNS1_27merge_sort_block_merge_implIS3_N6thrust23THRUST_200600_302600_NS6detail15normal_iteratorINS9_10device_ptrIiEEEEPS5_m17evens_before_oddsEE10hipError_tT0_T1_T2_jT3_P12ihipStream_tbPNSt15iterator_traitsISI_E10value_typeEPNSO_ISJ_E10value_typeEPSK_NS1_7vsmem_tEENKUlT_SI_SJ_SK_E_clISE_PiSF_SF_EESH_SX_SI_SJ_SK_EUlSX_E1_NS1_11comp_targetILNS1_3genE10ELNS1_11target_archE1201ELNS1_3gpuE5ELNS1_3repE0EEENS1_36merge_oddeven_config_static_selectorELNS0_4arch9wavefront6targetE0EEEvSJ_,@function
_ZN7rocprim17ROCPRIM_400000_NS6detail17trampoline_kernelINS0_14default_configENS1_38merge_sort_block_merge_config_selectorIiNS0_10empty_typeEEEZZNS1_27merge_sort_block_merge_implIS3_N6thrust23THRUST_200600_302600_NS6detail15normal_iteratorINS9_10device_ptrIiEEEEPS5_m17evens_before_oddsEE10hipError_tT0_T1_T2_jT3_P12ihipStream_tbPNSt15iterator_traitsISI_E10value_typeEPNSO_ISJ_E10value_typeEPSK_NS1_7vsmem_tEENKUlT_SI_SJ_SK_E_clISE_PiSF_SF_EESH_SX_SI_SJ_SK_EUlSX_E1_NS1_11comp_targetILNS1_3genE10ELNS1_11target_archE1201ELNS1_3gpuE5ELNS1_3repE0EEENS1_36merge_oddeven_config_static_selectorELNS0_4arch9wavefront6targetE0EEEvSJ_: ; @_ZN7rocprim17ROCPRIM_400000_NS6detail17trampoline_kernelINS0_14default_configENS1_38merge_sort_block_merge_config_selectorIiNS0_10empty_typeEEEZZNS1_27merge_sort_block_merge_implIS3_N6thrust23THRUST_200600_302600_NS6detail15normal_iteratorINS9_10device_ptrIiEEEEPS5_m17evens_before_oddsEE10hipError_tT0_T1_T2_jT3_P12ihipStream_tbPNSt15iterator_traitsISI_E10value_typeEPNSO_ISJ_E10value_typeEPSK_NS1_7vsmem_tEENKUlT_SI_SJ_SK_E_clISE_PiSF_SF_EESH_SX_SI_SJ_SK_EUlSX_E1_NS1_11comp_targetILNS1_3genE10ELNS1_11target_archE1201ELNS1_3gpuE5ELNS1_3repE0EEENS1_36merge_oddeven_config_static_selectorELNS0_4arch9wavefront6targetE0EEEvSJ_
; %bb.0:
	.section	.rodata,"a",@progbits
	.p2align	6, 0x0
	.amdhsa_kernel _ZN7rocprim17ROCPRIM_400000_NS6detail17trampoline_kernelINS0_14default_configENS1_38merge_sort_block_merge_config_selectorIiNS0_10empty_typeEEEZZNS1_27merge_sort_block_merge_implIS3_N6thrust23THRUST_200600_302600_NS6detail15normal_iteratorINS9_10device_ptrIiEEEEPS5_m17evens_before_oddsEE10hipError_tT0_T1_T2_jT3_P12ihipStream_tbPNSt15iterator_traitsISI_E10value_typeEPNSO_ISJ_E10value_typeEPSK_NS1_7vsmem_tEENKUlT_SI_SJ_SK_E_clISE_PiSF_SF_EESH_SX_SI_SJ_SK_EUlSX_E1_NS1_11comp_targetILNS1_3genE10ELNS1_11target_archE1201ELNS1_3gpuE5ELNS1_3repE0EEENS1_36merge_oddeven_config_static_selectorELNS0_4arch9wavefront6targetE0EEEvSJ_
		.amdhsa_group_segment_fixed_size 0
		.amdhsa_private_segment_fixed_size 0
		.amdhsa_kernarg_size 56
		.amdhsa_user_sgpr_count 6
		.amdhsa_user_sgpr_private_segment_buffer 1
		.amdhsa_user_sgpr_dispatch_ptr 0
		.amdhsa_user_sgpr_queue_ptr 0
		.amdhsa_user_sgpr_kernarg_segment_ptr 1
		.amdhsa_user_sgpr_dispatch_id 0
		.amdhsa_user_sgpr_flat_scratch_init 0
		.amdhsa_user_sgpr_private_segment_size 0
		.amdhsa_wavefront_size32 1
		.amdhsa_uses_dynamic_stack 0
		.amdhsa_system_sgpr_private_segment_wavefront_offset 0
		.amdhsa_system_sgpr_workgroup_id_x 1
		.amdhsa_system_sgpr_workgroup_id_y 0
		.amdhsa_system_sgpr_workgroup_id_z 0
		.amdhsa_system_sgpr_workgroup_info 0
		.amdhsa_system_vgpr_workitem_id 0
		.amdhsa_next_free_vgpr 1
		.amdhsa_next_free_sgpr 1
		.amdhsa_reserve_vcc 0
		.amdhsa_reserve_flat_scratch 0
		.amdhsa_float_round_mode_32 0
		.amdhsa_float_round_mode_16_64 0
		.amdhsa_float_denorm_mode_32 3
		.amdhsa_float_denorm_mode_16_64 3
		.amdhsa_dx10_clamp 1
		.amdhsa_ieee_mode 1
		.amdhsa_fp16_overflow 0
		.amdhsa_workgroup_processor_mode 1
		.amdhsa_memory_ordered 1
		.amdhsa_forward_progress 1
		.amdhsa_shared_vgpr_count 0
		.amdhsa_exception_fp_ieee_invalid_op 0
		.amdhsa_exception_fp_denorm_src 0
		.amdhsa_exception_fp_ieee_div_zero 0
		.amdhsa_exception_fp_ieee_overflow 0
		.amdhsa_exception_fp_ieee_underflow 0
		.amdhsa_exception_fp_ieee_inexact 0
		.amdhsa_exception_int_div_zero 0
	.end_amdhsa_kernel
	.section	.text._ZN7rocprim17ROCPRIM_400000_NS6detail17trampoline_kernelINS0_14default_configENS1_38merge_sort_block_merge_config_selectorIiNS0_10empty_typeEEEZZNS1_27merge_sort_block_merge_implIS3_N6thrust23THRUST_200600_302600_NS6detail15normal_iteratorINS9_10device_ptrIiEEEEPS5_m17evens_before_oddsEE10hipError_tT0_T1_T2_jT3_P12ihipStream_tbPNSt15iterator_traitsISI_E10value_typeEPNSO_ISJ_E10value_typeEPSK_NS1_7vsmem_tEENKUlT_SI_SJ_SK_E_clISE_PiSF_SF_EESH_SX_SI_SJ_SK_EUlSX_E1_NS1_11comp_targetILNS1_3genE10ELNS1_11target_archE1201ELNS1_3gpuE5ELNS1_3repE0EEENS1_36merge_oddeven_config_static_selectorELNS0_4arch9wavefront6targetE0EEEvSJ_,"axG",@progbits,_ZN7rocprim17ROCPRIM_400000_NS6detail17trampoline_kernelINS0_14default_configENS1_38merge_sort_block_merge_config_selectorIiNS0_10empty_typeEEEZZNS1_27merge_sort_block_merge_implIS3_N6thrust23THRUST_200600_302600_NS6detail15normal_iteratorINS9_10device_ptrIiEEEEPS5_m17evens_before_oddsEE10hipError_tT0_T1_T2_jT3_P12ihipStream_tbPNSt15iterator_traitsISI_E10value_typeEPNSO_ISJ_E10value_typeEPSK_NS1_7vsmem_tEENKUlT_SI_SJ_SK_E_clISE_PiSF_SF_EESH_SX_SI_SJ_SK_EUlSX_E1_NS1_11comp_targetILNS1_3genE10ELNS1_11target_archE1201ELNS1_3gpuE5ELNS1_3repE0EEENS1_36merge_oddeven_config_static_selectorELNS0_4arch9wavefront6targetE0EEEvSJ_,comdat
.Lfunc_end449:
	.size	_ZN7rocprim17ROCPRIM_400000_NS6detail17trampoline_kernelINS0_14default_configENS1_38merge_sort_block_merge_config_selectorIiNS0_10empty_typeEEEZZNS1_27merge_sort_block_merge_implIS3_N6thrust23THRUST_200600_302600_NS6detail15normal_iteratorINS9_10device_ptrIiEEEEPS5_m17evens_before_oddsEE10hipError_tT0_T1_T2_jT3_P12ihipStream_tbPNSt15iterator_traitsISI_E10value_typeEPNSO_ISJ_E10value_typeEPSK_NS1_7vsmem_tEENKUlT_SI_SJ_SK_E_clISE_PiSF_SF_EESH_SX_SI_SJ_SK_EUlSX_E1_NS1_11comp_targetILNS1_3genE10ELNS1_11target_archE1201ELNS1_3gpuE5ELNS1_3repE0EEENS1_36merge_oddeven_config_static_selectorELNS0_4arch9wavefront6targetE0EEEvSJ_, .Lfunc_end449-_ZN7rocprim17ROCPRIM_400000_NS6detail17trampoline_kernelINS0_14default_configENS1_38merge_sort_block_merge_config_selectorIiNS0_10empty_typeEEEZZNS1_27merge_sort_block_merge_implIS3_N6thrust23THRUST_200600_302600_NS6detail15normal_iteratorINS9_10device_ptrIiEEEEPS5_m17evens_before_oddsEE10hipError_tT0_T1_T2_jT3_P12ihipStream_tbPNSt15iterator_traitsISI_E10value_typeEPNSO_ISJ_E10value_typeEPSK_NS1_7vsmem_tEENKUlT_SI_SJ_SK_E_clISE_PiSF_SF_EESH_SX_SI_SJ_SK_EUlSX_E1_NS1_11comp_targetILNS1_3genE10ELNS1_11target_archE1201ELNS1_3gpuE5ELNS1_3repE0EEENS1_36merge_oddeven_config_static_selectorELNS0_4arch9wavefront6targetE0EEEvSJ_
                                        ; -- End function
	.set _ZN7rocprim17ROCPRIM_400000_NS6detail17trampoline_kernelINS0_14default_configENS1_38merge_sort_block_merge_config_selectorIiNS0_10empty_typeEEEZZNS1_27merge_sort_block_merge_implIS3_N6thrust23THRUST_200600_302600_NS6detail15normal_iteratorINS9_10device_ptrIiEEEEPS5_m17evens_before_oddsEE10hipError_tT0_T1_T2_jT3_P12ihipStream_tbPNSt15iterator_traitsISI_E10value_typeEPNSO_ISJ_E10value_typeEPSK_NS1_7vsmem_tEENKUlT_SI_SJ_SK_E_clISE_PiSF_SF_EESH_SX_SI_SJ_SK_EUlSX_E1_NS1_11comp_targetILNS1_3genE10ELNS1_11target_archE1201ELNS1_3gpuE5ELNS1_3repE0EEENS1_36merge_oddeven_config_static_selectorELNS0_4arch9wavefront6targetE0EEEvSJ_.num_vgpr, 0
	.set _ZN7rocprim17ROCPRIM_400000_NS6detail17trampoline_kernelINS0_14default_configENS1_38merge_sort_block_merge_config_selectorIiNS0_10empty_typeEEEZZNS1_27merge_sort_block_merge_implIS3_N6thrust23THRUST_200600_302600_NS6detail15normal_iteratorINS9_10device_ptrIiEEEEPS5_m17evens_before_oddsEE10hipError_tT0_T1_T2_jT3_P12ihipStream_tbPNSt15iterator_traitsISI_E10value_typeEPNSO_ISJ_E10value_typeEPSK_NS1_7vsmem_tEENKUlT_SI_SJ_SK_E_clISE_PiSF_SF_EESH_SX_SI_SJ_SK_EUlSX_E1_NS1_11comp_targetILNS1_3genE10ELNS1_11target_archE1201ELNS1_3gpuE5ELNS1_3repE0EEENS1_36merge_oddeven_config_static_selectorELNS0_4arch9wavefront6targetE0EEEvSJ_.num_agpr, 0
	.set _ZN7rocprim17ROCPRIM_400000_NS6detail17trampoline_kernelINS0_14default_configENS1_38merge_sort_block_merge_config_selectorIiNS0_10empty_typeEEEZZNS1_27merge_sort_block_merge_implIS3_N6thrust23THRUST_200600_302600_NS6detail15normal_iteratorINS9_10device_ptrIiEEEEPS5_m17evens_before_oddsEE10hipError_tT0_T1_T2_jT3_P12ihipStream_tbPNSt15iterator_traitsISI_E10value_typeEPNSO_ISJ_E10value_typeEPSK_NS1_7vsmem_tEENKUlT_SI_SJ_SK_E_clISE_PiSF_SF_EESH_SX_SI_SJ_SK_EUlSX_E1_NS1_11comp_targetILNS1_3genE10ELNS1_11target_archE1201ELNS1_3gpuE5ELNS1_3repE0EEENS1_36merge_oddeven_config_static_selectorELNS0_4arch9wavefront6targetE0EEEvSJ_.numbered_sgpr, 0
	.set _ZN7rocprim17ROCPRIM_400000_NS6detail17trampoline_kernelINS0_14default_configENS1_38merge_sort_block_merge_config_selectorIiNS0_10empty_typeEEEZZNS1_27merge_sort_block_merge_implIS3_N6thrust23THRUST_200600_302600_NS6detail15normal_iteratorINS9_10device_ptrIiEEEEPS5_m17evens_before_oddsEE10hipError_tT0_T1_T2_jT3_P12ihipStream_tbPNSt15iterator_traitsISI_E10value_typeEPNSO_ISJ_E10value_typeEPSK_NS1_7vsmem_tEENKUlT_SI_SJ_SK_E_clISE_PiSF_SF_EESH_SX_SI_SJ_SK_EUlSX_E1_NS1_11comp_targetILNS1_3genE10ELNS1_11target_archE1201ELNS1_3gpuE5ELNS1_3repE0EEENS1_36merge_oddeven_config_static_selectorELNS0_4arch9wavefront6targetE0EEEvSJ_.num_named_barrier, 0
	.set _ZN7rocprim17ROCPRIM_400000_NS6detail17trampoline_kernelINS0_14default_configENS1_38merge_sort_block_merge_config_selectorIiNS0_10empty_typeEEEZZNS1_27merge_sort_block_merge_implIS3_N6thrust23THRUST_200600_302600_NS6detail15normal_iteratorINS9_10device_ptrIiEEEEPS5_m17evens_before_oddsEE10hipError_tT0_T1_T2_jT3_P12ihipStream_tbPNSt15iterator_traitsISI_E10value_typeEPNSO_ISJ_E10value_typeEPSK_NS1_7vsmem_tEENKUlT_SI_SJ_SK_E_clISE_PiSF_SF_EESH_SX_SI_SJ_SK_EUlSX_E1_NS1_11comp_targetILNS1_3genE10ELNS1_11target_archE1201ELNS1_3gpuE5ELNS1_3repE0EEENS1_36merge_oddeven_config_static_selectorELNS0_4arch9wavefront6targetE0EEEvSJ_.private_seg_size, 0
	.set _ZN7rocprim17ROCPRIM_400000_NS6detail17trampoline_kernelINS0_14default_configENS1_38merge_sort_block_merge_config_selectorIiNS0_10empty_typeEEEZZNS1_27merge_sort_block_merge_implIS3_N6thrust23THRUST_200600_302600_NS6detail15normal_iteratorINS9_10device_ptrIiEEEEPS5_m17evens_before_oddsEE10hipError_tT0_T1_T2_jT3_P12ihipStream_tbPNSt15iterator_traitsISI_E10value_typeEPNSO_ISJ_E10value_typeEPSK_NS1_7vsmem_tEENKUlT_SI_SJ_SK_E_clISE_PiSF_SF_EESH_SX_SI_SJ_SK_EUlSX_E1_NS1_11comp_targetILNS1_3genE10ELNS1_11target_archE1201ELNS1_3gpuE5ELNS1_3repE0EEENS1_36merge_oddeven_config_static_selectorELNS0_4arch9wavefront6targetE0EEEvSJ_.uses_vcc, 0
	.set _ZN7rocprim17ROCPRIM_400000_NS6detail17trampoline_kernelINS0_14default_configENS1_38merge_sort_block_merge_config_selectorIiNS0_10empty_typeEEEZZNS1_27merge_sort_block_merge_implIS3_N6thrust23THRUST_200600_302600_NS6detail15normal_iteratorINS9_10device_ptrIiEEEEPS5_m17evens_before_oddsEE10hipError_tT0_T1_T2_jT3_P12ihipStream_tbPNSt15iterator_traitsISI_E10value_typeEPNSO_ISJ_E10value_typeEPSK_NS1_7vsmem_tEENKUlT_SI_SJ_SK_E_clISE_PiSF_SF_EESH_SX_SI_SJ_SK_EUlSX_E1_NS1_11comp_targetILNS1_3genE10ELNS1_11target_archE1201ELNS1_3gpuE5ELNS1_3repE0EEENS1_36merge_oddeven_config_static_selectorELNS0_4arch9wavefront6targetE0EEEvSJ_.uses_flat_scratch, 0
	.set _ZN7rocprim17ROCPRIM_400000_NS6detail17trampoline_kernelINS0_14default_configENS1_38merge_sort_block_merge_config_selectorIiNS0_10empty_typeEEEZZNS1_27merge_sort_block_merge_implIS3_N6thrust23THRUST_200600_302600_NS6detail15normal_iteratorINS9_10device_ptrIiEEEEPS5_m17evens_before_oddsEE10hipError_tT0_T1_T2_jT3_P12ihipStream_tbPNSt15iterator_traitsISI_E10value_typeEPNSO_ISJ_E10value_typeEPSK_NS1_7vsmem_tEENKUlT_SI_SJ_SK_E_clISE_PiSF_SF_EESH_SX_SI_SJ_SK_EUlSX_E1_NS1_11comp_targetILNS1_3genE10ELNS1_11target_archE1201ELNS1_3gpuE5ELNS1_3repE0EEENS1_36merge_oddeven_config_static_selectorELNS0_4arch9wavefront6targetE0EEEvSJ_.has_dyn_sized_stack, 0
	.set _ZN7rocprim17ROCPRIM_400000_NS6detail17trampoline_kernelINS0_14default_configENS1_38merge_sort_block_merge_config_selectorIiNS0_10empty_typeEEEZZNS1_27merge_sort_block_merge_implIS3_N6thrust23THRUST_200600_302600_NS6detail15normal_iteratorINS9_10device_ptrIiEEEEPS5_m17evens_before_oddsEE10hipError_tT0_T1_T2_jT3_P12ihipStream_tbPNSt15iterator_traitsISI_E10value_typeEPNSO_ISJ_E10value_typeEPSK_NS1_7vsmem_tEENKUlT_SI_SJ_SK_E_clISE_PiSF_SF_EESH_SX_SI_SJ_SK_EUlSX_E1_NS1_11comp_targetILNS1_3genE10ELNS1_11target_archE1201ELNS1_3gpuE5ELNS1_3repE0EEENS1_36merge_oddeven_config_static_selectorELNS0_4arch9wavefront6targetE0EEEvSJ_.has_recursion, 0
	.set _ZN7rocprim17ROCPRIM_400000_NS6detail17trampoline_kernelINS0_14default_configENS1_38merge_sort_block_merge_config_selectorIiNS0_10empty_typeEEEZZNS1_27merge_sort_block_merge_implIS3_N6thrust23THRUST_200600_302600_NS6detail15normal_iteratorINS9_10device_ptrIiEEEEPS5_m17evens_before_oddsEE10hipError_tT0_T1_T2_jT3_P12ihipStream_tbPNSt15iterator_traitsISI_E10value_typeEPNSO_ISJ_E10value_typeEPSK_NS1_7vsmem_tEENKUlT_SI_SJ_SK_E_clISE_PiSF_SF_EESH_SX_SI_SJ_SK_EUlSX_E1_NS1_11comp_targetILNS1_3genE10ELNS1_11target_archE1201ELNS1_3gpuE5ELNS1_3repE0EEENS1_36merge_oddeven_config_static_selectorELNS0_4arch9wavefront6targetE0EEEvSJ_.has_indirect_call, 0
	.section	.AMDGPU.csdata,"",@progbits
; Kernel info:
; codeLenInByte = 0
; TotalNumSgprs: 0
; NumVgprs: 0
; ScratchSize: 0
; MemoryBound: 0
; FloatMode: 240
; IeeeMode: 1
; LDSByteSize: 0 bytes/workgroup (compile time only)
; SGPRBlocks: 0
; VGPRBlocks: 0
; NumSGPRsForWavesPerEU: 1
; NumVGPRsForWavesPerEU: 1
; Occupancy: 16
; WaveLimiterHint : 0
; COMPUTE_PGM_RSRC2:SCRATCH_EN: 0
; COMPUTE_PGM_RSRC2:USER_SGPR: 6
; COMPUTE_PGM_RSRC2:TRAP_HANDLER: 0
; COMPUTE_PGM_RSRC2:TGID_X_EN: 1
; COMPUTE_PGM_RSRC2:TGID_Y_EN: 0
; COMPUTE_PGM_RSRC2:TGID_Z_EN: 0
; COMPUTE_PGM_RSRC2:TIDIG_COMP_CNT: 0
	.section	.text._ZN7rocprim17ROCPRIM_400000_NS6detail17trampoline_kernelINS0_14default_configENS1_38merge_sort_block_merge_config_selectorIiNS0_10empty_typeEEEZZNS1_27merge_sort_block_merge_implIS3_N6thrust23THRUST_200600_302600_NS6detail15normal_iteratorINS9_10device_ptrIiEEEEPS5_m17evens_before_oddsEE10hipError_tT0_T1_T2_jT3_P12ihipStream_tbPNSt15iterator_traitsISI_E10value_typeEPNSO_ISJ_E10value_typeEPSK_NS1_7vsmem_tEENKUlT_SI_SJ_SK_E_clISE_PiSF_SF_EESH_SX_SI_SJ_SK_EUlSX_E1_NS1_11comp_targetILNS1_3genE5ELNS1_11target_archE942ELNS1_3gpuE9ELNS1_3repE0EEENS1_36merge_oddeven_config_static_selectorELNS0_4arch9wavefront6targetE0EEEvSJ_,"axG",@progbits,_ZN7rocprim17ROCPRIM_400000_NS6detail17trampoline_kernelINS0_14default_configENS1_38merge_sort_block_merge_config_selectorIiNS0_10empty_typeEEEZZNS1_27merge_sort_block_merge_implIS3_N6thrust23THRUST_200600_302600_NS6detail15normal_iteratorINS9_10device_ptrIiEEEEPS5_m17evens_before_oddsEE10hipError_tT0_T1_T2_jT3_P12ihipStream_tbPNSt15iterator_traitsISI_E10value_typeEPNSO_ISJ_E10value_typeEPSK_NS1_7vsmem_tEENKUlT_SI_SJ_SK_E_clISE_PiSF_SF_EESH_SX_SI_SJ_SK_EUlSX_E1_NS1_11comp_targetILNS1_3genE5ELNS1_11target_archE942ELNS1_3gpuE9ELNS1_3repE0EEENS1_36merge_oddeven_config_static_selectorELNS0_4arch9wavefront6targetE0EEEvSJ_,comdat
	.protected	_ZN7rocprim17ROCPRIM_400000_NS6detail17trampoline_kernelINS0_14default_configENS1_38merge_sort_block_merge_config_selectorIiNS0_10empty_typeEEEZZNS1_27merge_sort_block_merge_implIS3_N6thrust23THRUST_200600_302600_NS6detail15normal_iteratorINS9_10device_ptrIiEEEEPS5_m17evens_before_oddsEE10hipError_tT0_T1_T2_jT3_P12ihipStream_tbPNSt15iterator_traitsISI_E10value_typeEPNSO_ISJ_E10value_typeEPSK_NS1_7vsmem_tEENKUlT_SI_SJ_SK_E_clISE_PiSF_SF_EESH_SX_SI_SJ_SK_EUlSX_E1_NS1_11comp_targetILNS1_3genE5ELNS1_11target_archE942ELNS1_3gpuE9ELNS1_3repE0EEENS1_36merge_oddeven_config_static_selectorELNS0_4arch9wavefront6targetE0EEEvSJ_ ; -- Begin function _ZN7rocprim17ROCPRIM_400000_NS6detail17trampoline_kernelINS0_14default_configENS1_38merge_sort_block_merge_config_selectorIiNS0_10empty_typeEEEZZNS1_27merge_sort_block_merge_implIS3_N6thrust23THRUST_200600_302600_NS6detail15normal_iteratorINS9_10device_ptrIiEEEEPS5_m17evens_before_oddsEE10hipError_tT0_T1_T2_jT3_P12ihipStream_tbPNSt15iterator_traitsISI_E10value_typeEPNSO_ISJ_E10value_typeEPSK_NS1_7vsmem_tEENKUlT_SI_SJ_SK_E_clISE_PiSF_SF_EESH_SX_SI_SJ_SK_EUlSX_E1_NS1_11comp_targetILNS1_3genE5ELNS1_11target_archE942ELNS1_3gpuE9ELNS1_3repE0EEENS1_36merge_oddeven_config_static_selectorELNS0_4arch9wavefront6targetE0EEEvSJ_
	.globl	_ZN7rocprim17ROCPRIM_400000_NS6detail17trampoline_kernelINS0_14default_configENS1_38merge_sort_block_merge_config_selectorIiNS0_10empty_typeEEEZZNS1_27merge_sort_block_merge_implIS3_N6thrust23THRUST_200600_302600_NS6detail15normal_iteratorINS9_10device_ptrIiEEEEPS5_m17evens_before_oddsEE10hipError_tT0_T1_T2_jT3_P12ihipStream_tbPNSt15iterator_traitsISI_E10value_typeEPNSO_ISJ_E10value_typeEPSK_NS1_7vsmem_tEENKUlT_SI_SJ_SK_E_clISE_PiSF_SF_EESH_SX_SI_SJ_SK_EUlSX_E1_NS1_11comp_targetILNS1_3genE5ELNS1_11target_archE942ELNS1_3gpuE9ELNS1_3repE0EEENS1_36merge_oddeven_config_static_selectorELNS0_4arch9wavefront6targetE0EEEvSJ_
	.p2align	8
	.type	_ZN7rocprim17ROCPRIM_400000_NS6detail17trampoline_kernelINS0_14default_configENS1_38merge_sort_block_merge_config_selectorIiNS0_10empty_typeEEEZZNS1_27merge_sort_block_merge_implIS3_N6thrust23THRUST_200600_302600_NS6detail15normal_iteratorINS9_10device_ptrIiEEEEPS5_m17evens_before_oddsEE10hipError_tT0_T1_T2_jT3_P12ihipStream_tbPNSt15iterator_traitsISI_E10value_typeEPNSO_ISJ_E10value_typeEPSK_NS1_7vsmem_tEENKUlT_SI_SJ_SK_E_clISE_PiSF_SF_EESH_SX_SI_SJ_SK_EUlSX_E1_NS1_11comp_targetILNS1_3genE5ELNS1_11target_archE942ELNS1_3gpuE9ELNS1_3repE0EEENS1_36merge_oddeven_config_static_selectorELNS0_4arch9wavefront6targetE0EEEvSJ_,@function
_ZN7rocprim17ROCPRIM_400000_NS6detail17trampoline_kernelINS0_14default_configENS1_38merge_sort_block_merge_config_selectorIiNS0_10empty_typeEEEZZNS1_27merge_sort_block_merge_implIS3_N6thrust23THRUST_200600_302600_NS6detail15normal_iteratorINS9_10device_ptrIiEEEEPS5_m17evens_before_oddsEE10hipError_tT0_T1_T2_jT3_P12ihipStream_tbPNSt15iterator_traitsISI_E10value_typeEPNSO_ISJ_E10value_typeEPSK_NS1_7vsmem_tEENKUlT_SI_SJ_SK_E_clISE_PiSF_SF_EESH_SX_SI_SJ_SK_EUlSX_E1_NS1_11comp_targetILNS1_3genE5ELNS1_11target_archE942ELNS1_3gpuE9ELNS1_3repE0EEENS1_36merge_oddeven_config_static_selectorELNS0_4arch9wavefront6targetE0EEEvSJ_: ; @_ZN7rocprim17ROCPRIM_400000_NS6detail17trampoline_kernelINS0_14default_configENS1_38merge_sort_block_merge_config_selectorIiNS0_10empty_typeEEEZZNS1_27merge_sort_block_merge_implIS3_N6thrust23THRUST_200600_302600_NS6detail15normal_iteratorINS9_10device_ptrIiEEEEPS5_m17evens_before_oddsEE10hipError_tT0_T1_T2_jT3_P12ihipStream_tbPNSt15iterator_traitsISI_E10value_typeEPNSO_ISJ_E10value_typeEPSK_NS1_7vsmem_tEENKUlT_SI_SJ_SK_E_clISE_PiSF_SF_EESH_SX_SI_SJ_SK_EUlSX_E1_NS1_11comp_targetILNS1_3genE5ELNS1_11target_archE942ELNS1_3gpuE9ELNS1_3repE0EEENS1_36merge_oddeven_config_static_selectorELNS0_4arch9wavefront6targetE0EEEvSJ_
; %bb.0:
	.section	.rodata,"a",@progbits
	.p2align	6, 0x0
	.amdhsa_kernel _ZN7rocprim17ROCPRIM_400000_NS6detail17trampoline_kernelINS0_14default_configENS1_38merge_sort_block_merge_config_selectorIiNS0_10empty_typeEEEZZNS1_27merge_sort_block_merge_implIS3_N6thrust23THRUST_200600_302600_NS6detail15normal_iteratorINS9_10device_ptrIiEEEEPS5_m17evens_before_oddsEE10hipError_tT0_T1_T2_jT3_P12ihipStream_tbPNSt15iterator_traitsISI_E10value_typeEPNSO_ISJ_E10value_typeEPSK_NS1_7vsmem_tEENKUlT_SI_SJ_SK_E_clISE_PiSF_SF_EESH_SX_SI_SJ_SK_EUlSX_E1_NS1_11comp_targetILNS1_3genE5ELNS1_11target_archE942ELNS1_3gpuE9ELNS1_3repE0EEENS1_36merge_oddeven_config_static_selectorELNS0_4arch9wavefront6targetE0EEEvSJ_
		.amdhsa_group_segment_fixed_size 0
		.amdhsa_private_segment_fixed_size 0
		.amdhsa_kernarg_size 56
		.amdhsa_user_sgpr_count 6
		.amdhsa_user_sgpr_private_segment_buffer 1
		.amdhsa_user_sgpr_dispatch_ptr 0
		.amdhsa_user_sgpr_queue_ptr 0
		.amdhsa_user_sgpr_kernarg_segment_ptr 1
		.amdhsa_user_sgpr_dispatch_id 0
		.amdhsa_user_sgpr_flat_scratch_init 0
		.amdhsa_user_sgpr_private_segment_size 0
		.amdhsa_wavefront_size32 1
		.amdhsa_uses_dynamic_stack 0
		.amdhsa_system_sgpr_private_segment_wavefront_offset 0
		.amdhsa_system_sgpr_workgroup_id_x 1
		.amdhsa_system_sgpr_workgroup_id_y 0
		.amdhsa_system_sgpr_workgroup_id_z 0
		.amdhsa_system_sgpr_workgroup_info 0
		.amdhsa_system_vgpr_workitem_id 0
		.amdhsa_next_free_vgpr 1
		.amdhsa_next_free_sgpr 1
		.amdhsa_reserve_vcc 0
		.amdhsa_reserve_flat_scratch 0
		.amdhsa_float_round_mode_32 0
		.amdhsa_float_round_mode_16_64 0
		.amdhsa_float_denorm_mode_32 3
		.amdhsa_float_denorm_mode_16_64 3
		.amdhsa_dx10_clamp 1
		.amdhsa_ieee_mode 1
		.amdhsa_fp16_overflow 0
		.amdhsa_workgroup_processor_mode 1
		.amdhsa_memory_ordered 1
		.amdhsa_forward_progress 1
		.amdhsa_shared_vgpr_count 0
		.amdhsa_exception_fp_ieee_invalid_op 0
		.amdhsa_exception_fp_denorm_src 0
		.amdhsa_exception_fp_ieee_div_zero 0
		.amdhsa_exception_fp_ieee_overflow 0
		.amdhsa_exception_fp_ieee_underflow 0
		.amdhsa_exception_fp_ieee_inexact 0
		.amdhsa_exception_int_div_zero 0
	.end_amdhsa_kernel
	.section	.text._ZN7rocprim17ROCPRIM_400000_NS6detail17trampoline_kernelINS0_14default_configENS1_38merge_sort_block_merge_config_selectorIiNS0_10empty_typeEEEZZNS1_27merge_sort_block_merge_implIS3_N6thrust23THRUST_200600_302600_NS6detail15normal_iteratorINS9_10device_ptrIiEEEEPS5_m17evens_before_oddsEE10hipError_tT0_T1_T2_jT3_P12ihipStream_tbPNSt15iterator_traitsISI_E10value_typeEPNSO_ISJ_E10value_typeEPSK_NS1_7vsmem_tEENKUlT_SI_SJ_SK_E_clISE_PiSF_SF_EESH_SX_SI_SJ_SK_EUlSX_E1_NS1_11comp_targetILNS1_3genE5ELNS1_11target_archE942ELNS1_3gpuE9ELNS1_3repE0EEENS1_36merge_oddeven_config_static_selectorELNS0_4arch9wavefront6targetE0EEEvSJ_,"axG",@progbits,_ZN7rocprim17ROCPRIM_400000_NS6detail17trampoline_kernelINS0_14default_configENS1_38merge_sort_block_merge_config_selectorIiNS0_10empty_typeEEEZZNS1_27merge_sort_block_merge_implIS3_N6thrust23THRUST_200600_302600_NS6detail15normal_iteratorINS9_10device_ptrIiEEEEPS5_m17evens_before_oddsEE10hipError_tT0_T1_T2_jT3_P12ihipStream_tbPNSt15iterator_traitsISI_E10value_typeEPNSO_ISJ_E10value_typeEPSK_NS1_7vsmem_tEENKUlT_SI_SJ_SK_E_clISE_PiSF_SF_EESH_SX_SI_SJ_SK_EUlSX_E1_NS1_11comp_targetILNS1_3genE5ELNS1_11target_archE942ELNS1_3gpuE9ELNS1_3repE0EEENS1_36merge_oddeven_config_static_selectorELNS0_4arch9wavefront6targetE0EEEvSJ_,comdat
.Lfunc_end450:
	.size	_ZN7rocprim17ROCPRIM_400000_NS6detail17trampoline_kernelINS0_14default_configENS1_38merge_sort_block_merge_config_selectorIiNS0_10empty_typeEEEZZNS1_27merge_sort_block_merge_implIS3_N6thrust23THRUST_200600_302600_NS6detail15normal_iteratorINS9_10device_ptrIiEEEEPS5_m17evens_before_oddsEE10hipError_tT0_T1_T2_jT3_P12ihipStream_tbPNSt15iterator_traitsISI_E10value_typeEPNSO_ISJ_E10value_typeEPSK_NS1_7vsmem_tEENKUlT_SI_SJ_SK_E_clISE_PiSF_SF_EESH_SX_SI_SJ_SK_EUlSX_E1_NS1_11comp_targetILNS1_3genE5ELNS1_11target_archE942ELNS1_3gpuE9ELNS1_3repE0EEENS1_36merge_oddeven_config_static_selectorELNS0_4arch9wavefront6targetE0EEEvSJ_, .Lfunc_end450-_ZN7rocprim17ROCPRIM_400000_NS6detail17trampoline_kernelINS0_14default_configENS1_38merge_sort_block_merge_config_selectorIiNS0_10empty_typeEEEZZNS1_27merge_sort_block_merge_implIS3_N6thrust23THRUST_200600_302600_NS6detail15normal_iteratorINS9_10device_ptrIiEEEEPS5_m17evens_before_oddsEE10hipError_tT0_T1_T2_jT3_P12ihipStream_tbPNSt15iterator_traitsISI_E10value_typeEPNSO_ISJ_E10value_typeEPSK_NS1_7vsmem_tEENKUlT_SI_SJ_SK_E_clISE_PiSF_SF_EESH_SX_SI_SJ_SK_EUlSX_E1_NS1_11comp_targetILNS1_3genE5ELNS1_11target_archE942ELNS1_3gpuE9ELNS1_3repE0EEENS1_36merge_oddeven_config_static_selectorELNS0_4arch9wavefront6targetE0EEEvSJ_
                                        ; -- End function
	.set _ZN7rocprim17ROCPRIM_400000_NS6detail17trampoline_kernelINS0_14default_configENS1_38merge_sort_block_merge_config_selectorIiNS0_10empty_typeEEEZZNS1_27merge_sort_block_merge_implIS3_N6thrust23THRUST_200600_302600_NS6detail15normal_iteratorINS9_10device_ptrIiEEEEPS5_m17evens_before_oddsEE10hipError_tT0_T1_T2_jT3_P12ihipStream_tbPNSt15iterator_traitsISI_E10value_typeEPNSO_ISJ_E10value_typeEPSK_NS1_7vsmem_tEENKUlT_SI_SJ_SK_E_clISE_PiSF_SF_EESH_SX_SI_SJ_SK_EUlSX_E1_NS1_11comp_targetILNS1_3genE5ELNS1_11target_archE942ELNS1_3gpuE9ELNS1_3repE0EEENS1_36merge_oddeven_config_static_selectorELNS0_4arch9wavefront6targetE0EEEvSJ_.num_vgpr, 0
	.set _ZN7rocprim17ROCPRIM_400000_NS6detail17trampoline_kernelINS0_14default_configENS1_38merge_sort_block_merge_config_selectorIiNS0_10empty_typeEEEZZNS1_27merge_sort_block_merge_implIS3_N6thrust23THRUST_200600_302600_NS6detail15normal_iteratorINS9_10device_ptrIiEEEEPS5_m17evens_before_oddsEE10hipError_tT0_T1_T2_jT3_P12ihipStream_tbPNSt15iterator_traitsISI_E10value_typeEPNSO_ISJ_E10value_typeEPSK_NS1_7vsmem_tEENKUlT_SI_SJ_SK_E_clISE_PiSF_SF_EESH_SX_SI_SJ_SK_EUlSX_E1_NS1_11comp_targetILNS1_3genE5ELNS1_11target_archE942ELNS1_3gpuE9ELNS1_3repE0EEENS1_36merge_oddeven_config_static_selectorELNS0_4arch9wavefront6targetE0EEEvSJ_.num_agpr, 0
	.set _ZN7rocprim17ROCPRIM_400000_NS6detail17trampoline_kernelINS0_14default_configENS1_38merge_sort_block_merge_config_selectorIiNS0_10empty_typeEEEZZNS1_27merge_sort_block_merge_implIS3_N6thrust23THRUST_200600_302600_NS6detail15normal_iteratorINS9_10device_ptrIiEEEEPS5_m17evens_before_oddsEE10hipError_tT0_T1_T2_jT3_P12ihipStream_tbPNSt15iterator_traitsISI_E10value_typeEPNSO_ISJ_E10value_typeEPSK_NS1_7vsmem_tEENKUlT_SI_SJ_SK_E_clISE_PiSF_SF_EESH_SX_SI_SJ_SK_EUlSX_E1_NS1_11comp_targetILNS1_3genE5ELNS1_11target_archE942ELNS1_3gpuE9ELNS1_3repE0EEENS1_36merge_oddeven_config_static_selectorELNS0_4arch9wavefront6targetE0EEEvSJ_.numbered_sgpr, 0
	.set _ZN7rocprim17ROCPRIM_400000_NS6detail17trampoline_kernelINS0_14default_configENS1_38merge_sort_block_merge_config_selectorIiNS0_10empty_typeEEEZZNS1_27merge_sort_block_merge_implIS3_N6thrust23THRUST_200600_302600_NS6detail15normal_iteratorINS9_10device_ptrIiEEEEPS5_m17evens_before_oddsEE10hipError_tT0_T1_T2_jT3_P12ihipStream_tbPNSt15iterator_traitsISI_E10value_typeEPNSO_ISJ_E10value_typeEPSK_NS1_7vsmem_tEENKUlT_SI_SJ_SK_E_clISE_PiSF_SF_EESH_SX_SI_SJ_SK_EUlSX_E1_NS1_11comp_targetILNS1_3genE5ELNS1_11target_archE942ELNS1_3gpuE9ELNS1_3repE0EEENS1_36merge_oddeven_config_static_selectorELNS0_4arch9wavefront6targetE0EEEvSJ_.num_named_barrier, 0
	.set _ZN7rocprim17ROCPRIM_400000_NS6detail17trampoline_kernelINS0_14default_configENS1_38merge_sort_block_merge_config_selectorIiNS0_10empty_typeEEEZZNS1_27merge_sort_block_merge_implIS3_N6thrust23THRUST_200600_302600_NS6detail15normal_iteratorINS9_10device_ptrIiEEEEPS5_m17evens_before_oddsEE10hipError_tT0_T1_T2_jT3_P12ihipStream_tbPNSt15iterator_traitsISI_E10value_typeEPNSO_ISJ_E10value_typeEPSK_NS1_7vsmem_tEENKUlT_SI_SJ_SK_E_clISE_PiSF_SF_EESH_SX_SI_SJ_SK_EUlSX_E1_NS1_11comp_targetILNS1_3genE5ELNS1_11target_archE942ELNS1_3gpuE9ELNS1_3repE0EEENS1_36merge_oddeven_config_static_selectorELNS0_4arch9wavefront6targetE0EEEvSJ_.private_seg_size, 0
	.set _ZN7rocprim17ROCPRIM_400000_NS6detail17trampoline_kernelINS0_14default_configENS1_38merge_sort_block_merge_config_selectorIiNS0_10empty_typeEEEZZNS1_27merge_sort_block_merge_implIS3_N6thrust23THRUST_200600_302600_NS6detail15normal_iteratorINS9_10device_ptrIiEEEEPS5_m17evens_before_oddsEE10hipError_tT0_T1_T2_jT3_P12ihipStream_tbPNSt15iterator_traitsISI_E10value_typeEPNSO_ISJ_E10value_typeEPSK_NS1_7vsmem_tEENKUlT_SI_SJ_SK_E_clISE_PiSF_SF_EESH_SX_SI_SJ_SK_EUlSX_E1_NS1_11comp_targetILNS1_3genE5ELNS1_11target_archE942ELNS1_3gpuE9ELNS1_3repE0EEENS1_36merge_oddeven_config_static_selectorELNS0_4arch9wavefront6targetE0EEEvSJ_.uses_vcc, 0
	.set _ZN7rocprim17ROCPRIM_400000_NS6detail17trampoline_kernelINS0_14default_configENS1_38merge_sort_block_merge_config_selectorIiNS0_10empty_typeEEEZZNS1_27merge_sort_block_merge_implIS3_N6thrust23THRUST_200600_302600_NS6detail15normal_iteratorINS9_10device_ptrIiEEEEPS5_m17evens_before_oddsEE10hipError_tT0_T1_T2_jT3_P12ihipStream_tbPNSt15iterator_traitsISI_E10value_typeEPNSO_ISJ_E10value_typeEPSK_NS1_7vsmem_tEENKUlT_SI_SJ_SK_E_clISE_PiSF_SF_EESH_SX_SI_SJ_SK_EUlSX_E1_NS1_11comp_targetILNS1_3genE5ELNS1_11target_archE942ELNS1_3gpuE9ELNS1_3repE0EEENS1_36merge_oddeven_config_static_selectorELNS0_4arch9wavefront6targetE0EEEvSJ_.uses_flat_scratch, 0
	.set _ZN7rocprim17ROCPRIM_400000_NS6detail17trampoline_kernelINS0_14default_configENS1_38merge_sort_block_merge_config_selectorIiNS0_10empty_typeEEEZZNS1_27merge_sort_block_merge_implIS3_N6thrust23THRUST_200600_302600_NS6detail15normal_iteratorINS9_10device_ptrIiEEEEPS5_m17evens_before_oddsEE10hipError_tT0_T1_T2_jT3_P12ihipStream_tbPNSt15iterator_traitsISI_E10value_typeEPNSO_ISJ_E10value_typeEPSK_NS1_7vsmem_tEENKUlT_SI_SJ_SK_E_clISE_PiSF_SF_EESH_SX_SI_SJ_SK_EUlSX_E1_NS1_11comp_targetILNS1_3genE5ELNS1_11target_archE942ELNS1_3gpuE9ELNS1_3repE0EEENS1_36merge_oddeven_config_static_selectorELNS0_4arch9wavefront6targetE0EEEvSJ_.has_dyn_sized_stack, 0
	.set _ZN7rocprim17ROCPRIM_400000_NS6detail17trampoline_kernelINS0_14default_configENS1_38merge_sort_block_merge_config_selectorIiNS0_10empty_typeEEEZZNS1_27merge_sort_block_merge_implIS3_N6thrust23THRUST_200600_302600_NS6detail15normal_iteratorINS9_10device_ptrIiEEEEPS5_m17evens_before_oddsEE10hipError_tT0_T1_T2_jT3_P12ihipStream_tbPNSt15iterator_traitsISI_E10value_typeEPNSO_ISJ_E10value_typeEPSK_NS1_7vsmem_tEENKUlT_SI_SJ_SK_E_clISE_PiSF_SF_EESH_SX_SI_SJ_SK_EUlSX_E1_NS1_11comp_targetILNS1_3genE5ELNS1_11target_archE942ELNS1_3gpuE9ELNS1_3repE0EEENS1_36merge_oddeven_config_static_selectorELNS0_4arch9wavefront6targetE0EEEvSJ_.has_recursion, 0
	.set _ZN7rocprim17ROCPRIM_400000_NS6detail17trampoline_kernelINS0_14default_configENS1_38merge_sort_block_merge_config_selectorIiNS0_10empty_typeEEEZZNS1_27merge_sort_block_merge_implIS3_N6thrust23THRUST_200600_302600_NS6detail15normal_iteratorINS9_10device_ptrIiEEEEPS5_m17evens_before_oddsEE10hipError_tT0_T1_T2_jT3_P12ihipStream_tbPNSt15iterator_traitsISI_E10value_typeEPNSO_ISJ_E10value_typeEPSK_NS1_7vsmem_tEENKUlT_SI_SJ_SK_E_clISE_PiSF_SF_EESH_SX_SI_SJ_SK_EUlSX_E1_NS1_11comp_targetILNS1_3genE5ELNS1_11target_archE942ELNS1_3gpuE9ELNS1_3repE0EEENS1_36merge_oddeven_config_static_selectorELNS0_4arch9wavefront6targetE0EEEvSJ_.has_indirect_call, 0
	.section	.AMDGPU.csdata,"",@progbits
; Kernel info:
; codeLenInByte = 0
; TotalNumSgprs: 0
; NumVgprs: 0
; ScratchSize: 0
; MemoryBound: 0
; FloatMode: 240
; IeeeMode: 1
; LDSByteSize: 0 bytes/workgroup (compile time only)
; SGPRBlocks: 0
; VGPRBlocks: 0
; NumSGPRsForWavesPerEU: 1
; NumVGPRsForWavesPerEU: 1
; Occupancy: 16
; WaveLimiterHint : 0
; COMPUTE_PGM_RSRC2:SCRATCH_EN: 0
; COMPUTE_PGM_RSRC2:USER_SGPR: 6
; COMPUTE_PGM_RSRC2:TRAP_HANDLER: 0
; COMPUTE_PGM_RSRC2:TGID_X_EN: 1
; COMPUTE_PGM_RSRC2:TGID_Y_EN: 0
; COMPUTE_PGM_RSRC2:TGID_Z_EN: 0
; COMPUTE_PGM_RSRC2:TIDIG_COMP_CNT: 0
	.section	.text._ZN7rocprim17ROCPRIM_400000_NS6detail17trampoline_kernelINS0_14default_configENS1_38merge_sort_block_merge_config_selectorIiNS0_10empty_typeEEEZZNS1_27merge_sort_block_merge_implIS3_N6thrust23THRUST_200600_302600_NS6detail15normal_iteratorINS9_10device_ptrIiEEEEPS5_m17evens_before_oddsEE10hipError_tT0_T1_T2_jT3_P12ihipStream_tbPNSt15iterator_traitsISI_E10value_typeEPNSO_ISJ_E10value_typeEPSK_NS1_7vsmem_tEENKUlT_SI_SJ_SK_E_clISE_PiSF_SF_EESH_SX_SI_SJ_SK_EUlSX_E1_NS1_11comp_targetILNS1_3genE4ELNS1_11target_archE910ELNS1_3gpuE8ELNS1_3repE0EEENS1_36merge_oddeven_config_static_selectorELNS0_4arch9wavefront6targetE0EEEvSJ_,"axG",@progbits,_ZN7rocprim17ROCPRIM_400000_NS6detail17trampoline_kernelINS0_14default_configENS1_38merge_sort_block_merge_config_selectorIiNS0_10empty_typeEEEZZNS1_27merge_sort_block_merge_implIS3_N6thrust23THRUST_200600_302600_NS6detail15normal_iteratorINS9_10device_ptrIiEEEEPS5_m17evens_before_oddsEE10hipError_tT0_T1_T2_jT3_P12ihipStream_tbPNSt15iterator_traitsISI_E10value_typeEPNSO_ISJ_E10value_typeEPSK_NS1_7vsmem_tEENKUlT_SI_SJ_SK_E_clISE_PiSF_SF_EESH_SX_SI_SJ_SK_EUlSX_E1_NS1_11comp_targetILNS1_3genE4ELNS1_11target_archE910ELNS1_3gpuE8ELNS1_3repE0EEENS1_36merge_oddeven_config_static_selectorELNS0_4arch9wavefront6targetE0EEEvSJ_,comdat
	.protected	_ZN7rocprim17ROCPRIM_400000_NS6detail17trampoline_kernelINS0_14default_configENS1_38merge_sort_block_merge_config_selectorIiNS0_10empty_typeEEEZZNS1_27merge_sort_block_merge_implIS3_N6thrust23THRUST_200600_302600_NS6detail15normal_iteratorINS9_10device_ptrIiEEEEPS5_m17evens_before_oddsEE10hipError_tT0_T1_T2_jT3_P12ihipStream_tbPNSt15iterator_traitsISI_E10value_typeEPNSO_ISJ_E10value_typeEPSK_NS1_7vsmem_tEENKUlT_SI_SJ_SK_E_clISE_PiSF_SF_EESH_SX_SI_SJ_SK_EUlSX_E1_NS1_11comp_targetILNS1_3genE4ELNS1_11target_archE910ELNS1_3gpuE8ELNS1_3repE0EEENS1_36merge_oddeven_config_static_selectorELNS0_4arch9wavefront6targetE0EEEvSJ_ ; -- Begin function _ZN7rocprim17ROCPRIM_400000_NS6detail17trampoline_kernelINS0_14default_configENS1_38merge_sort_block_merge_config_selectorIiNS0_10empty_typeEEEZZNS1_27merge_sort_block_merge_implIS3_N6thrust23THRUST_200600_302600_NS6detail15normal_iteratorINS9_10device_ptrIiEEEEPS5_m17evens_before_oddsEE10hipError_tT0_T1_T2_jT3_P12ihipStream_tbPNSt15iterator_traitsISI_E10value_typeEPNSO_ISJ_E10value_typeEPSK_NS1_7vsmem_tEENKUlT_SI_SJ_SK_E_clISE_PiSF_SF_EESH_SX_SI_SJ_SK_EUlSX_E1_NS1_11comp_targetILNS1_3genE4ELNS1_11target_archE910ELNS1_3gpuE8ELNS1_3repE0EEENS1_36merge_oddeven_config_static_selectorELNS0_4arch9wavefront6targetE0EEEvSJ_
	.globl	_ZN7rocprim17ROCPRIM_400000_NS6detail17trampoline_kernelINS0_14default_configENS1_38merge_sort_block_merge_config_selectorIiNS0_10empty_typeEEEZZNS1_27merge_sort_block_merge_implIS3_N6thrust23THRUST_200600_302600_NS6detail15normal_iteratorINS9_10device_ptrIiEEEEPS5_m17evens_before_oddsEE10hipError_tT0_T1_T2_jT3_P12ihipStream_tbPNSt15iterator_traitsISI_E10value_typeEPNSO_ISJ_E10value_typeEPSK_NS1_7vsmem_tEENKUlT_SI_SJ_SK_E_clISE_PiSF_SF_EESH_SX_SI_SJ_SK_EUlSX_E1_NS1_11comp_targetILNS1_3genE4ELNS1_11target_archE910ELNS1_3gpuE8ELNS1_3repE0EEENS1_36merge_oddeven_config_static_selectorELNS0_4arch9wavefront6targetE0EEEvSJ_
	.p2align	8
	.type	_ZN7rocprim17ROCPRIM_400000_NS6detail17trampoline_kernelINS0_14default_configENS1_38merge_sort_block_merge_config_selectorIiNS0_10empty_typeEEEZZNS1_27merge_sort_block_merge_implIS3_N6thrust23THRUST_200600_302600_NS6detail15normal_iteratorINS9_10device_ptrIiEEEEPS5_m17evens_before_oddsEE10hipError_tT0_T1_T2_jT3_P12ihipStream_tbPNSt15iterator_traitsISI_E10value_typeEPNSO_ISJ_E10value_typeEPSK_NS1_7vsmem_tEENKUlT_SI_SJ_SK_E_clISE_PiSF_SF_EESH_SX_SI_SJ_SK_EUlSX_E1_NS1_11comp_targetILNS1_3genE4ELNS1_11target_archE910ELNS1_3gpuE8ELNS1_3repE0EEENS1_36merge_oddeven_config_static_selectorELNS0_4arch9wavefront6targetE0EEEvSJ_,@function
_ZN7rocprim17ROCPRIM_400000_NS6detail17trampoline_kernelINS0_14default_configENS1_38merge_sort_block_merge_config_selectorIiNS0_10empty_typeEEEZZNS1_27merge_sort_block_merge_implIS3_N6thrust23THRUST_200600_302600_NS6detail15normal_iteratorINS9_10device_ptrIiEEEEPS5_m17evens_before_oddsEE10hipError_tT0_T1_T2_jT3_P12ihipStream_tbPNSt15iterator_traitsISI_E10value_typeEPNSO_ISJ_E10value_typeEPSK_NS1_7vsmem_tEENKUlT_SI_SJ_SK_E_clISE_PiSF_SF_EESH_SX_SI_SJ_SK_EUlSX_E1_NS1_11comp_targetILNS1_3genE4ELNS1_11target_archE910ELNS1_3gpuE8ELNS1_3repE0EEENS1_36merge_oddeven_config_static_selectorELNS0_4arch9wavefront6targetE0EEEvSJ_: ; @_ZN7rocprim17ROCPRIM_400000_NS6detail17trampoline_kernelINS0_14default_configENS1_38merge_sort_block_merge_config_selectorIiNS0_10empty_typeEEEZZNS1_27merge_sort_block_merge_implIS3_N6thrust23THRUST_200600_302600_NS6detail15normal_iteratorINS9_10device_ptrIiEEEEPS5_m17evens_before_oddsEE10hipError_tT0_T1_T2_jT3_P12ihipStream_tbPNSt15iterator_traitsISI_E10value_typeEPNSO_ISJ_E10value_typeEPSK_NS1_7vsmem_tEENKUlT_SI_SJ_SK_E_clISE_PiSF_SF_EESH_SX_SI_SJ_SK_EUlSX_E1_NS1_11comp_targetILNS1_3genE4ELNS1_11target_archE910ELNS1_3gpuE8ELNS1_3repE0EEENS1_36merge_oddeven_config_static_selectorELNS0_4arch9wavefront6targetE0EEEvSJ_
; %bb.0:
	.section	.rodata,"a",@progbits
	.p2align	6, 0x0
	.amdhsa_kernel _ZN7rocprim17ROCPRIM_400000_NS6detail17trampoline_kernelINS0_14default_configENS1_38merge_sort_block_merge_config_selectorIiNS0_10empty_typeEEEZZNS1_27merge_sort_block_merge_implIS3_N6thrust23THRUST_200600_302600_NS6detail15normal_iteratorINS9_10device_ptrIiEEEEPS5_m17evens_before_oddsEE10hipError_tT0_T1_T2_jT3_P12ihipStream_tbPNSt15iterator_traitsISI_E10value_typeEPNSO_ISJ_E10value_typeEPSK_NS1_7vsmem_tEENKUlT_SI_SJ_SK_E_clISE_PiSF_SF_EESH_SX_SI_SJ_SK_EUlSX_E1_NS1_11comp_targetILNS1_3genE4ELNS1_11target_archE910ELNS1_3gpuE8ELNS1_3repE0EEENS1_36merge_oddeven_config_static_selectorELNS0_4arch9wavefront6targetE0EEEvSJ_
		.amdhsa_group_segment_fixed_size 0
		.amdhsa_private_segment_fixed_size 0
		.amdhsa_kernarg_size 56
		.amdhsa_user_sgpr_count 6
		.amdhsa_user_sgpr_private_segment_buffer 1
		.amdhsa_user_sgpr_dispatch_ptr 0
		.amdhsa_user_sgpr_queue_ptr 0
		.amdhsa_user_sgpr_kernarg_segment_ptr 1
		.amdhsa_user_sgpr_dispatch_id 0
		.amdhsa_user_sgpr_flat_scratch_init 0
		.amdhsa_user_sgpr_private_segment_size 0
		.amdhsa_wavefront_size32 1
		.amdhsa_uses_dynamic_stack 0
		.amdhsa_system_sgpr_private_segment_wavefront_offset 0
		.amdhsa_system_sgpr_workgroup_id_x 1
		.amdhsa_system_sgpr_workgroup_id_y 0
		.amdhsa_system_sgpr_workgroup_id_z 0
		.amdhsa_system_sgpr_workgroup_info 0
		.amdhsa_system_vgpr_workitem_id 0
		.amdhsa_next_free_vgpr 1
		.amdhsa_next_free_sgpr 1
		.amdhsa_reserve_vcc 0
		.amdhsa_reserve_flat_scratch 0
		.amdhsa_float_round_mode_32 0
		.amdhsa_float_round_mode_16_64 0
		.amdhsa_float_denorm_mode_32 3
		.amdhsa_float_denorm_mode_16_64 3
		.amdhsa_dx10_clamp 1
		.amdhsa_ieee_mode 1
		.amdhsa_fp16_overflow 0
		.amdhsa_workgroup_processor_mode 1
		.amdhsa_memory_ordered 1
		.amdhsa_forward_progress 1
		.amdhsa_shared_vgpr_count 0
		.amdhsa_exception_fp_ieee_invalid_op 0
		.amdhsa_exception_fp_denorm_src 0
		.amdhsa_exception_fp_ieee_div_zero 0
		.amdhsa_exception_fp_ieee_overflow 0
		.amdhsa_exception_fp_ieee_underflow 0
		.amdhsa_exception_fp_ieee_inexact 0
		.amdhsa_exception_int_div_zero 0
	.end_amdhsa_kernel
	.section	.text._ZN7rocprim17ROCPRIM_400000_NS6detail17trampoline_kernelINS0_14default_configENS1_38merge_sort_block_merge_config_selectorIiNS0_10empty_typeEEEZZNS1_27merge_sort_block_merge_implIS3_N6thrust23THRUST_200600_302600_NS6detail15normal_iteratorINS9_10device_ptrIiEEEEPS5_m17evens_before_oddsEE10hipError_tT0_T1_T2_jT3_P12ihipStream_tbPNSt15iterator_traitsISI_E10value_typeEPNSO_ISJ_E10value_typeEPSK_NS1_7vsmem_tEENKUlT_SI_SJ_SK_E_clISE_PiSF_SF_EESH_SX_SI_SJ_SK_EUlSX_E1_NS1_11comp_targetILNS1_3genE4ELNS1_11target_archE910ELNS1_3gpuE8ELNS1_3repE0EEENS1_36merge_oddeven_config_static_selectorELNS0_4arch9wavefront6targetE0EEEvSJ_,"axG",@progbits,_ZN7rocprim17ROCPRIM_400000_NS6detail17trampoline_kernelINS0_14default_configENS1_38merge_sort_block_merge_config_selectorIiNS0_10empty_typeEEEZZNS1_27merge_sort_block_merge_implIS3_N6thrust23THRUST_200600_302600_NS6detail15normal_iteratorINS9_10device_ptrIiEEEEPS5_m17evens_before_oddsEE10hipError_tT0_T1_T2_jT3_P12ihipStream_tbPNSt15iterator_traitsISI_E10value_typeEPNSO_ISJ_E10value_typeEPSK_NS1_7vsmem_tEENKUlT_SI_SJ_SK_E_clISE_PiSF_SF_EESH_SX_SI_SJ_SK_EUlSX_E1_NS1_11comp_targetILNS1_3genE4ELNS1_11target_archE910ELNS1_3gpuE8ELNS1_3repE0EEENS1_36merge_oddeven_config_static_selectorELNS0_4arch9wavefront6targetE0EEEvSJ_,comdat
.Lfunc_end451:
	.size	_ZN7rocprim17ROCPRIM_400000_NS6detail17trampoline_kernelINS0_14default_configENS1_38merge_sort_block_merge_config_selectorIiNS0_10empty_typeEEEZZNS1_27merge_sort_block_merge_implIS3_N6thrust23THRUST_200600_302600_NS6detail15normal_iteratorINS9_10device_ptrIiEEEEPS5_m17evens_before_oddsEE10hipError_tT0_T1_T2_jT3_P12ihipStream_tbPNSt15iterator_traitsISI_E10value_typeEPNSO_ISJ_E10value_typeEPSK_NS1_7vsmem_tEENKUlT_SI_SJ_SK_E_clISE_PiSF_SF_EESH_SX_SI_SJ_SK_EUlSX_E1_NS1_11comp_targetILNS1_3genE4ELNS1_11target_archE910ELNS1_3gpuE8ELNS1_3repE0EEENS1_36merge_oddeven_config_static_selectorELNS0_4arch9wavefront6targetE0EEEvSJ_, .Lfunc_end451-_ZN7rocprim17ROCPRIM_400000_NS6detail17trampoline_kernelINS0_14default_configENS1_38merge_sort_block_merge_config_selectorIiNS0_10empty_typeEEEZZNS1_27merge_sort_block_merge_implIS3_N6thrust23THRUST_200600_302600_NS6detail15normal_iteratorINS9_10device_ptrIiEEEEPS5_m17evens_before_oddsEE10hipError_tT0_T1_T2_jT3_P12ihipStream_tbPNSt15iterator_traitsISI_E10value_typeEPNSO_ISJ_E10value_typeEPSK_NS1_7vsmem_tEENKUlT_SI_SJ_SK_E_clISE_PiSF_SF_EESH_SX_SI_SJ_SK_EUlSX_E1_NS1_11comp_targetILNS1_3genE4ELNS1_11target_archE910ELNS1_3gpuE8ELNS1_3repE0EEENS1_36merge_oddeven_config_static_selectorELNS0_4arch9wavefront6targetE0EEEvSJ_
                                        ; -- End function
	.set _ZN7rocprim17ROCPRIM_400000_NS6detail17trampoline_kernelINS0_14default_configENS1_38merge_sort_block_merge_config_selectorIiNS0_10empty_typeEEEZZNS1_27merge_sort_block_merge_implIS3_N6thrust23THRUST_200600_302600_NS6detail15normal_iteratorINS9_10device_ptrIiEEEEPS5_m17evens_before_oddsEE10hipError_tT0_T1_T2_jT3_P12ihipStream_tbPNSt15iterator_traitsISI_E10value_typeEPNSO_ISJ_E10value_typeEPSK_NS1_7vsmem_tEENKUlT_SI_SJ_SK_E_clISE_PiSF_SF_EESH_SX_SI_SJ_SK_EUlSX_E1_NS1_11comp_targetILNS1_3genE4ELNS1_11target_archE910ELNS1_3gpuE8ELNS1_3repE0EEENS1_36merge_oddeven_config_static_selectorELNS0_4arch9wavefront6targetE0EEEvSJ_.num_vgpr, 0
	.set _ZN7rocprim17ROCPRIM_400000_NS6detail17trampoline_kernelINS0_14default_configENS1_38merge_sort_block_merge_config_selectorIiNS0_10empty_typeEEEZZNS1_27merge_sort_block_merge_implIS3_N6thrust23THRUST_200600_302600_NS6detail15normal_iteratorINS9_10device_ptrIiEEEEPS5_m17evens_before_oddsEE10hipError_tT0_T1_T2_jT3_P12ihipStream_tbPNSt15iterator_traitsISI_E10value_typeEPNSO_ISJ_E10value_typeEPSK_NS1_7vsmem_tEENKUlT_SI_SJ_SK_E_clISE_PiSF_SF_EESH_SX_SI_SJ_SK_EUlSX_E1_NS1_11comp_targetILNS1_3genE4ELNS1_11target_archE910ELNS1_3gpuE8ELNS1_3repE0EEENS1_36merge_oddeven_config_static_selectorELNS0_4arch9wavefront6targetE0EEEvSJ_.num_agpr, 0
	.set _ZN7rocprim17ROCPRIM_400000_NS6detail17trampoline_kernelINS0_14default_configENS1_38merge_sort_block_merge_config_selectorIiNS0_10empty_typeEEEZZNS1_27merge_sort_block_merge_implIS3_N6thrust23THRUST_200600_302600_NS6detail15normal_iteratorINS9_10device_ptrIiEEEEPS5_m17evens_before_oddsEE10hipError_tT0_T1_T2_jT3_P12ihipStream_tbPNSt15iterator_traitsISI_E10value_typeEPNSO_ISJ_E10value_typeEPSK_NS1_7vsmem_tEENKUlT_SI_SJ_SK_E_clISE_PiSF_SF_EESH_SX_SI_SJ_SK_EUlSX_E1_NS1_11comp_targetILNS1_3genE4ELNS1_11target_archE910ELNS1_3gpuE8ELNS1_3repE0EEENS1_36merge_oddeven_config_static_selectorELNS0_4arch9wavefront6targetE0EEEvSJ_.numbered_sgpr, 0
	.set _ZN7rocprim17ROCPRIM_400000_NS6detail17trampoline_kernelINS0_14default_configENS1_38merge_sort_block_merge_config_selectorIiNS0_10empty_typeEEEZZNS1_27merge_sort_block_merge_implIS3_N6thrust23THRUST_200600_302600_NS6detail15normal_iteratorINS9_10device_ptrIiEEEEPS5_m17evens_before_oddsEE10hipError_tT0_T1_T2_jT3_P12ihipStream_tbPNSt15iterator_traitsISI_E10value_typeEPNSO_ISJ_E10value_typeEPSK_NS1_7vsmem_tEENKUlT_SI_SJ_SK_E_clISE_PiSF_SF_EESH_SX_SI_SJ_SK_EUlSX_E1_NS1_11comp_targetILNS1_3genE4ELNS1_11target_archE910ELNS1_3gpuE8ELNS1_3repE0EEENS1_36merge_oddeven_config_static_selectorELNS0_4arch9wavefront6targetE0EEEvSJ_.num_named_barrier, 0
	.set _ZN7rocprim17ROCPRIM_400000_NS6detail17trampoline_kernelINS0_14default_configENS1_38merge_sort_block_merge_config_selectorIiNS0_10empty_typeEEEZZNS1_27merge_sort_block_merge_implIS3_N6thrust23THRUST_200600_302600_NS6detail15normal_iteratorINS9_10device_ptrIiEEEEPS5_m17evens_before_oddsEE10hipError_tT0_T1_T2_jT3_P12ihipStream_tbPNSt15iterator_traitsISI_E10value_typeEPNSO_ISJ_E10value_typeEPSK_NS1_7vsmem_tEENKUlT_SI_SJ_SK_E_clISE_PiSF_SF_EESH_SX_SI_SJ_SK_EUlSX_E1_NS1_11comp_targetILNS1_3genE4ELNS1_11target_archE910ELNS1_3gpuE8ELNS1_3repE0EEENS1_36merge_oddeven_config_static_selectorELNS0_4arch9wavefront6targetE0EEEvSJ_.private_seg_size, 0
	.set _ZN7rocprim17ROCPRIM_400000_NS6detail17trampoline_kernelINS0_14default_configENS1_38merge_sort_block_merge_config_selectorIiNS0_10empty_typeEEEZZNS1_27merge_sort_block_merge_implIS3_N6thrust23THRUST_200600_302600_NS6detail15normal_iteratorINS9_10device_ptrIiEEEEPS5_m17evens_before_oddsEE10hipError_tT0_T1_T2_jT3_P12ihipStream_tbPNSt15iterator_traitsISI_E10value_typeEPNSO_ISJ_E10value_typeEPSK_NS1_7vsmem_tEENKUlT_SI_SJ_SK_E_clISE_PiSF_SF_EESH_SX_SI_SJ_SK_EUlSX_E1_NS1_11comp_targetILNS1_3genE4ELNS1_11target_archE910ELNS1_3gpuE8ELNS1_3repE0EEENS1_36merge_oddeven_config_static_selectorELNS0_4arch9wavefront6targetE0EEEvSJ_.uses_vcc, 0
	.set _ZN7rocprim17ROCPRIM_400000_NS6detail17trampoline_kernelINS0_14default_configENS1_38merge_sort_block_merge_config_selectorIiNS0_10empty_typeEEEZZNS1_27merge_sort_block_merge_implIS3_N6thrust23THRUST_200600_302600_NS6detail15normal_iteratorINS9_10device_ptrIiEEEEPS5_m17evens_before_oddsEE10hipError_tT0_T1_T2_jT3_P12ihipStream_tbPNSt15iterator_traitsISI_E10value_typeEPNSO_ISJ_E10value_typeEPSK_NS1_7vsmem_tEENKUlT_SI_SJ_SK_E_clISE_PiSF_SF_EESH_SX_SI_SJ_SK_EUlSX_E1_NS1_11comp_targetILNS1_3genE4ELNS1_11target_archE910ELNS1_3gpuE8ELNS1_3repE0EEENS1_36merge_oddeven_config_static_selectorELNS0_4arch9wavefront6targetE0EEEvSJ_.uses_flat_scratch, 0
	.set _ZN7rocprim17ROCPRIM_400000_NS6detail17trampoline_kernelINS0_14default_configENS1_38merge_sort_block_merge_config_selectorIiNS0_10empty_typeEEEZZNS1_27merge_sort_block_merge_implIS3_N6thrust23THRUST_200600_302600_NS6detail15normal_iteratorINS9_10device_ptrIiEEEEPS5_m17evens_before_oddsEE10hipError_tT0_T1_T2_jT3_P12ihipStream_tbPNSt15iterator_traitsISI_E10value_typeEPNSO_ISJ_E10value_typeEPSK_NS1_7vsmem_tEENKUlT_SI_SJ_SK_E_clISE_PiSF_SF_EESH_SX_SI_SJ_SK_EUlSX_E1_NS1_11comp_targetILNS1_3genE4ELNS1_11target_archE910ELNS1_3gpuE8ELNS1_3repE0EEENS1_36merge_oddeven_config_static_selectorELNS0_4arch9wavefront6targetE0EEEvSJ_.has_dyn_sized_stack, 0
	.set _ZN7rocprim17ROCPRIM_400000_NS6detail17trampoline_kernelINS0_14default_configENS1_38merge_sort_block_merge_config_selectorIiNS0_10empty_typeEEEZZNS1_27merge_sort_block_merge_implIS3_N6thrust23THRUST_200600_302600_NS6detail15normal_iteratorINS9_10device_ptrIiEEEEPS5_m17evens_before_oddsEE10hipError_tT0_T1_T2_jT3_P12ihipStream_tbPNSt15iterator_traitsISI_E10value_typeEPNSO_ISJ_E10value_typeEPSK_NS1_7vsmem_tEENKUlT_SI_SJ_SK_E_clISE_PiSF_SF_EESH_SX_SI_SJ_SK_EUlSX_E1_NS1_11comp_targetILNS1_3genE4ELNS1_11target_archE910ELNS1_3gpuE8ELNS1_3repE0EEENS1_36merge_oddeven_config_static_selectorELNS0_4arch9wavefront6targetE0EEEvSJ_.has_recursion, 0
	.set _ZN7rocprim17ROCPRIM_400000_NS6detail17trampoline_kernelINS0_14default_configENS1_38merge_sort_block_merge_config_selectorIiNS0_10empty_typeEEEZZNS1_27merge_sort_block_merge_implIS3_N6thrust23THRUST_200600_302600_NS6detail15normal_iteratorINS9_10device_ptrIiEEEEPS5_m17evens_before_oddsEE10hipError_tT0_T1_T2_jT3_P12ihipStream_tbPNSt15iterator_traitsISI_E10value_typeEPNSO_ISJ_E10value_typeEPSK_NS1_7vsmem_tEENKUlT_SI_SJ_SK_E_clISE_PiSF_SF_EESH_SX_SI_SJ_SK_EUlSX_E1_NS1_11comp_targetILNS1_3genE4ELNS1_11target_archE910ELNS1_3gpuE8ELNS1_3repE0EEENS1_36merge_oddeven_config_static_selectorELNS0_4arch9wavefront6targetE0EEEvSJ_.has_indirect_call, 0
	.section	.AMDGPU.csdata,"",@progbits
; Kernel info:
; codeLenInByte = 0
; TotalNumSgprs: 0
; NumVgprs: 0
; ScratchSize: 0
; MemoryBound: 0
; FloatMode: 240
; IeeeMode: 1
; LDSByteSize: 0 bytes/workgroup (compile time only)
; SGPRBlocks: 0
; VGPRBlocks: 0
; NumSGPRsForWavesPerEU: 1
; NumVGPRsForWavesPerEU: 1
; Occupancy: 16
; WaveLimiterHint : 0
; COMPUTE_PGM_RSRC2:SCRATCH_EN: 0
; COMPUTE_PGM_RSRC2:USER_SGPR: 6
; COMPUTE_PGM_RSRC2:TRAP_HANDLER: 0
; COMPUTE_PGM_RSRC2:TGID_X_EN: 1
; COMPUTE_PGM_RSRC2:TGID_Y_EN: 0
; COMPUTE_PGM_RSRC2:TGID_Z_EN: 0
; COMPUTE_PGM_RSRC2:TIDIG_COMP_CNT: 0
	.section	.text._ZN7rocprim17ROCPRIM_400000_NS6detail17trampoline_kernelINS0_14default_configENS1_38merge_sort_block_merge_config_selectorIiNS0_10empty_typeEEEZZNS1_27merge_sort_block_merge_implIS3_N6thrust23THRUST_200600_302600_NS6detail15normal_iteratorINS9_10device_ptrIiEEEEPS5_m17evens_before_oddsEE10hipError_tT0_T1_T2_jT3_P12ihipStream_tbPNSt15iterator_traitsISI_E10value_typeEPNSO_ISJ_E10value_typeEPSK_NS1_7vsmem_tEENKUlT_SI_SJ_SK_E_clISE_PiSF_SF_EESH_SX_SI_SJ_SK_EUlSX_E1_NS1_11comp_targetILNS1_3genE3ELNS1_11target_archE908ELNS1_3gpuE7ELNS1_3repE0EEENS1_36merge_oddeven_config_static_selectorELNS0_4arch9wavefront6targetE0EEEvSJ_,"axG",@progbits,_ZN7rocprim17ROCPRIM_400000_NS6detail17trampoline_kernelINS0_14default_configENS1_38merge_sort_block_merge_config_selectorIiNS0_10empty_typeEEEZZNS1_27merge_sort_block_merge_implIS3_N6thrust23THRUST_200600_302600_NS6detail15normal_iteratorINS9_10device_ptrIiEEEEPS5_m17evens_before_oddsEE10hipError_tT0_T1_T2_jT3_P12ihipStream_tbPNSt15iterator_traitsISI_E10value_typeEPNSO_ISJ_E10value_typeEPSK_NS1_7vsmem_tEENKUlT_SI_SJ_SK_E_clISE_PiSF_SF_EESH_SX_SI_SJ_SK_EUlSX_E1_NS1_11comp_targetILNS1_3genE3ELNS1_11target_archE908ELNS1_3gpuE7ELNS1_3repE0EEENS1_36merge_oddeven_config_static_selectorELNS0_4arch9wavefront6targetE0EEEvSJ_,comdat
	.protected	_ZN7rocprim17ROCPRIM_400000_NS6detail17trampoline_kernelINS0_14default_configENS1_38merge_sort_block_merge_config_selectorIiNS0_10empty_typeEEEZZNS1_27merge_sort_block_merge_implIS3_N6thrust23THRUST_200600_302600_NS6detail15normal_iteratorINS9_10device_ptrIiEEEEPS5_m17evens_before_oddsEE10hipError_tT0_T1_T2_jT3_P12ihipStream_tbPNSt15iterator_traitsISI_E10value_typeEPNSO_ISJ_E10value_typeEPSK_NS1_7vsmem_tEENKUlT_SI_SJ_SK_E_clISE_PiSF_SF_EESH_SX_SI_SJ_SK_EUlSX_E1_NS1_11comp_targetILNS1_3genE3ELNS1_11target_archE908ELNS1_3gpuE7ELNS1_3repE0EEENS1_36merge_oddeven_config_static_selectorELNS0_4arch9wavefront6targetE0EEEvSJ_ ; -- Begin function _ZN7rocprim17ROCPRIM_400000_NS6detail17trampoline_kernelINS0_14default_configENS1_38merge_sort_block_merge_config_selectorIiNS0_10empty_typeEEEZZNS1_27merge_sort_block_merge_implIS3_N6thrust23THRUST_200600_302600_NS6detail15normal_iteratorINS9_10device_ptrIiEEEEPS5_m17evens_before_oddsEE10hipError_tT0_T1_T2_jT3_P12ihipStream_tbPNSt15iterator_traitsISI_E10value_typeEPNSO_ISJ_E10value_typeEPSK_NS1_7vsmem_tEENKUlT_SI_SJ_SK_E_clISE_PiSF_SF_EESH_SX_SI_SJ_SK_EUlSX_E1_NS1_11comp_targetILNS1_3genE3ELNS1_11target_archE908ELNS1_3gpuE7ELNS1_3repE0EEENS1_36merge_oddeven_config_static_selectorELNS0_4arch9wavefront6targetE0EEEvSJ_
	.globl	_ZN7rocprim17ROCPRIM_400000_NS6detail17trampoline_kernelINS0_14default_configENS1_38merge_sort_block_merge_config_selectorIiNS0_10empty_typeEEEZZNS1_27merge_sort_block_merge_implIS3_N6thrust23THRUST_200600_302600_NS6detail15normal_iteratorINS9_10device_ptrIiEEEEPS5_m17evens_before_oddsEE10hipError_tT0_T1_T2_jT3_P12ihipStream_tbPNSt15iterator_traitsISI_E10value_typeEPNSO_ISJ_E10value_typeEPSK_NS1_7vsmem_tEENKUlT_SI_SJ_SK_E_clISE_PiSF_SF_EESH_SX_SI_SJ_SK_EUlSX_E1_NS1_11comp_targetILNS1_3genE3ELNS1_11target_archE908ELNS1_3gpuE7ELNS1_3repE0EEENS1_36merge_oddeven_config_static_selectorELNS0_4arch9wavefront6targetE0EEEvSJ_
	.p2align	8
	.type	_ZN7rocprim17ROCPRIM_400000_NS6detail17trampoline_kernelINS0_14default_configENS1_38merge_sort_block_merge_config_selectorIiNS0_10empty_typeEEEZZNS1_27merge_sort_block_merge_implIS3_N6thrust23THRUST_200600_302600_NS6detail15normal_iteratorINS9_10device_ptrIiEEEEPS5_m17evens_before_oddsEE10hipError_tT0_T1_T2_jT3_P12ihipStream_tbPNSt15iterator_traitsISI_E10value_typeEPNSO_ISJ_E10value_typeEPSK_NS1_7vsmem_tEENKUlT_SI_SJ_SK_E_clISE_PiSF_SF_EESH_SX_SI_SJ_SK_EUlSX_E1_NS1_11comp_targetILNS1_3genE3ELNS1_11target_archE908ELNS1_3gpuE7ELNS1_3repE0EEENS1_36merge_oddeven_config_static_selectorELNS0_4arch9wavefront6targetE0EEEvSJ_,@function
_ZN7rocprim17ROCPRIM_400000_NS6detail17trampoline_kernelINS0_14default_configENS1_38merge_sort_block_merge_config_selectorIiNS0_10empty_typeEEEZZNS1_27merge_sort_block_merge_implIS3_N6thrust23THRUST_200600_302600_NS6detail15normal_iteratorINS9_10device_ptrIiEEEEPS5_m17evens_before_oddsEE10hipError_tT0_T1_T2_jT3_P12ihipStream_tbPNSt15iterator_traitsISI_E10value_typeEPNSO_ISJ_E10value_typeEPSK_NS1_7vsmem_tEENKUlT_SI_SJ_SK_E_clISE_PiSF_SF_EESH_SX_SI_SJ_SK_EUlSX_E1_NS1_11comp_targetILNS1_3genE3ELNS1_11target_archE908ELNS1_3gpuE7ELNS1_3repE0EEENS1_36merge_oddeven_config_static_selectorELNS0_4arch9wavefront6targetE0EEEvSJ_: ; @_ZN7rocprim17ROCPRIM_400000_NS6detail17trampoline_kernelINS0_14default_configENS1_38merge_sort_block_merge_config_selectorIiNS0_10empty_typeEEEZZNS1_27merge_sort_block_merge_implIS3_N6thrust23THRUST_200600_302600_NS6detail15normal_iteratorINS9_10device_ptrIiEEEEPS5_m17evens_before_oddsEE10hipError_tT0_T1_T2_jT3_P12ihipStream_tbPNSt15iterator_traitsISI_E10value_typeEPNSO_ISJ_E10value_typeEPSK_NS1_7vsmem_tEENKUlT_SI_SJ_SK_E_clISE_PiSF_SF_EESH_SX_SI_SJ_SK_EUlSX_E1_NS1_11comp_targetILNS1_3genE3ELNS1_11target_archE908ELNS1_3gpuE7ELNS1_3repE0EEENS1_36merge_oddeven_config_static_selectorELNS0_4arch9wavefront6targetE0EEEvSJ_
; %bb.0:
	.section	.rodata,"a",@progbits
	.p2align	6, 0x0
	.amdhsa_kernel _ZN7rocprim17ROCPRIM_400000_NS6detail17trampoline_kernelINS0_14default_configENS1_38merge_sort_block_merge_config_selectorIiNS0_10empty_typeEEEZZNS1_27merge_sort_block_merge_implIS3_N6thrust23THRUST_200600_302600_NS6detail15normal_iteratorINS9_10device_ptrIiEEEEPS5_m17evens_before_oddsEE10hipError_tT0_T1_T2_jT3_P12ihipStream_tbPNSt15iterator_traitsISI_E10value_typeEPNSO_ISJ_E10value_typeEPSK_NS1_7vsmem_tEENKUlT_SI_SJ_SK_E_clISE_PiSF_SF_EESH_SX_SI_SJ_SK_EUlSX_E1_NS1_11comp_targetILNS1_3genE3ELNS1_11target_archE908ELNS1_3gpuE7ELNS1_3repE0EEENS1_36merge_oddeven_config_static_selectorELNS0_4arch9wavefront6targetE0EEEvSJ_
		.amdhsa_group_segment_fixed_size 0
		.amdhsa_private_segment_fixed_size 0
		.amdhsa_kernarg_size 56
		.amdhsa_user_sgpr_count 6
		.amdhsa_user_sgpr_private_segment_buffer 1
		.amdhsa_user_sgpr_dispatch_ptr 0
		.amdhsa_user_sgpr_queue_ptr 0
		.amdhsa_user_sgpr_kernarg_segment_ptr 1
		.amdhsa_user_sgpr_dispatch_id 0
		.amdhsa_user_sgpr_flat_scratch_init 0
		.amdhsa_user_sgpr_private_segment_size 0
		.amdhsa_wavefront_size32 1
		.amdhsa_uses_dynamic_stack 0
		.amdhsa_system_sgpr_private_segment_wavefront_offset 0
		.amdhsa_system_sgpr_workgroup_id_x 1
		.amdhsa_system_sgpr_workgroup_id_y 0
		.amdhsa_system_sgpr_workgroup_id_z 0
		.amdhsa_system_sgpr_workgroup_info 0
		.amdhsa_system_vgpr_workitem_id 0
		.amdhsa_next_free_vgpr 1
		.amdhsa_next_free_sgpr 1
		.amdhsa_reserve_vcc 0
		.amdhsa_reserve_flat_scratch 0
		.amdhsa_float_round_mode_32 0
		.amdhsa_float_round_mode_16_64 0
		.amdhsa_float_denorm_mode_32 3
		.amdhsa_float_denorm_mode_16_64 3
		.amdhsa_dx10_clamp 1
		.amdhsa_ieee_mode 1
		.amdhsa_fp16_overflow 0
		.amdhsa_workgroup_processor_mode 1
		.amdhsa_memory_ordered 1
		.amdhsa_forward_progress 1
		.amdhsa_shared_vgpr_count 0
		.amdhsa_exception_fp_ieee_invalid_op 0
		.amdhsa_exception_fp_denorm_src 0
		.amdhsa_exception_fp_ieee_div_zero 0
		.amdhsa_exception_fp_ieee_overflow 0
		.amdhsa_exception_fp_ieee_underflow 0
		.amdhsa_exception_fp_ieee_inexact 0
		.amdhsa_exception_int_div_zero 0
	.end_amdhsa_kernel
	.section	.text._ZN7rocprim17ROCPRIM_400000_NS6detail17trampoline_kernelINS0_14default_configENS1_38merge_sort_block_merge_config_selectorIiNS0_10empty_typeEEEZZNS1_27merge_sort_block_merge_implIS3_N6thrust23THRUST_200600_302600_NS6detail15normal_iteratorINS9_10device_ptrIiEEEEPS5_m17evens_before_oddsEE10hipError_tT0_T1_T2_jT3_P12ihipStream_tbPNSt15iterator_traitsISI_E10value_typeEPNSO_ISJ_E10value_typeEPSK_NS1_7vsmem_tEENKUlT_SI_SJ_SK_E_clISE_PiSF_SF_EESH_SX_SI_SJ_SK_EUlSX_E1_NS1_11comp_targetILNS1_3genE3ELNS1_11target_archE908ELNS1_3gpuE7ELNS1_3repE0EEENS1_36merge_oddeven_config_static_selectorELNS0_4arch9wavefront6targetE0EEEvSJ_,"axG",@progbits,_ZN7rocprim17ROCPRIM_400000_NS6detail17trampoline_kernelINS0_14default_configENS1_38merge_sort_block_merge_config_selectorIiNS0_10empty_typeEEEZZNS1_27merge_sort_block_merge_implIS3_N6thrust23THRUST_200600_302600_NS6detail15normal_iteratorINS9_10device_ptrIiEEEEPS5_m17evens_before_oddsEE10hipError_tT0_T1_T2_jT3_P12ihipStream_tbPNSt15iterator_traitsISI_E10value_typeEPNSO_ISJ_E10value_typeEPSK_NS1_7vsmem_tEENKUlT_SI_SJ_SK_E_clISE_PiSF_SF_EESH_SX_SI_SJ_SK_EUlSX_E1_NS1_11comp_targetILNS1_3genE3ELNS1_11target_archE908ELNS1_3gpuE7ELNS1_3repE0EEENS1_36merge_oddeven_config_static_selectorELNS0_4arch9wavefront6targetE0EEEvSJ_,comdat
.Lfunc_end452:
	.size	_ZN7rocprim17ROCPRIM_400000_NS6detail17trampoline_kernelINS0_14default_configENS1_38merge_sort_block_merge_config_selectorIiNS0_10empty_typeEEEZZNS1_27merge_sort_block_merge_implIS3_N6thrust23THRUST_200600_302600_NS6detail15normal_iteratorINS9_10device_ptrIiEEEEPS5_m17evens_before_oddsEE10hipError_tT0_T1_T2_jT3_P12ihipStream_tbPNSt15iterator_traitsISI_E10value_typeEPNSO_ISJ_E10value_typeEPSK_NS1_7vsmem_tEENKUlT_SI_SJ_SK_E_clISE_PiSF_SF_EESH_SX_SI_SJ_SK_EUlSX_E1_NS1_11comp_targetILNS1_3genE3ELNS1_11target_archE908ELNS1_3gpuE7ELNS1_3repE0EEENS1_36merge_oddeven_config_static_selectorELNS0_4arch9wavefront6targetE0EEEvSJ_, .Lfunc_end452-_ZN7rocprim17ROCPRIM_400000_NS6detail17trampoline_kernelINS0_14default_configENS1_38merge_sort_block_merge_config_selectorIiNS0_10empty_typeEEEZZNS1_27merge_sort_block_merge_implIS3_N6thrust23THRUST_200600_302600_NS6detail15normal_iteratorINS9_10device_ptrIiEEEEPS5_m17evens_before_oddsEE10hipError_tT0_T1_T2_jT3_P12ihipStream_tbPNSt15iterator_traitsISI_E10value_typeEPNSO_ISJ_E10value_typeEPSK_NS1_7vsmem_tEENKUlT_SI_SJ_SK_E_clISE_PiSF_SF_EESH_SX_SI_SJ_SK_EUlSX_E1_NS1_11comp_targetILNS1_3genE3ELNS1_11target_archE908ELNS1_3gpuE7ELNS1_3repE0EEENS1_36merge_oddeven_config_static_selectorELNS0_4arch9wavefront6targetE0EEEvSJ_
                                        ; -- End function
	.set _ZN7rocprim17ROCPRIM_400000_NS6detail17trampoline_kernelINS0_14default_configENS1_38merge_sort_block_merge_config_selectorIiNS0_10empty_typeEEEZZNS1_27merge_sort_block_merge_implIS3_N6thrust23THRUST_200600_302600_NS6detail15normal_iteratorINS9_10device_ptrIiEEEEPS5_m17evens_before_oddsEE10hipError_tT0_T1_T2_jT3_P12ihipStream_tbPNSt15iterator_traitsISI_E10value_typeEPNSO_ISJ_E10value_typeEPSK_NS1_7vsmem_tEENKUlT_SI_SJ_SK_E_clISE_PiSF_SF_EESH_SX_SI_SJ_SK_EUlSX_E1_NS1_11comp_targetILNS1_3genE3ELNS1_11target_archE908ELNS1_3gpuE7ELNS1_3repE0EEENS1_36merge_oddeven_config_static_selectorELNS0_4arch9wavefront6targetE0EEEvSJ_.num_vgpr, 0
	.set _ZN7rocprim17ROCPRIM_400000_NS6detail17trampoline_kernelINS0_14default_configENS1_38merge_sort_block_merge_config_selectorIiNS0_10empty_typeEEEZZNS1_27merge_sort_block_merge_implIS3_N6thrust23THRUST_200600_302600_NS6detail15normal_iteratorINS9_10device_ptrIiEEEEPS5_m17evens_before_oddsEE10hipError_tT0_T1_T2_jT3_P12ihipStream_tbPNSt15iterator_traitsISI_E10value_typeEPNSO_ISJ_E10value_typeEPSK_NS1_7vsmem_tEENKUlT_SI_SJ_SK_E_clISE_PiSF_SF_EESH_SX_SI_SJ_SK_EUlSX_E1_NS1_11comp_targetILNS1_3genE3ELNS1_11target_archE908ELNS1_3gpuE7ELNS1_3repE0EEENS1_36merge_oddeven_config_static_selectorELNS0_4arch9wavefront6targetE0EEEvSJ_.num_agpr, 0
	.set _ZN7rocprim17ROCPRIM_400000_NS6detail17trampoline_kernelINS0_14default_configENS1_38merge_sort_block_merge_config_selectorIiNS0_10empty_typeEEEZZNS1_27merge_sort_block_merge_implIS3_N6thrust23THRUST_200600_302600_NS6detail15normal_iteratorINS9_10device_ptrIiEEEEPS5_m17evens_before_oddsEE10hipError_tT0_T1_T2_jT3_P12ihipStream_tbPNSt15iterator_traitsISI_E10value_typeEPNSO_ISJ_E10value_typeEPSK_NS1_7vsmem_tEENKUlT_SI_SJ_SK_E_clISE_PiSF_SF_EESH_SX_SI_SJ_SK_EUlSX_E1_NS1_11comp_targetILNS1_3genE3ELNS1_11target_archE908ELNS1_3gpuE7ELNS1_3repE0EEENS1_36merge_oddeven_config_static_selectorELNS0_4arch9wavefront6targetE0EEEvSJ_.numbered_sgpr, 0
	.set _ZN7rocprim17ROCPRIM_400000_NS6detail17trampoline_kernelINS0_14default_configENS1_38merge_sort_block_merge_config_selectorIiNS0_10empty_typeEEEZZNS1_27merge_sort_block_merge_implIS3_N6thrust23THRUST_200600_302600_NS6detail15normal_iteratorINS9_10device_ptrIiEEEEPS5_m17evens_before_oddsEE10hipError_tT0_T1_T2_jT3_P12ihipStream_tbPNSt15iterator_traitsISI_E10value_typeEPNSO_ISJ_E10value_typeEPSK_NS1_7vsmem_tEENKUlT_SI_SJ_SK_E_clISE_PiSF_SF_EESH_SX_SI_SJ_SK_EUlSX_E1_NS1_11comp_targetILNS1_3genE3ELNS1_11target_archE908ELNS1_3gpuE7ELNS1_3repE0EEENS1_36merge_oddeven_config_static_selectorELNS0_4arch9wavefront6targetE0EEEvSJ_.num_named_barrier, 0
	.set _ZN7rocprim17ROCPRIM_400000_NS6detail17trampoline_kernelINS0_14default_configENS1_38merge_sort_block_merge_config_selectorIiNS0_10empty_typeEEEZZNS1_27merge_sort_block_merge_implIS3_N6thrust23THRUST_200600_302600_NS6detail15normal_iteratorINS9_10device_ptrIiEEEEPS5_m17evens_before_oddsEE10hipError_tT0_T1_T2_jT3_P12ihipStream_tbPNSt15iterator_traitsISI_E10value_typeEPNSO_ISJ_E10value_typeEPSK_NS1_7vsmem_tEENKUlT_SI_SJ_SK_E_clISE_PiSF_SF_EESH_SX_SI_SJ_SK_EUlSX_E1_NS1_11comp_targetILNS1_3genE3ELNS1_11target_archE908ELNS1_3gpuE7ELNS1_3repE0EEENS1_36merge_oddeven_config_static_selectorELNS0_4arch9wavefront6targetE0EEEvSJ_.private_seg_size, 0
	.set _ZN7rocprim17ROCPRIM_400000_NS6detail17trampoline_kernelINS0_14default_configENS1_38merge_sort_block_merge_config_selectorIiNS0_10empty_typeEEEZZNS1_27merge_sort_block_merge_implIS3_N6thrust23THRUST_200600_302600_NS6detail15normal_iteratorINS9_10device_ptrIiEEEEPS5_m17evens_before_oddsEE10hipError_tT0_T1_T2_jT3_P12ihipStream_tbPNSt15iterator_traitsISI_E10value_typeEPNSO_ISJ_E10value_typeEPSK_NS1_7vsmem_tEENKUlT_SI_SJ_SK_E_clISE_PiSF_SF_EESH_SX_SI_SJ_SK_EUlSX_E1_NS1_11comp_targetILNS1_3genE3ELNS1_11target_archE908ELNS1_3gpuE7ELNS1_3repE0EEENS1_36merge_oddeven_config_static_selectorELNS0_4arch9wavefront6targetE0EEEvSJ_.uses_vcc, 0
	.set _ZN7rocprim17ROCPRIM_400000_NS6detail17trampoline_kernelINS0_14default_configENS1_38merge_sort_block_merge_config_selectorIiNS0_10empty_typeEEEZZNS1_27merge_sort_block_merge_implIS3_N6thrust23THRUST_200600_302600_NS6detail15normal_iteratorINS9_10device_ptrIiEEEEPS5_m17evens_before_oddsEE10hipError_tT0_T1_T2_jT3_P12ihipStream_tbPNSt15iterator_traitsISI_E10value_typeEPNSO_ISJ_E10value_typeEPSK_NS1_7vsmem_tEENKUlT_SI_SJ_SK_E_clISE_PiSF_SF_EESH_SX_SI_SJ_SK_EUlSX_E1_NS1_11comp_targetILNS1_3genE3ELNS1_11target_archE908ELNS1_3gpuE7ELNS1_3repE0EEENS1_36merge_oddeven_config_static_selectorELNS0_4arch9wavefront6targetE0EEEvSJ_.uses_flat_scratch, 0
	.set _ZN7rocprim17ROCPRIM_400000_NS6detail17trampoline_kernelINS0_14default_configENS1_38merge_sort_block_merge_config_selectorIiNS0_10empty_typeEEEZZNS1_27merge_sort_block_merge_implIS3_N6thrust23THRUST_200600_302600_NS6detail15normal_iteratorINS9_10device_ptrIiEEEEPS5_m17evens_before_oddsEE10hipError_tT0_T1_T2_jT3_P12ihipStream_tbPNSt15iterator_traitsISI_E10value_typeEPNSO_ISJ_E10value_typeEPSK_NS1_7vsmem_tEENKUlT_SI_SJ_SK_E_clISE_PiSF_SF_EESH_SX_SI_SJ_SK_EUlSX_E1_NS1_11comp_targetILNS1_3genE3ELNS1_11target_archE908ELNS1_3gpuE7ELNS1_3repE0EEENS1_36merge_oddeven_config_static_selectorELNS0_4arch9wavefront6targetE0EEEvSJ_.has_dyn_sized_stack, 0
	.set _ZN7rocprim17ROCPRIM_400000_NS6detail17trampoline_kernelINS0_14default_configENS1_38merge_sort_block_merge_config_selectorIiNS0_10empty_typeEEEZZNS1_27merge_sort_block_merge_implIS3_N6thrust23THRUST_200600_302600_NS6detail15normal_iteratorINS9_10device_ptrIiEEEEPS5_m17evens_before_oddsEE10hipError_tT0_T1_T2_jT3_P12ihipStream_tbPNSt15iterator_traitsISI_E10value_typeEPNSO_ISJ_E10value_typeEPSK_NS1_7vsmem_tEENKUlT_SI_SJ_SK_E_clISE_PiSF_SF_EESH_SX_SI_SJ_SK_EUlSX_E1_NS1_11comp_targetILNS1_3genE3ELNS1_11target_archE908ELNS1_3gpuE7ELNS1_3repE0EEENS1_36merge_oddeven_config_static_selectorELNS0_4arch9wavefront6targetE0EEEvSJ_.has_recursion, 0
	.set _ZN7rocprim17ROCPRIM_400000_NS6detail17trampoline_kernelINS0_14default_configENS1_38merge_sort_block_merge_config_selectorIiNS0_10empty_typeEEEZZNS1_27merge_sort_block_merge_implIS3_N6thrust23THRUST_200600_302600_NS6detail15normal_iteratorINS9_10device_ptrIiEEEEPS5_m17evens_before_oddsEE10hipError_tT0_T1_T2_jT3_P12ihipStream_tbPNSt15iterator_traitsISI_E10value_typeEPNSO_ISJ_E10value_typeEPSK_NS1_7vsmem_tEENKUlT_SI_SJ_SK_E_clISE_PiSF_SF_EESH_SX_SI_SJ_SK_EUlSX_E1_NS1_11comp_targetILNS1_3genE3ELNS1_11target_archE908ELNS1_3gpuE7ELNS1_3repE0EEENS1_36merge_oddeven_config_static_selectorELNS0_4arch9wavefront6targetE0EEEvSJ_.has_indirect_call, 0
	.section	.AMDGPU.csdata,"",@progbits
; Kernel info:
; codeLenInByte = 0
; TotalNumSgprs: 0
; NumVgprs: 0
; ScratchSize: 0
; MemoryBound: 0
; FloatMode: 240
; IeeeMode: 1
; LDSByteSize: 0 bytes/workgroup (compile time only)
; SGPRBlocks: 0
; VGPRBlocks: 0
; NumSGPRsForWavesPerEU: 1
; NumVGPRsForWavesPerEU: 1
; Occupancy: 16
; WaveLimiterHint : 0
; COMPUTE_PGM_RSRC2:SCRATCH_EN: 0
; COMPUTE_PGM_RSRC2:USER_SGPR: 6
; COMPUTE_PGM_RSRC2:TRAP_HANDLER: 0
; COMPUTE_PGM_RSRC2:TGID_X_EN: 1
; COMPUTE_PGM_RSRC2:TGID_Y_EN: 0
; COMPUTE_PGM_RSRC2:TGID_Z_EN: 0
; COMPUTE_PGM_RSRC2:TIDIG_COMP_CNT: 0
	.section	.text._ZN7rocprim17ROCPRIM_400000_NS6detail17trampoline_kernelINS0_14default_configENS1_38merge_sort_block_merge_config_selectorIiNS0_10empty_typeEEEZZNS1_27merge_sort_block_merge_implIS3_N6thrust23THRUST_200600_302600_NS6detail15normal_iteratorINS9_10device_ptrIiEEEEPS5_m17evens_before_oddsEE10hipError_tT0_T1_T2_jT3_P12ihipStream_tbPNSt15iterator_traitsISI_E10value_typeEPNSO_ISJ_E10value_typeEPSK_NS1_7vsmem_tEENKUlT_SI_SJ_SK_E_clISE_PiSF_SF_EESH_SX_SI_SJ_SK_EUlSX_E1_NS1_11comp_targetILNS1_3genE2ELNS1_11target_archE906ELNS1_3gpuE6ELNS1_3repE0EEENS1_36merge_oddeven_config_static_selectorELNS0_4arch9wavefront6targetE0EEEvSJ_,"axG",@progbits,_ZN7rocprim17ROCPRIM_400000_NS6detail17trampoline_kernelINS0_14default_configENS1_38merge_sort_block_merge_config_selectorIiNS0_10empty_typeEEEZZNS1_27merge_sort_block_merge_implIS3_N6thrust23THRUST_200600_302600_NS6detail15normal_iteratorINS9_10device_ptrIiEEEEPS5_m17evens_before_oddsEE10hipError_tT0_T1_T2_jT3_P12ihipStream_tbPNSt15iterator_traitsISI_E10value_typeEPNSO_ISJ_E10value_typeEPSK_NS1_7vsmem_tEENKUlT_SI_SJ_SK_E_clISE_PiSF_SF_EESH_SX_SI_SJ_SK_EUlSX_E1_NS1_11comp_targetILNS1_3genE2ELNS1_11target_archE906ELNS1_3gpuE6ELNS1_3repE0EEENS1_36merge_oddeven_config_static_selectorELNS0_4arch9wavefront6targetE0EEEvSJ_,comdat
	.protected	_ZN7rocprim17ROCPRIM_400000_NS6detail17trampoline_kernelINS0_14default_configENS1_38merge_sort_block_merge_config_selectorIiNS0_10empty_typeEEEZZNS1_27merge_sort_block_merge_implIS3_N6thrust23THRUST_200600_302600_NS6detail15normal_iteratorINS9_10device_ptrIiEEEEPS5_m17evens_before_oddsEE10hipError_tT0_T1_T2_jT3_P12ihipStream_tbPNSt15iterator_traitsISI_E10value_typeEPNSO_ISJ_E10value_typeEPSK_NS1_7vsmem_tEENKUlT_SI_SJ_SK_E_clISE_PiSF_SF_EESH_SX_SI_SJ_SK_EUlSX_E1_NS1_11comp_targetILNS1_3genE2ELNS1_11target_archE906ELNS1_3gpuE6ELNS1_3repE0EEENS1_36merge_oddeven_config_static_selectorELNS0_4arch9wavefront6targetE0EEEvSJ_ ; -- Begin function _ZN7rocprim17ROCPRIM_400000_NS6detail17trampoline_kernelINS0_14default_configENS1_38merge_sort_block_merge_config_selectorIiNS0_10empty_typeEEEZZNS1_27merge_sort_block_merge_implIS3_N6thrust23THRUST_200600_302600_NS6detail15normal_iteratorINS9_10device_ptrIiEEEEPS5_m17evens_before_oddsEE10hipError_tT0_T1_T2_jT3_P12ihipStream_tbPNSt15iterator_traitsISI_E10value_typeEPNSO_ISJ_E10value_typeEPSK_NS1_7vsmem_tEENKUlT_SI_SJ_SK_E_clISE_PiSF_SF_EESH_SX_SI_SJ_SK_EUlSX_E1_NS1_11comp_targetILNS1_3genE2ELNS1_11target_archE906ELNS1_3gpuE6ELNS1_3repE0EEENS1_36merge_oddeven_config_static_selectorELNS0_4arch9wavefront6targetE0EEEvSJ_
	.globl	_ZN7rocprim17ROCPRIM_400000_NS6detail17trampoline_kernelINS0_14default_configENS1_38merge_sort_block_merge_config_selectorIiNS0_10empty_typeEEEZZNS1_27merge_sort_block_merge_implIS3_N6thrust23THRUST_200600_302600_NS6detail15normal_iteratorINS9_10device_ptrIiEEEEPS5_m17evens_before_oddsEE10hipError_tT0_T1_T2_jT3_P12ihipStream_tbPNSt15iterator_traitsISI_E10value_typeEPNSO_ISJ_E10value_typeEPSK_NS1_7vsmem_tEENKUlT_SI_SJ_SK_E_clISE_PiSF_SF_EESH_SX_SI_SJ_SK_EUlSX_E1_NS1_11comp_targetILNS1_3genE2ELNS1_11target_archE906ELNS1_3gpuE6ELNS1_3repE0EEENS1_36merge_oddeven_config_static_selectorELNS0_4arch9wavefront6targetE0EEEvSJ_
	.p2align	8
	.type	_ZN7rocprim17ROCPRIM_400000_NS6detail17trampoline_kernelINS0_14default_configENS1_38merge_sort_block_merge_config_selectorIiNS0_10empty_typeEEEZZNS1_27merge_sort_block_merge_implIS3_N6thrust23THRUST_200600_302600_NS6detail15normal_iteratorINS9_10device_ptrIiEEEEPS5_m17evens_before_oddsEE10hipError_tT0_T1_T2_jT3_P12ihipStream_tbPNSt15iterator_traitsISI_E10value_typeEPNSO_ISJ_E10value_typeEPSK_NS1_7vsmem_tEENKUlT_SI_SJ_SK_E_clISE_PiSF_SF_EESH_SX_SI_SJ_SK_EUlSX_E1_NS1_11comp_targetILNS1_3genE2ELNS1_11target_archE906ELNS1_3gpuE6ELNS1_3repE0EEENS1_36merge_oddeven_config_static_selectorELNS0_4arch9wavefront6targetE0EEEvSJ_,@function
_ZN7rocprim17ROCPRIM_400000_NS6detail17trampoline_kernelINS0_14default_configENS1_38merge_sort_block_merge_config_selectorIiNS0_10empty_typeEEEZZNS1_27merge_sort_block_merge_implIS3_N6thrust23THRUST_200600_302600_NS6detail15normal_iteratorINS9_10device_ptrIiEEEEPS5_m17evens_before_oddsEE10hipError_tT0_T1_T2_jT3_P12ihipStream_tbPNSt15iterator_traitsISI_E10value_typeEPNSO_ISJ_E10value_typeEPSK_NS1_7vsmem_tEENKUlT_SI_SJ_SK_E_clISE_PiSF_SF_EESH_SX_SI_SJ_SK_EUlSX_E1_NS1_11comp_targetILNS1_3genE2ELNS1_11target_archE906ELNS1_3gpuE6ELNS1_3repE0EEENS1_36merge_oddeven_config_static_selectorELNS0_4arch9wavefront6targetE0EEEvSJ_: ; @_ZN7rocprim17ROCPRIM_400000_NS6detail17trampoline_kernelINS0_14default_configENS1_38merge_sort_block_merge_config_selectorIiNS0_10empty_typeEEEZZNS1_27merge_sort_block_merge_implIS3_N6thrust23THRUST_200600_302600_NS6detail15normal_iteratorINS9_10device_ptrIiEEEEPS5_m17evens_before_oddsEE10hipError_tT0_T1_T2_jT3_P12ihipStream_tbPNSt15iterator_traitsISI_E10value_typeEPNSO_ISJ_E10value_typeEPSK_NS1_7vsmem_tEENKUlT_SI_SJ_SK_E_clISE_PiSF_SF_EESH_SX_SI_SJ_SK_EUlSX_E1_NS1_11comp_targetILNS1_3genE2ELNS1_11target_archE906ELNS1_3gpuE6ELNS1_3repE0EEENS1_36merge_oddeven_config_static_selectorELNS0_4arch9wavefront6targetE0EEEvSJ_
; %bb.0:
	.section	.rodata,"a",@progbits
	.p2align	6, 0x0
	.amdhsa_kernel _ZN7rocprim17ROCPRIM_400000_NS6detail17trampoline_kernelINS0_14default_configENS1_38merge_sort_block_merge_config_selectorIiNS0_10empty_typeEEEZZNS1_27merge_sort_block_merge_implIS3_N6thrust23THRUST_200600_302600_NS6detail15normal_iteratorINS9_10device_ptrIiEEEEPS5_m17evens_before_oddsEE10hipError_tT0_T1_T2_jT3_P12ihipStream_tbPNSt15iterator_traitsISI_E10value_typeEPNSO_ISJ_E10value_typeEPSK_NS1_7vsmem_tEENKUlT_SI_SJ_SK_E_clISE_PiSF_SF_EESH_SX_SI_SJ_SK_EUlSX_E1_NS1_11comp_targetILNS1_3genE2ELNS1_11target_archE906ELNS1_3gpuE6ELNS1_3repE0EEENS1_36merge_oddeven_config_static_selectorELNS0_4arch9wavefront6targetE0EEEvSJ_
		.amdhsa_group_segment_fixed_size 0
		.amdhsa_private_segment_fixed_size 0
		.amdhsa_kernarg_size 56
		.amdhsa_user_sgpr_count 6
		.amdhsa_user_sgpr_private_segment_buffer 1
		.amdhsa_user_sgpr_dispatch_ptr 0
		.amdhsa_user_sgpr_queue_ptr 0
		.amdhsa_user_sgpr_kernarg_segment_ptr 1
		.amdhsa_user_sgpr_dispatch_id 0
		.amdhsa_user_sgpr_flat_scratch_init 0
		.amdhsa_user_sgpr_private_segment_size 0
		.amdhsa_wavefront_size32 1
		.amdhsa_uses_dynamic_stack 0
		.amdhsa_system_sgpr_private_segment_wavefront_offset 0
		.amdhsa_system_sgpr_workgroup_id_x 1
		.amdhsa_system_sgpr_workgroup_id_y 0
		.amdhsa_system_sgpr_workgroup_id_z 0
		.amdhsa_system_sgpr_workgroup_info 0
		.amdhsa_system_vgpr_workitem_id 0
		.amdhsa_next_free_vgpr 1
		.amdhsa_next_free_sgpr 1
		.amdhsa_reserve_vcc 0
		.amdhsa_reserve_flat_scratch 0
		.amdhsa_float_round_mode_32 0
		.amdhsa_float_round_mode_16_64 0
		.amdhsa_float_denorm_mode_32 3
		.amdhsa_float_denorm_mode_16_64 3
		.amdhsa_dx10_clamp 1
		.amdhsa_ieee_mode 1
		.amdhsa_fp16_overflow 0
		.amdhsa_workgroup_processor_mode 1
		.amdhsa_memory_ordered 1
		.amdhsa_forward_progress 1
		.amdhsa_shared_vgpr_count 0
		.amdhsa_exception_fp_ieee_invalid_op 0
		.amdhsa_exception_fp_denorm_src 0
		.amdhsa_exception_fp_ieee_div_zero 0
		.amdhsa_exception_fp_ieee_overflow 0
		.amdhsa_exception_fp_ieee_underflow 0
		.amdhsa_exception_fp_ieee_inexact 0
		.amdhsa_exception_int_div_zero 0
	.end_amdhsa_kernel
	.section	.text._ZN7rocprim17ROCPRIM_400000_NS6detail17trampoline_kernelINS0_14default_configENS1_38merge_sort_block_merge_config_selectorIiNS0_10empty_typeEEEZZNS1_27merge_sort_block_merge_implIS3_N6thrust23THRUST_200600_302600_NS6detail15normal_iteratorINS9_10device_ptrIiEEEEPS5_m17evens_before_oddsEE10hipError_tT0_T1_T2_jT3_P12ihipStream_tbPNSt15iterator_traitsISI_E10value_typeEPNSO_ISJ_E10value_typeEPSK_NS1_7vsmem_tEENKUlT_SI_SJ_SK_E_clISE_PiSF_SF_EESH_SX_SI_SJ_SK_EUlSX_E1_NS1_11comp_targetILNS1_3genE2ELNS1_11target_archE906ELNS1_3gpuE6ELNS1_3repE0EEENS1_36merge_oddeven_config_static_selectorELNS0_4arch9wavefront6targetE0EEEvSJ_,"axG",@progbits,_ZN7rocprim17ROCPRIM_400000_NS6detail17trampoline_kernelINS0_14default_configENS1_38merge_sort_block_merge_config_selectorIiNS0_10empty_typeEEEZZNS1_27merge_sort_block_merge_implIS3_N6thrust23THRUST_200600_302600_NS6detail15normal_iteratorINS9_10device_ptrIiEEEEPS5_m17evens_before_oddsEE10hipError_tT0_T1_T2_jT3_P12ihipStream_tbPNSt15iterator_traitsISI_E10value_typeEPNSO_ISJ_E10value_typeEPSK_NS1_7vsmem_tEENKUlT_SI_SJ_SK_E_clISE_PiSF_SF_EESH_SX_SI_SJ_SK_EUlSX_E1_NS1_11comp_targetILNS1_3genE2ELNS1_11target_archE906ELNS1_3gpuE6ELNS1_3repE0EEENS1_36merge_oddeven_config_static_selectorELNS0_4arch9wavefront6targetE0EEEvSJ_,comdat
.Lfunc_end453:
	.size	_ZN7rocprim17ROCPRIM_400000_NS6detail17trampoline_kernelINS0_14default_configENS1_38merge_sort_block_merge_config_selectorIiNS0_10empty_typeEEEZZNS1_27merge_sort_block_merge_implIS3_N6thrust23THRUST_200600_302600_NS6detail15normal_iteratorINS9_10device_ptrIiEEEEPS5_m17evens_before_oddsEE10hipError_tT0_T1_T2_jT3_P12ihipStream_tbPNSt15iterator_traitsISI_E10value_typeEPNSO_ISJ_E10value_typeEPSK_NS1_7vsmem_tEENKUlT_SI_SJ_SK_E_clISE_PiSF_SF_EESH_SX_SI_SJ_SK_EUlSX_E1_NS1_11comp_targetILNS1_3genE2ELNS1_11target_archE906ELNS1_3gpuE6ELNS1_3repE0EEENS1_36merge_oddeven_config_static_selectorELNS0_4arch9wavefront6targetE0EEEvSJ_, .Lfunc_end453-_ZN7rocprim17ROCPRIM_400000_NS6detail17trampoline_kernelINS0_14default_configENS1_38merge_sort_block_merge_config_selectorIiNS0_10empty_typeEEEZZNS1_27merge_sort_block_merge_implIS3_N6thrust23THRUST_200600_302600_NS6detail15normal_iteratorINS9_10device_ptrIiEEEEPS5_m17evens_before_oddsEE10hipError_tT0_T1_T2_jT3_P12ihipStream_tbPNSt15iterator_traitsISI_E10value_typeEPNSO_ISJ_E10value_typeEPSK_NS1_7vsmem_tEENKUlT_SI_SJ_SK_E_clISE_PiSF_SF_EESH_SX_SI_SJ_SK_EUlSX_E1_NS1_11comp_targetILNS1_3genE2ELNS1_11target_archE906ELNS1_3gpuE6ELNS1_3repE0EEENS1_36merge_oddeven_config_static_selectorELNS0_4arch9wavefront6targetE0EEEvSJ_
                                        ; -- End function
	.set _ZN7rocprim17ROCPRIM_400000_NS6detail17trampoline_kernelINS0_14default_configENS1_38merge_sort_block_merge_config_selectorIiNS0_10empty_typeEEEZZNS1_27merge_sort_block_merge_implIS3_N6thrust23THRUST_200600_302600_NS6detail15normal_iteratorINS9_10device_ptrIiEEEEPS5_m17evens_before_oddsEE10hipError_tT0_T1_T2_jT3_P12ihipStream_tbPNSt15iterator_traitsISI_E10value_typeEPNSO_ISJ_E10value_typeEPSK_NS1_7vsmem_tEENKUlT_SI_SJ_SK_E_clISE_PiSF_SF_EESH_SX_SI_SJ_SK_EUlSX_E1_NS1_11comp_targetILNS1_3genE2ELNS1_11target_archE906ELNS1_3gpuE6ELNS1_3repE0EEENS1_36merge_oddeven_config_static_selectorELNS0_4arch9wavefront6targetE0EEEvSJ_.num_vgpr, 0
	.set _ZN7rocprim17ROCPRIM_400000_NS6detail17trampoline_kernelINS0_14default_configENS1_38merge_sort_block_merge_config_selectorIiNS0_10empty_typeEEEZZNS1_27merge_sort_block_merge_implIS3_N6thrust23THRUST_200600_302600_NS6detail15normal_iteratorINS9_10device_ptrIiEEEEPS5_m17evens_before_oddsEE10hipError_tT0_T1_T2_jT3_P12ihipStream_tbPNSt15iterator_traitsISI_E10value_typeEPNSO_ISJ_E10value_typeEPSK_NS1_7vsmem_tEENKUlT_SI_SJ_SK_E_clISE_PiSF_SF_EESH_SX_SI_SJ_SK_EUlSX_E1_NS1_11comp_targetILNS1_3genE2ELNS1_11target_archE906ELNS1_3gpuE6ELNS1_3repE0EEENS1_36merge_oddeven_config_static_selectorELNS0_4arch9wavefront6targetE0EEEvSJ_.num_agpr, 0
	.set _ZN7rocprim17ROCPRIM_400000_NS6detail17trampoline_kernelINS0_14default_configENS1_38merge_sort_block_merge_config_selectorIiNS0_10empty_typeEEEZZNS1_27merge_sort_block_merge_implIS3_N6thrust23THRUST_200600_302600_NS6detail15normal_iteratorINS9_10device_ptrIiEEEEPS5_m17evens_before_oddsEE10hipError_tT0_T1_T2_jT3_P12ihipStream_tbPNSt15iterator_traitsISI_E10value_typeEPNSO_ISJ_E10value_typeEPSK_NS1_7vsmem_tEENKUlT_SI_SJ_SK_E_clISE_PiSF_SF_EESH_SX_SI_SJ_SK_EUlSX_E1_NS1_11comp_targetILNS1_3genE2ELNS1_11target_archE906ELNS1_3gpuE6ELNS1_3repE0EEENS1_36merge_oddeven_config_static_selectorELNS0_4arch9wavefront6targetE0EEEvSJ_.numbered_sgpr, 0
	.set _ZN7rocprim17ROCPRIM_400000_NS6detail17trampoline_kernelINS0_14default_configENS1_38merge_sort_block_merge_config_selectorIiNS0_10empty_typeEEEZZNS1_27merge_sort_block_merge_implIS3_N6thrust23THRUST_200600_302600_NS6detail15normal_iteratorINS9_10device_ptrIiEEEEPS5_m17evens_before_oddsEE10hipError_tT0_T1_T2_jT3_P12ihipStream_tbPNSt15iterator_traitsISI_E10value_typeEPNSO_ISJ_E10value_typeEPSK_NS1_7vsmem_tEENKUlT_SI_SJ_SK_E_clISE_PiSF_SF_EESH_SX_SI_SJ_SK_EUlSX_E1_NS1_11comp_targetILNS1_3genE2ELNS1_11target_archE906ELNS1_3gpuE6ELNS1_3repE0EEENS1_36merge_oddeven_config_static_selectorELNS0_4arch9wavefront6targetE0EEEvSJ_.num_named_barrier, 0
	.set _ZN7rocprim17ROCPRIM_400000_NS6detail17trampoline_kernelINS0_14default_configENS1_38merge_sort_block_merge_config_selectorIiNS0_10empty_typeEEEZZNS1_27merge_sort_block_merge_implIS3_N6thrust23THRUST_200600_302600_NS6detail15normal_iteratorINS9_10device_ptrIiEEEEPS5_m17evens_before_oddsEE10hipError_tT0_T1_T2_jT3_P12ihipStream_tbPNSt15iterator_traitsISI_E10value_typeEPNSO_ISJ_E10value_typeEPSK_NS1_7vsmem_tEENKUlT_SI_SJ_SK_E_clISE_PiSF_SF_EESH_SX_SI_SJ_SK_EUlSX_E1_NS1_11comp_targetILNS1_3genE2ELNS1_11target_archE906ELNS1_3gpuE6ELNS1_3repE0EEENS1_36merge_oddeven_config_static_selectorELNS0_4arch9wavefront6targetE0EEEvSJ_.private_seg_size, 0
	.set _ZN7rocprim17ROCPRIM_400000_NS6detail17trampoline_kernelINS0_14default_configENS1_38merge_sort_block_merge_config_selectorIiNS0_10empty_typeEEEZZNS1_27merge_sort_block_merge_implIS3_N6thrust23THRUST_200600_302600_NS6detail15normal_iteratorINS9_10device_ptrIiEEEEPS5_m17evens_before_oddsEE10hipError_tT0_T1_T2_jT3_P12ihipStream_tbPNSt15iterator_traitsISI_E10value_typeEPNSO_ISJ_E10value_typeEPSK_NS1_7vsmem_tEENKUlT_SI_SJ_SK_E_clISE_PiSF_SF_EESH_SX_SI_SJ_SK_EUlSX_E1_NS1_11comp_targetILNS1_3genE2ELNS1_11target_archE906ELNS1_3gpuE6ELNS1_3repE0EEENS1_36merge_oddeven_config_static_selectorELNS0_4arch9wavefront6targetE0EEEvSJ_.uses_vcc, 0
	.set _ZN7rocprim17ROCPRIM_400000_NS6detail17trampoline_kernelINS0_14default_configENS1_38merge_sort_block_merge_config_selectorIiNS0_10empty_typeEEEZZNS1_27merge_sort_block_merge_implIS3_N6thrust23THRUST_200600_302600_NS6detail15normal_iteratorINS9_10device_ptrIiEEEEPS5_m17evens_before_oddsEE10hipError_tT0_T1_T2_jT3_P12ihipStream_tbPNSt15iterator_traitsISI_E10value_typeEPNSO_ISJ_E10value_typeEPSK_NS1_7vsmem_tEENKUlT_SI_SJ_SK_E_clISE_PiSF_SF_EESH_SX_SI_SJ_SK_EUlSX_E1_NS1_11comp_targetILNS1_3genE2ELNS1_11target_archE906ELNS1_3gpuE6ELNS1_3repE0EEENS1_36merge_oddeven_config_static_selectorELNS0_4arch9wavefront6targetE0EEEvSJ_.uses_flat_scratch, 0
	.set _ZN7rocprim17ROCPRIM_400000_NS6detail17trampoline_kernelINS0_14default_configENS1_38merge_sort_block_merge_config_selectorIiNS0_10empty_typeEEEZZNS1_27merge_sort_block_merge_implIS3_N6thrust23THRUST_200600_302600_NS6detail15normal_iteratorINS9_10device_ptrIiEEEEPS5_m17evens_before_oddsEE10hipError_tT0_T1_T2_jT3_P12ihipStream_tbPNSt15iterator_traitsISI_E10value_typeEPNSO_ISJ_E10value_typeEPSK_NS1_7vsmem_tEENKUlT_SI_SJ_SK_E_clISE_PiSF_SF_EESH_SX_SI_SJ_SK_EUlSX_E1_NS1_11comp_targetILNS1_3genE2ELNS1_11target_archE906ELNS1_3gpuE6ELNS1_3repE0EEENS1_36merge_oddeven_config_static_selectorELNS0_4arch9wavefront6targetE0EEEvSJ_.has_dyn_sized_stack, 0
	.set _ZN7rocprim17ROCPRIM_400000_NS6detail17trampoline_kernelINS0_14default_configENS1_38merge_sort_block_merge_config_selectorIiNS0_10empty_typeEEEZZNS1_27merge_sort_block_merge_implIS3_N6thrust23THRUST_200600_302600_NS6detail15normal_iteratorINS9_10device_ptrIiEEEEPS5_m17evens_before_oddsEE10hipError_tT0_T1_T2_jT3_P12ihipStream_tbPNSt15iterator_traitsISI_E10value_typeEPNSO_ISJ_E10value_typeEPSK_NS1_7vsmem_tEENKUlT_SI_SJ_SK_E_clISE_PiSF_SF_EESH_SX_SI_SJ_SK_EUlSX_E1_NS1_11comp_targetILNS1_3genE2ELNS1_11target_archE906ELNS1_3gpuE6ELNS1_3repE0EEENS1_36merge_oddeven_config_static_selectorELNS0_4arch9wavefront6targetE0EEEvSJ_.has_recursion, 0
	.set _ZN7rocprim17ROCPRIM_400000_NS6detail17trampoline_kernelINS0_14default_configENS1_38merge_sort_block_merge_config_selectorIiNS0_10empty_typeEEEZZNS1_27merge_sort_block_merge_implIS3_N6thrust23THRUST_200600_302600_NS6detail15normal_iteratorINS9_10device_ptrIiEEEEPS5_m17evens_before_oddsEE10hipError_tT0_T1_T2_jT3_P12ihipStream_tbPNSt15iterator_traitsISI_E10value_typeEPNSO_ISJ_E10value_typeEPSK_NS1_7vsmem_tEENKUlT_SI_SJ_SK_E_clISE_PiSF_SF_EESH_SX_SI_SJ_SK_EUlSX_E1_NS1_11comp_targetILNS1_3genE2ELNS1_11target_archE906ELNS1_3gpuE6ELNS1_3repE0EEENS1_36merge_oddeven_config_static_selectorELNS0_4arch9wavefront6targetE0EEEvSJ_.has_indirect_call, 0
	.section	.AMDGPU.csdata,"",@progbits
; Kernel info:
; codeLenInByte = 0
; TotalNumSgprs: 0
; NumVgprs: 0
; ScratchSize: 0
; MemoryBound: 0
; FloatMode: 240
; IeeeMode: 1
; LDSByteSize: 0 bytes/workgroup (compile time only)
; SGPRBlocks: 0
; VGPRBlocks: 0
; NumSGPRsForWavesPerEU: 1
; NumVGPRsForWavesPerEU: 1
; Occupancy: 16
; WaveLimiterHint : 0
; COMPUTE_PGM_RSRC2:SCRATCH_EN: 0
; COMPUTE_PGM_RSRC2:USER_SGPR: 6
; COMPUTE_PGM_RSRC2:TRAP_HANDLER: 0
; COMPUTE_PGM_RSRC2:TGID_X_EN: 1
; COMPUTE_PGM_RSRC2:TGID_Y_EN: 0
; COMPUTE_PGM_RSRC2:TGID_Z_EN: 0
; COMPUTE_PGM_RSRC2:TIDIG_COMP_CNT: 0
	.section	.text._ZN7rocprim17ROCPRIM_400000_NS6detail17trampoline_kernelINS0_14default_configENS1_38merge_sort_block_merge_config_selectorIiNS0_10empty_typeEEEZZNS1_27merge_sort_block_merge_implIS3_N6thrust23THRUST_200600_302600_NS6detail15normal_iteratorINS9_10device_ptrIiEEEEPS5_m17evens_before_oddsEE10hipError_tT0_T1_T2_jT3_P12ihipStream_tbPNSt15iterator_traitsISI_E10value_typeEPNSO_ISJ_E10value_typeEPSK_NS1_7vsmem_tEENKUlT_SI_SJ_SK_E_clISE_PiSF_SF_EESH_SX_SI_SJ_SK_EUlSX_E1_NS1_11comp_targetILNS1_3genE9ELNS1_11target_archE1100ELNS1_3gpuE3ELNS1_3repE0EEENS1_36merge_oddeven_config_static_selectorELNS0_4arch9wavefront6targetE0EEEvSJ_,"axG",@progbits,_ZN7rocprim17ROCPRIM_400000_NS6detail17trampoline_kernelINS0_14default_configENS1_38merge_sort_block_merge_config_selectorIiNS0_10empty_typeEEEZZNS1_27merge_sort_block_merge_implIS3_N6thrust23THRUST_200600_302600_NS6detail15normal_iteratorINS9_10device_ptrIiEEEEPS5_m17evens_before_oddsEE10hipError_tT0_T1_T2_jT3_P12ihipStream_tbPNSt15iterator_traitsISI_E10value_typeEPNSO_ISJ_E10value_typeEPSK_NS1_7vsmem_tEENKUlT_SI_SJ_SK_E_clISE_PiSF_SF_EESH_SX_SI_SJ_SK_EUlSX_E1_NS1_11comp_targetILNS1_3genE9ELNS1_11target_archE1100ELNS1_3gpuE3ELNS1_3repE0EEENS1_36merge_oddeven_config_static_selectorELNS0_4arch9wavefront6targetE0EEEvSJ_,comdat
	.protected	_ZN7rocprim17ROCPRIM_400000_NS6detail17trampoline_kernelINS0_14default_configENS1_38merge_sort_block_merge_config_selectorIiNS0_10empty_typeEEEZZNS1_27merge_sort_block_merge_implIS3_N6thrust23THRUST_200600_302600_NS6detail15normal_iteratorINS9_10device_ptrIiEEEEPS5_m17evens_before_oddsEE10hipError_tT0_T1_T2_jT3_P12ihipStream_tbPNSt15iterator_traitsISI_E10value_typeEPNSO_ISJ_E10value_typeEPSK_NS1_7vsmem_tEENKUlT_SI_SJ_SK_E_clISE_PiSF_SF_EESH_SX_SI_SJ_SK_EUlSX_E1_NS1_11comp_targetILNS1_3genE9ELNS1_11target_archE1100ELNS1_3gpuE3ELNS1_3repE0EEENS1_36merge_oddeven_config_static_selectorELNS0_4arch9wavefront6targetE0EEEvSJ_ ; -- Begin function _ZN7rocprim17ROCPRIM_400000_NS6detail17trampoline_kernelINS0_14default_configENS1_38merge_sort_block_merge_config_selectorIiNS0_10empty_typeEEEZZNS1_27merge_sort_block_merge_implIS3_N6thrust23THRUST_200600_302600_NS6detail15normal_iteratorINS9_10device_ptrIiEEEEPS5_m17evens_before_oddsEE10hipError_tT0_T1_T2_jT3_P12ihipStream_tbPNSt15iterator_traitsISI_E10value_typeEPNSO_ISJ_E10value_typeEPSK_NS1_7vsmem_tEENKUlT_SI_SJ_SK_E_clISE_PiSF_SF_EESH_SX_SI_SJ_SK_EUlSX_E1_NS1_11comp_targetILNS1_3genE9ELNS1_11target_archE1100ELNS1_3gpuE3ELNS1_3repE0EEENS1_36merge_oddeven_config_static_selectorELNS0_4arch9wavefront6targetE0EEEvSJ_
	.globl	_ZN7rocprim17ROCPRIM_400000_NS6detail17trampoline_kernelINS0_14default_configENS1_38merge_sort_block_merge_config_selectorIiNS0_10empty_typeEEEZZNS1_27merge_sort_block_merge_implIS3_N6thrust23THRUST_200600_302600_NS6detail15normal_iteratorINS9_10device_ptrIiEEEEPS5_m17evens_before_oddsEE10hipError_tT0_T1_T2_jT3_P12ihipStream_tbPNSt15iterator_traitsISI_E10value_typeEPNSO_ISJ_E10value_typeEPSK_NS1_7vsmem_tEENKUlT_SI_SJ_SK_E_clISE_PiSF_SF_EESH_SX_SI_SJ_SK_EUlSX_E1_NS1_11comp_targetILNS1_3genE9ELNS1_11target_archE1100ELNS1_3gpuE3ELNS1_3repE0EEENS1_36merge_oddeven_config_static_selectorELNS0_4arch9wavefront6targetE0EEEvSJ_
	.p2align	8
	.type	_ZN7rocprim17ROCPRIM_400000_NS6detail17trampoline_kernelINS0_14default_configENS1_38merge_sort_block_merge_config_selectorIiNS0_10empty_typeEEEZZNS1_27merge_sort_block_merge_implIS3_N6thrust23THRUST_200600_302600_NS6detail15normal_iteratorINS9_10device_ptrIiEEEEPS5_m17evens_before_oddsEE10hipError_tT0_T1_T2_jT3_P12ihipStream_tbPNSt15iterator_traitsISI_E10value_typeEPNSO_ISJ_E10value_typeEPSK_NS1_7vsmem_tEENKUlT_SI_SJ_SK_E_clISE_PiSF_SF_EESH_SX_SI_SJ_SK_EUlSX_E1_NS1_11comp_targetILNS1_3genE9ELNS1_11target_archE1100ELNS1_3gpuE3ELNS1_3repE0EEENS1_36merge_oddeven_config_static_selectorELNS0_4arch9wavefront6targetE0EEEvSJ_,@function
_ZN7rocprim17ROCPRIM_400000_NS6detail17trampoline_kernelINS0_14default_configENS1_38merge_sort_block_merge_config_selectorIiNS0_10empty_typeEEEZZNS1_27merge_sort_block_merge_implIS3_N6thrust23THRUST_200600_302600_NS6detail15normal_iteratorINS9_10device_ptrIiEEEEPS5_m17evens_before_oddsEE10hipError_tT0_T1_T2_jT3_P12ihipStream_tbPNSt15iterator_traitsISI_E10value_typeEPNSO_ISJ_E10value_typeEPSK_NS1_7vsmem_tEENKUlT_SI_SJ_SK_E_clISE_PiSF_SF_EESH_SX_SI_SJ_SK_EUlSX_E1_NS1_11comp_targetILNS1_3genE9ELNS1_11target_archE1100ELNS1_3gpuE3ELNS1_3repE0EEENS1_36merge_oddeven_config_static_selectorELNS0_4arch9wavefront6targetE0EEEvSJ_: ; @_ZN7rocprim17ROCPRIM_400000_NS6detail17trampoline_kernelINS0_14default_configENS1_38merge_sort_block_merge_config_selectorIiNS0_10empty_typeEEEZZNS1_27merge_sort_block_merge_implIS3_N6thrust23THRUST_200600_302600_NS6detail15normal_iteratorINS9_10device_ptrIiEEEEPS5_m17evens_before_oddsEE10hipError_tT0_T1_T2_jT3_P12ihipStream_tbPNSt15iterator_traitsISI_E10value_typeEPNSO_ISJ_E10value_typeEPSK_NS1_7vsmem_tEENKUlT_SI_SJ_SK_E_clISE_PiSF_SF_EESH_SX_SI_SJ_SK_EUlSX_E1_NS1_11comp_targetILNS1_3genE9ELNS1_11target_archE1100ELNS1_3gpuE3ELNS1_3repE0EEENS1_36merge_oddeven_config_static_selectorELNS0_4arch9wavefront6targetE0EEEvSJ_
; %bb.0:
	.section	.rodata,"a",@progbits
	.p2align	6, 0x0
	.amdhsa_kernel _ZN7rocprim17ROCPRIM_400000_NS6detail17trampoline_kernelINS0_14default_configENS1_38merge_sort_block_merge_config_selectorIiNS0_10empty_typeEEEZZNS1_27merge_sort_block_merge_implIS3_N6thrust23THRUST_200600_302600_NS6detail15normal_iteratorINS9_10device_ptrIiEEEEPS5_m17evens_before_oddsEE10hipError_tT0_T1_T2_jT3_P12ihipStream_tbPNSt15iterator_traitsISI_E10value_typeEPNSO_ISJ_E10value_typeEPSK_NS1_7vsmem_tEENKUlT_SI_SJ_SK_E_clISE_PiSF_SF_EESH_SX_SI_SJ_SK_EUlSX_E1_NS1_11comp_targetILNS1_3genE9ELNS1_11target_archE1100ELNS1_3gpuE3ELNS1_3repE0EEENS1_36merge_oddeven_config_static_selectorELNS0_4arch9wavefront6targetE0EEEvSJ_
		.amdhsa_group_segment_fixed_size 0
		.amdhsa_private_segment_fixed_size 0
		.amdhsa_kernarg_size 56
		.amdhsa_user_sgpr_count 6
		.amdhsa_user_sgpr_private_segment_buffer 1
		.amdhsa_user_sgpr_dispatch_ptr 0
		.amdhsa_user_sgpr_queue_ptr 0
		.amdhsa_user_sgpr_kernarg_segment_ptr 1
		.amdhsa_user_sgpr_dispatch_id 0
		.amdhsa_user_sgpr_flat_scratch_init 0
		.amdhsa_user_sgpr_private_segment_size 0
		.amdhsa_wavefront_size32 1
		.amdhsa_uses_dynamic_stack 0
		.amdhsa_system_sgpr_private_segment_wavefront_offset 0
		.amdhsa_system_sgpr_workgroup_id_x 1
		.amdhsa_system_sgpr_workgroup_id_y 0
		.amdhsa_system_sgpr_workgroup_id_z 0
		.amdhsa_system_sgpr_workgroup_info 0
		.amdhsa_system_vgpr_workitem_id 0
		.amdhsa_next_free_vgpr 1
		.amdhsa_next_free_sgpr 1
		.amdhsa_reserve_vcc 0
		.amdhsa_reserve_flat_scratch 0
		.amdhsa_float_round_mode_32 0
		.amdhsa_float_round_mode_16_64 0
		.amdhsa_float_denorm_mode_32 3
		.amdhsa_float_denorm_mode_16_64 3
		.amdhsa_dx10_clamp 1
		.amdhsa_ieee_mode 1
		.amdhsa_fp16_overflow 0
		.amdhsa_workgroup_processor_mode 1
		.amdhsa_memory_ordered 1
		.amdhsa_forward_progress 1
		.amdhsa_shared_vgpr_count 0
		.amdhsa_exception_fp_ieee_invalid_op 0
		.amdhsa_exception_fp_denorm_src 0
		.amdhsa_exception_fp_ieee_div_zero 0
		.amdhsa_exception_fp_ieee_overflow 0
		.amdhsa_exception_fp_ieee_underflow 0
		.amdhsa_exception_fp_ieee_inexact 0
		.amdhsa_exception_int_div_zero 0
	.end_amdhsa_kernel
	.section	.text._ZN7rocprim17ROCPRIM_400000_NS6detail17trampoline_kernelINS0_14default_configENS1_38merge_sort_block_merge_config_selectorIiNS0_10empty_typeEEEZZNS1_27merge_sort_block_merge_implIS3_N6thrust23THRUST_200600_302600_NS6detail15normal_iteratorINS9_10device_ptrIiEEEEPS5_m17evens_before_oddsEE10hipError_tT0_T1_T2_jT3_P12ihipStream_tbPNSt15iterator_traitsISI_E10value_typeEPNSO_ISJ_E10value_typeEPSK_NS1_7vsmem_tEENKUlT_SI_SJ_SK_E_clISE_PiSF_SF_EESH_SX_SI_SJ_SK_EUlSX_E1_NS1_11comp_targetILNS1_3genE9ELNS1_11target_archE1100ELNS1_3gpuE3ELNS1_3repE0EEENS1_36merge_oddeven_config_static_selectorELNS0_4arch9wavefront6targetE0EEEvSJ_,"axG",@progbits,_ZN7rocprim17ROCPRIM_400000_NS6detail17trampoline_kernelINS0_14default_configENS1_38merge_sort_block_merge_config_selectorIiNS0_10empty_typeEEEZZNS1_27merge_sort_block_merge_implIS3_N6thrust23THRUST_200600_302600_NS6detail15normal_iteratorINS9_10device_ptrIiEEEEPS5_m17evens_before_oddsEE10hipError_tT0_T1_T2_jT3_P12ihipStream_tbPNSt15iterator_traitsISI_E10value_typeEPNSO_ISJ_E10value_typeEPSK_NS1_7vsmem_tEENKUlT_SI_SJ_SK_E_clISE_PiSF_SF_EESH_SX_SI_SJ_SK_EUlSX_E1_NS1_11comp_targetILNS1_3genE9ELNS1_11target_archE1100ELNS1_3gpuE3ELNS1_3repE0EEENS1_36merge_oddeven_config_static_selectorELNS0_4arch9wavefront6targetE0EEEvSJ_,comdat
.Lfunc_end454:
	.size	_ZN7rocprim17ROCPRIM_400000_NS6detail17trampoline_kernelINS0_14default_configENS1_38merge_sort_block_merge_config_selectorIiNS0_10empty_typeEEEZZNS1_27merge_sort_block_merge_implIS3_N6thrust23THRUST_200600_302600_NS6detail15normal_iteratorINS9_10device_ptrIiEEEEPS5_m17evens_before_oddsEE10hipError_tT0_T1_T2_jT3_P12ihipStream_tbPNSt15iterator_traitsISI_E10value_typeEPNSO_ISJ_E10value_typeEPSK_NS1_7vsmem_tEENKUlT_SI_SJ_SK_E_clISE_PiSF_SF_EESH_SX_SI_SJ_SK_EUlSX_E1_NS1_11comp_targetILNS1_3genE9ELNS1_11target_archE1100ELNS1_3gpuE3ELNS1_3repE0EEENS1_36merge_oddeven_config_static_selectorELNS0_4arch9wavefront6targetE0EEEvSJ_, .Lfunc_end454-_ZN7rocprim17ROCPRIM_400000_NS6detail17trampoline_kernelINS0_14default_configENS1_38merge_sort_block_merge_config_selectorIiNS0_10empty_typeEEEZZNS1_27merge_sort_block_merge_implIS3_N6thrust23THRUST_200600_302600_NS6detail15normal_iteratorINS9_10device_ptrIiEEEEPS5_m17evens_before_oddsEE10hipError_tT0_T1_T2_jT3_P12ihipStream_tbPNSt15iterator_traitsISI_E10value_typeEPNSO_ISJ_E10value_typeEPSK_NS1_7vsmem_tEENKUlT_SI_SJ_SK_E_clISE_PiSF_SF_EESH_SX_SI_SJ_SK_EUlSX_E1_NS1_11comp_targetILNS1_3genE9ELNS1_11target_archE1100ELNS1_3gpuE3ELNS1_3repE0EEENS1_36merge_oddeven_config_static_selectorELNS0_4arch9wavefront6targetE0EEEvSJ_
                                        ; -- End function
	.set _ZN7rocprim17ROCPRIM_400000_NS6detail17trampoline_kernelINS0_14default_configENS1_38merge_sort_block_merge_config_selectorIiNS0_10empty_typeEEEZZNS1_27merge_sort_block_merge_implIS3_N6thrust23THRUST_200600_302600_NS6detail15normal_iteratorINS9_10device_ptrIiEEEEPS5_m17evens_before_oddsEE10hipError_tT0_T1_T2_jT3_P12ihipStream_tbPNSt15iterator_traitsISI_E10value_typeEPNSO_ISJ_E10value_typeEPSK_NS1_7vsmem_tEENKUlT_SI_SJ_SK_E_clISE_PiSF_SF_EESH_SX_SI_SJ_SK_EUlSX_E1_NS1_11comp_targetILNS1_3genE9ELNS1_11target_archE1100ELNS1_3gpuE3ELNS1_3repE0EEENS1_36merge_oddeven_config_static_selectorELNS0_4arch9wavefront6targetE0EEEvSJ_.num_vgpr, 0
	.set _ZN7rocprim17ROCPRIM_400000_NS6detail17trampoline_kernelINS0_14default_configENS1_38merge_sort_block_merge_config_selectorIiNS0_10empty_typeEEEZZNS1_27merge_sort_block_merge_implIS3_N6thrust23THRUST_200600_302600_NS6detail15normal_iteratorINS9_10device_ptrIiEEEEPS5_m17evens_before_oddsEE10hipError_tT0_T1_T2_jT3_P12ihipStream_tbPNSt15iterator_traitsISI_E10value_typeEPNSO_ISJ_E10value_typeEPSK_NS1_7vsmem_tEENKUlT_SI_SJ_SK_E_clISE_PiSF_SF_EESH_SX_SI_SJ_SK_EUlSX_E1_NS1_11comp_targetILNS1_3genE9ELNS1_11target_archE1100ELNS1_3gpuE3ELNS1_3repE0EEENS1_36merge_oddeven_config_static_selectorELNS0_4arch9wavefront6targetE0EEEvSJ_.num_agpr, 0
	.set _ZN7rocprim17ROCPRIM_400000_NS6detail17trampoline_kernelINS0_14default_configENS1_38merge_sort_block_merge_config_selectorIiNS0_10empty_typeEEEZZNS1_27merge_sort_block_merge_implIS3_N6thrust23THRUST_200600_302600_NS6detail15normal_iteratorINS9_10device_ptrIiEEEEPS5_m17evens_before_oddsEE10hipError_tT0_T1_T2_jT3_P12ihipStream_tbPNSt15iterator_traitsISI_E10value_typeEPNSO_ISJ_E10value_typeEPSK_NS1_7vsmem_tEENKUlT_SI_SJ_SK_E_clISE_PiSF_SF_EESH_SX_SI_SJ_SK_EUlSX_E1_NS1_11comp_targetILNS1_3genE9ELNS1_11target_archE1100ELNS1_3gpuE3ELNS1_3repE0EEENS1_36merge_oddeven_config_static_selectorELNS0_4arch9wavefront6targetE0EEEvSJ_.numbered_sgpr, 0
	.set _ZN7rocprim17ROCPRIM_400000_NS6detail17trampoline_kernelINS0_14default_configENS1_38merge_sort_block_merge_config_selectorIiNS0_10empty_typeEEEZZNS1_27merge_sort_block_merge_implIS3_N6thrust23THRUST_200600_302600_NS6detail15normal_iteratorINS9_10device_ptrIiEEEEPS5_m17evens_before_oddsEE10hipError_tT0_T1_T2_jT3_P12ihipStream_tbPNSt15iterator_traitsISI_E10value_typeEPNSO_ISJ_E10value_typeEPSK_NS1_7vsmem_tEENKUlT_SI_SJ_SK_E_clISE_PiSF_SF_EESH_SX_SI_SJ_SK_EUlSX_E1_NS1_11comp_targetILNS1_3genE9ELNS1_11target_archE1100ELNS1_3gpuE3ELNS1_3repE0EEENS1_36merge_oddeven_config_static_selectorELNS0_4arch9wavefront6targetE0EEEvSJ_.num_named_barrier, 0
	.set _ZN7rocprim17ROCPRIM_400000_NS6detail17trampoline_kernelINS0_14default_configENS1_38merge_sort_block_merge_config_selectorIiNS0_10empty_typeEEEZZNS1_27merge_sort_block_merge_implIS3_N6thrust23THRUST_200600_302600_NS6detail15normal_iteratorINS9_10device_ptrIiEEEEPS5_m17evens_before_oddsEE10hipError_tT0_T1_T2_jT3_P12ihipStream_tbPNSt15iterator_traitsISI_E10value_typeEPNSO_ISJ_E10value_typeEPSK_NS1_7vsmem_tEENKUlT_SI_SJ_SK_E_clISE_PiSF_SF_EESH_SX_SI_SJ_SK_EUlSX_E1_NS1_11comp_targetILNS1_3genE9ELNS1_11target_archE1100ELNS1_3gpuE3ELNS1_3repE0EEENS1_36merge_oddeven_config_static_selectorELNS0_4arch9wavefront6targetE0EEEvSJ_.private_seg_size, 0
	.set _ZN7rocprim17ROCPRIM_400000_NS6detail17trampoline_kernelINS0_14default_configENS1_38merge_sort_block_merge_config_selectorIiNS0_10empty_typeEEEZZNS1_27merge_sort_block_merge_implIS3_N6thrust23THRUST_200600_302600_NS6detail15normal_iteratorINS9_10device_ptrIiEEEEPS5_m17evens_before_oddsEE10hipError_tT0_T1_T2_jT3_P12ihipStream_tbPNSt15iterator_traitsISI_E10value_typeEPNSO_ISJ_E10value_typeEPSK_NS1_7vsmem_tEENKUlT_SI_SJ_SK_E_clISE_PiSF_SF_EESH_SX_SI_SJ_SK_EUlSX_E1_NS1_11comp_targetILNS1_3genE9ELNS1_11target_archE1100ELNS1_3gpuE3ELNS1_3repE0EEENS1_36merge_oddeven_config_static_selectorELNS0_4arch9wavefront6targetE0EEEvSJ_.uses_vcc, 0
	.set _ZN7rocprim17ROCPRIM_400000_NS6detail17trampoline_kernelINS0_14default_configENS1_38merge_sort_block_merge_config_selectorIiNS0_10empty_typeEEEZZNS1_27merge_sort_block_merge_implIS3_N6thrust23THRUST_200600_302600_NS6detail15normal_iteratorINS9_10device_ptrIiEEEEPS5_m17evens_before_oddsEE10hipError_tT0_T1_T2_jT3_P12ihipStream_tbPNSt15iterator_traitsISI_E10value_typeEPNSO_ISJ_E10value_typeEPSK_NS1_7vsmem_tEENKUlT_SI_SJ_SK_E_clISE_PiSF_SF_EESH_SX_SI_SJ_SK_EUlSX_E1_NS1_11comp_targetILNS1_3genE9ELNS1_11target_archE1100ELNS1_3gpuE3ELNS1_3repE0EEENS1_36merge_oddeven_config_static_selectorELNS0_4arch9wavefront6targetE0EEEvSJ_.uses_flat_scratch, 0
	.set _ZN7rocprim17ROCPRIM_400000_NS6detail17trampoline_kernelINS0_14default_configENS1_38merge_sort_block_merge_config_selectorIiNS0_10empty_typeEEEZZNS1_27merge_sort_block_merge_implIS3_N6thrust23THRUST_200600_302600_NS6detail15normal_iteratorINS9_10device_ptrIiEEEEPS5_m17evens_before_oddsEE10hipError_tT0_T1_T2_jT3_P12ihipStream_tbPNSt15iterator_traitsISI_E10value_typeEPNSO_ISJ_E10value_typeEPSK_NS1_7vsmem_tEENKUlT_SI_SJ_SK_E_clISE_PiSF_SF_EESH_SX_SI_SJ_SK_EUlSX_E1_NS1_11comp_targetILNS1_3genE9ELNS1_11target_archE1100ELNS1_3gpuE3ELNS1_3repE0EEENS1_36merge_oddeven_config_static_selectorELNS0_4arch9wavefront6targetE0EEEvSJ_.has_dyn_sized_stack, 0
	.set _ZN7rocprim17ROCPRIM_400000_NS6detail17trampoline_kernelINS0_14default_configENS1_38merge_sort_block_merge_config_selectorIiNS0_10empty_typeEEEZZNS1_27merge_sort_block_merge_implIS3_N6thrust23THRUST_200600_302600_NS6detail15normal_iteratorINS9_10device_ptrIiEEEEPS5_m17evens_before_oddsEE10hipError_tT0_T1_T2_jT3_P12ihipStream_tbPNSt15iterator_traitsISI_E10value_typeEPNSO_ISJ_E10value_typeEPSK_NS1_7vsmem_tEENKUlT_SI_SJ_SK_E_clISE_PiSF_SF_EESH_SX_SI_SJ_SK_EUlSX_E1_NS1_11comp_targetILNS1_3genE9ELNS1_11target_archE1100ELNS1_3gpuE3ELNS1_3repE0EEENS1_36merge_oddeven_config_static_selectorELNS0_4arch9wavefront6targetE0EEEvSJ_.has_recursion, 0
	.set _ZN7rocprim17ROCPRIM_400000_NS6detail17trampoline_kernelINS0_14default_configENS1_38merge_sort_block_merge_config_selectorIiNS0_10empty_typeEEEZZNS1_27merge_sort_block_merge_implIS3_N6thrust23THRUST_200600_302600_NS6detail15normal_iteratorINS9_10device_ptrIiEEEEPS5_m17evens_before_oddsEE10hipError_tT0_T1_T2_jT3_P12ihipStream_tbPNSt15iterator_traitsISI_E10value_typeEPNSO_ISJ_E10value_typeEPSK_NS1_7vsmem_tEENKUlT_SI_SJ_SK_E_clISE_PiSF_SF_EESH_SX_SI_SJ_SK_EUlSX_E1_NS1_11comp_targetILNS1_3genE9ELNS1_11target_archE1100ELNS1_3gpuE3ELNS1_3repE0EEENS1_36merge_oddeven_config_static_selectorELNS0_4arch9wavefront6targetE0EEEvSJ_.has_indirect_call, 0
	.section	.AMDGPU.csdata,"",@progbits
; Kernel info:
; codeLenInByte = 0
; TotalNumSgprs: 0
; NumVgprs: 0
; ScratchSize: 0
; MemoryBound: 0
; FloatMode: 240
; IeeeMode: 1
; LDSByteSize: 0 bytes/workgroup (compile time only)
; SGPRBlocks: 0
; VGPRBlocks: 0
; NumSGPRsForWavesPerEU: 1
; NumVGPRsForWavesPerEU: 1
; Occupancy: 16
; WaveLimiterHint : 0
; COMPUTE_PGM_RSRC2:SCRATCH_EN: 0
; COMPUTE_PGM_RSRC2:USER_SGPR: 6
; COMPUTE_PGM_RSRC2:TRAP_HANDLER: 0
; COMPUTE_PGM_RSRC2:TGID_X_EN: 1
; COMPUTE_PGM_RSRC2:TGID_Y_EN: 0
; COMPUTE_PGM_RSRC2:TGID_Z_EN: 0
; COMPUTE_PGM_RSRC2:TIDIG_COMP_CNT: 0
	.section	.text._ZN7rocprim17ROCPRIM_400000_NS6detail17trampoline_kernelINS0_14default_configENS1_38merge_sort_block_merge_config_selectorIiNS0_10empty_typeEEEZZNS1_27merge_sort_block_merge_implIS3_N6thrust23THRUST_200600_302600_NS6detail15normal_iteratorINS9_10device_ptrIiEEEEPS5_m17evens_before_oddsEE10hipError_tT0_T1_T2_jT3_P12ihipStream_tbPNSt15iterator_traitsISI_E10value_typeEPNSO_ISJ_E10value_typeEPSK_NS1_7vsmem_tEENKUlT_SI_SJ_SK_E_clISE_PiSF_SF_EESH_SX_SI_SJ_SK_EUlSX_E1_NS1_11comp_targetILNS1_3genE8ELNS1_11target_archE1030ELNS1_3gpuE2ELNS1_3repE0EEENS1_36merge_oddeven_config_static_selectorELNS0_4arch9wavefront6targetE0EEEvSJ_,"axG",@progbits,_ZN7rocprim17ROCPRIM_400000_NS6detail17trampoline_kernelINS0_14default_configENS1_38merge_sort_block_merge_config_selectorIiNS0_10empty_typeEEEZZNS1_27merge_sort_block_merge_implIS3_N6thrust23THRUST_200600_302600_NS6detail15normal_iteratorINS9_10device_ptrIiEEEEPS5_m17evens_before_oddsEE10hipError_tT0_T1_T2_jT3_P12ihipStream_tbPNSt15iterator_traitsISI_E10value_typeEPNSO_ISJ_E10value_typeEPSK_NS1_7vsmem_tEENKUlT_SI_SJ_SK_E_clISE_PiSF_SF_EESH_SX_SI_SJ_SK_EUlSX_E1_NS1_11comp_targetILNS1_3genE8ELNS1_11target_archE1030ELNS1_3gpuE2ELNS1_3repE0EEENS1_36merge_oddeven_config_static_selectorELNS0_4arch9wavefront6targetE0EEEvSJ_,comdat
	.protected	_ZN7rocprim17ROCPRIM_400000_NS6detail17trampoline_kernelINS0_14default_configENS1_38merge_sort_block_merge_config_selectorIiNS0_10empty_typeEEEZZNS1_27merge_sort_block_merge_implIS3_N6thrust23THRUST_200600_302600_NS6detail15normal_iteratorINS9_10device_ptrIiEEEEPS5_m17evens_before_oddsEE10hipError_tT0_T1_T2_jT3_P12ihipStream_tbPNSt15iterator_traitsISI_E10value_typeEPNSO_ISJ_E10value_typeEPSK_NS1_7vsmem_tEENKUlT_SI_SJ_SK_E_clISE_PiSF_SF_EESH_SX_SI_SJ_SK_EUlSX_E1_NS1_11comp_targetILNS1_3genE8ELNS1_11target_archE1030ELNS1_3gpuE2ELNS1_3repE0EEENS1_36merge_oddeven_config_static_selectorELNS0_4arch9wavefront6targetE0EEEvSJ_ ; -- Begin function _ZN7rocprim17ROCPRIM_400000_NS6detail17trampoline_kernelINS0_14default_configENS1_38merge_sort_block_merge_config_selectorIiNS0_10empty_typeEEEZZNS1_27merge_sort_block_merge_implIS3_N6thrust23THRUST_200600_302600_NS6detail15normal_iteratorINS9_10device_ptrIiEEEEPS5_m17evens_before_oddsEE10hipError_tT0_T1_T2_jT3_P12ihipStream_tbPNSt15iterator_traitsISI_E10value_typeEPNSO_ISJ_E10value_typeEPSK_NS1_7vsmem_tEENKUlT_SI_SJ_SK_E_clISE_PiSF_SF_EESH_SX_SI_SJ_SK_EUlSX_E1_NS1_11comp_targetILNS1_3genE8ELNS1_11target_archE1030ELNS1_3gpuE2ELNS1_3repE0EEENS1_36merge_oddeven_config_static_selectorELNS0_4arch9wavefront6targetE0EEEvSJ_
	.globl	_ZN7rocprim17ROCPRIM_400000_NS6detail17trampoline_kernelINS0_14default_configENS1_38merge_sort_block_merge_config_selectorIiNS0_10empty_typeEEEZZNS1_27merge_sort_block_merge_implIS3_N6thrust23THRUST_200600_302600_NS6detail15normal_iteratorINS9_10device_ptrIiEEEEPS5_m17evens_before_oddsEE10hipError_tT0_T1_T2_jT3_P12ihipStream_tbPNSt15iterator_traitsISI_E10value_typeEPNSO_ISJ_E10value_typeEPSK_NS1_7vsmem_tEENKUlT_SI_SJ_SK_E_clISE_PiSF_SF_EESH_SX_SI_SJ_SK_EUlSX_E1_NS1_11comp_targetILNS1_3genE8ELNS1_11target_archE1030ELNS1_3gpuE2ELNS1_3repE0EEENS1_36merge_oddeven_config_static_selectorELNS0_4arch9wavefront6targetE0EEEvSJ_
	.p2align	8
	.type	_ZN7rocprim17ROCPRIM_400000_NS6detail17trampoline_kernelINS0_14default_configENS1_38merge_sort_block_merge_config_selectorIiNS0_10empty_typeEEEZZNS1_27merge_sort_block_merge_implIS3_N6thrust23THRUST_200600_302600_NS6detail15normal_iteratorINS9_10device_ptrIiEEEEPS5_m17evens_before_oddsEE10hipError_tT0_T1_T2_jT3_P12ihipStream_tbPNSt15iterator_traitsISI_E10value_typeEPNSO_ISJ_E10value_typeEPSK_NS1_7vsmem_tEENKUlT_SI_SJ_SK_E_clISE_PiSF_SF_EESH_SX_SI_SJ_SK_EUlSX_E1_NS1_11comp_targetILNS1_3genE8ELNS1_11target_archE1030ELNS1_3gpuE2ELNS1_3repE0EEENS1_36merge_oddeven_config_static_selectorELNS0_4arch9wavefront6targetE0EEEvSJ_,@function
_ZN7rocprim17ROCPRIM_400000_NS6detail17trampoline_kernelINS0_14default_configENS1_38merge_sort_block_merge_config_selectorIiNS0_10empty_typeEEEZZNS1_27merge_sort_block_merge_implIS3_N6thrust23THRUST_200600_302600_NS6detail15normal_iteratorINS9_10device_ptrIiEEEEPS5_m17evens_before_oddsEE10hipError_tT0_T1_T2_jT3_P12ihipStream_tbPNSt15iterator_traitsISI_E10value_typeEPNSO_ISJ_E10value_typeEPSK_NS1_7vsmem_tEENKUlT_SI_SJ_SK_E_clISE_PiSF_SF_EESH_SX_SI_SJ_SK_EUlSX_E1_NS1_11comp_targetILNS1_3genE8ELNS1_11target_archE1030ELNS1_3gpuE2ELNS1_3repE0EEENS1_36merge_oddeven_config_static_selectorELNS0_4arch9wavefront6targetE0EEEvSJ_: ; @_ZN7rocprim17ROCPRIM_400000_NS6detail17trampoline_kernelINS0_14default_configENS1_38merge_sort_block_merge_config_selectorIiNS0_10empty_typeEEEZZNS1_27merge_sort_block_merge_implIS3_N6thrust23THRUST_200600_302600_NS6detail15normal_iteratorINS9_10device_ptrIiEEEEPS5_m17evens_before_oddsEE10hipError_tT0_T1_T2_jT3_P12ihipStream_tbPNSt15iterator_traitsISI_E10value_typeEPNSO_ISJ_E10value_typeEPSK_NS1_7vsmem_tEENKUlT_SI_SJ_SK_E_clISE_PiSF_SF_EESH_SX_SI_SJ_SK_EUlSX_E1_NS1_11comp_targetILNS1_3genE8ELNS1_11target_archE1030ELNS1_3gpuE2ELNS1_3repE0EEENS1_36merge_oddeven_config_static_selectorELNS0_4arch9wavefront6targetE0EEEvSJ_
; %bb.0:
	s_load_dword s7, s[4:5], 0x20
	s_waitcnt lgkmcnt(0)
	s_lshr_b32 s0, s7, 8
	s_cmp_lg_u32 s6, s0
	s_cselect_b32 s13, -1, 0
	s_cmp_eq_u32 s6, s0
	s_cselect_b32 s12, -1, 0
	s_lshl_b32 s2, s6, 8
	s_sub_i32 s0, s7, s2
	v_cmp_gt_u32_e64 s1, s0, v0
	s_or_b32 s0, s13, s1
	s_and_saveexec_b32 s3, s0
	s_cbranch_execz .LBB455_28
; %bb.1:
	s_clause 0x1
	s_load_dwordx4 s[8:11], s[4:5], 0x0
	s_load_dword s0, s[4:5], 0x28
	s_mov_b32 s3, 0
	v_lshlrev_b32_e32 v1, 2, v0
	s_lshl_b64 s[14:15], s[2:3], 2
	v_add_nc_u32_e32 v0, s2, v0
	s_waitcnt lgkmcnt(0)
	s_add_u32 s4, s8, s14
	s_addc_u32 s5, s9, s15
	global_load_dword v2, v1, s[4:5]
	s_lshr_b32 s4, s0, 8
	s_sub_i32 s5, 0, s4
	s_and_b32 s5, s6, s5
	s_and_b32 s14, s5, s4
	s_cmp_lg_u32 s14, 0
	s_cselect_b32 s4, -1, 0
	s_lshl_b32 s6, s5, 8
	s_sub_i32 s5, 0, s0
	s_cmp_eq_u32 s14, 0
	s_cselect_b32 s5, s0, s5
	s_add_i32 s5, s5, s6
	s_cmp_lt_u32 s5, s7
	s_cbranch_scc1 .LBB455_3
; %bb.2:
	v_cmp_gt_u32_e32 vcc_lo, s7, v0
	s_or_b32 s3, vcc_lo, s13
	s_and_b32 s3, s3, exec_lo
	s_cbranch_execz .LBB455_4
	s_branch .LBB455_26
.LBB455_3:
.LBB455_4:
	s_waitcnt vmcnt(0)
	v_lshrrev_b32_e32 v1, 31, v2
	s_min_u32 s2, s5, s7
	s_and_b32 vcc_lo, exec_lo, s12
	s_add_i32 s13, s6, s2
	s_min_u32 s6, s6, s2
	v_add_nc_u32_e32 v1, v2, v1
	v_subrev_nc_u32_e32 v0, s13, v0
	s_add_i32 s13, s2, s0
	v_and_b32_e32 v1, -2, v1
	v_add_nc_u32_e32 v3, s6, v0
	s_min_u32 s6, s13, s7
	v_sub_nc_u32_e32 v4, v2, v1
	v_cmp_ne_u32_e64 s0, 0, v4
	s_cbranch_vccz .LBB455_13
; %bb.5:
                                        ; implicit-def: $vgpr0
	s_and_saveexec_b32 s7, s1
	s_cbranch_execz .LBB455_16
; %bb.6:
	v_mov_b32_e32 v5, s2
	s_cmp_ge_u32 s5, s6
	s_cbranch_scc1 .LBB455_15
; %bb.7:
	v_mov_b32_e32 v6, s6
	v_mov_b32_e32 v5, s2
	;; [unrolled: 1-line block ×3, first 2 shown]
	v_cndmask_b32_e64 v7, 0, 1, s0
	s_mov_b32 s12, 0
	s_branch .LBB455_9
.LBB455_8:                              ;   in Loop: Header=BB455_9 Depth=1
	v_add_nc_u32_e32 v8, 1, v0
	v_cndmask_b32_e64 v6, v0, v6, s13
	v_cndmask_b32_e64 v5, v5, v8, s13
	v_cmp_ge_u32_e32 vcc_lo, v5, v6
	s_or_b32 s12, vcc_lo, s12
	s_andn2_b32 exec_lo, exec_lo, s12
	s_cbranch_execz .LBB455_14
.LBB455_9:                              ; =>This Inner Loop Header: Depth=1
	v_add_nc_u32_e32 v0, v5, v6
	s_mov_b32 s14, -1
                                        ; implicit-def: $sgpr13
	v_lshrrev_b32_e32 v0, 1, v0
	v_lshlrev_b64 v[8:9], 2, v[0:1]
	v_add_co_u32 v8, vcc_lo, s8, v8
	v_add_co_ci_u32_e64 v9, null, s9, v9, vcc_lo
	s_andn2_b32 vcc_lo, exec_lo, s4
	global_load_dword v8, v[8:9], off
	s_waitcnt vmcnt(0)
	v_lshrrev_b32_e32 v9, 31, v8
	v_add_nc_u32_e32 v9, v8, v9
	v_and_b32_e32 v9, -2, v9
	v_sub_nc_u32_e32 v9, v8, v9
	v_cmp_eq_u32_e64 s1, v9, v4
	s_cbranch_vccnz .LBB455_11
; %bb.10:                               ;   in Loop: Header=BB455_9 Depth=1
	v_cmp_ge_i32_e32 vcc_lo, v2, v8
	s_mov_b32 s14, 0
	v_cndmask_b32_e64 v10, 0, 1, vcc_lo
	v_cndmask_b32_e64 v10, v7, v10, s1
	v_and_b32_e32 v10, 1, v10
	v_cmp_eq_u32_e64 s13, 1, v10
.LBB455_11:                             ;   in Loop: Header=BB455_9 Depth=1
	s_andn2_b32 vcc_lo, exec_lo, s14
	s_cbranch_vccnz .LBB455_8
; %bb.12:                               ;   in Loop: Header=BB455_9 Depth=1
	v_cmp_lt_i32_e32 vcc_lo, v8, v2
	v_cndmask_b32_e64 v8, 0, 1, vcc_lo
	v_cmp_eq_u32_e32 vcc_lo, 0, v9
	v_cndmask_b32_e64 v9, 0, 1, vcc_lo
	v_cndmask_b32_e64 v8, v9, v8, s1
	s_andn2_b32 s1, s13, exec_lo
	v_and_b32_e32 v8, 1, v8
	v_cmp_eq_u32_e32 vcc_lo, 1, v8
	s_and_b32 s13, vcc_lo, exec_lo
	s_or_b32 s13, s1, s13
	s_branch .LBB455_8
.LBB455_13:
                                        ; implicit-def: $vgpr0
	s_cbranch_execnz .LBB455_17
	s_branch .LBB455_26
.LBB455_14:
	s_or_b32 exec_lo, exec_lo, s12
.LBB455_15:
	v_add_nc_u32_e32 v0, v5, v3
	s_or_b32 s3, s3, exec_lo
.LBB455_16:
	s_or_b32 exec_lo, exec_lo, s7
	s_branch .LBB455_26
.LBB455_17:
	v_mov_b32_e32 v5, s2
	s_cmp_ge_u32 s5, s6
	s_cbranch_scc1 .LBB455_25
; %bb.18:
	v_mov_b32_e32 v6, s6
	v_mov_b32_e32 v5, s2
	;; [unrolled: 1-line block ×3, first 2 shown]
	v_cndmask_b32_e64 v7, 0, 1, s0
	s_mov_b32 s1, 0
	s_branch .LBB455_20
.LBB455_19:                             ;   in Loop: Header=BB455_20 Depth=1
	v_add_nc_u32_e32 v8, 1, v0
	v_cndmask_b32_e64 v6, v0, v6, s2
	v_cndmask_b32_e64 v5, v5, v8, s2
	v_cmp_ge_u32_e32 vcc_lo, v5, v6
	s_or_b32 s1, vcc_lo, s1
	s_andn2_b32 exec_lo, exec_lo, s1
	s_cbranch_execz .LBB455_24
.LBB455_20:                             ; =>This Inner Loop Header: Depth=1
	v_add_nc_u32_e32 v0, v5, v6
	s_mov_b32 s3, -1
                                        ; implicit-def: $sgpr2
	v_lshrrev_b32_e32 v0, 1, v0
	v_lshlrev_b64 v[8:9], 2, v[0:1]
	v_add_co_u32 v8, vcc_lo, s8, v8
	v_add_co_ci_u32_e64 v9, null, s9, v9, vcc_lo
	s_andn2_b32 vcc_lo, exec_lo, s4
	global_load_dword v8, v[8:9], off
	s_waitcnt vmcnt(0)
	v_lshrrev_b32_e32 v9, 31, v8
	v_add_nc_u32_e32 v9, v8, v9
	v_and_b32_e32 v9, -2, v9
	v_sub_nc_u32_e32 v9, v8, v9
	v_cmp_eq_u32_e64 s0, v9, v4
	s_cbranch_vccnz .LBB455_22
; %bb.21:                               ;   in Loop: Header=BB455_20 Depth=1
	v_cmp_ge_i32_e32 vcc_lo, v2, v8
	s_mov_b32 s3, 0
	v_cndmask_b32_e64 v10, 0, 1, vcc_lo
	v_cndmask_b32_e64 v10, v7, v10, s0
	v_and_b32_e32 v10, 1, v10
	v_cmp_eq_u32_e64 s2, 1, v10
.LBB455_22:                             ;   in Loop: Header=BB455_20 Depth=1
	s_andn2_b32 vcc_lo, exec_lo, s3
	s_cbranch_vccnz .LBB455_19
; %bb.23:                               ;   in Loop: Header=BB455_20 Depth=1
	v_cmp_lt_i32_e32 vcc_lo, v8, v2
	v_cndmask_b32_e64 v8, 0, 1, vcc_lo
	v_cmp_eq_u32_e32 vcc_lo, 0, v9
	v_cndmask_b32_e64 v9, 0, 1, vcc_lo
	v_cndmask_b32_e64 v8, v9, v8, s0
	s_andn2_b32 s0, s2, exec_lo
	v_and_b32_e32 v8, 1, v8
	v_cmp_eq_u32_e32 vcc_lo, 1, v8
	s_and_b32 s2, vcc_lo, exec_lo
	s_or_b32 s2, s0, s2
	s_branch .LBB455_19
.LBB455_24:
	s_or_b32 exec_lo, exec_lo, s1
.LBB455_25:
	v_add_nc_u32_e32 v0, v5, v3
	s_mov_b32 s3, -1
.LBB455_26:
	s_and_b32 exec_lo, exec_lo, s3
	s_cbranch_execz .LBB455_28
; %bb.27:
	v_mov_b32_e32 v1, 0
	v_lshlrev_b64 v[0:1], 2, v[0:1]
	v_add_co_u32 v0, vcc_lo, s10, v0
	v_add_co_ci_u32_e64 v1, null, s11, v1, vcc_lo
	s_waitcnt vmcnt(0)
	global_store_dword v[0:1], v2, off
.LBB455_28:
	s_endpgm
	.section	.rodata,"a",@progbits
	.p2align	6, 0x0
	.amdhsa_kernel _ZN7rocprim17ROCPRIM_400000_NS6detail17trampoline_kernelINS0_14default_configENS1_38merge_sort_block_merge_config_selectorIiNS0_10empty_typeEEEZZNS1_27merge_sort_block_merge_implIS3_N6thrust23THRUST_200600_302600_NS6detail15normal_iteratorINS9_10device_ptrIiEEEEPS5_m17evens_before_oddsEE10hipError_tT0_T1_T2_jT3_P12ihipStream_tbPNSt15iterator_traitsISI_E10value_typeEPNSO_ISJ_E10value_typeEPSK_NS1_7vsmem_tEENKUlT_SI_SJ_SK_E_clISE_PiSF_SF_EESH_SX_SI_SJ_SK_EUlSX_E1_NS1_11comp_targetILNS1_3genE8ELNS1_11target_archE1030ELNS1_3gpuE2ELNS1_3repE0EEENS1_36merge_oddeven_config_static_selectorELNS0_4arch9wavefront6targetE0EEEvSJ_
		.amdhsa_group_segment_fixed_size 0
		.amdhsa_private_segment_fixed_size 0
		.amdhsa_kernarg_size 56
		.amdhsa_user_sgpr_count 6
		.amdhsa_user_sgpr_private_segment_buffer 1
		.amdhsa_user_sgpr_dispatch_ptr 0
		.amdhsa_user_sgpr_queue_ptr 0
		.amdhsa_user_sgpr_kernarg_segment_ptr 1
		.amdhsa_user_sgpr_dispatch_id 0
		.amdhsa_user_sgpr_flat_scratch_init 0
		.amdhsa_user_sgpr_private_segment_size 0
		.amdhsa_wavefront_size32 1
		.amdhsa_uses_dynamic_stack 0
		.amdhsa_system_sgpr_private_segment_wavefront_offset 0
		.amdhsa_system_sgpr_workgroup_id_x 1
		.amdhsa_system_sgpr_workgroup_id_y 0
		.amdhsa_system_sgpr_workgroup_id_z 0
		.amdhsa_system_sgpr_workgroup_info 0
		.amdhsa_system_vgpr_workitem_id 0
		.amdhsa_next_free_vgpr 11
		.amdhsa_next_free_sgpr 16
		.amdhsa_reserve_vcc 1
		.amdhsa_reserve_flat_scratch 0
		.amdhsa_float_round_mode_32 0
		.amdhsa_float_round_mode_16_64 0
		.amdhsa_float_denorm_mode_32 3
		.amdhsa_float_denorm_mode_16_64 3
		.amdhsa_dx10_clamp 1
		.amdhsa_ieee_mode 1
		.amdhsa_fp16_overflow 0
		.amdhsa_workgroup_processor_mode 1
		.amdhsa_memory_ordered 1
		.amdhsa_forward_progress 1
		.amdhsa_shared_vgpr_count 0
		.amdhsa_exception_fp_ieee_invalid_op 0
		.amdhsa_exception_fp_denorm_src 0
		.amdhsa_exception_fp_ieee_div_zero 0
		.amdhsa_exception_fp_ieee_overflow 0
		.amdhsa_exception_fp_ieee_underflow 0
		.amdhsa_exception_fp_ieee_inexact 0
		.amdhsa_exception_int_div_zero 0
	.end_amdhsa_kernel
	.section	.text._ZN7rocprim17ROCPRIM_400000_NS6detail17trampoline_kernelINS0_14default_configENS1_38merge_sort_block_merge_config_selectorIiNS0_10empty_typeEEEZZNS1_27merge_sort_block_merge_implIS3_N6thrust23THRUST_200600_302600_NS6detail15normal_iteratorINS9_10device_ptrIiEEEEPS5_m17evens_before_oddsEE10hipError_tT0_T1_T2_jT3_P12ihipStream_tbPNSt15iterator_traitsISI_E10value_typeEPNSO_ISJ_E10value_typeEPSK_NS1_7vsmem_tEENKUlT_SI_SJ_SK_E_clISE_PiSF_SF_EESH_SX_SI_SJ_SK_EUlSX_E1_NS1_11comp_targetILNS1_3genE8ELNS1_11target_archE1030ELNS1_3gpuE2ELNS1_3repE0EEENS1_36merge_oddeven_config_static_selectorELNS0_4arch9wavefront6targetE0EEEvSJ_,"axG",@progbits,_ZN7rocprim17ROCPRIM_400000_NS6detail17trampoline_kernelINS0_14default_configENS1_38merge_sort_block_merge_config_selectorIiNS0_10empty_typeEEEZZNS1_27merge_sort_block_merge_implIS3_N6thrust23THRUST_200600_302600_NS6detail15normal_iteratorINS9_10device_ptrIiEEEEPS5_m17evens_before_oddsEE10hipError_tT0_T1_T2_jT3_P12ihipStream_tbPNSt15iterator_traitsISI_E10value_typeEPNSO_ISJ_E10value_typeEPSK_NS1_7vsmem_tEENKUlT_SI_SJ_SK_E_clISE_PiSF_SF_EESH_SX_SI_SJ_SK_EUlSX_E1_NS1_11comp_targetILNS1_3genE8ELNS1_11target_archE1030ELNS1_3gpuE2ELNS1_3repE0EEENS1_36merge_oddeven_config_static_selectorELNS0_4arch9wavefront6targetE0EEEvSJ_,comdat
.Lfunc_end455:
	.size	_ZN7rocprim17ROCPRIM_400000_NS6detail17trampoline_kernelINS0_14default_configENS1_38merge_sort_block_merge_config_selectorIiNS0_10empty_typeEEEZZNS1_27merge_sort_block_merge_implIS3_N6thrust23THRUST_200600_302600_NS6detail15normal_iteratorINS9_10device_ptrIiEEEEPS5_m17evens_before_oddsEE10hipError_tT0_T1_T2_jT3_P12ihipStream_tbPNSt15iterator_traitsISI_E10value_typeEPNSO_ISJ_E10value_typeEPSK_NS1_7vsmem_tEENKUlT_SI_SJ_SK_E_clISE_PiSF_SF_EESH_SX_SI_SJ_SK_EUlSX_E1_NS1_11comp_targetILNS1_3genE8ELNS1_11target_archE1030ELNS1_3gpuE2ELNS1_3repE0EEENS1_36merge_oddeven_config_static_selectorELNS0_4arch9wavefront6targetE0EEEvSJ_, .Lfunc_end455-_ZN7rocprim17ROCPRIM_400000_NS6detail17trampoline_kernelINS0_14default_configENS1_38merge_sort_block_merge_config_selectorIiNS0_10empty_typeEEEZZNS1_27merge_sort_block_merge_implIS3_N6thrust23THRUST_200600_302600_NS6detail15normal_iteratorINS9_10device_ptrIiEEEEPS5_m17evens_before_oddsEE10hipError_tT0_T1_T2_jT3_P12ihipStream_tbPNSt15iterator_traitsISI_E10value_typeEPNSO_ISJ_E10value_typeEPSK_NS1_7vsmem_tEENKUlT_SI_SJ_SK_E_clISE_PiSF_SF_EESH_SX_SI_SJ_SK_EUlSX_E1_NS1_11comp_targetILNS1_3genE8ELNS1_11target_archE1030ELNS1_3gpuE2ELNS1_3repE0EEENS1_36merge_oddeven_config_static_selectorELNS0_4arch9wavefront6targetE0EEEvSJ_
                                        ; -- End function
	.set _ZN7rocprim17ROCPRIM_400000_NS6detail17trampoline_kernelINS0_14default_configENS1_38merge_sort_block_merge_config_selectorIiNS0_10empty_typeEEEZZNS1_27merge_sort_block_merge_implIS3_N6thrust23THRUST_200600_302600_NS6detail15normal_iteratorINS9_10device_ptrIiEEEEPS5_m17evens_before_oddsEE10hipError_tT0_T1_T2_jT3_P12ihipStream_tbPNSt15iterator_traitsISI_E10value_typeEPNSO_ISJ_E10value_typeEPSK_NS1_7vsmem_tEENKUlT_SI_SJ_SK_E_clISE_PiSF_SF_EESH_SX_SI_SJ_SK_EUlSX_E1_NS1_11comp_targetILNS1_3genE8ELNS1_11target_archE1030ELNS1_3gpuE2ELNS1_3repE0EEENS1_36merge_oddeven_config_static_selectorELNS0_4arch9wavefront6targetE0EEEvSJ_.num_vgpr, 11
	.set _ZN7rocprim17ROCPRIM_400000_NS6detail17trampoline_kernelINS0_14default_configENS1_38merge_sort_block_merge_config_selectorIiNS0_10empty_typeEEEZZNS1_27merge_sort_block_merge_implIS3_N6thrust23THRUST_200600_302600_NS6detail15normal_iteratorINS9_10device_ptrIiEEEEPS5_m17evens_before_oddsEE10hipError_tT0_T1_T2_jT3_P12ihipStream_tbPNSt15iterator_traitsISI_E10value_typeEPNSO_ISJ_E10value_typeEPSK_NS1_7vsmem_tEENKUlT_SI_SJ_SK_E_clISE_PiSF_SF_EESH_SX_SI_SJ_SK_EUlSX_E1_NS1_11comp_targetILNS1_3genE8ELNS1_11target_archE1030ELNS1_3gpuE2ELNS1_3repE0EEENS1_36merge_oddeven_config_static_selectorELNS0_4arch9wavefront6targetE0EEEvSJ_.num_agpr, 0
	.set _ZN7rocprim17ROCPRIM_400000_NS6detail17trampoline_kernelINS0_14default_configENS1_38merge_sort_block_merge_config_selectorIiNS0_10empty_typeEEEZZNS1_27merge_sort_block_merge_implIS3_N6thrust23THRUST_200600_302600_NS6detail15normal_iteratorINS9_10device_ptrIiEEEEPS5_m17evens_before_oddsEE10hipError_tT0_T1_T2_jT3_P12ihipStream_tbPNSt15iterator_traitsISI_E10value_typeEPNSO_ISJ_E10value_typeEPSK_NS1_7vsmem_tEENKUlT_SI_SJ_SK_E_clISE_PiSF_SF_EESH_SX_SI_SJ_SK_EUlSX_E1_NS1_11comp_targetILNS1_3genE8ELNS1_11target_archE1030ELNS1_3gpuE2ELNS1_3repE0EEENS1_36merge_oddeven_config_static_selectorELNS0_4arch9wavefront6targetE0EEEvSJ_.numbered_sgpr, 16
	.set _ZN7rocprim17ROCPRIM_400000_NS6detail17trampoline_kernelINS0_14default_configENS1_38merge_sort_block_merge_config_selectorIiNS0_10empty_typeEEEZZNS1_27merge_sort_block_merge_implIS3_N6thrust23THRUST_200600_302600_NS6detail15normal_iteratorINS9_10device_ptrIiEEEEPS5_m17evens_before_oddsEE10hipError_tT0_T1_T2_jT3_P12ihipStream_tbPNSt15iterator_traitsISI_E10value_typeEPNSO_ISJ_E10value_typeEPSK_NS1_7vsmem_tEENKUlT_SI_SJ_SK_E_clISE_PiSF_SF_EESH_SX_SI_SJ_SK_EUlSX_E1_NS1_11comp_targetILNS1_3genE8ELNS1_11target_archE1030ELNS1_3gpuE2ELNS1_3repE0EEENS1_36merge_oddeven_config_static_selectorELNS0_4arch9wavefront6targetE0EEEvSJ_.num_named_barrier, 0
	.set _ZN7rocprim17ROCPRIM_400000_NS6detail17trampoline_kernelINS0_14default_configENS1_38merge_sort_block_merge_config_selectorIiNS0_10empty_typeEEEZZNS1_27merge_sort_block_merge_implIS3_N6thrust23THRUST_200600_302600_NS6detail15normal_iteratorINS9_10device_ptrIiEEEEPS5_m17evens_before_oddsEE10hipError_tT0_T1_T2_jT3_P12ihipStream_tbPNSt15iterator_traitsISI_E10value_typeEPNSO_ISJ_E10value_typeEPSK_NS1_7vsmem_tEENKUlT_SI_SJ_SK_E_clISE_PiSF_SF_EESH_SX_SI_SJ_SK_EUlSX_E1_NS1_11comp_targetILNS1_3genE8ELNS1_11target_archE1030ELNS1_3gpuE2ELNS1_3repE0EEENS1_36merge_oddeven_config_static_selectorELNS0_4arch9wavefront6targetE0EEEvSJ_.private_seg_size, 0
	.set _ZN7rocprim17ROCPRIM_400000_NS6detail17trampoline_kernelINS0_14default_configENS1_38merge_sort_block_merge_config_selectorIiNS0_10empty_typeEEEZZNS1_27merge_sort_block_merge_implIS3_N6thrust23THRUST_200600_302600_NS6detail15normal_iteratorINS9_10device_ptrIiEEEEPS5_m17evens_before_oddsEE10hipError_tT0_T1_T2_jT3_P12ihipStream_tbPNSt15iterator_traitsISI_E10value_typeEPNSO_ISJ_E10value_typeEPSK_NS1_7vsmem_tEENKUlT_SI_SJ_SK_E_clISE_PiSF_SF_EESH_SX_SI_SJ_SK_EUlSX_E1_NS1_11comp_targetILNS1_3genE8ELNS1_11target_archE1030ELNS1_3gpuE2ELNS1_3repE0EEENS1_36merge_oddeven_config_static_selectorELNS0_4arch9wavefront6targetE0EEEvSJ_.uses_vcc, 1
	.set _ZN7rocprim17ROCPRIM_400000_NS6detail17trampoline_kernelINS0_14default_configENS1_38merge_sort_block_merge_config_selectorIiNS0_10empty_typeEEEZZNS1_27merge_sort_block_merge_implIS3_N6thrust23THRUST_200600_302600_NS6detail15normal_iteratorINS9_10device_ptrIiEEEEPS5_m17evens_before_oddsEE10hipError_tT0_T1_T2_jT3_P12ihipStream_tbPNSt15iterator_traitsISI_E10value_typeEPNSO_ISJ_E10value_typeEPSK_NS1_7vsmem_tEENKUlT_SI_SJ_SK_E_clISE_PiSF_SF_EESH_SX_SI_SJ_SK_EUlSX_E1_NS1_11comp_targetILNS1_3genE8ELNS1_11target_archE1030ELNS1_3gpuE2ELNS1_3repE0EEENS1_36merge_oddeven_config_static_selectorELNS0_4arch9wavefront6targetE0EEEvSJ_.uses_flat_scratch, 0
	.set _ZN7rocprim17ROCPRIM_400000_NS6detail17trampoline_kernelINS0_14default_configENS1_38merge_sort_block_merge_config_selectorIiNS0_10empty_typeEEEZZNS1_27merge_sort_block_merge_implIS3_N6thrust23THRUST_200600_302600_NS6detail15normal_iteratorINS9_10device_ptrIiEEEEPS5_m17evens_before_oddsEE10hipError_tT0_T1_T2_jT3_P12ihipStream_tbPNSt15iterator_traitsISI_E10value_typeEPNSO_ISJ_E10value_typeEPSK_NS1_7vsmem_tEENKUlT_SI_SJ_SK_E_clISE_PiSF_SF_EESH_SX_SI_SJ_SK_EUlSX_E1_NS1_11comp_targetILNS1_3genE8ELNS1_11target_archE1030ELNS1_3gpuE2ELNS1_3repE0EEENS1_36merge_oddeven_config_static_selectorELNS0_4arch9wavefront6targetE0EEEvSJ_.has_dyn_sized_stack, 0
	.set _ZN7rocprim17ROCPRIM_400000_NS6detail17trampoline_kernelINS0_14default_configENS1_38merge_sort_block_merge_config_selectorIiNS0_10empty_typeEEEZZNS1_27merge_sort_block_merge_implIS3_N6thrust23THRUST_200600_302600_NS6detail15normal_iteratorINS9_10device_ptrIiEEEEPS5_m17evens_before_oddsEE10hipError_tT0_T1_T2_jT3_P12ihipStream_tbPNSt15iterator_traitsISI_E10value_typeEPNSO_ISJ_E10value_typeEPSK_NS1_7vsmem_tEENKUlT_SI_SJ_SK_E_clISE_PiSF_SF_EESH_SX_SI_SJ_SK_EUlSX_E1_NS1_11comp_targetILNS1_3genE8ELNS1_11target_archE1030ELNS1_3gpuE2ELNS1_3repE0EEENS1_36merge_oddeven_config_static_selectorELNS0_4arch9wavefront6targetE0EEEvSJ_.has_recursion, 0
	.set _ZN7rocprim17ROCPRIM_400000_NS6detail17trampoline_kernelINS0_14default_configENS1_38merge_sort_block_merge_config_selectorIiNS0_10empty_typeEEEZZNS1_27merge_sort_block_merge_implIS3_N6thrust23THRUST_200600_302600_NS6detail15normal_iteratorINS9_10device_ptrIiEEEEPS5_m17evens_before_oddsEE10hipError_tT0_T1_T2_jT3_P12ihipStream_tbPNSt15iterator_traitsISI_E10value_typeEPNSO_ISJ_E10value_typeEPSK_NS1_7vsmem_tEENKUlT_SI_SJ_SK_E_clISE_PiSF_SF_EESH_SX_SI_SJ_SK_EUlSX_E1_NS1_11comp_targetILNS1_3genE8ELNS1_11target_archE1030ELNS1_3gpuE2ELNS1_3repE0EEENS1_36merge_oddeven_config_static_selectorELNS0_4arch9wavefront6targetE0EEEvSJ_.has_indirect_call, 0
	.section	.AMDGPU.csdata,"",@progbits
; Kernel info:
; codeLenInByte = 864
; TotalNumSgprs: 18
; NumVgprs: 11
; ScratchSize: 0
; MemoryBound: 0
; FloatMode: 240
; IeeeMode: 1
; LDSByteSize: 0 bytes/workgroup (compile time only)
; SGPRBlocks: 0
; VGPRBlocks: 1
; NumSGPRsForWavesPerEU: 18
; NumVGPRsForWavesPerEU: 11
; Occupancy: 16
; WaveLimiterHint : 0
; COMPUTE_PGM_RSRC2:SCRATCH_EN: 0
; COMPUTE_PGM_RSRC2:USER_SGPR: 6
; COMPUTE_PGM_RSRC2:TRAP_HANDLER: 0
; COMPUTE_PGM_RSRC2:TGID_X_EN: 1
; COMPUTE_PGM_RSRC2:TGID_Y_EN: 0
; COMPUTE_PGM_RSRC2:TGID_Z_EN: 0
; COMPUTE_PGM_RSRC2:TIDIG_COMP_CNT: 0
	.section	.text._ZN6thrust23THRUST_200600_302600_NS11hip_rocprim14__parallel_for6kernelILj256ENS1_20__uninitialized_fill7functorINS0_10device_ptrIfEEfEEmLj1EEEvT0_T1_SA_,"axG",@progbits,_ZN6thrust23THRUST_200600_302600_NS11hip_rocprim14__parallel_for6kernelILj256ENS1_20__uninitialized_fill7functorINS0_10device_ptrIfEEfEEmLj1EEEvT0_T1_SA_,comdat
	.protected	_ZN6thrust23THRUST_200600_302600_NS11hip_rocprim14__parallel_for6kernelILj256ENS1_20__uninitialized_fill7functorINS0_10device_ptrIfEEfEEmLj1EEEvT0_T1_SA_ ; -- Begin function _ZN6thrust23THRUST_200600_302600_NS11hip_rocprim14__parallel_for6kernelILj256ENS1_20__uninitialized_fill7functorINS0_10device_ptrIfEEfEEmLj1EEEvT0_T1_SA_
	.globl	_ZN6thrust23THRUST_200600_302600_NS11hip_rocprim14__parallel_for6kernelILj256ENS1_20__uninitialized_fill7functorINS0_10device_ptrIfEEfEEmLj1EEEvT0_T1_SA_
	.p2align	8
	.type	_ZN6thrust23THRUST_200600_302600_NS11hip_rocprim14__parallel_for6kernelILj256ENS1_20__uninitialized_fill7functorINS0_10device_ptrIfEEfEEmLj1EEEvT0_T1_SA_,@function
_ZN6thrust23THRUST_200600_302600_NS11hip_rocprim14__parallel_for6kernelILj256ENS1_20__uninitialized_fill7functorINS0_10device_ptrIfEEfEEmLj1EEEvT0_T1_SA_: ; @_ZN6thrust23THRUST_200600_302600_NS11hip_rocprim14__parallel_for6kernelILj256ENS1_20__uninitialized_fill7functorINS0_10device_ptrIfEEfEEmLj1EEEvT0_T1_SA_
; %bb.0:
	s_clause 0x2
	s_load_dwordx4 s[8:11], s[4:5], 0x10
	s_load_dwordx2 s[0:1], s[4:5], 0x0
	s_load_dword s7, s[4:5], 0x8
	s_lshl_b32 s2, s6, 8
	s_waitcnt lgkmcnt(0)
	s_add_u32 s2, s10, s2
	s_addc_u32 s3, s11, 0
	s_sub_u32 s4, s8, s2
	s_subb_u32 s5, s9, s3
	v_cmp_lt_u64_e64 s5, 0xff, s[4:5]
	s_and_b32 vcc_lo, exec_lo, s5
	s_mov_b32 s5, -1
	s_cbranch_vccz .LBB456_3
; %bb.1:
	s_andn2_b32 vcc_lo, exec_lo, s5
	s_cbranch_vccz .LBB456_6
.LBB456_2:
	s_endpgm
.LBB456_3:
	v_cmp_gt_u32_e32 vcc_lo, s4, v0
	s_and_saveexec_b32 s4, vcc_lo
	s_cbranch_execz .LBB456_5
; %bb.4:
	v_lshlrev_b32_e32 v1, 2, v0
	s_lshl_b64 s[8:9], s[2:3], 2
	v_mov_b32_e32 v3, s7
	s_add_u32 s5, s0, s8
	s_addc_u32 s6, s1, s9
	v_add_co_u32 v1, s5, s5, v1
	v_add_co_ci_u32_e64 v2, null, s6, 0, s5
	flat_store_dword v[1:2], v3
.LBB456_5:
	s_or_b32 exec_lo, exec_lo, s4
	s_cbranch_execnz .LBB456_2
.LBB456_6:
	v_lshlrev_b32_e32 v0, 2, v0
	s_lshl_b64 s[2:3], s[2:3], 2
	v_mov_b32_e32 v2, s7
	s_add_u32 s0, s0, s2
	s_addc_u32 s1, s1, s3
	v_add_co_u32 v0, s0, s0, v0
	v_add_co_ci_u32_e64 v1, null, s1, 0, s0
	flat_store_dword v[0:1], v2
	s_endpgm
	.section	.rodata,"a",@progbits
	.p2align	6, 0x0
	.amdhsa_kernel _ZN6thrust23THRUST_200600_302600_NS11hip_rocprim14__parallel_for6kernelILj256ENS1_20__uninitialized_fill7functorINS0_10device_ptrIfEEfEEmLj1EEEvT0_T1_SA_
		.amdhsa_group_segment_fixed_size 0
		.amdhsa_private_segment_fixed_size 0
		.amdhsa_kernarg_size 32
		.amdhsa_user_sgpr_count 6
		.amdhsa_user_sgpr_private_segment_buffer 1
		.amdhsa_user_sgpr_dispatch_ptr 0
		.amdhsa_user_sgpr_queue_ptr 0
		.amdhsa_user_sgpr_kernarg_segment_ptr 1
		.amdhsa_user_sgpr_dispatch_id 0
		.amdhsa_user_sgpr_flat_scratch_init 0
		.amdhsa_user_sgpr_private_segment_size 0
		.amdhsa_wavefront_size32 1
		.amdhsa_uses_dynamic_stack 0
		.amdhsa_system_sgpr_private_segment_wavefront_offset 0
		.amdhsa_system_sgpr_workgroup_id_x 1
		.amdhsa_system_sgpr_workgroup_id_y 0
		.amdhsa_system_sgpr_workgroup_id_z 0
		.amdhsa_system_sgpr_workgroup_info 0
		.amdhsa_system_vgpr_workitem_id 0
		.amdhsa_next_free_vgpr 4
		.amdhsa_next_free_sgpr 12
		.amdhsa_reserve_vcc 1
		.amdhsa_reserve_flat_scratch 0
		.amdhsa_float_round_mode_32 0
		.amdhsa_float_round_mode_16_64 0
		.amdhsa_float_denorm_mode_32 3
		.amdhsa_float_denorm_mode_16_64 3
		.amdhsa_dx10_clamp 1
		.amdhsa_ieee_mode 1
		.amdhsa_fp16_overflow 0
		.amdhsa_workgroup_processor_mode 1
		.amdhsa_memory_ordered 1
		.amdhsa_forward_progress 1
		.amdhsa_shared_vgpr_count 0
		.amdhsa_exception_fp_ieee_invalid_op 0
		.amdhsa_exception_fp_denorm_src 0
		.amdhsa_exception_fp_ieee_div_zero 0
		.amdhsa_exception_fp_ieee_overflow 0
		.amdhsa_exception_fp_ieee_underflow 0
		.amdhsa_exception_fp_ieee_inexact 0
		.amdhsa_exception_int_div_zero 0
	.end_amdhsa_kernel
	.section	.text._ZN6thrust23THRUST_200600_302600_NS11hip_rocprim14__parallel_for6kernelILj256ENS1_20__uninitialized_fill7functorINS0_10device_ptrIfEEfEEmLj1EEEvT0_T1_SA_,"axG",@progbits,_ZN6thrust23THRUST_200600_302600_NS11hip_rocprim14__parallel_for6kernelILj256ENS1_20__uninitialized_fill7functorINS0_10device_ptrIfEEfEEmLj1EEEvT0_T1_SA_,comdat
.Lfunc_end456:
	.size	_ZN6thrust23THRUST_200600_302600_NS11hip_rocprim14__parallel_for6kernelILj256ENS1_20__uninitialized_fill7functorINS0_10device_ptrIfEEfEEmLj1EEEvT0_T1_SA_, .Lfunc_end456-_ZN6thrust23THRUST_200600_302600_NS11hip_rocprim14__parallel_for6kernelILj256ENS1_20__uninitialized_fill7functorINS0_10device_ptrIfEEfEEmLj1EEEvT0_T1_SA_
                                        ; -- End function
	.set _ZN6thrust23THRUST_200600_302600_NS11hip_rocprim14__parallel_for6kernelILj256ENS1_20__uninitialized_fill7functorINS0_10device_ptrIfEEfEEmLj1EEEvT0_T1_SA_.num_vgpr, 4
	.set _ZN6thrust23THRUST_200600_302600_NS11hip_rocprim14__parallel_for6kernelILj256ENS1_20__uninitialized_fill7functorINS0_10device_ptrIfEEfEEmLj1EEEvT0_T1_SA_.num_agpr, 0
	.set _ZN6thrust23THRUST_200600_302600_NS11hip_rocprim14__parallel_for6kernelILj256ENS1_20__uninitialized_fill7functorINS0_10device_ptrIfEEfEEmLj1EEEvT0_T1_SA_.numbered_sgpr, 12
	.set _ZN6thrust23THRUST_200600_302600_NS11hip_rocprim14__parallel_for6kernelILj256ENS1_20__uninitialized_fill7functorINS0_10device_ptrIfEEfEEmLj1EEEvT0_T1_SA_.num_named_barrier, 0
	.set _ZN6thrust23THRUST_200600_302600_NS11hip_rocprim14__parallel_for6kernelILj256ENS1_20__uninitialized_fill7functorINS0_10device_ptrIfEEfEEmLj1EEEvT0_T1_SA_.private_seg_size, 0
	.set _ZN6thrust23THRUST_200600_302600_NS11hip_rocprim14__parallel_for6kernelILj256ENS1_20__uninitialized_fill7functorINS0_10device_ptrIfEEfEEmLj1EEEvT0_T1_SA_.uses_vcc, 1
	.set _ZN6thrust23THRUST_200600_302600_NS11hip_rocprim14__parallel_for6kernelILj256ENS1_20__uninitialized_fill7functorINS0_10device_ptrIfEEfEEmLj1EEEvT0_T1_SA_.uses_flat_scratch, 0
	.set _ZN6thrust23THRUST_200600_302600_NS11hip_rocprim14__parallel_for6kernelILj256ENS1_20__uninitialized_fill7functorINS0_10device_ptrIfEEfEEmLj1EEEvT0_T1_SA_.has_dyn_sized_stack, 0
	.set _ZN6thrust23THRUST_200600_302600_NS11hip_rocprim14__parallel_for6kernelILj256ENS1_20__uninitialized_fill7functorINS0_10device_ptrIfEEfEEmLj1EEEvT0_T1_SA_.has_recursion, 0
	.set _ZN6thrust23THRUST_200600_302600_NS11hip_rocprim14__parallel_for6kernelILj256ENS1_20__uninitialized_fill7functorINS0_10device_ptrIfEEfEEmLj1EEEvT0_T1_SA_.has_indirect_call, 0
	.section	.AMDGPU.csdata,"",@progbits
; Kernel info:
; codeLenInByte = 200
; TotalNumSgprs: 14
; NumVgprs: 4
; ScratchSize: 0
; MemoryBound: 0
; FloatMode: 240
; IeeeMode: 1
; LDSByteSize: 0 bytes/workgroup (compile time only)
; SGPRBlocks: 0
; VGPRBlocks: 0
; NumSGPRsForWavesPerEU: 14
; NumVGPRsForWavesPerEU: 4
; Occupancy: 16
; WaveLimiterHint : 0
; COMPUTE_PGM_RSRC2:SCRATCH_EN: 0
; COMPUTE_PGM_RSRC2:USER_SGPR: 6
; COMPUTE_PGM_RSRC2:TRAP_HANDLER: 0
; COMPUTE_PGM_RSRC2:TGID_X_EN: 1
; COMPUTE_PGM_RSRC2:TGID_Y_EN: 0
; COMPUTE_PGM_RSRC2:TGID_Z_EN: 0
; COMPUTE_PGM_RSRC2:TIDIG_COMP_CNT: 0
	.section	.text._ZN7rocprim17ROCPRIM_400000_NS6detail17trampoline_kernelINS0_13kernel_configILj256ELj4ELj4294967295EEENS1_37radix_sort_block_sort_config_selectorIfNS0_10empty_typeEEEZNS1_21radix_sort_block_sortIS4_Lb0EN6thrust23THRUST_200600_302600_NS6detail15normal_iteratorINSA_10device_ptrIfEEEESF_PS6_SG_NS0_19identity_decomposerEEE10hipError_tT1_T2_T3_T4_jRjT5_jjP12ihipStream_tbEUlT_E_NS1_11comp_targetILNS1_3genE0ELNS1_11target_archE4294967295ELNS1_3gpuE0ELNS1_3repE0EEENS1_44radix_sort_block_sort_config_static_selectorELNS0_4arch9wavefront6targetE0EEEvSJ_,"axG",@progbits,_ZN7rocprim17ROCPRIM_400000_NS6detail17trampoline_kernelINS0_13kernel_configILj256ELj4ELj4294967295EEENS1_37radix_sort_block_sort_config_selectorIfNS0_10empty_typeEEEZNS1_21radix_sort_block_sortIS4_Lb0EN6thrust23THRUST_200600_302600_NS6detail15normal_iteratorINSA_10device_ptrIfEEEESF_PS6_SG_NS0_19identity_decomposerEEE10hipError_tT1_T2_T3_T4_jRjT5_jjP12ihipStream_tbEUlT_E_NS1_11comp_targetILNS1_3genE0ELNS1_11target_archE4294967295ELNS1_3gpuE0ELNS1_3repE0EEENS1_44radix_sort_block_sort_config_static_selectorELNS0_4arch9wavefront6targetE0EEEvSJ_,comdat
	.protected	_ZN7rocprim17ROCPRIM_400000_NS6detail17trampoline_kernelINS0_13kernel_configILj256ELj4ELj4294967295EEENS1_37radix_sort_block_sort_config_selectorIfNS0_10empty_typeEEEZNS1_21radix_sort_block_sortIS4_Lb0EN6thrust23THRUST_200600_302600_NS6detail15normal_iteratorINSA_10device_ptrIfEEEESF_PS6_SG_NS0_19identity_decomposerEEE10hipError_tT1_T2_T3_T4_jRjT5_jjP12ihipStream_tbEUlT_E_NS1_11comp_targetILNS1_3genE0ELNS1_11target_archE4294967295ELNS1_3gpuE0ELNS1_3repE0EEENS1_44radix_sort_block_sort_config_static_selectorELNS0_4arch9wavefront6targetE0EEEvSJ_ ; -- Begin function _ZN7rocprim17ROCPRIM_400000_NS6detail17trampoline_kernelINS0_13kernel_configILj256ELj4ELj4294967295EEENS1_37radix_sort_block_sort_config_selectorIfNS0_10empty_typeEEEZNS1_21radix_sort_block_sortIS4_Lb0EN6thrust23THRUST_200600_302600_NS6detail15normal_iteratorINSA_10device_ptrIfEEEESF_PS6_SG_NS0_19identity_decomposerEEE10hipError_tT1_T2_T3_T4_jRjT5_jjP12ihipStream_tbEUlT_E_NS1_11comp_targetILNS1_3genE0ELNS1_11target_archE4294967295ELNS1_3gpuE0ELNS1_3repE0EEENS1_44radix_sort_block_sort_config_static_selectorELNS0_4arch9wavefront6targetE0EEEvSJ_
	.globl	_ZN7rocprim17ROCPRIM_400000_NS6detail17trampoline_kernelINS0_13kernel_configILj256ELj4ELj4294967295EEENS1_37radix_sort_block_sort_config_selectorIfNS0_10empty_typeEEEZNS1_21radix_sort_block_sortIS4_Lb0EN6thrust23THRUST_200600_302600_NS6detail15normal_iteratorINSA_10device_ptrIfEEEESF_PS6_SG_NS0_19identity_decomposerEEE10hipError_tT1_T2_T3_T4_jRjT5_jjP12ihipStream_tbEUlT_E_NS1_11comp_targetILNS1_3genE0ELNS1_11target_archE4294967295ELNS1_3gpuE0ELNS1_3repE0EEENS1_44radix_sort_block_sort_config_static_selectorELNS0_4arch9wavefront6targetE0EEEvSJ_
	.p2align	8
	.type	_ZN7rocprim17ROCPRIM_400000_NS6detail17trampoline_kernelINS0_13kernel_configILj256ELj4ELj4294967295EEENS1_37radix_sort_block_sort_config_selectorIfNS0_10empty_typeEEEZNS1_21radix_sort_block_sortIS4_Lb0EN6thrust23THRUST_200600_302600_NS6detail15normal_iteratorINSA_10device_ptrIfEEEESF_PS6_SG_NS0_19identity_decomposerEEE10hipError_tT1_T2_T3_T4_jRjT5_jjP12ihipStream_tbEUlT_E_NS1_11comp_targetILNS1_3genE0ELNS1_11target_archE4294967295ELNS1_3gpuE0ELNS1_3repE0EEENS1_44radix_sort_block_sort_config_static_selectorELNS0_4arch9wavefront6targetE0EEEvSJ_,@function
_ZN7rocprim17ROCPRIM_400000_NS6detail17trampoline_kernelINS0_13kernel_configILj256ELj4ELj4294967295EEENS1_37radix_sort_block_sort_config_selectorIfNS0_10empty_typeEEEZNS1_21radix_sort_block_sortIS4_Lb0EN6thrust23THRUST_200600_302600_NS6detail15normal_iteratorINSA_10device_ptrIfEEEESF_PS6_SG_NS0_19identity_decomposerEEE10hipError_tT1_T2_T3_T4_jRjT5_jjP12ihipStream_tbEUlT_E_NS1_11comp_targetILNS1_3genE0ELNS1_11target_archE4294967295ELNS1_3gpuE0ELNS1_3repE0EEENS1_44radix_sort_block_sort_config_static_selectorELNS0_4arch9wavefront6targetE0EEEvSJ_: ; @_ZN7rocprim17ROCPRIM_400000_NS6detail17trampoline_kernelINS0_13kernel_configILj256ELj4ELj4294967295EEENS1_37radix_sort_block_sort_config_selectorIfNS0_10empty_typeEEEZNS1_21radix_sort_block_sortIS4_Lb0EN6thrust23THRUST_200600_302600_NS6detail15normal_iteratorINSA_10device_ptrIfEEEESF_PS6_SG_NS0_19identity_decomposerEEE10hipError_tT1_T2_T3_T4_jRjT5_jjP12ihipStream_tbEUlT_E_NS1_11comp_targetILNS1_3genE0ELNS1_11target_archE4294967295ELNS1_3gpuE0ELNS1_3repE0EEENS1_44radix_sort_block_sort_config_static_selectorELNS0_4arch9wavefront6targetE0EEEvSJ_
; %bb.0:
	.section	.rodata,"a",@progbits
	.p2align	6, 0x0
	.amdhsa_kernel _ZN7rocprim17ROCPRIM_400000_NS6detail17trampoline_kernelINS0_13kernel_configILj256ELj4ELj4294967295EEENS1_37radix_sort_block_sort_config_selectorIfNS0_10empty_typeEEEZNS1_21radix_sort_block_sortIS4_Lb0EN6thrust23THRUST_200600_302600_NS6detail15normal_iteratorINSA_10device_ptrIfEEEESF_PS6_SG_NS0_19identity_decomposerEEE10hipError_tT1_T2_T3_T4_jRjT5_jjP12ihipStream_tbEUlT_E_NS1_11comp_targetILNS1_3genE0ELNS1_11target_archE4294967295ELNS1_3gpuE0ELNS1_3repE0EEENS1_44radix_sort_block_sort_config_static_selectorELNS0_4arch9wavefront6targetE0EEEvSJ_
		.amdhsa_group_segment_fixed_size 0
		.amdhsa_private_segment_fixed_size 0
		.amdhsa_kernarg_size 48
		.amdhsa_user_sgpr_count 6
		.amdhsa_user_sgpr_private_segment_buffer 1
		.amdhsa_user_sgpr_dispatch_ptr 0
		.amdhsa_user_sgpr_queue_ptr 0
		.amdhsa_user_sgpr_kernarg_segment_ptr 1
		.amdhsa_user_sgpr_dispatch_id 0
		.amdhsa_user_sgpr_flat_scratch_init 0
		.amdhsa_user_sgpr_private_segment_size 0
		.amdhsa_wavefront_size32 1
		.amdhsa_uses_dynamic_stack 0
		.amdhsa_system_sgpr_private_segment_wavefront_offset 0
		.amdhsa_system_sgpr_workgroup_id_x 1
		.amdhsa_system_sgpr_workgroup_id_y 0
		.amdhsa_system_sgpr_workgroup_id_z 0
		.amdhsa_system_sgpr_workgroup_info 0
		.amdhsa_system_vgpr_workitem_id 0
		.amdhsa_next_free_vgpr 1
		.amdhsa_next_free_sgpr 1
		.amdhsa_reserve_vcc 0
		.amdhsa_reserve_flat_scratch 0
		.amdhsa_float_round_mode_32 0
		.amdhsa_float_round_mode_16_64 0
		.amdhsa_float_denorm_mode_32 3
		.amdhsa_float_denorm_mode_16_64 3
		.amdhsa_dx10_clamp 1
		.amdhsa_ieee_mode 1
		.amdhsa_fp16_overflow 0
		.amdhsa_workgroup_processor_mode 1
		.amdhsa_memory_ordered 1
		.amdhsa_forward_progress 1
		.amdhsa_shared_vgpr_count 0
		.amdhsa_exception_fp_ieee_invalid_op 0
		.amdhsa_exception_fp_denorm_src 0
		.amdhsa_exception_fp_ieee_div_zero 0
		.amdhsa_exception_fp_ieee_overflow 0
		.amdhsa_exception_fp_ieee_underflow 0
		.amdhsa_exception_fp_ieee_inexact 0
		.amdhsa_exception_int_div_zero 0
	.end_amdhsa_kernel
	.section	.text._ZN7rocprim17ROCPRIM_400000_NS6detail17trampoline_kernelINS0_13kernel_configILj256ELj4ELj4294967295EEENS1_37radix_sort_block_sort_config_selectorIfNS0_10empty_typeEEEZNS1_21radix_sort_block_sortIS4_Lb0EN6thrust23THRUST_200600_302600_NS6detail15normal_iteratorINSA_10device_ptrIfEEEESF_PS6_SG_NS0_19identity_decomposerEEE10hipError_tT1_T2_T3_T4_jRjT5_jjP12ihipStream_tbEUlT_E_NS1_11comp_targetILNS1_3genE0ELNS1_11target_archE4294967295ELNS1_3gpuE0ELNS1_3repE0EEENS1_44radix_sort_block_sort_config_static_selectorELNS0_4arch9wavefront6targetE0EEEvSJ_,"axG",@progbits,_ZN7rocprim17ROCPRIM_400000_NS6detail17trampoline_kernelINS0_13kernel_configILj256ELj4ELj4294967295EEENS1_37radix_sort_block_sort_config_selectorIfNS0_10empty_typeEEEZNS1_21radix_sort_block_sortIS4_Lb0EN6thrust23THRUST_200600_302600_NS6detail15normal_iteratorINSA_10device_ptrIfEEEESF_PS6_SG_NS0_19identity_decomposerEEE10hipError_tT1_T2_T3_T4_jRjT5_jjP12ihipStream_tbEUlT_E_NS1_11comp_targetILNS1_3genE0ELNS1_11target_archE4294967295ELNS1_3gpuE0ELNS1_3repE0EEENS1_44radix_sort_block_sort_config_static_selectorELNS0_4arch9wavefront6targetE0EEEvSJ_,comdat
.Lfunc_end457:
	.size	_ZN7rocprim17ROCPRIM_400000_NS6detail17trampoline_kernelINS0_13kernel_configILj256ELj4ELj4294967295EEENS1_37radix_sort_block_sort_config_selectorIfNS0_10empty_typeEEEZNS1_21radix_sort_block_sortIS4_Lb0EN6thrust23THRUST_200600_302600_NS6detail15normal_iteratorINSA_10device_ptrIfEEEESF_PS6_SG_NS0_19identity_decomposerEEE10hipError_tT1_T2_T3_T4_jRjT5_jjP12ihipStream_tbEUlT_E_NS1_11comp_targetILNS1_3genE0ELNS1_11target_archE4294967295ELNS1_3gpuE0ELNS1_3repE0EEENS1_44radix_sort_block_sort_config_static_selectorELNS0_4arch9wavefront6targetE0EEEvSJ_, .Lfunc_end457-_ZN7rocprim17ROCPRIM_400000_NS6detail17trampoline_kernelINS0_13kernel_configILj256ELj4ELj4294967295EEENS1_37radix_sort_block_sort_config_selectorIfNS0_10empty_typeEEEZNS1_21radix_sort_block_sortIS4_Lb0EN6thrust23THRUST_200600_302600_NS6detail15normal_iteratorINSA_10device_ptrIfEEEESF_PS6_SG_NS0_19identity_decomposerEEE10hipError_tT1_T2_T3_T4_jRjT5_jjP12ihipStream_tbEUlT_E_NS1_11comp_targetILNS1_3genE0ELNS1_11target_archE4294967295ELNS1_3gpuE0ELNS1_3repE0EEENS1_44radix_sort_block_sort_config_static_selectorELNS0_4arch9wavefront6targetE0EEEvSJ_
                                        ; -- End function
	.set _ZN7rocprim17ROCPRIM_400000_NS6detail17trampoline_kernelINS0_13kernel_configILj256ELj4ELj4294967295EEENS1_37radix_sort_block_sort_config_selectorIfNS0_10empty_typeEEEZNS1_21radix_sort_block_sortIS4_Lb0EN6thrust23THRUST_200600_302600_NS6detail15normal_iteratorINSA_10device_ptrIfEEEESF_PS6_SG_NS0_19identity_decomposerEEE10hipError_tT1_T2_T3_T4_jRjT5_jjP12ihipStream_tbEUlT_E_NS1_11comp_targetILNS1_3genE0ELNS1_11target_archE4294967295ELNS1_3gpuE0ELNS1_3repE0EEENS1_44radix_sort_block_sort_config_static_selectorELNS0_4arch9wavefront6targetE0EEEvSJ_.num_vgpr, 0
	.set _ZN7rocprim17ROCPRIM_400000_NS6detail17trampoline_kernelINS0_13kernel_configILj256ELj4ELj4294967295EEENS1_37radix_sort_block_sort_config_selectorIfNS0_10empty_typeEEEZNS1_21radix_sort_block_sortIS4_Lb0EN6thrust23THRUST_200600_302600_NS6detail15normal_iteratorINSA_10device_ptrIfEEEESF_PS6_SG_NS0_19identity_decomposerEEE10hipError_tT1_T2_T3_T4_jRjT5_jjP12ihipStream_tbEUlT_E_NS1_11comp_targetILNS1_3genE0ELNS1_11target_archE4294967295ELNS1_3gpuE0ELNS1_3repE0EEENS1_44radix_sort_block_sort_config_static_selectorELNS0_4arch9wavefront6targetE0EEEvSJ_.num_agpr, 0
	.set _ZN7rocprim17ROCPRIM_400000_NS6detail17trampoline_kernelINS0_13kernel_configILj256ELj4ELj4294967295EEENS1_37radix_sort_block_sort_config_selectorIfNS0_10empty_typeEEEZNS1_21radix_sort_block_sortIS4_Lb0EN6thrust23THRUST_200600_302600_NS6detail15normal_iteratorINSA_10device_ptrIfEEEESF_PS6_SG_NS0_19identity_decomposerEEE10hipError_tT1_T2_T3_T4_jRjT5_jjP12ihipStream_tbEUlT_E_NS1_11comp_targetILNS1_3genE0ELNS1_11target_archE4294967295ELNS1_3gpuE0ELNS1_3repE0EEENS1_44radix_sort_block_sort_config_static_selectorELNS0_4arch9wavefront6targetE0EEEvSJ_.numbered_sgpr, 0
	.set _ZN7rocprim17ROCPRIM_400000_NS6detail17trampoline_kernelINS0_13kernel_configILj256ELj4ELj4294967295EEENS1_37radix_sort_block_sort_config_selectorIfNS0_10empty_typeEEEZNS1_21radix_sort_block_sortIS4_Lb0EN6thrust23THRUST_200600_302600_NS6detail15normal_iteratorINSA_10device_ptrIfEEEESF_PS6_SG_NS0_19identity_decomposerEEE10hipError_tT1_T2_T3_T4_jRjT5_jjP12ihipStream_tbEUlT_E_NS1_11comp_targetILNS1_3genE0ELNS1_11target_archE4294967295ELNS1_3gpuE0ELNS1_3repE0EEENS1_44radix_sort_block_sort_config_static_selectorELNS0_4arch9wavefront6targetE0EEEvSJ_.num_named_barrier, 0
	.set _ZN7rocprim17ROCPRIM_400000_NS6detail17trampoline_kernelINS0_13kernel_configILj256ELj4ELj4294967295EEENS1_37radix_sort_block_sort_config_selectorIfNS0_10empty_typeEEEZNS1_21radix_sort_block_sortIS4_Lb0EN6thrust23THRUST_200600_302600_NS6detail15normal_iteratorINSA_10device_ptrIfEEEESF_PS6_SG_NS0_19identity_decomposerEEE10hipError_tT1_T2_T3_T4_jRjT5_jjP12ihipStream_tbEUlT_E_NS1_11comp_targetILNS1_3genE0ELNS1_11target_archE4294967295ELNS1_3gpuE0ELNS1_3repE0EEENS1_44radix_sort_block_sort_config_static_selectorELNS0_4arch9wavefront6targetE0EEEvSJ_.private_seg_size, 0
	.set _ZN7rocprim17ROCPRIM_400000_NS6detail17trampoline_kernelINS0_13kernel_configILj256ELj4ELj4294967295EEENS1_37radix_sort_block_sort_config_selectorIfNS0_10empty_typeEEEZNS1_21radix_sort_block_sortIS4_Lb0EN6thrust23THRUST_200600_302600_NS6detail15normal_iteratorINSA_10device_ptrIfEEEESF_PS6_SG_NS0_19identity_decomposerEEE10hipError_tT1_T2_T3_T4_jRjT5_jjP12ihipStream_tbEUlT_E_NS1_11comp_targetILNS1_3genE0ELNS1_11target_archE4294967295ELNS1_3gpuE0ELNS1_3repE0EEENS1_44radix_sort_block_sort_config_static_selectorELNS0_4arch9wavefront6targetE0EEEvSJ_.uses_vcc, 0
	.set _ZN7rocprim17ROCPRIM_400000_NS6detail17trampoline_kernelINS0_13kernel_configILj256ELj4ELj4294967295EEENS1_37radix_sort_block_sort_config_selectorIfNS0_10empty_typeEEEZNS1_21radix_sort_block_sortIS4_Lb0EN6thrust23THRUST_200600_302600_NS6detail15normal_iteratorINSA_10device_ptrIfEEEESF_PS6_SG_NS0_19identity_decomposerEEE10hipError_tT1_T2_T3_T4_jRjT5_jjP12ihipStream_tbEUlT_E_NS1_11comp_targetILNS1_3genE0ELNS1_11target_archE4294967295ELNS1_3gpuE0ELNS1_3repE0EEENS1_44radix_sort_block_sort_config_static_selectorELNS0_4arch9wavefront6targetE0EEEvSJ_.uses_flat_scratch, 0
	.set _ZN7rocprim17ROCPRIM_400000_NS6detail17trampoline_kernelINS0_13kernel_configILj256ELj4ELj4294967295EEENS1_37radix_sort_block_sort_config_selectorIfNS0_10empty_typeEEEZNS1_21radix_sort_block_sortIS4_Lb0EN6thrust23THRUST_200600_302600_NS6detail15normal_iteratorINSA_10device_ptrIfEEEESF_PS6_SG_NS0_19identity_decomposerEEE10hipError_tT1_T2_T3_T4_jRjT5_jjP12ihipStream_tbEUlT_E_NS1_11comp_targetILNS1_3genE0ELNS1_11target_archE4294967295ELNS1_3gpuE0ELNS1_3repE0EEENS1_44radix_sort_block_sort_config_static_selectorELNS0_4arch9wavefront6targetE0EEEvSJ_.has_dyn_sized_stack, 0
	.set _ZN7rocprim17ROCPRIM_400000_NS6detail17trampoline_kernelINS0_13kernel_configILj256ELj4ELj4294967295EEENS1_37radix_sort_block_sort_config_selectorIfNS0_10empty_typeEEEZNS1_21radix_sort_block_sortIS4_Lb0EN6thrust23THRUST_200600_302600_NS6detail15normal_iteratorINSA_10device_ptrIfEEEESF_PS6_SG_NS0_19identity_decomposerEEE10hipError_tT1_T2_T3_T4_jRjT5_jjP12ihipStream_tbEUlT_E_NS1_11comp_targetILNS1_3genE0ELNS1_11target_archE4294967295ELNS1_3gpuE0ELNS1_3repE0EEENS1_44radix_sort_block_sort_config_static_selectorELNS0_4arch9wavefront6targetE0EEEvSJ_.has_recursion, 0
	.set _ZN7rocprim17ROCPRIM_400000_NS6detail17trampoline_kernelINS0_13kernel_configILj256ELj4ELj4294967295EEENS1_37radix_sort_block_sort_config_selectorIfNS0_10empty_typeEEEZNS1_21radix_sort_block_sortIS4_Lb0EN6thrust23THRUST_200600_302600_NS6detail15normal_iteratorINSA_10device_ptrIfEEEESF_PS6_SG_NS0_19identity_decomposerEEE10hipError_tT1_T2_T3_T4_jRjT5_jjP12ihipStream_tbEUlT_E_NS1_11comp_targetILNS1_3genE0ELNS1_11target_archE4294967295ELNS1_3gpuE0ELNS1_3repE0EEENS1_44radix_sort_block_sort_config_static_selectorELNS0_4arch9wavefront6targetE0EEEvSJ_.has_indirect_call, 0
	.section	.AMDGPU.csdata,"",@progbits
; Kernel info:
; codeLenInByte = 0
; TotalNumSgprs: 0
; NumVgprs: 0
; ScratchSize: 0
; MemoryBound: 0
; FloatMode: 240
; IeeeMode: 1
; LDSByteSize: 0 bytes/workgroup (compile time only)
; SGPRBlocks: 0
; VGPRBlocks: 0
; NumSGPRsForWavesPerEU: 1
; NumVGPRsForWavesPerEU: 1
; Occupancy: 16
; WaveLimiterHint : 0
; COMPUTE_PGM_RSRC2:SCRATCH_EN: 0
; COMPUTE_PGM_RSRC2:USER_SGPR: 6
; COMPUTE_PGM_RSRC2:TRAP_HANDLER: 0
; COMPUTE_PGM_RSRC2:TGID_X_EN: 1
; COMPUTE_PGM_RSRC2:TGID_Y_EN: 0
; COMPUTE_PGM_RSRC2:TGID_Z_EN: 0
; COMPUTE_PGM_RSRC2:TIDIG_COMP_CNT: 0
	.section	.text._ZN7rocprim17ROCPRIM_400000_NS6detail17trampoline_kernelINS0_13kernel_configILj256ELj4ELj4294967295EEENS1_37radix_sort_block_sort_config_selectorIfNS0_10empty_typeEEEZNS1_21radix_sort_block_sortIS4_Lb0EN6thrust23THRUST_200600_302600_NS6detail15normal_iteratorINSA_10device_ptrIfEEEESF_PS6_SG_NS0_19identity_decomposerEEE10hipError_tT1_T2_T3_T4_jRjT5_jjP12ihipStream_tbEUlT_E_NS1_11comp_targetILNS1_3genE5ELNS1_11target_archE942ELNS1_3gpuE9ELNS1_3repE0EEENS1_44radix_sort_block_sort_config_static_selectorELNS0_4arch9wavefront6targetE0EEEvSJ_,"axG",@progbits,_ZN7rocprim17ROCPRIM_400000_NS6detail17trampoline_kernelINS0_13kernel_configILj256ELj4ELj4294967295EEENS1_37radix_sort_block_sort_config_selectorIfNS0_10empty_typeEEEZNS1_21radix_sort_block_sortIS4_Lb0EN6thrust23THRUST_200600_302600_NS6detail15normal_iteratorINSA_10device_ptrIfEEEESF_PS6_SG_NS0_19identity_decomposerEEE10hipError_tT1_T2_T3_T4_jRjT5_jjP12ihipStream_tbEUlT_E_NS1_11comp_targetILNS1_3genE5ELNS1_11target_archE942ELNS1_3gpuE9ELNS1_3repE0EEENS1_44radix_sort_block_sort_config_static_selectorELNS0_4arch9wavefront6targetE0EEEvSJ_,comdat
	.protected	_ZN7rocprim17ROCPRIM_400000_NS6detail17trampoline_kernelINS0_13kernel_configILj256ELj4ELj4294967295EEENS1_37radix_sort_block_sort_config_selectorIfNS0_10empty_typeEEEZNS1_21radix_sort_block_sortIS4_Lb0EN6thrust23THRUST_200600_302600_NS6detail15normal_iteratorINSA_10device_ptrIfEEEESF_PS6_SG_NS0_19identity_decomposerEEE10hipError_tT1_T2_T3_T4_jRjT5_jjP12ihipStream_tbEUlT_E_NS1_11comp_targetILNS1_3genE5ELNS1_11target_archE942ELNS1_3gpuE9ELNS1_3repE0EEENS1_44radix_sort_block_sort_config_static_selectorELNS0_4arch9wavefront6targetE0EEEvSJ_ ; -- Begin function _ZN7rocprim17ROCPRIM_400000_NS6detail17trampoline_kernelINS0_13kernel_configILj256ELj4ELj4294967295EEENS1_37radix_sort_block_sort_config_selectorIfNS0_10empty_typeEEEZNS1_21radix_sort_block_sortIS4_Lb0EN6thrust23THRUST_200600_302600_NS6detail15normal_iteratorINSA_10device_ptrIfEEEESF_PS6_SG_NS0_19identity_decomposerEEE10hipError_tT1_T2_T3_T4_jRjT5_jjP12ihipStream_tbEUlT_E_NS1_11comp_targetILNS1_3genE5ELNS1_11target_archE942ELNS1_3gpuE9ELNS1_3repE0EEENS1_44radix_sort_block_sort_config_static_selectorELNS0_4arch9wavefront6targetE0EEEvSJ_
	.globl	_ZN7rocprim17ROCPRIM_400000_NS6detail17trampoline_kernelINS0_13kernel_configILj256ELj4ELj4294967295EEENS1_37radix_sort_block_sort_config_selectorIfNS0_10empty_typeEEEZNS1_21radix_sort_block_sortIS4_Lb0EN6thrust23THRUST_200600_302600_NS6detail15normal_iteratorINSA_10device_ptrIfEEEESF_PS6_SG_NS0_19identity_decomposerEEE10hipError_tT1_T2_T3_T4_jRjT5_jjP12ihipStream_tbEUlT_E_NS1_11comp_targetILNS1_3genE5ELNS1_11target_archE942ELNS1_3gpuE9ELNS1_3repE0EEENS1_44radix_sort_block_sort_config_static_selectorELNS0_4arch9wavefront6targetE0EEEvSJ_
	.p2align	8
	.type	_ZN7rocprim17ROCPRIM_400000_NS6detail17trampoline_kernelINS0_13kernel_configILj256ELj4ELj4294967295EEENS1_37radix_sort_block_sort_config_selectorIfNS0_10empty_typeEEEZNS1_21radix_sort_block_sortIS4_Lb0EN6thrust23THRUST_200600_302600_NS6detail15normal_iteratorINSA_10device_ptrIfEEEESF_PS6_SG_NS0_19identity_decomposerEEE10hipError_tT1_T2_T3_T4_jRjT5_jjP12ihipStream_tbEUlT_E_NS1_11comp_targetILNS1_3genE5ELNS1_11target_archE942ELNS1_3gpuE9ELNS1_3repE0EEENS1_44radix_sort_block_sort_config_static_selectorELNS0_4arch9wavefront6targetE0EEEvSJ_,@function
_ZN7rocprim17ROCPRIM_400000_NS6detail17trampoline_kernelINS0_13kernel_configILj256ELj4ELj4294967295EEENS1_37radix_sort_block_sort_config_selectorIfNS0_10empty_typeEEEZNS1_21radix_sort_block_sortIS4_Lb0EN6thrust23THRUST_200600_302600_NS6detail15normal_iteratorINSA_10device_ptrIfEEEESF_PS6_SG_NS0_19identity_decomposerEEE10hipError_tT1_T2_T3_T4_jRjT5_jjP12ihipStream_tbEUlT_E_NS1_11comp_targetILNS1_3genE5ELNS1_11target_archE942ELNS1_3gpuE9ELNS1_3repE0EEENS1_44radix_sort_block_sort_config_static_selectorELNS0_4arch9wavefront6targetE0EEEvSJ_: ; @_ZN7rocprim17ROCPRIM_400000_NS6detail17trampoline_kernelINS0_13kernel_configILj256ELj4ELj4294967295EEENS1_37radix_sort_block_sort_config_selectorIfNS0_10empty_typeEEEZNS1_21radix_sort_block_sortIS4_Lb0EN6thrust23THRUST_200600_302600_NS6detail15normal_iteratorINSA_10device_ptrIfEEEESF_PS6_SG_NS0_19identity_decomposerEEE10hipError_tT1_T2_T3_T4_jRjT5_jjP12ihipStream_tbEUlT_E_NS1_11comp_targetILNS1_3genE5ELNS1_11target_archE942ELNS1_3gpuE9ELNS1_3repE0EEENS1_44radix_sort_block_sort_config_static_selectorELNS0_4arch9wavefront6targetE0EEEvSJ_
; %bb.0:
	.section	.rodata,"a",@progbits
	.p2align	6, 0x0
	.amdhsa_kernel _ZN7rocprim17ROCPRIM_400000_NS6detail17trampoline_kernelINS0_13kernel_configILj256ELj4ELj4294967295EEENS1_37radix_sort_block_sort_config_selectorIfNS0_10empty_typeEEEZNS1_21radix_sort_block_sortIS4_Lb0EN6thrust23THRUST_200600_302600_NS6detail15normal_iteratorINSA_10device_ptrIfEEEESF_PS6_SG_NS0_19identity_decomposerEEE10hipError_tT1_T2_T3_T4_jRjT5_jjP12ihipStream_tbEUlT_E_NS1_11comp_targetILNS1_3genE5ELNS1_11target_archE942ELNS1_3gpuE9ELNS1_3repE0EEENS1_44radix_sort_block_sort_config_static_selectorELNS0_4arch9wavefront6targetE0EEEvSJ_
		.amdhsa_group_segment_fixed_size 0
		.amdhsa_private_segment_fixed_size 0
		.amdhsa_kernarg_size 48
		.amdhsa_user_sgpr_count 6
		.amdhsa_user_sgpr_private_segment_buffer 1
		.amdhsa_user_sgpr_dispatch_ptr 0
		.amdhsa_user_sgpr_queue_ptr 0
		.amdhsa_user_sgpr_kernarg_segment_ptr 1
		.amdhsa_user_sgpr_dispatch_id 0
		.amdhsa_user_sgpr_flat_scratch_init 0
		.amdhsa_user_sgpr_private_segment_size 0
		.amdhsa_wavefront_size32 1
		.amdhsa_uses_dynamic_stack 0
		.amdhsa_system_sgpr_private_segment_wavefront_offset 0
		.amdhsa_system_sgpr_workgroup_id_x 1
		.amdhsa_system_sgpr_workgroup_id_y 0
		.amdhsa_system_sgpr_workgroup_id_z 0
		.amdhsa_system_sgpr_workgroup_info 0
		.amdhsa_system_vgpr_workitem_id 0
		.amdhsa_next_free_vgpr 1
		.amdhsa_next_free_sgpr 1
		.amdhsa_reserve_vcc 0
		.amdhsa_reserve_flat_scratch 0
		.amdhsa_float_round_mode_32 0
		.amdhsa_float_round_mode_16_64 0
		.amdhsa_float_denorm_mode_32 3
		.amdhsa_float_denorm_mode_16_64 3
		.amdhsa_dx10_clamp 1
		.amdhsa_ieee_mode 1
		.amdhsa_fp16_overflow 0
		.amdhsa_workgroup_processor_mode 1
		.amdhsa_memory_ordered 1
		.amdhsa_forward_progress 1
		.amdhsa_shared_vgpr_count 0
		.amdhsa_exception_fp_ieee_invalid_op 0
		.amdhsa_exception_fp_denorm_src 0
		.amdhsa_exception_fp_ieee_div_zero 0
		.amdhsa_exception_fp_ieee_overflow 0
		.amdhsa_exception_fp_ieee_underflow 0
		.amdhsa_exception_fp_ieee_inexact 0
		.amdhsa_exception_int_div_zero 0
	.end_amdhsa_kernel
	.section	.text._ZN7rocprim17ROCPRIM_400000_NS6detail17trampoline_kernelINS0_13kernel_configILj256ELj4ELj4294967295EEENS1_37radix_sort_block_sort_config_selectorIfNS0_10empty_typeEEEZNS1_21radix_sort_block_sortIS4_Lb0EN6thrust23THRUST_200600_302600_NS6detail15normal_iteratorINSA_10device_ptrIfEEEESF_PS6_SG_NS0_19identity_decomposerEEE10hipError_tT1_T2_T3_T4_jRjT5_jjP12ihipStream_tbEUlT_E_NS1_11comp_targetILNS1_3genE5ELNS1_11target_archE942ELNS1_3gpuE9ELNS1_3repE0EEENS1_44radix_sort_block_sort_config_static_selectorELNS0_4arch9wavefront6targetE0EEEvSJ_,"axG",@progbits,_ZN7rocprim17ROCPRIM_400000_NS6detail17trampoline_kernelINS0_13kernel_configILj256ELj4ELj4294967295EEENS1_37radix_sort_block_sort_config_selectorIfNS0_10empty_typeEEEZNS1_21radix_sort_block_sortIS4_Lb0EN6thrust23THRUST_200600_302600_NS6detail15normal_iteratorINSA_10device_ptrIfEEEESF_PS6_SG_NS0_19identity_decomposerEEE10hipError_tT1_T2_T3_T4_jRjT5_jjP12ihipStream_tbEUlT_E_NS1_11comp_targetILNS1_3genE5ELNS1_11target_archE942ELNS1_3gpuE9ELNS1_3repE0EEENS1_44radix_sort_block_sort_config_static_selectorELNS0_4arch9wavefront6targetE0EEEvSJ_,comdat
.Lfunc_end458:
	.size	_ZN7rocprim17ROCPRIM_400000_NS6detail17trampoline_kernelINS0_13kernel_configILj256ELj4ELj4294967295EEENS1_37radix_sort_block_sort_config_selectorIfNS0_10empty_typeEEEZNS1_21radix_sort_block_sortIS4_Lb0EN6thrust23THRUST_200600_302600_NS6detail15normal_iteratorINSA_10device_ptrIfEEEESF_PS6_SG_NS0_19identity_decomposerEEE10hipError_tT1_T2_T3_T4_jRjT5_jjP12ihipStream_tbEUlT_E_NS1_11comp_targetILNS1_3genE5ELNS1_11target_archE942ELNS1_3gpuE9ELNS1_3repE0EEENS1_44radix_sort_block_sort_config_static_selectorELNS0_4arch9wavefront6targetE0EEEvSJ_, .Lfunc_end458-_ZN7rocprim17ROCPRIM_400000_NS6detail17trampoline_kernelINS0_13kernel_configILj256ELj4ELj4294967295EEENS1_37radix_sort_block_sort_config_selectorIfNS0_10empty_typeEEEZNS1_21radix_sort_block_sortIS4_Lb0EN6thrust23THRUST_200600_302600_NS6detail15normal_iteratorINSA_10device_ptrIfEEEESF_PS6_SG_NS0_19identity_decomposerEEE10hipError_tT1_T2_T3_T4_jRjT5_jjP12ihipStream_tbEUlT_E_NS1_11comp_targetILNS1_3genE5ELNS1_11target_archE942ELNS1_3gpuE9ELNS1_3repE0EEENS1_44radix_sort_block_sort_config_static_selectorELNS0_4arch9wavefront6targetE0EEEvSJ_
                                        ; -- End function
	.set _ZN7rocprim17ROCPRIM_400000_NS6detail17trampoline_kernelINS0_13kernel_configILj256ELj4ELj4294967295EEENS1_37radix_sort_block_sort_config_selectorIfNS0_10empty_typeEEEZNS1_21radix_sort_block_sortIS4_Lb0EN6thrust23THRUST_200600_302600_NS6detail15normal_iteratorINSA_10device_ptrIfEEEESF_PS6_SG_NS0_19identity_decomposerEEE10hipError_tT1_T2_T3_T4_jRjT5_jjP12ihipStream_tbEUlT_E_NS1_11comp_targetILNS1_3genE5ELNS1_11target_archE942ELNS1_3gpuE9ELNS1_3repE0EEENS1_44radix_sort_block_sort_config_static_selectorELNS0_4arch9wavefront6targetE0EEEvSJ_.num_vgpr, 0
	.set _ZN7rocprim17ROCPRIM_400000_NS6detail17trampoline_kernelINS0_13kernel_configILj256ELj4ELj4294967295EEENS1_37radix_sort_block_sort_config_selectorIfNS0_10empty_typeEEEZNS1_21radix_sort_block_sortIS4_Lb0EN6thrust23THRUST_200600_302600_NS6detail15normal_iteratorINSA_10device_ptrIfEEEESF_PS6_SG_NS0_19identity_decomposerEEE10hipError_tT1_T2_T3_T4_jRjT5_jjP12ihipStream_tbEUlT_E_NS1_11comp_targetILNS1_3genE5ELNS1_11target_archE942ELNS1_3gpuE9ELNS1_3repE0EEENS1_44radix_sort_block_sort_config_static_selectorELNS0_4arch9wavefront6targetE0EEEvSJ_.num_agpr, 0
	.set _ZN7rocprim17ROCPRIM_400000_NS6detail17trampoline_kernelINS0_13kernel_configILj256ELj4ELj4294967295EEENS1_37radix_sort_block_sort_config_selectorIfNS0_10empty_typeEEEZNS1_21radix_sort_block_sortIS4_Lb0EN6thrust23THRUST_200600_302600_NS6detail15normal_iteratorINSA_10device_ptrIfEEEESF_PS6_SG_NS0_19identity_decomposerEEE10hipError_tT1_T2_T3_T4_jRjT5_jjP12ihipStream_tbEUlT_E_NS1_11comp_targetILNS1_3genE5ELNS1_11target_archE942ELNS1_3gpuE9ELNS1_3repE0EEENS1_44radix_sort_block_sort_config_static_selectorELNS0_4arch9wavefront6targetE0EEEvSJ_.numbered_sgpr, 0
	.set _ZN7rocprim17ROCPRIM_400000_NS6detail17trampoline_kernelINS0_13kernel_configILj256ELj4ELj4294967295EEENS1_37radix_sort_block_sort_config_selectorIfNS0_10empty_typeEEEZNS1_21radix_sort_block_sortIS4_Lb0EN6thrust23THRUST_200600_302600_NS6detail15normal_iteratorINSA_10device_ptrIfEEEESF_PS6_SG_NS0_19identity_decomposerEEE10hipError_tT1_T2_T3_T4_jRjT5_jjP12ihipStream_tbEUlT_E_NS1_11comp_targetILNS1_3genE5ELNS1_11target_archE942ELNS1_3gpuE9ELNS1_3repE0EEENS1_44radix_sort_block_sort_config_static_selectorELNS0_4arch9wavefront6targetE0EEEvSJ_.num_named_barrier, 0
	.set _ZN7rocprim17ROCPRIM_400000_NS6detail17trampoline_kernelINS0_13kernel_configILj256ELj4ELj4294967295EEENS1_37radix_sort_block_sort_config_selectorIfNS0_10empty_typeEEEZNS1_21radix_sort_block_sortIS4_Lb0EN6thrust23THRUST_200600_302600_NS6detail15normal_iteratorINSA_10device_ptrIfEEEESF_PS6_SG_NS0_19identity_decomposerEEE10hipError_tT1_T2_T3_T4_jRjT5_jjP12ihipStream_tbEUlT_E_NS1_11comp_targetILNS1_3genE5ELNS1_11target_archE942ELNS1_3gpuE9ELNS1_3repE0EEENS1_44radix_sort_block_sort_config_static_selectorELNS0_4arch9wavefront6targetE0EEEvSJ_.private_seg_size, 0
	.set _ZN7rocprim17ROCPRIM_400000_NS6detail17trampoline_kernelINS0_13kernel_configILj256ELj4ELj4294967295EEENS1_37radix_sort_block_sort_config_selectorIfNS0_10empty_typeEEEZNS1_21radix_sort_block_sortIS4_Lb0EN6thrust23THRUST_200600_302600_NS6detail15normal_iteratorINSA_10device_ptrIfEEEESF_PS6_SG_NS0_19identity_decomposerEEE10hipError_tT1_T2_T3_T4_jRjT5_jjP12ihipStream_tbEUlT_E_NS1_11comp_targetILNS1_3genE5ELNS1_11target_archE942ELNS1_3gpuE9ELNS1_3repE0EEENS1_44radix_sort_block_sort_config_static_selectorELNS0_4arch9wavefront6targetE0EEEvSJ_.uses_vcc, 0
	.set _ZN7rocprim17ROCPRIM_400000_NS6detail17trampoline_kernelINS0_13kernel_configILj256ELj4ELj4294967295EEENS1_37radix_sort_block_sort_config_selectorIfNS0_10empty_typeEEEZNS1_21radix_sort_block_sortIS4_Lb0EN6thrust23THRUST_200600_302600_NS6detail15normal_iteratorINSA_10device_ptrIfEEEESF_PS6_SG_NS0_19identity_decomposerEEE10hipError_tT1_T2_T3_T4_jRjT5_jjP12ihipStream_tbEUlT_E_NS1_11comp_targetILNS1_3genE5ELNS1_11target_archE942ELNS1_3gpuE9ELNS1_3repE0EEENS1_44radix_sort_block_sort_config_static_selectorELNS0_4arch9wavefront6targetE0EEEvSJ_.uses_flat_scratch, 0
	.set _ZN7rocprim17ROCPRIM_400000_NS6detail17trampoline_kernelINS0_13kernel_configILj256ELj4ELj4294967295EEENS1_37radix_sort_block_sort_config_selectorIfNS0_10empty_typeEEEZNS1_21radix_sort_block_sortIS4_Lb0EN6thrust23THRUST_200600_302600_NS6detail15normal_iteratorINSA_10device_ptrIfEEEESF_PS6_SG_NS0_19identity_decomposerEEE10hipError_tT1_T2_T3_T4_jRjT5_jjP12ihipStream_tbEUlT_E_NS1_11comp_targetILNS1_3genE5ELNS1_11target_archE942ELNS1_3gpuE9ELNS1_3repE0EEENS1_44radix_sort_block_sort_config_static_selectorELNS0_4arch9wavefront6targetE0EEEvSJ_.has_dyn_sized_stack, 0
	.set _ZN7rocprim17ROCPRIM_400000_NS6detail17trampoline_kernelINS0_13kernel_configILj256ELj4ELj4294967295EEENS1_37radix_sort_block_sort_config_selectorIfNS0_10empty_typeEEEZNS1_21radix_sort_block_sortIS4_Lb0EN6thrust23THRUST_200600_302600_NS6detail15normal_iteratorINSA_10device_ptrIfEEEESF_PS6_SG_NS0_19identity_decomposerEEE10hipError_tT1_T2_T3_T4_jRjT5_jjP12ihipStream_tbEUlT_E_NS1_11comp_targetILNS1_3genE5ELNS1_11target_archE942ELNS1_3gpuE9ELNS1_3repE0EEENS1_44radix_sort_block_sort_config_static_selectorELNS0_4arch9wavefront6targetE0EEEvSJ_.has_recursion, 0
	.set _ZN7rocprim17ROCPRIM_400000_NS6detail17trampoline_kernelINS0_13kernel_configILj256ELj4ELj4294967295EEENS1_37radix_sort_block_sort_config_selectorIfNS0_10empty_typeEEEZNS1_21radix_sort_block_sortIS4_Lb0EN6thrust23THRUST_200600_302600_NS6detail15normal_iteratorINSA_10device_ptrIfEEEESF_PS6_SG_NS0_19identity_decomposerEEE10hipError_tT1_T2_T3_T4_jRjT5_jjP12ihipStream_tbEUlT_E_NS1_11comp_targetILNS1_3genE5ELNS1_11target_archE942ELNS1_3gpuE9ELNS1_3repE0EEENS1_44radix_sort_block_sort_config_static_selectorELNS0_4arch9wavefront6targetE0EEEvSJ_.has_indirect_call, 0
	.section	.AMDGPU.csdata,"",@progbits
; Kernel info:
; codeLenInByte = 0
; TotalNumSgprs: 0
; NumVgprs: 0
; ScratchSize: 0
; MemoryBound: 0
; FloatMode: 240
; IeeeMode: 1
; LDSByteSize: 0 bytes/workgroup (compile time only)
; SGPRBlocks: 0
; VGPRBlocks: 0
; NumSGPRsForWavesPerEU: 1
; NumVGPRsForWavesPerEU: 1
; Occupancy: 16
; WaveLimiterHint : 0
; COMPUTE_PGM_RSRC2:SCRATCH_EN: 0
; COMPUTE_PGM_RSRC2:USER_SGPR: 6
; COMPUTE_PGM_RSRC2:TRAP_HANDLER: 0
; COMPUTE_PGM_RSRC2:TGID_X_EN: 1
; COMPUTE_PGM_RSRC2:TGID_Y_EN: 0
; COMPUTE_PGM_RSRC2:TGID_Z_EN: 0
; COMPUTE_PGM_RSRC2:TIDIG_COMP_CNT: 0
	.section	.text._ZN7rocprim17ROCPRIM_400000_NS6detail17trampoline_kernelINS0_13kernel_configILj256ELj4ELj4294967295EEENS1_37radix_sort_block_sort_config_selectorIfNS0_10empty_typeEEEZNS1_21radix_sort_block_sortIS4_Lb0EN6thrust23THRUST_200600_302600_NS6detail15normal_iteratorINSA_10device_ptrIfEEEESF_PS6_SG_NS0_19identity_decomposerEEE10hipError_tT1_T2_T3_T4_jRjT5_jjP12ihipStream_tbEUlT_E_NS1_11comp_targetILNS1_3genE4ELNS1_11target_archE910ELNS1_3gpuE8ELNS1_3repE0EEENS1_44radix_sort_block_sort_config_static_selectorELNS0_4arch9wavefront6targetE0EEEvSJ_,"axG",@progbits,_ZN7rocprim17ROCPRIM_400000_NS6detail17trampoline_kernelINS0_13kernel_configILj256ELj4ELj4294967295EEENS1_37radix_sort_block_sort_config_selectorIfNS0_10empty_typeEEEZNS1_21radix_sort_block_sortIS4_Lb0EN6thrust23THRUST_200600_302600_NS6detail15normal_iteratorINSA_10device_ptrIfEEEESF_PS6_SG_NS0_19identity_decomposerEEE10hipError_tT1_T2_T3_T4_jRjT5_jjP12ihipStream_tbEUlT_E_NS1_11comp_targetILNS1_3genE4ELNS1_11target_archE910ELNS1_3gpuE8ELNS1_3repE0EEENS1_44radix_sort_block_sort_config_static_selectorELNS0_4arch9wavefront6targetE0EEEvSJ_,comdat
	.protected	_ZN7rocprim17ROCPRIM_400000_NS6detail17trampoline_kernelINS0_13kernel_configILj256ELj4ELj4294967295EEENS1_37radix_sort_block_sort_config_selectorIfNS0_10empty_typeEEEZNS1_21radix_sort_block_sortIS4_Lb0EN6thrust23THRUST_200600_302600_NS6detail15normal_iteratorINSA_10device_ptrIfEEEESF_PS6_SG_NS0_19identity_decomposerEEE10hipError_tT1_T2_T3_T4_jRjT5_jjP12ihipStream_tbEUlT_E_NS1_11comp_targetILNS1_3genE4ELNS1_11target_archE910ELNS1_3gpuE8ELNS1_3repE0EEENS1_44radix_sort_block_sort_config_static_selectorELNS0_4arch9wavefront6targetE0EEEvSJ_ ; -- Begin function _ZN7rocprim17ROCPRIM_400000_NS6detail17trampoline_kernelINS0_13kernel_configILj256ELj4ELj4294967295EEENS1_37radix_sort_block_sort_config_selectorIfNS0_10empty_typeEEEZNS1_21radix_sort_block_sortIS4_Lb0EN6thrust23THRUST_200600_302600_NS6detail15normal_iteratorINSA_10device_ptrIfEEEESF_PS6_SG_NS0_19identity_decomposerEEE10hipError_tT1_T2_T3_T4_jRjT5_jjP12ihipStream_tbEUlT_E_NS1_11comp_targetILNS1_3genE4ELNS1_11target_archE910ELNS1_3gpuE8ELNS1_3repE0EEENS1_44radix_sort_block_sort_config_static_selectorELNS0_4arch9wavefront6targetE0EEEvSJ_
	.globl	_ZN7rocprim17ROCPRIM_400000_NS6detail17trampoline_kernelINS0_13kernel_configILj256ELj4ELj4294967295EEENS1_37radix_sort_block_sort_config_selectorIfNS0_10empty_typeEEEZNS1_21radix_sort_block_sortIS4_Lb0EN6thrust23THRUST_200600_302600_NS6detail15normal_iteratorINSA_10device_ptrIfEEEESF_PS6_SG_NS0_19identity_decomposerEEE10hipError_tT1_T2_T3_T4_jRjT5_jjP12ihipStream_tbEUlT_E_NS1_11comp_targetILNS1_3genE4ELNS1_11target_archE910ELNS1_3gpuE8ELNS1_3repE0EEENS1_44radix_sort_block_sort_config_static_selectorELNS0_4arch9wavefront6targetE0EEEvSJ_
	.p2align	8
	.type	_ZN7rocprim17ROCPRIM_400000_NS6detail17trampoline_kernelINS0_13kernel_configILj256ELj4ELj4294967295EEENS1_37radix_sort_block_sort_config_selectorIfNS0_10empty_typeEEEZNS1_21radix_sort_block_sortIS4_Lb0EN6thrust23THRUST_200600_302600_NS6detail15normal_iteratorINSA_10device_ptrIfEEEESF_PS6_SG_NS0_19identity_decomposerEEE10hipError_tT1_T2_T3_T4_jRjT5_jjP12ihipStream_tbEUlT_E_NS1_11comp_targetILNS1_3genE4ELNS1_11target_archE910ELNS1_3gpuE8ELNS1_3repE0EEENS1_44radix_sort_block_sort_config_static_selectorELNS0_4arch9wavefront6targetE0EEEvSJ_,@function
_ZN7rocprim17ROCPRIM_400000_NS6detail17trampoline_kernelINS0_13kernel_configILj256ELj4ELj4294967295EEENS1_37radix_sort_block_sort_config_selectorIfNS0_10empty_typeEEEZNS1_21radix_sort_block_sortIS4_Lb0EN6thrust23THRUST_200600_302600_NS6detail15normal_iteratorINSA_10device_ptrIfEEEESF_PS6_SG_NS0_19identity_decomposerEEE10hipError_tT1_T2_T3_T4_jRjT5_jjP12ihipStream_tbEUlT_E_NS1_11comp_targetILNS1_3genE4ELNS1_11target_archE910ELNS1_3gpuE8ELNS1_3repE0EEENS1_44radix_sort_block_sort_config_static_selectorELNS0_4arch9wavefront6targetE0EEEvSJ_: ; @_ZN7rocprim17ROCPRIM_400000_NS6detail17trampoline_kernelINS0_13kernel_configILj256ELj4ELj4294967295EEENS1_37radix_sort_block_sort_config_selectorIfNS0_10empty_typeEEEZNS1_21radix_sort_block_sortIS4_Lb0EN6thrust23THRUST_200600_302600_NS6detail15normal_iteratorINSA_10device_ptrIfEEEESF_PS6_SG_NS0_19identity_decomposerEEE10hipError_tT1_T2_T3_T4_jRjT5_jjP12ihipStream_tbEUlT_E_NS1_11comp_targetILNS1_3genE4ELNS1_11target_archE910ELNS1_3gpuE8ELNS1_3repE0EEENS1_44radix_sort_block_sort_config_static_selectorELNS0_4arch9wavefront6targetE0EEEvSJ_
; %bb.0:
	.section	.rodata,"a",@progbits
	.p2align	6, 0x0
	.amdhsa_kernel _ZN7rocprim17ROCPRIM_400000_NS6detail17trampoline_kernelINS0_13kernel_configILj256ELj4ELj4294967295EEENS1_37radix_sort_block_sort_config_selectorIfNS0_10empty_typeEEEZNS1_21radix_sort_block_sortIS4_Lb0EN6thrust23THRUST_200600_302600_NS6detail15normal_iteratorINSA_10device_ptrIfEEEESF_PS6_SG_NS0_19identity_decomposerEEE10hipError_tT1_T2_T3_T4_jRjT5_jjP12ihipStream_tbEUlT_E_NS1_11comp_targetILNS1_3genE4ELNS1_11target_archE910ELNS1_3gpuE8ELNS1_3repE0EEENS1_44radix_sort_block_sort_config_static_selectorELNS0_4arch9wavefront6targetE0EEEvSJ_
		.amdhsa_group_segment_fixed_size 0
		.amdhsa_private_segment_fixed_size 0
		.amdhsa_kernarg_size 48
		.amdhsa_user_sgpr_count 6
		.amdhsa_user_sgpr_private_segment_buffer 1
		.amdhsa_user_sgpr_dispatch_ptr 0
		.amdhsa_user_sgpr_queue_ptr 0
		.amdhsa_user_sgpr_kernarg_segment_ptr 1
		.amdhsa_user_sgpr_dispatch_id 0
		.amdhsa_user_sgpr_flat_scratch_init 0
		.amdhsa_user_sgpr_private_segment_size 0
		.amdhsa_wavefront_size32 1
		.amdhsa_uses_dynamic_stack 0
		.amdhsa_system_sgpr_private_segment_wavefront_offset 0
		.amdhsa_system_sgpr_workgroup_id_x 1
		.amdhsa_system_sgpr_workgroup_id_y 0
		.amdhsa_system_sgpr_workgroup_id_z 0
		.amdhsa_system_sgpr_workgroup_info 0
		.amdhsa_system_vgpr_workitem_id 0
		.amdhsa_next_free_vgpr 1
		.amdhsa_next_free_sgpr 1
		.amdhsa_reserve_vcc 0
		.amdhsa_reserve_flat_scratch 0
		.amdhsa_float_round_mode_32 0
		.amdhsa_float_round_mode_16_64 0
		.amdhsa_float_denorm_mode_32 3
		.amdhsa_float_denorm_mode_16_64 3
		.amdhsa_dx10_clamp 1
		.amdhsa_ieee_mode 1
		.amdhsa_fp16_overflow 0
		.amdhsa_workgroup_processor_mode 1
		.amdhsa_memory_ordered 1
		.amdhsa_forward_progress 1
		.amdhsa_shared_vgpr_count 0
		.amdhsa_exception_fp_ieee_invalid_op 0
		.amdhsa_exception_fp_denorm_src 0
		.amdhsa_exception_fp_ieee_div_zero 0
		.amdhsa_exception_fp_ieee_overflow 0
		.amdhsa_exception_fp_ieee_underflow 0
		.amdhsa_exception_fp_ieee_inexact 0
		.amdhsa_exception_int_div_zero 0
	.end_amdhsa_kernel
	.section	.text._ZN7rocprim17ROCPRIM_400000_NS6detail17trampoline_kernelINS0_13kernel_configILj256ELj4ELj4294967295EEENS1_37radix_sort_block_sort_config_selectorIfNS0_10empty_typeEEEZNS1_21radix_sort_block_sortIS4_Lb0EN6thrust23THRUST_200600_302600_NS6detail15normal_iteratorINSA_10device_ptrIfEEEESF_PS6_SG_NS0_19identity_decomposerEEE10hipError_tT1_T2_T3_T4_jRjT5_jjP12ihipStream_tbEUlT_E_NS1_11comp_targetILNS1_3genE4ELNS1_11target_archE910ELNS1_3gpuE8ELNS1_3repE0EEENS1_44radix_sort_block_sort_config_static_selectorELNS0_4arch9wavefront6targetE0EEEvSJ_,"axG",@progbits,_ZN7rocprim17ROCPRIM_400000_NS6detail17trampoline_kernelINS0_13kernel_configILj256ELj4ELj4294967295EEENS1_37radix_sort_block_sort_config_selectorIfNS0_10empty_typeEEEZNS1_21radix_sort_block_sortIS4_Lb0EN6thrust23THRUST_200600_302600_NS6detail15normal_iteratorINSA_10device_ptrIfEEEESF_PS6_SG_NS0_19identity_decomposerEEE10hipError_tT1_T2_T3_T4_jRjT5_jjP12ihipStream_tbEUlT_E_NS1_11comp_targetILNS1_3genE4ELNS1_11target_archE910ELNS1_3gpuE8ELNS1_3repE0EEENS1_44radix_sort_block_sort_config_static_selectorELNS0_4arch9wavefront6targetE0EEEvSJ_,comdat
.Lfunc_end459:
	.size	_ZN7rocprim17ROCPRIM_400000_NS6detail17trampoline_kernelINS0_13kernel_configILj256ELj4ELj4294967295EEENS1_37radix_sort_block_sort_config_selectorIfNS0_10empty_typeEEEZNS1_21radix_sort_block_sortIS4_Lb0EN6thrust23THRUST_200600_302600_NS6detail15normal_iteratorINSA_10device_ptrIfEEEESF_PS6_SG_NS0_19identity_decomposerEEE10hipError_tT1_T2_T3_T4_jRjT5_jjP12ihipStream_tbEUlT_E_NS1_11comp_targetILNS1_3genE4ELNS1_11target_archE910ELNS1_3gpuE8ELNS1_3repE0EEENS1_44radix_sort_block_sort_config_static_selectorELNS0_4arch9wavefront6targetE0EEEvSJ_, .Lfunc_end459-_ZN7rocprim17ROCPRIM_400000_NS6detail17trampoline_kernelINS0_13kernel_configILj256ELj4ELj4294967295EEENS1_37radix_sort_block_sort_config_selectorIfNS0_10empty_typeEEEZNS1_21radix_sort_block_sortIS4_Lb0EN6thrust23THRUST_200600_302600_NS6detail15normal_iteratorINSA_10device_ptrIfEEEESF_PS6_SG_NS0_19identity_decomposerEEE10hipError_tT1_T2_T3_T4_jRjT5_jjP12ihipStream_tbEUlT_E_NS1_11comp_targetILNS1_3genE4ELNS1_11target_archE910ELNS1_3gpuE8ELNS1_3repE0EEENS1_44radix_sort_block_sort_config_static_selectorELNS0_4arch9wavefront6targetE0EEEvSJ_
                                        ; -- End function
	.set _ZN7rocprim17ROCPRIM_400000_NS6detail17trampoline_kernelINS0_13kernel_configILj256ELj4ELj4294967295EEENS1_37radix_sort_block_sort_config_selectorIfNS0_10empty_typeEEEZNS1_21radix_sort_block_sortIS4_Lb0EN6thrust23THRUST_200600_302600_NS6detail15normal_iteratorINSA_10device_ptrIfEEEESF_PS6_SG_NS0_19identity_decomposerEEE10hipError_tT1_T2_T3_T4_jRjT5_jjP12ihipStream_tbEUlT_E_NS1_11comp_targetILNS1_3genE4ELNS1_11target_archE910ELNS1_3gpuE8ELNS1_3repE0EEENS1_44radix_sort_block_sort_config_static_selectorELNS0_4arch9wavefront6targetE0EEEvSJ_.num_vgpr, 0
	.set _ZN7rocprim17ROCPRIM_400000_NS6detail17trampoline_kernelINS0_13kernel_configILj256ELj4ELj4294967295EEENS1_37radix_sort_block_sort_config_selectorIfNS0_10empty_typeEEEZNS1_21radix_sort_block_sortIS4_Lb0EN6thrust23THRUST_200600_302600_NS6detail15normal_iteratorINSA_10device_ptrIfEEEESF_PS6_SG_NS0_19identity_decomposerEEE10hipError_tT1_T2_T3_T4_jRjT5_jjP12ihipStream_tbEUlT_E_NS1_11comp_targetILNS1_3genE4ELNS1_11target_archE910ELNS1_3gpuE8ELNS1_3repE0EEENS1_44radix_sort_block_sort_config_static_selectorELNS0_4arch9wavefront6targetE0EEEvSJ_.num_agpr, 0
	.set _ZN7rocprim17ROCPRIM_400000_NS6detail17trampoline_kernelINS0_13kernel_configILj256ELj4ELj4294967295EEENS1_37radix_sort_block_sort_config_selectorIfNS0_10empty_typeEEEZNS1_21radix_sort_block_sortIS4_Lb0EN6thrust23THRUST_200600_302600_NS6detail15normal_iteratorINSA_10device_ptrIfEEEESF_PS6_SG_NS0_19identity_decomposerEEE10hipError_tT1_T2_T3_T4_jRjT5_jjP12ihipStream_tbEUlT_E_NS1_11comp_targetILNS1_3genE4ELNS1_11target_archE910ELNS1_3gpuE8ELNS1_3repE0EEENS1_44radix_sort_block_sort_config_static_selectorELNS0_4arch9wavefront6targetE0EEEvSJ_.numbered_sgpr, 0
	.set _ZN7rocprim17ROCPRIM_400000_NS6detail17trampoline_kernelINS0_13kernel_configILj256ELj4ELj4294967295EEENS1_37radix_sort_block_sort_config_selectorIfNS0_10empty_typeEEEZNS1_21radix_sort_block_sortIS4_Lb0EN6thrust23THRUST_200600_302600_NS6detail15normal_iteratorINSA_10device_ptrIfEEEESF_PS6_SG_NS0_19identity_decomposerEEE10hipError_tT1_T2_T3_T4_jRjT5_jjP12ihipStream_tbEUlT_E_NS1_11comp_targetILNS1_3genE4ELNS1_11target_archE910ELNS1_3gpuE8ELNS1_3repE0EEENS1_44radix_sort_block_sort_config_static_selectorELNS0_4arch9wavefront6targetE0EEEvSJ_.num_named_barrier, 0
	.set _ZN7rocprim17ROCPRIM_400000_NS6detail17trampoline_kernelINS0_13kernel_configILj256ELj4ELj4294967295EEENS1_37radix_sort_block_sort_config_selectorIfNS0_10empty_typeEEEZNS1_21radix_sort_block_sortIS4_Lb0EN6thrust23THRUST_200600_302600_NS6detail15normal_iteratorINSA_10device_ptrIfEEEESF_PS6_SG_NS0_19identity_decomposerEEE10hipError_tT1_T2_T3_T4_jRjT5_jjP12ihipStream_tbEUlT_E_NS1_11comp_targetILNS1_3genE4ELNS1_11target_archE910ELNS1_3gpuE8ELNS1_3repE0EEENS1_44radix_sort_block_sort_config_static_selectorELNS0_4arch9wavefront6targetE0EEEvSJ_.private_seg_size, 0
	.set _ZN7rocprim17ROCPRIM_400000_NS6detail17trampoline_kernelINS0_13kernel_configILj256ELj4ELj4294967295EEENS1_37radix_sort_block_sort_config_selectorIfNS0_10empty_typeEEEZNS1_21radix_sort_block_sortIS4_Lb0EN6thrust23THRUST_200600_302600_NS6detail15normal_iteratorINSA_10device_ptrIfEEEESF_PS6_SG_NS0_19identity_decomposerEEE10hipError_tT1_T2_T3_T4_jRjT5_jjP12ihipStream_tbEUlT_E_NS1_11comp_targetILNS1_3genE4ELNS1_11target_archE910ELNS1_3gpuE8ELNS1_3repE0EEENS1_44radix_sort_block_sort_config_static_selectorELNS0_4arch9wavefront6targetE0EEEvSJ_.uses_vcc, 0
	.set _ZN7rocprim17ROCPRIM_400000_NS6detail17trampoline_kernelINS0_13kernel_configILj256ELj4ELj4294967295EEENS1_37radix_sort_block_sort_config_selectorIfNS0_10empty_typeEEEZNS1_21radix_sort_block_sortIS4_Lb0EN6thrust23THRUST_200600_302600_NS6detail15normal_iteratorINSA_10device_ptrIfEEEESF_PS6_SG_NS0_19identity_decomposerEEE10hipError_tT1_T2_T3_T4_jRjT5_jjP12ihipStream_tbEUlT_E_NS1_11comp_targetILNS1_3genE4ELNS1_11target_archE910ELNS1_3gpuE8ELNS1_3repE0EEENS1_44radix_sort_block_sort_config_static_selectorELNS0_4arch9wavefront6targetE0EEEvSJ_.uses_flat_scratch, 0
	.set _ZN7rocprim17ROCPRIM_400000_NS6detail17trampoline_kernelINS0_13kernel_configILj256ELj4ELj4294967295EEENS1_37radix_sort_block_sort_config_selectorIfNS0_10empty_typeEEEZNS1_21radix_sort_block_sortIS4_Lb0EN6thrust23THRUST_200600_302600_NS6detail15normal_iteratorINSA_10device_ptrIfEEEESF_PS6_SG_NS0_19identity_decomposerEEE10hipError_tT1_T2_T3_T4_jRjT5_jjP12ihipStream_tbEUlT_E_NS1_11comp_targetILNS1_3genE4ELNS1_11target_archE910ELNS1_3gpuE8ELNS1_3repE0EEENS1_44radix_sort_block_sort_config_static_selectorELNS0_4arch9wavefront6targetE0EEEvSJ_.has_dyn_sized_stack, 0
	.set _ZN7rocprim17ROCPRIM_400000_NS6detail17trampoline_kernelINS0_13kernel_configILj256ELj4ELj4294967295EEENS1_37radix_sort_block_sort_config_selectorIfNS0_10empty_typeEEEZNS1_21radix_sort_block_sortIS4_Lb0EN6thrust23THRUST_200600_302600_NS6detail15normal_iteratorINSA_10device_ptrIfEEEESF_PS6_SG_NS0_19identity_decomposerEEE10hipError_tT1_T2_T3_T4_jRjT5_jjP12ihipStream_tbEUlT_E_NS1_11comp_targetILNS1_3genE4ELNS1_11target_archE910ELNS1_3gpuE8ELNS1_3repE0EEENS1_44radix_sort_block_sort_config_static_selectorELNS0_4arch9wavefront6targetE0EEEvSJ_.has_recursion, 0
	.set _ZN7rocprim17ROCPRIM_400000_NS6detail17trampoline_kernelINS0_13kernel_configILj256ELj4ELj4294967295EEENS1_37radix_sort_block_sort_config_selectorIfNS0_10empty_typeEEEZNS1_21radix_sort_block_sortIS4_Lb0EN6thrust23THRUST_200600_302600_NS6detail15normal_iteratorINSA_10device_ptrIfEEEESF_PS6_SG_NS0_19identity_decomposerEEE10hipError_tT1_T2_T3_T4_jRjT5_jjP12ihipStream_tbEUlT_E_NS1_11comp_targetILNS1_3genE4ELNS1_11target_archE910ELNS1_3gpuE8ELNS1_3repE0EEENS1_44radix_sort_block_sort_config_static_selectorELNS0_4arch9wavefront6targetE0EEEvSJ_.has_indirect_call, 0
	.section	.AMDGPU.csdata,"",@progbits
; Kernel info:
; codeLenInByte = 0
; TotalNumSgprs: 0
; NumVgprs: 0
; ScratchSize: 0
; MemoryBound: 0
; FloatMode: 240
; IeeeMode: 1
; LDSByteSize: 0 bytes/workgroup (compile time only)
; SGPRBlocks: 0
; VGPRBlocks: 0
; NumSGPRsForWavesPerEU: 1
; NumVGPRsForWavesPerEU: 1
; Occupancy: 16
; WaveLimiterHint : 0
; COMPUTE_PGM_RSRC2:SCRATCH_EN: 0
; COMPUTE_PGM_RSRC2:USER_SGPR: 6
; COMPUTE_PGM_RSRC2:TRAP_HANDLER: 0
; COMPUTE_PGM_RSRC2:TGID_X_EN: 1
; COMPUTE_PGM_RSRC2:TGID_Y_EN: 0
; COMPUTE_PGM_RSRC2:TGID_Z_EN: 0
; COMPUTE_PGM_RSRC2:TIDIG_COMP_CNT: 0
	.section	.text._ZN7rocprim17ROCPRIM_400000_NS6detail17trampoline_kernelINS0_13kernel_configILj256ELj4ELj4294967295EEENS1_37radix_sort_block_sort_config_selectorIfNS0_10empty_typeEEEZNS1_21radix_sort_block_sortIS4_Lb0EN6thrust23THRUST_200600_302600_NS6detail15normal_iteratorINSA_10device_ptrIfEEEESF_PS6_SG_NS0_19identity_decomposerEEE10hipError_tT1_T2_T3_T4_jRjT5_jjP12ihipStream_tbEUlT_E_NS1_11comp_targetILNS1_3genE3ELNS1_11target_archE908ELNS1_3gpuE7ELNS1_3repE0EEENS1_44radix_sort_block_sort_config_static_selectorELNS0_4arch9wavefront6targetE0EEEvSJ_,"axG",@progbits,_ZN7rocprim17ROCPRIM_400000_NS6detail17trampoline_kernelINS0_13kernel_configILj256ELj4ELj4294967295EEENS1_37radix_sort_block_sort_config_selectorIfNS0_10empty_typeEEEZNS1_21radix_sort_block_sortIS4_Lb0EN6thrust23THRUST_200600_302600_NS6detail15normal_iteratorINSA_10device_ptrIfEEEESF_PS6_SG_NS0_19identity_decomposerEEE10hipError_tT1_T2_T3_T4_jRjT5_jjP12ihipStream_tbEUlT_E_NS1_11comp_targetILNS1_3genE3ELNS1_11target_archE908ELNS1_3gpuE7ELNS1_3repE0EEENS1_44radix_sort_block_sort_config_static_selectorELNS0_4arch9wavefront6targetE0EEEvSJ_,comdat
	.protected	_ZN7rocprim17ROCPRIM_400000_NS6detail17trampoline_kernelINS0_13kernel_configILj256ELj4ELj4294967295EEENS1_37radix_sort_block_sort_config_selectorIfNS0_10empty_typeEEEZNS1_21radix_sort_block_sortIS4_Lb0EN6thrust23THRUST_200600_302600_NS6detail15normal_iteratorINSA_10device_ptrIfEEEESF_PS6_SG_NS0_19identity_decomposerEEE10hipError_tT1_T2_T3_T4_jRjT5_jjP12ihipStream_tbEUlT_E_NS1_11comp_targetILNS1_3genE3ELNS1_11target_archE908ELNS1_3gpuE7ELNS1_3repE0EEENS1_44radix_sort_block_sort_config_static_selectorELNS0_4arch9wavefront6targetE0EEEvSJ_ ; -- Begin function _ZN7rocprim17ROCPRIM_400000_NS6detail17trampoline_kernelINS0_13kernel_configILj256ELj4ELj4294967295EEENS1_37radix_sort_block_sort_config_selectorIfNS0_10empty_typeEEEZNS1_21radix_sort_block_sortIS4_Lb0EN6thrust23THRUST_200600_302600_NS6detail15normal_iteratorINSA_10device_ptrIfEEEESF_PS6_SG_NS0_19identity_decomposerEEE10hipError_tT1_T2_T3_T4_jRjT5_jjP12ihipStream_tbEUlT_E_NS1_11comp_targetILNS1_3genE3ELNS1_11target_archE908ELNS1_3gpuE7ELNS1_3repE0EEENS1_44radix_sort_block_sort_config_static_selectorELNS0_4arch9wavefront6targetE0EEEvSJ_
	.globl	_ZN7rocprim17ROCPRIM_400000_NS6detail17trampoline_kernelINS0_13kernel_configILj256ELj4ELj4294967295EEENS1_37radix_sort_block_sort_config_selectorIfNS0_10empty_typeEEEZNS1_21radix_sort_block_sortIS4_Lb0EN6thrust23THRUST_200600_302600_NS6detail15normal_iteratorINSA_10device_ptrIfEEEESF_PS6_SG_NS0_19identity_decomposerEEE10hipError_tT1_T2_T3_T4_jRjT5_jjP12ihipStream_tbEUlT_E_NS1_11comp_targetILNS1_3genE3ELNS1_11target_archE908ELNS1_3gpuE7ELNS1_3repE0EEENS1_44radix_sort_block_sort_config_static_selectorELNS0_4arch9wavefront6targetE0EEEvSJ_
	.p2align	8
	.type	_ZN7rocprim17ROCPRIM_400000_NS6detail17trampoline_kernelINS0_13kernel_configILj256ELj4ELj4294967295EEENS1_37radix_sort_block_sort_config_selectorIfNS0_10empty_typeEEEZNS1_21radix_sort_block_sortIS4_Lb0EN6thrust23THRUST_200600_302600_NS6detail15normal_iteratorINSA_10device_ptrIfEEEESF_PS6_SG_NS0_19identity_decomposerEEE10hipError_tT1_T2_T3_T4_jRjT5_jjP12ihipStream_tbEUlT_E_NS1_11comp_targetILNS1_3genE3ELNS1_11target_archE908ELNS1_3gpuE7ELNS1_3repE0EEENS1_44radix_sort_block_sort_config_static_selectorELNS0_4arch9wavefront6targetE0EEEvSJ_,@function
_ZN7rocprim17ROCPRIM_400000_NS6detail17trampoline_kernelINS0_13kernel_configILj256ELj4ELj4294967295EEENS1_37radix_sort_block_sort_config_selectorIfNS0_10empty_typeEEEZNS1_21radix_sort_block_sortIS4_Lb0EN6thrust23THRUST_200600_302600_NS6detail15normal_iteratorINSA_10device_ptrIfEEEESF_PS6_SG_NS0_19identity_decomposerEEE10hipError_tT1_T2_T3_T4_jRjT5_jjP12ihipStream_tbEUlT_E_NS1_11comp_targetILNS1_3genE3ELNS1_11target_archE908ELNS1_3gpuE7ELNS1_3repE0EEENS1_44radix_sort_block_sort_config_static_selectorELNS0_4arch9wavefront6targetE0EEEvSJ_: ; @_ZN7rocprim17ROCPRIM_400000_NS6detail17trampoline_kernelINS0_13kernel_configILj256ELj4ELj4294967295EEENS1_37radix_sort_block_sort_config_selectorIfNS0_10empty_typeEEEZNS1_21radix_sort_block_sortIS4_Lb0EN6thrust23THRUST_200600_302600_NS6detail15normal_iteratorINSA_10device_ptrIfEEEESF_PS6_SG_NS0_19identity_decomposerEEE10hipError_tT1_T2_T3_T4_jRjT5_jjP12ihipStream_tbEUlT_E_NS1_11comp_targetILNS1_3genE3ELNS1_11target_archE908ELNS1_3gpuE7ELNS1_3repE0EEENS1_44radix_sort_block_sort_config_static_selectorELNS0_4arch9wavefront6targetE0EEEvSJ_
; %bb.0:
	.section	.rodata,"a",@progbits
	.p2align	6, 0x0
	.amdhsa_kernel _ZN7rocprim17ROCPRIM_400000_NS6detail17trampoline_kernelINS0_13kernel_configILj256ELj4ELj4294967295EEENS1_37radix_sort_block_sort_config_selectorIfNS0_10empty_typeEEEZNS1_21radix_sort_block_sortIS4_Lb0EN6thrust23THRUST_200600_302600_NS6detail15normal_iteratorINSA_10device_ptrIfEEEESF_PS6_SG_NS0_19identity_decomposerEEE10hipError_tT1_T2_T3_T4_jRjT5_jjP12ihipStream_tbEUlT_E_NS1_11comp_targetILNS1_3genE3ELNS1_11target_archE908ELNS1_3gpuE7ELNS1_3repE0EEENS1_44radix_sort_block_sort_config_static_selectorELNS0_4arch9wavefront6targetE0EEEvSJ_
		.amdhsa_group_segment_fixed_size 0
		.amdhsa_private_segment_fixed_size 0
		.amdhsa_kernarg_size 48
		.amdhsa_user_sgpr_count 6
		.amdhsa_user_sgpr_private_segment_buffer 1
		.amdhsa_user_sgpr_dispatch_ptr 0
		.amdhsa_user_sgpr_queue_ptr 0
		.amdhsa_user_sgpr_kernarg_segment_ptr 1
		.amdhsa_user_sgpr_dispatch_id 0
		.amdhsa_user_sgpr_flat_scratch_init 0
		.amdhsa_user_sgpr_private_segment_size 0
		.amdhsa_wavefront_size32 1
		.amdhsa_uses_dynamic_stack 0
		.amdhsa_system_sgpr_private_segment_wavefront_offset 0
		.amdhsa_system_sgpr_workgroup_id_x 1
		.amdhsa_system_sgpr_workgroup_id_y 0
		.amdhsa_system_sgpr_workgroup_id_z 0
		.amdhsa_system_sgpr_workgroup_info 0
		.amdhsa_system_vgpr_workitem_id 0
		.amdhsa_next_free_vgpr 1
		.amdhsa_next_free_sgpr 1
		.amdhsa_reserve_vcc 0
		.amdhsa_reserve_flat_scratch 0
		.amdhsa_float_round_mode_32 0
		.amdhsa_float_round_mode_16_64 0
		.amdhsa_float_denorm_mode_32 3
		.amdhsa_float_denorm_mode_16_64 3
		.amdhsa_dx10_clamp 1
		.amdhsa_ieee_mode 1
		.amdhsa_fp16_overflow 0
		.amdhsa_workgroup_processor_mode 1
		.amdhsa_memory_ordered 1
		.amdhsa_forward_progress 1
		.amdhsa_shared_vgpr_count 0
		.amdhsa_exception_fp_ieee_invalid_op 0
		.amdhsa_exception_fp_denorm_src 0
		.amdhsa_exception_fp_ieee_div_zero 0
		.amdhsa_exception_fp_ieee_overflow 0
		.amdhsa_exception_fp_ieee_underflow 0
		.amdhsa_exception_fp_ieee_inexact 0
		.amdhsa_exception_int_div_zero 0
	.end_amdhsa_kernel
	.section	.text._ZN7rocprim17ROCPRIM_400000_NS6detail17trampoline_kernelINS0_13kernel_configILj256ELj4ELj4294967295EEENS1_37radix_sort_block_sort_config_selectorIfNS0_10empty_typeEEEZNS1_21radix_sort_block_sortIS4_Lb0EN6thrust23THRUST_200600_302600_NS6detail15normal_iteratorINSA_10device_ptrIfEEEESF_PS6_SG_NS0_19identity_decomposerEEE10hipError_tT1_T2_T3_T4_jRjT5_jjP12ihipStream_tbEUlT_E_NS1_11comp_targetILNS1_3genE3ELNS1_11target_archE908ELNS1_3gpuE7ELNS1_3repE0EEENS1_44radix_sort_block_sort_config_static_selectorELNS0_4arch9wavefront6targetE0EEEvSJ_,"axG",@progbits,_ZN7rocprim17ROCPRIM_400000_NS6detail17trampoline_kernelINS0_13kernel_configILj256ELj4ELj4294967295EEENS1_37radix_sort_block_sort_config_selectorIfNS0_10empty_typeEEEZNS1_21radix_sort_block_sortIS4_Lb0EN6thrust23THRUST_200600_302600_NS6detail15normal_iteratorINSA_10device_ptrIfEEEESF_PS6_SG_NS0_19identity_decomposerEEE10hipError_tT1_T2_T3_T4_jRjT5_jjP12ihipStream_tbEUlT_E_NS1_11comp_targetILNS1_3genE3ELNS1_11target_archE908ELNS1_3gpuE7ELNS1_3repE0EEENS1_44radix_sort_block_sort_config_static_selectorELNS0_4arch9wavefront6targetE0EEEvSJ_,comdat
.Lfunc_end460:
	.size	_ZN7rocprim17ROCPRIM_400000_NS6detail17trampoline_kernelINS0_13kernel_configILj256ELj4ELj4294967295EEENS1_37radix_sort_block_sort_config_selectorIfNS0_10empty_typeEEEZNS1_21radix_sort_block_sortIS4_Lb0EN6thrust23THRUST_200600_302600_NS6detail15normal_iteratorINSA_10device_ptrIfEEEESF_PS6_SG_NS0_19identity_decomposerEEE10hipError_tT1_T2_T3_T4_jRjT5_jjP12ihipStream_tbEUlT_E_NS1_11comp_targetILNS1_3genE3ELNS1_11target_archE908ELNS1_3gpuE7ELNS1_3repE0EEENS1_44radix_sort_block_sort_config_static_selectorELNS0_4arch9wavefront6targetE0EEEvSJ_, .Lfunc_end460-_ZN7rocprim17ROCPRIM_400000_NS6detail17trampoline_kernelINS0_13kernel_configILj256ELj4ELj4294967295EEENS1_37radix_sort_block_sort_config_selectorIfNS0_10empty_typeEEEZNS1_21radix_sort_block_sortIS4_Lb0EN6thrust23THRUST_200600_302600_NS6detail15normal_iteratorINSA_10device_ptrIfEEEESF_PS6_SG_NS0_19identity_decomposerEEE10hipError_tT1_T2_T3_T4_jRjT5_jjP12ihipStream_tbEUlT_E_NS1_11comp_targetILNS1_3genE3ELNS1_11target_archE908ELNS1_3gpuE7ELNS1_3repE0EEENS1_44radix_sort_block_sort_config_static_selectorELNS0_4arch9wavefront6targetE0EEEvSJ_
                                        ; -- End function
	.set _ZN7rocprim17ROCPRIM_400000_NS6detail17trampoline_kernelINS0_13kernel_configILj256ELj4ELj4294967295EEENS1_37radix_sort_block_sort_config_selectorIfNS0_10empty_typeEEEZNS1_21radix_sort_block_sortIS4_Lb0EN6thrust23THRUST_200600_302600_NS6detail15normal_iteratorINSA_10device_ptrIfEEEESF_PS6_SG_NS0_19identity_decomposerEEE10hipError_tT1_T2_T3_T4_jRjT5_jjP12ihipStream_tbEUlT_E_NS1_11comp_targetILNS1_3genE3ELNS1_11target_archE908ELNS1_3gpuE7ELNS1_3repE0EEENS1_44radix_sort_block_sort_config_static_selectorELNS0_4arch9wavefront6targetE0EEEvSJ_.num_vgpr, 0
	.set _ZN7rocprim17ROCPRIM_400000_NS6detail17trampoline_kernelINS0_13kernel_configILj256ELj4ELj4294967295EEENS1_37radix_sort_block_sort_config_selectorIfNS0_10empty_typeEEEZNS1_21radix_sort_block_sortIS4_Lb0EN6thrust23THRUST_200600_302600_NS6detail15normal_iteratorINSA_10device_ptrIfEEEESF_PS6_SG_NS0_19identity_decomposerEEE10hipError_tT1_T2_T3_T4_jRjT5_jjP12ihipStream_tbEUlT_E_NS1_11comp_targetILNS1_3genE3ELNS1_11target_archE908ELNS1_3gpuE7ELNS1_3repE0EEENS1_44radix_sort_block_sort_config_static_selectorELNS0_4arch9wavefront6targetE0EEEvSJ_.num_agpr, 0
	.set _ZN7rocprim17ROCPRIM_400000_NS6detail17trampoline_kernelINS0_13kernel_configILj256ELj4ELj4294967295EEENS1_37radix_sort_block_sort_config_selectorIfNS0_10empty_typeEEEZNS1_21radix_sort_block_sortIS4_Lb0EN6thrust23THRUST_200600_302600_NS6detail15normal_iteratorINSA_10device_ptrIfEEEESF_PS6_SG_NS0_19identity_decomposerEEE10hipError_tT1_T2_T3_T4_jRjT5_jjP12ihipStream_tbEUlT_E_NS1_11comp_targetILNS1_3genE3ELNS1_11target_archE908ELNS1_3gpuE7ELNS1_3repE0EEENS1_44radix_sort_block_sort_config_static_selectorELNS0_4arch9wavefront6targetE0EEEvSJ_.numbered_sgpr, 0
	.set _ZN7rocprim17ROCPRIM_400000_NS6detail17trampoline_kernelINS0_13kernel_configILj256ELj4ELj4294967295EEENS1_37radix_sort_block_sort_config_selectorIfNS0_10empty_typeEEEZNS1_21radix_sort_block_sortIS4_Lb0EN6thrust23THRUST_200600_302600_NS6detail15normal_iteratorINSA_10device_ptrIfEEEESF_PS6_SG_NS0_19identity_decomposerEEE10hipError_tT1_T2_T3_T4_jRjT5_jjP12ihipStream_tbEUlT_E_NS1_11comp_targetILNS1_3genE3ELNS1_11target_archE908ELNS1_3gpuE7ELNS1_3repE0EEENS1_44radix_sort_block_sort_config_static_selectorELNS0_4arch9wavefront6targetE0EEEvSJ_.num_named_barrier, 0
	.set _ZN7rocprim17ROCPRIM_400000_NS6detail17trampoline_kernelINS0_13kernel_configILj256ELj4ELj4294967295EEENS1_37radix_sort_block_sort_config_selectorIfNS0_10empty_typeEEEZNS1_21radix_sort_block_sortIS4_Lb0EN6thrust23THRUST_200600_302600_NS6detail15normal_iteratorINSA_10device_ptrIfEEEESF_PS6_SG_NS0_19identity_decomposerEEE10hipError_tT1_T2_T3_T4_jRjT5_jjP12ihipStream_tbEUlT_E_NS1_11comp_targetILNS1_3genE3ELNS1_11target_archE908ELNS1_3gpuE7ELNS1_3repE0EEENS1_44radix_sort_block_sort_config_static_selectorELNS0_4arch9wavefront6targetE0EEEvSJ_.private_seg_size, 0
	.set _ZN7rocprim17ROCPRIM_400000_NS6detail17trampoline_kernelINS0_13kernel_configILj256ELj4ELj4294967295EEENS1_37radix_sort_block_sort_config_selectorIfNS0_10empty_typeEEEZNS1_21radix_sort_block_sortIS4_Lb0EN6thrust23THRUST_200600_302600_NS6detail15normal_iteratorINSA_10device_ptrIfEEEESF_PS6_SG_NS0_19identity_decomposerEEE10hipError_tT1_T2_T3_T4_jRjT5_jjP12ihipStream_tbEUlT_E_NS1_11comp_targetILNS1_3genE3ELNS1_11target_archE908ELNS1_3gpuE7ELNS1_3repE0EEENS1_44radix_sort_block_sort_config_static_selectorELNS0_4arch9wavefront6targetE0EEEvSJ_.uses_vcc, 0
	.set _ZN7rocprim17ROCPRIM_400000_NS6detail17trampoline_kernelINS0_13kernel_configILj256ELj4ELj4294967295EEENS1_37radix_sort_block_sort_config_selectorIfNS0_10empty_typeEEEZNS1_21radix_sort_block_sortIS4_Lb0EN6thrust23THRUST_200600_302600_NS6detail15normal_iteratorINSA_10device_ptrIfEEEESF_PS6_SG_NS0_19identity_decomposerEEE10hipError_tT1_T2_T3_T4_jRjT5_jjP12ihipStream_tbEUlT_E_NS1_11comp_targetILNS1_3genE3ELNS1_11target_archE908ELNS1_3gpuE7ELNS1_3repE0EEENS1_44radix_sort_block_sort_config_static_selectorELNS0_4arch9wavefront6targetE0EEEvSJ_.uses_flat_scratch, 0
	.set _ZN7rocprim17ROCPRIM_400000_NS6detail17trampoline_kernelINS0_13kernel_configILj256ELj4ELj4294967295EEENS1_37radix_sort_block_sort_config_selectorIfNS0_10empty_typeEEEZNS1_21radix_sort_block_sortIS4_Lb0EN6thrust23THRUST_200600_302600_NS6detail15normal_iteratorINSA_10device_ptrIfEEEESF_PS6_SG_NS0_19identity_decomposerEEE10hipError_tT1_T2_T3_T4_jRjT5_jjP12ihipStream_tbEUlT_E_NS1_11comp_targetILNS1_3genE3ELNS1_11target_archE908ELNS1_3gpuE7ELNS1_3repE0EEENS1_44radix_sort_block_sort_config_static_selectorELNS0_4arch9wavefront6targetE0EEEvSJ_.has_dyn_sized_stack, 0
	.set _ZN7rocprim17ROCPRIM_400000_NS6detail17trampoline_kernelINS0_13kernel_configILj256ELj4ELj4294967295EEENS1_37radix_sort_block_sort_config_selectorIfNS0_10empty_typeEEEZNS1_21radix_sort_block_sortIS4_Lb0EN6thrust23THRUST_200600_302600_NS6detail15normal_iteratorINSA_10device_ptrIfEEEESF_PS6_SG_NS0_19identity_decomposerEEE10hipError_tT1_T2_T3_T4_jRjT5_jjP12ihipStream_tbEUlT_E_NS1_11comp_targetILNS1_3genE3ELNS1_11target_archE908ELNS1_3gpuE7ELNS1_3repE0EEENS1_44radix_sort_block_sort_config_static_selectorELNS0_4arch9wavefront6targetE0EEEvSJ_.has_recursion, 0
	.set _ZN7rocprim17ROCPRIM_400000_NS6detail17trampoline_kernelINS0_13kernel_configILj256ELj4ELj4294967295EEENS1_37radix_sort_block_sort_config_selectorIfNS0_10empty_typeEEEZNS1_21radix_sort_block_sortIS4_Lb0EN6thrust23THRUST_200600_302600_NS6detail15normal_iteratorINSA_10device_ptrIfEEEESF_PS6_SG_NS0_19identity_decomposerEEE10hipError_tT1_T2_T3_T4_jRjT5_jjP12ihipStream_tbEUlT_E_NS1_11comp_targetILNS1_3genE3ELNS1_11target_archE908ELNS1_3gpuE7ELNS1_3repE0EEENS1_44radix_sort_block_sort_config_static_selectorELNS0_4arch9wavefront6targetE0EEEvSJ_.has_indirect_call, 0
	.section	.AMDGPU.csdata,"",@progbits
; Kernel info:
; codeLenInByte = 0
; TotalNumSgprs: 0
; NumVgprs: 0
; ScratchSize: 0
; MemoryBound: 0
; FloatMode: 240
; IeeeMode: 1
; LDSByteSize: 0 bytes/workgroup (compile time only)
; SGPRBlocks: 0
; VGPRBlocks: 0
; NumSGPRsForWavesPerEU: 1
; NumVGPRsForWavesPerEU: 1
; Occupancy: 16
; WaveLimiterHint : 0
; COMPUTE_PGM_RSRC2:SCRATCH_EN: 0
; COMPUTE_PGM_RSRC2:USER_SGPR: 6
; COMPUTE_PGM_RSRC2:TRAP_HANDLER: 0
; COMPUTE_PGM_RSRC2:TGID_X_EN: 1
; COMPUTE_PGM_RSRC2:TGID_Y_EN: 0
; COMPUTE_PGM_RSRC2:TGID_Z_EN: 0
; COMPUTE_PGM_RSRC2:TIDIG_COMP_CNT: 0
	.section	.text._ZN7rocprim17ROCPRIM_400000_NS6detail17trampoline_kernelINS0_13kernel_configILj256ELj4ELj4294967295EEENS1_37radix_sort_block_sort_config_selectorIfNS0_10empty_typeEEEZNS1_21radix_sort_block_sortIS4_Lb0EN6thrust23THRUST_200600_302600_NS6detail15normal_iteratorINSA_10device_ptrIfEEEESF_PS6_SG_NS0_19identity_decomposerEEE10hipError_tT1_T2_T3_T4_jRjT5_jjP12ihipStream_tbEUlT_E_NS1_11comp_targetILNS1_3genE2ELNS1_11target_archE906ELNS1_3gpuE6ELNS1_3repE0EEENS1_44radix_sort_block_sort_config_static_selectorELNS0_4arch9wavefront6targetE0EEEvSJ_,"axG",@progbits,_ZN7rocprim17ROCPRIM_400000_NS6detail17trampoline_kernelINS0_13kernel_configILj256ELj4ELj4294967295EEENS1_37radix_sort_block_sort_config_selectorIfNS0_10empty_typeEEEZNS1_21radix_sort_block_sortIS4_Lb0EN6thrust23THRUST_200600_302600_NS6detail15normal_iteratorINSA_10device_ptrIfEEEESF_PS6_SG_NS0_19identity_decomposerEEE10hipError_tT1_T2_T3_T4_jRjT5_jjP12ihipStream_tbEUlT_E_NS1_11comp_targetILNS1_3genE2ELNS1_11target_archE906ELNS1_3gpuE6ELNS1_3repE0EEENS1_44radix_sort_block_sort_config_static_selectorELNS0_4arch9wavefront6targetE0EEEvSJ_,comdat
	.protected	_ZN7rocprim17ROCPRIM_400000_NS6detail17trampoline_kernelINS0_13kernel_configILj256ELj4ELj4294967295EEENS1_37radix_sort_block_sort_config_selectorIfNS0_10empty_typeEEEZNS1_21radix_sort_block_sortIS4_Lb0EN6thrust23THRUST_200600_302600_NS6detail15normal_iteratorINSA_10device_ptrIfEEEESF_PS6_SG_NS0_19identity_decomposerEEE10hipError_tT1_T2_T3_T4_jRjT5_jjP12ihipStream_tbEUlT_E_NS1_11comp_targetILNS1_3genE2ELNS1_11target_archE906ELNS1_3gpuE6ELNS1_3repE0EEENS1_44radix_sort_block_sort_config_static_selectorELNS0_4arch9wavefront6targetE0EEEvSJ_ ; -- Begin function _ZN7rocprim17ROCPRIM_400000_NS6detail17trampoline_kernelINS0_13kernel_configILj256ELj4ELj4294967295EEENS1_37radix_sort_block_sort_config_selectorIfNS0_10empty_typeEEEZNS1_21radix_sort_block_sortIS4_Lb0EN6thrust23THRUST_200600_302600_NS6detail15normal_iteratorINSA_10device_ptrIfEEEESF_PS6_SG_NS0_19identity_decomposerEEE10hipError_tT1_T2_T3_T4_jRjT5_jjP12ihipStream_tbEUlT_E_NS1_11comp_targetILNS1_3genE2ELNS1_11target_archE906ELNS1_3gpuE6ELNS1_3repE0EEENS1_44radix_sort_block_sort_config_static_selectorELNS0_4arch9wavefront6targetE0EEEvSJ_
	.globl	_ZN7rocprim17ROCPRIM_400000_NS6detail17trampoline_kernelINS0_13kernel_configILj256ELj4ELj4294967295EEENS1_37radix_sort_block_sort_config_selectorIfNS0_10empty_typeEEEZNS1_21radix_sort_block_sortIS4_Lb0EN6thrust23THRUST_200600_302600_NS6detail15normal_iteratorINSA_10device_ptrIfEEEESF_PS6_SG_NS0_19identity_decomposerEEE10hipError_tT1_T2_T3_T4_jRjT5_jjP12ihipStream_tbEUlT_E_NS1_11comp_targetILNS1_3genE2ELNS1_11target_archE906ELNS1_3gpuE6ELNS1_3repE0EEENS1_44radix_sort_block_sort_config_static_selectorELNS0_4arch9wavefront6targetE0EEEvSJ_
	.p2align	8
	.type	_ZN7rocprim17ROCPRIM_400000_NS6detail17trampoline_kernelINS0_13kernel_configILj256ELj4ELj4294967295EEENS1_37radix_sort_block_sort_config_selectorIfNS0_10empty_typeEEEZNS1_21radix_sort_block_sortIS4_Lb0EN6thrust23THRUST_200600_302600_NS6detail15normal_iteratorINSA_10device_ptrIfEEEESF_PS6_SG_NS0_19identity_decomposerEEE10hipError_tT1_T2_T3_T4_jRjT5_jjP12ihipStream_tbEUlT_E_NS1_11comp_targetILNS1_3genE2ELNS1_11target_archE906ELNS1_3gpuE6ELNS1_3repE0EEENS1_44radix_sort_block_sort_config_static_selectorELNS0_4arch9wavefront6targetE0EEEvSJ_,@function
_ZN7rocprim17ROCPRIM_400000_NS6detail17trampoline_kernelINS0_13kernel_configILj256ELj4ELj4294967295EEENS1_37radix_sort_block_sort_config_selectorIfNS0_10empty_typeEEEZNS1_21radix_sort_block_sortIS4_Lb0EN6thrust23THRUST_200600_302600_NS6detail15normal_iteratorINSA_10device_ptrIfEEEESF_PS6_SG_NS0_19identity_decomposerEEE10hipError_tT1_T2_T3_T4_jRjT5_jjP12ihipStream_tbEUlT_E_NS1_11comp_targetILNS1_3genE2ELNS1_11target_archE906ELNS1_3gpuE6ELNS1_3repE0EEENS1_44radix_sort_block_sort_config_static_selectorELNS0_4arch9wavefront6targetE0EEEvSJ_: ; @_ZN7rocprim17ROCPRIM_400000_NS6detail17trampoline_kernelINS0_13kernel_configILj256ELj4ELj4294967295EEENS1_37radix_sort_block_sort_config_selectorIfNS0_10empty_typeEEEZNS1_21radix_sort_block_sortIS4_Lb0EN6thrust23THRUST_200600_302600_NS6detail15normal_iteratorINSA_10device_ptrIfEEEESF_PS6_SG_NS0_19identity_decomposerEEE10hipError_tT1_T2_T3_T4_jRjT5_jjP12ihipStream_tbEUlT_E_NS1_11comp_targetILNS1_3genE2ELNS1_11target_archE906ELNS1_3gpuE6ELNS1_3repE0EEENS1_44radix_sort_block_sort_config_static_selectorELNS0_4arch9wavefront6targetE0EEEvSJ_
; %bb.0:
	.section	.rodata,"a",@progbits
	.p2align	6, 0x0
	.amdhsa_kernel _ZN7rocprim17ROCPRIM_400000_NS6detail17trampoline_kernelINS0_13kernel_configILj256ELj4ELj4294967295EEENS1_37radix_sort_block_sort_config_selectorIfNS0_10empty_typeEEEZNS1_21radix_sort_block_sortIS4_Lb0EN6thrust23THRUST_200600_302600_NS6detail15normal_iteratorINSA_10device_ptrIfEEEESF_PS6_SG_NS0_19identity_decomposerEEE10hipError_tT1_T2_T3_T4_jRjT5_jjP12ihipStream_tbEUlT_E_NS1_11comp_targetILNS1_3genE2ELNS1_11target_archE906ELNS1_3gpuE6ELNS1_3repE0EEENS1_44radix_sort_block_sort_config_static_selectorELNS0_4arch9wavefront6targetE0EEEvSJ_
		.amdhsa_group_segment_fixed_size 0
		.amdhsa_private_segment_fixed_size 0
		.amdhsa_kernarg_size 48
		.amdhsa_user_sgpr_count 6
		.amdhsa_user_sgpr_private_segment_buffer 1
		.amdhsa_user_sgpr_dispatch_ptr 0
		.amdhsa_user_sgpr_queue_ptr 0
		.amdhsa_user_sgpr_kernarg_segment_ptr 1
		.amdhsa_user_sgpr_dispatch_id 0
		.amdhsa_user_sgpr_flat_scratch_init 0
		.amdhsa_user_sgpr_private_segment_size 0
		.amdhsa_wavefront_size32 1
		.amdhsa_uses_dynamic_stack 0
		.amdhsa_system_sgpr_private_segment_wavefront_offset 0
		.amdhsa_system_sgpr_workgroup_id_x 1
		.amdhsa_system_sgpr_workgroup_id_y 0
		.amdhsa_system_sgpr_workgroup_id_z 0
		.amdhsa_system_sgpr_workgroup_info 0
		.amdhsa_system_vgpr_workitem_id 0
		.amdhsa_next_free_vgpr 1
		.amdhsa_next_free_sgpr 1
		.amdhsa_reserve_vcc 0
		.amdhsa_reserve_flat_scratch 0
		.amdhsa_float_round_mode_32 0
		.amdhsa_float_round_mode_16_64 0
		.amdhsa_float_denorm_mode_32 3
		.amdhsa_float_denorm_mode_16_64 3
		.amdhsa_dx10_clamp 1
		.amdhsa_ieee_mode 1
		.amdhsa_fp16_overflow 0
		.amdhsa_workgroup_processor_mode 1
		.amdhsa_memory_ordered 1
		.amdhsa_forward_progress 1
		.amdhsa_shared_vgpr_count 0
		.amdhsa_exception_fp_ieee_invalid_op 0
		.amdhsa_exception_fp_denorm_src 0
		.amdhsa_exception_fp_ieee_div_zero 0
		.amdhsa_exception_fp_ieee_overflow 0
		.amdhsa_exception_fp_ieee_underflow 0
		.amdhsa_exception_fp_ieee_inexact 0
		.amdhsa_exception_int_div_zero 0
	.end_amdhsa_kernel
	.section	.text._ZN7rocprim17ROCPRIM_400000_NS6detail17trampoline_kernelINS0_13kernel_configILj256ELj4ELj4294967295EEENS1_37radix_sort_block_sort_config_selectorIfNS0_10empty_typeEEEZNS1_21radix_sort_block_sortIS4_Lb0EN6thrust23THRUST_200600_302600_NS6detail15normal_iteratorINSA_10device_ptrIfEEEESF_PS6_SG_NS0_19identity_decomposerEEE10hipError_tT1_T2_T3_T4_jRjT5_jjP12ihipStream_tbEUlT_E_NS1_11comp_targetILNS1_3genE2ELNS1_11target_archE906ELNS1_3gpuE6ELNS1_3repE0EEENS1_44radix_sort_block_sort_config_static_selectorELNS0_4arch9wavefront6targetE0EEEvSJ_,"axG",@progbits,_ZN7rocprim17ROCPRIM_400000_NS6detail17trampoline_kernelINS0_13kernel_configILj256ELj4ELj4294967295EEENS1_37radix_sort_block_sort_config_selectorIfNS0_10empty_typeEEEZNS1_21radix_sort_block_sortIS4_Lb0EN6thrust23THRUST_200600_302600_NS6detail15normal_iteratorINSA_10device_ptrIfEEEESF_PS6_SG_NS0_19identity_decomposerEEE10hipError_tT1_T2_T3_T4_jRjT5_jjP12ihipStream_tbEUlT_E_NS1_11comp_targetILNS1_3genE2ELNS1_11target_archE906ELNS1_3gpuE6ELNS1_3repE0EEENS1_44radix_sort_block_sort_config_static_selectorELNS0_4arch9wavefront6targetE0EEEvSJ_,comdat
.Lfunc_end461:
	.size	_ZN7rocprim17ROCPRIM_400000_NS6detail17trampoline_kernelINS0_13kernel_configILj256ELj4ELj4294967295EEENS1_37radix_sort_block_sort_config_selectorIfNS0_10empty_typeEEEZNS1_21radix_sort_block_sortIS4_Lb0EN6thrust23THRUST_200600_302600_NS6detail15normal_iteratorINSA_10device_ptrIfEEEESF_PS6_SG_NS0_19identity_decomposerEEE10hipError_tT1_T2_T3_T4_jRjT5_jjP12ihipStream_tbEUlT_E_NS1_11comp_targetILNS1_3genE2ELNS1_11target_archE906ELNS1_3gpuE6ELNS1_3repE0EEENS1_44radix_sort_block_sort_config_static_selectorELNS0_4arch9wavefront6targetE0EEEvSJ_, .Lfunc_end461-_ZN7rocprim17ROCPRIM_400000_NS6detail17trampoline_kernelINS0_13kernel_configILj256ELj4ELj4294967295EEENS1_37radix_sort_block_sort_config_selectorIfNS0_10empty_typeEEEZNS1_21radix_sort_block_sortIS4_Lb0EN6thrust23THRUST_200600_302600_NS6detail15normal_iteratorINSA_10device_ptrIfEEEESF_PS6_SG_NS0_19identity_decomposerEEE10hipError_tT1_T2_T3_T4_jRjT5_jjP12ihipStream_tbEUlT_E_NS1_11comp_targetILNS1_3genE2ELNS1_11target_archE906ELNS1_3gpuE6ELNS1_3repE0EEENS1_44radix_sort_block_sort_config_static_selectorELNS0_4arch9wavefront6targetE0EEEvSJ_
                                        ; -- End function
	.set _ZN7rocprim17ROCPRIM_400000_NS6detail17trampoline_kernelINS0_13kernel_configILj256ELj4ELj4294967295EEENS1_37radix_sort_block_sort_config_selectorIfNS0_10empty_typeEEEZNS1_21radix_sort_block_sortIS4_Lb0EN6thrust23THRUST_200600_302600_NS6detail15normal_iteratorINSA_10device_ptrIfEEEESF_PS6_SG_NS0_19identity_decomposerEEE10hipError_tT1_T2_T3_T4_jRjT5_jjP12ihipStream_tbEUlT_E_NS1_11comp_targetILNS1_3genE2ELNS1_11target_archE906ELNS1_3gpuE6ELNS1_3repE0EEENS1_44radix_sort_block_sort_config_static_selectorELNS0_4arch9wavefront6targetE0EEEvSJ_.num_vgpr, 0
	.set _ZN7rocprim17ROCPRIM_400000_NS6detail17trampoline_kernelINS0_13kernel_configILj256ELj4ELj4294967295EEENS1_37radix_sort_block_sort_config_selectorIfNS0_10empty_typeEEEZNS1_21radix_sort_block_sortIS4_Lb0EN6thrust23THRUST_200600_302600_NS6detail15normal_iteratorINSA_10device_ptrIfEEEESF_PS6_SG_NS0_19identity_decomposerEEE10hipError_tT1_T2_T3_T4_jRjT5_jjP12ihipStream_tbEUlT_E_NS1_11comp_targetILNS1_3genE2ELNS1_11target_archE906ELNS1_3gpuE6ELNS1_3repE0EEENS1_44radix_sort_block_sort_config_static_selectorELNS0_4arch9wavefront6targetE0EEEvSJ_.num_agpr, 0
	.set _ZN7rocprim17ROCPRIM_400000_NS6detail17trampoline_kernelINS0_13kernel_configILj256ELj4ELj4294967295EEENS1_37radix_sort_block_sort_config_selectorIfNS0_10empty_typeEEEZNS1_21radix_sort_block_sortIS4_Lb0EN6thrust23THRUST_200600_302600_NS6detail15normal_iteratorINSA_10device_ptrIfEEEESF_PS6_SG_NS0_19identity_decomposerEEE10hipError_tT1_T2_T3_T4_jRjT5_jjP12ihipStream_tbEUlT_E_NS1_11comp_targetILNS1_3genE2ELNS1_11target_archE906ELNS1_3gpuE6ELNS1_3repE0EEENS1_44radix_sort_block_sort_config_static_selectorELNS0_4arch9wavefront6targetE0EEEvSJ_.numbered_sgpr, 0
	.set _ZN7rocprim17ROCPRIM_400000_NS6detail17trampoline_kernelINS0_13kernel_configILj256ELj4ELj4294967295EEENS1_37radix_sort_block_sort_config_selectorIfNS0_10empty_typeEEEZNS1_21radix_sort_block_sortIS4_Lb0EN6thrust23THRUST_200600_302600_NS6detail15normal_iteratorINSA_10device_ptrIfEEEESF_PS6_SG_NS0_19identity_decomposerEEE10hipError_tT1_T2_T3_T4_jRjT5_jjP12ihipStream_tbEUlT_E_NS1_11comp_targetILNS1_3genE2ELNS1_11target_archE906ELNS1_3gpuE6ELNS1_3repE0EEENS1_44radix_sort_block_sort_config_static_selectorELNS0_4arch9wavefront6targetE0EEEvSJ_.num_named_barrier, 0
	.set _ZN7rocprim17ROCPRIM_400000_NS6detail17trampoline_kernelINS0_13kernel_configILj256ELj4ELj4294967295EEENS1_37radix_sort_block_sort_config_selectorIfNS0_10empty_typeEEEZNS1_21radix_sort_block_sortIS4_Lb0EN6thrust23THRUST_200600_302600_NS6detail15normal_iteratorINSA_10device_ptrIfEEEESF_PS6_SG_NS0_19identity_decomposerEEE10hipError_tT1_T2_T3_T4_jRjT5_jjP12ihipStream_tbEUlT_E_NS1_11comp_targetILNS1_3genE2ELNS1_11target_archE906ELNS1_3gpuE6ELNS1_3repE0EEENS1_44radix_sort_block_sort_config_static_selectorELNS0_4arch9wavefront6targetE0EEEvSJ_.private_seg_size, 0
	.set _ZN7rocprim17ROCPRIM_400000_NS6detail17trampoline_kernelINS0_13kernel_configILj256ELj4ELj4294967295EEENS1_37radix_sort_block_sort_config_selectorIfNS0_10empty_typeEEEZNS1_21radix_sort_block_sortIS4_Lb0EN6thrust23THRUST_200600_302600_NS6detail15normal_iteratorINSA_10device_ptrIfEEEESF_PS6_SG_NS0_19identity_decomposerEEE10hipError_tT1_T2_T3_T4_jRjT5_jjP12ihipStream_tbEUlT_E_NS1_11comp_targetILNS1_3genE2ELNS1_11target_archE906ELNS1_3gpuE6ELNS1_3repE0EEENS1_44radix_sort_block_sort_config_static_selectorELNS0_4arch9wavefront6targetE0EEEvSJ_.uses_vcc, 0
	.set _ZN7rocprim17ROCPRIM_400000_NS6detail17trampoline_kernelINS0_13kernel_configILj256ELj4ELj4294967295EEENS1_37radix_sort_block_sort_config_selectorIfNS0_10empty_typeEEEZNS1_21radix_sort_block_sortIS4_Lb0EN6thrust23THRUST_200600_302600_NS6detail15normal_iteratorINSA_10device_ptrIfEEEESF_PS6_SG_NS0_19identity_decomposerEEE10hipError_tT1_T2_T3_T4_jRjT5_jjP12ihipStream_tbEUlT_E_NS1_11comp_targetILNS1_3genE2ELNS1_11target_archE906ELNS1_3gpuE6ELNS1_3repE0EEENS1_44radix_sort_block_sort_config_static_selectorELNS0_4arch9wavefront6targetE0EEEvSJ_.uses_flat_scratch, 0
	.set _ZN7rocprim17ROCPRIM_400000_NS6detail17trampoline_kernelINS0_13kernel_configILj256ELj4ELj4294967295EEENS1_37radix_sort_block_sort_config_selectorIfNS0_10empty_typeEEEZNS1_21radix_sort_block_sortIS4_Lb0EN6thrust23THRUST_200600_302600_NS6detail15normal_iteratorINSA_10device_ptrIfEEEESF_PS6_SG_NS0_19identity_decomposerEEE10hipError_tT1_T2_T3_T4_jRjT5_jjP12ihipStream_tbEUlT_E_NS1_11comp_targetILNS1_3genE2ELNS1_11target_archE906ELNS1_3gpuE6ELNS1_3repE0EEENS1_44radix_sort_block_sort_config_static_selectorELNS0_4arch9wavefront6targetE0EEEvSJ_.has_dyn_sized_stack, 0
	.set _ZN7rocprim17ROCPRIM_400000_NS6detail17trampoline_kernelINS0_13kernel_configILj256ELj4ELj4294967295EEENS1_37radix_sort_block_sort_config_selectorIfNS0_10empty_typeEEEZNS1_21radix_sort_block_sortIS4_Lb0EN6thrust23THRUST_200600_302600_NS6detail15normal_iteratorINSA_10device_ptrIfEEEESF_PS6_SG_NS0_19identity_decomposerEEE10hipError_tT1_T2_T3_T4_jRjT5_jjP12ihipStream_tbEUlT_E_NS1_11comp_targetILNS1_3genE2ELNS1_11target_archE906ELNS1_3gpuE6ELNS1_3repE0EEENS1_44radix_sort_block_sort_config_static_selectorELNS0_4arch9wavefront6targetE0EEEvSJ_.has_recursion, 0
	.set _ZN7rocprim17ROCPRIM_400000_NS6detail17trampoline_kernelINS0_13kernel_configILj256ELj4ELj4294967295EEENS1_37radix_sort_block_sort_config_selectorIfNS0_10empty_typeEEEZNS1_21radix_sort_block_sortIS4_Lb0EN6thrust23THRUST_200600_302600_NS6detail15normal_iteratorINSA_10device_ptrIfEEEESF_PS6_SG_NS0_19identity_decomposerEEE10hipError_tT1_T2_T3_T4_jRjT5_jjP12ihipStream_tbEUlT_E_NS1_11comp_targetILNS1_3genE2ELNS1_11target_archE906ELNS1_3gpuE6ELNS1_3repE0EEENS1_44radix_sort_block_sort_config_static_selectorELNS0_4arch9wavefront6targetE0EEEvSJ_.has_indirect_call, 0
	.section	.AMDGPU.csdata,"",@progbits
; Kernel info:
; codeLenInByte = 0
; TotalNumSgprs: 0
; NumVgprs: 0
; ScratchSize: 0
; MemoryBound: 0
; FloatMode: 240
; IeeeMode: 1
; LDSByteSize: 0 bytes/workgroup (compile time only)
; SGPRBlocks: 0
; VGPRBlocks: 0
; NumSGPRsForWavesPerEU: 1
; NumVGPRsForWavesPerEU: 1
; Occupancy: 16
; WaveLimiterHint : 0
; COMPUTE_PGM_RSRC2:SCRATCH_EN: 0
; COMPUTE_PGM_RSRC2:USER_SGPR: 6
; COMPUTE_PGM_RSRC2:TRAP_HANDLER: 0
; COMPUTE_PGM_RSRC2:TGID_X_EN: 1
; COMPUTE_PGM_RSRC2:TGID_Y_EN: 0
; COMPUTE_PGM_RSRC2:TGID_Z_EN: 0
; COMPUTE_PGM_RSRC2:TIDIG_COMP_CNT: 0
	.section	.text._ZN7rocprim17ROCPRIM_400000_NS6detail17trampoline_kernelINS0_13kernel_configILj256ELj4ELj4294967295EEENS1_37radix_sort_block_sort_config_selectorIfNS0_10empty_typeEEEZNS1_21radix_sort_block_sortIS4_Lb0EN6thrust23THRUST_200600_302600_NS6detail15normal_iteratorINSA_10device_ptrIfEEEESF_PS6_SG_NS0_19identity_decomposerEEE10hipError_tT1_T2_T3_T4_jRjT5_jjP12ihipStream_tbEUlT_E_NS1_11comp_targetILNS1_3genE10ELNS1_11target_archE1201ELNS1_3gpuE5ELNS1_3repE0EEENS1_44radix_sort_block_sort_config_static_selectorELNS0_4arch9wavefront6targetE0EEEvSJ_,"axG",@progbits,_ZN7rocprim17ROCPRIM_400000_NS6detail17trampoline_kernelINS0_13kernel_configILj256ELj4ELj4294967295EEENS1_37radix_sort_block_sort_config_selectorIfNS0_10empty_typeEEEZNS1_21radix_sort_block_sortIS4_Lb0EN6thrust23THRUST_200600_302600_NS6detail15normal_iteratorINSA_10device_ptrIfEEEESF_PS6_SG_NS0_19identity_decomposerEEE10hipError_tT1_T2_T3_T4_jRjT5_jjP12ihipStream_tbEUlT_E_NS1_11comp_targetILNS1_3genE10ELNS1_11target_archE1201ELNS1_3gpuE5ELNS1_3repE0EEENS1_44radix_sort_block_sort_config_static_selectorELNS0_4arch9wavefront6targetE0EEEvSJ_,comdat
	.protected	_ZN7rocprim17ROCPRIM_400000_NS6detail17trampoline_kernelINS0_13kernel_configILj256ELj4ELj4294967295EEENS1_37radix_sort_block_sort_config_selectorIfNS0_10empty_typeEEEZNS1_21radix_sort_block_sortIS4_Lb0EN6thrust23THRUST_200600_302600_NS6detail15normal_iteratorINSA_10device_ptrIfEEEESF_PS6_SG_NS0_19identity_decomposerEEE10hipError_tT1_T2_T3_T4_jRjT5_jjP12ihipStream_tbEUlT_E_NS1_11comp_targetILNS1_3genE10ELNS1_11target_archE1201ELNS1_3gpuE5ELNS1_3repE0EEENS1_44radix_sort_block_sort_config_static_selectorELNS0_4arch9wavefront6targetE0EEEvSJ_ ; -- Begin function _ZN7rocprim17ROCPRIM_400000_NS6detail17trampoline_kernelINS0_13kernel_configILj256ELj4ELj4294967295EEENS1_37radix_sort_block_sort_config_selectorIfNS0_10empty_typeEEEZNS1_21radix_sort_block_sortIS4_Lb0EN6thrust23THRUST_200600_302600_NS6detail15normal_iteratorINSA_10device_ptrIfEEEESF_PS6_SG_NS0_19identity_decomposerEEE10hipError_tT1_T2_T3_T4_jRjT5_jjP12ihipStream_tbEUlT_E_NS1_11comp_targetILNS1_3genE10ELNS1_11target_archE1201ELNS1_3gpuE5ELNS1_3repE0EEENS1_44radix_sort_block_sort_config_static_selectorELNS0_4arch9wavefront6targetE0EEEvSJ_
	.globl	_ZN7rocprim17ROCPRIM_400000_NS6detail17trampoline_kernelINS0_13kernel_configILj256ELj4ELj4294967295EEENS1_37radix_sort_block_sort_config_selectorIfNS0_10empty_typeEEEZNS1_21radix_sort_block_sortIS4_Lb0EN6thrust23THRUST_200600_302600_NS6detail15normal_iteratorINSA_10device_ptrIfEEEESF_PS6_SG_NS0_19identity_decomposerEEE10hipError_tT1_T2_T3_T4_jRjT5_jjP12ihipStream_tbEUlT_E_NS1_11comp_targetILNS1_3genE10ELNS1_11target_archE1201ELNS1_3gpuE5ELNS1_3repE0EEENS1_44radix_sort_block_sort_config_static_selectorELNS0_4arch9wavefront6targetE0EEEvSJ_
	.p2align	8
	.type	_ZN7rocprim17ROCPRIM_400000_NS6detail17trampoline_kernelINS0_13kernel_configILj256ELj4ELj4294967295EEENS1_37radix_sort_block_sort_config_selectorIfNS0_10empty_typeEEEZNS1_21radix_sort_block_sortIS4_Lb0EN6thrust23THRUST_200600_302600_NS6detail15normal_iteratorINSA_10device_ptrIfEEEESF_PS6_SG_NS0_19identity_decomposerEEE10hipError_tT1_T2_T3_T4_jRjT5_jjP12ihipStream_tbEUlT_E_NS1_11comp_targetILNS1_3genE10ELNS1_11target_archE1201ELNS1_3gpuE5ELNS1_3repE0EEENS1_44radix_sort_block_sort_config_static_selectorELNS0_4arch9wavefront6targetE0EEEvSJ_,@function
_ZN7rocprim17ROCPRIM_400000_NS6detail17trampoline_kernelINS0_13kernel_configILj256ELj4ELj4294967295EEENS1_37radix_sort_block_sort_config_selectorIfNS0_10empty_typeEEEZNS1_21radix_sort_block_sortIS4_Lb0EN6thrust23THRUST_200600_302600_NS6detail15normal_iteratorINSA_10device_ptrIfEEEESF_PS6_SG_NS0_19identity_decomposerEEE10hipError_tT1_T2_T3_T4_jRjT5_jjP12ihipStream_tbEUlT_E_NS1_11comp_targetILNS1_3genE10ELNS1_11target_archE1201ELNS1_3gpuE5ELNS1_3repE0EEENS1_44radix_sort_block_sort_config_static_selectorELNS0_4arch9wavefront6targetE0EEEvSJ_: ; @_ZN7rocprim17ROCPRIM_400000_NS6detail17trampoline_kernelINS0_13kernel_configILj256ELj4ELj4294967295EEENS1_37radix_sort_block_sort_config_selectorIfNS0_10empty_typeEEEZNS1_21radix_sort_block_sortIS4_Lb0EN6thrust23THRUST_200600_302600_NS6detail15normal_iteratorINSA_10device_ptrIfEEEESF_PS6_SG_NS0_19identity_decomposerEEE10hipError_tT1_T2_T3_T4_jRjT5_jjP12ihipStream_tbEUlT_E_NS1_11comp_targetILNS1_3genE10ELNS1_11target_archE1201ELNS1_3gpuE5ELNS1_3repE0EEENS1_44radix_sort_block_sort_config_static_selectorELNS0_4arch9wavefront6targetE0EEEvSJ_
; %bb.0:
	.section	.rodata,"a",@progbits
	.p2align	6, 0x0
	.amdhsa_kernel _ZN7rocprim17ROCPRIM_400000_NS6detail17trampoline_kernelINS0_13kernel_configILj256ELj4ELj4294967295EEENS1_37radix_sort_block_sort_config_selectorIfNS0_10empty_typeEEEZNS1_21radix_sort_block_sortIS4_Lb0EN6thrust23THRUST_200600_302600_NS6detail15normal_iteratorINSA_10device_ptrIfEEEESF_PS6_SG_NS0_19identity_decomposerEEE10hipError_tT1_T2_T3_T4_jRjT5_jjP12ihipStream_tbEUlT_E_NS1_11comp_targetILNS1_3genE10ELNS1_11target_archE1201ELNS1_3gpuE5ELNS1_3repE0EEENS1_44radix_sort_block_sort_config_static_selectorELNS0_4arch9wavefront6targetE0EEEvSJ_
		.amdhsa_group_segment_fixed_size 0
		.amdhsa_private_segment_fixed_size 0
		.amdhsa_kernarg_size 48
		.amdhsa_user_sgpr_count 6
		.amdhsa_user_sgpr_private_segment_buffer 1
		.amdhsa_user_sgpr_dispatch_ptr 0
		.amdhsa_user_sgpr_queue_ptr 0
		.amdhsa_user_sgpr_kernarg_segment_ptr 1
		.amdhsa_user_sgpr_dispatch_id 0
		.amdhsa_user_sgpr_flat_scratch_init 0
		.amdhsa_user_sgpr_private_segment_size 0
		.amdhsa_wavefront_size32 1
		.amdhsa_uses_dynamic_stack 0
		.amdhsa_system_sgpr_private_segment_wavefront_offset 0
		.amdhsa_system_sgpr_workgroup_id_x 1
		.amdhsa_system_sgpr_workgroup_id_y 0
		.amdhsa_system_sgpr_workgroup_id_z 0
		.amdhsa_system_sgpr_workgroup_info 0
		.amdhsa_system_vgpr_workitem_id 0
		.amdhsa_next_free_vgpr 1
		.amdhsa_next_free_sgpr 1
		.amdhsa_reserve_vcc 0
		.amdhsa_reserve_flat_scratch 0
		.amdhsa_float_round_mode_32 0
		.amdhsa_float_round_mode_16_64 0
		.amdhsa_float_denorm_mode_32 3
		.amdhsa_float_denorm_mode_16_64 3
		.amdhsa_dx10_clamp 1
		.amdhsa_ieee_mode 1
		.amdhsa_fp16_overflow 0
		.amdhsa_workgroup_processor_mode 1
		.amdhsa_memory_ordered 1
		.amdhsa_forward_progress 1
		.amdhsa_shared_vgpr_count 0
		.amdhsa_exception_fp_ieee_invalid_op 0
		.amdhsa_exception_fp_denorm_src 0
		.amdhsa_exception_fp_ieee_div_zero 0
		.amdhsa_exception_fp_ieee_overflow 0
		.amdhsa_exception_fp_ieee_underflow 0
		.amdhsa_exception_fp_ieee_inexact 0
		.amdhsa_exception_int_div_zero 0
	.end_amdhsa_kernel
	.section	.text._ZN7rocprim17ROCPRIM_400000_NS6detail17trampoline_kernelINS0_13kernel_configILj256ELj4ELj4294967295EEENS1_37radix_sort_block_sort_config_selectorIfNS0_10empty_typeEEEZNS1_21radix_sort_block_sortIS4_Lb0EN6thrust23THRUST_200600_302600_NS6detail15normal_iteratorINSA_10device_ptrIfEEEESF_PS6_SG_NS0_19identity_decomposerEEE10hipError_tT1_T2_T3_T4_jRjT5_jjP12ihipStream_tbEUlT_E_NS1_11comp_targetILNS1_3genE10ELNS1_11target_archE1201ELNS1_3gpuE5ELNS1_3repE0EEENS1_44radix_sort_block_sort_config_static_selectorELNS0_4arch9wavefront6targetE0EEEvSJ_,"axG",@progbits,_ZN7rocprim17ROCPRIM_400000_NS6detail17trampoline_kernelINS0_13kernel_configILj256ELj4ELj4294967295EEENS1_37radix_sort_block_sort_config_selectorIfNS0_10empty_typeEEEZNS1_21radix_sort_block_sortIS4_Lb0EN6thrust23THRUST_200600_302600_NS6detail15normal_iteratorINSA_10device_ptrIfEEEESF_PS6_SG_NS0_19identity_decomposerEEE10hipError_tT1_T2_T3_T4_jRjT5_jjP12ihipStream_tbEUlT_E_NS1_11comp_targetILNS1_3genE10ELNS1_11target_archE1201ELNS1_3gpuE5ELNS1_3repE0EEENS1_44radix_sort_block_sort_config_static_selectorELNS0_4arch9wavefront6targetE0EEEvSJ_,comdat
.Lfunc_end462:
	.size	_ZN7rocprim17ROCPRIM_400000_NS6detail17trampoline_kernelINS0_13kernel_configILj256ELj4ELj4294967295EEENS1_37radix_sort_block_sort_config_selectorIfNS0_10empty_typeEEEZNS1_21radix_sort_block_sortIS4_Lb0EN6thrust23THRUST_200600_302600_NS6detail15normal_iteratorINSA_10device_ptrIfEEEESF_PS6_SG_NS0_19identity_decomposerEEE10hipError_tT1_T2_T3_T4_jRjT5_jjP12ihipStream_tbEUlT_E_NS1_11comp_targetILNS1_3genE10ELNS1_11target_archE1201ELNS1_3gpuE5ELNS1_3repE0EEENS1_44radix_sort_block_sort_config_static_selectorELNS0_4arch9wavefront6targetE0EEEvSJ_, .Lfunc_end462-_ZN7rocprim17ROCPRIM_400000_NS6detail17trampoline_kernelINS0_13kernel_configILj256ELj4ELj4294967295EEENS1_37radix_sort_block_sort_config_selectorIfNS0_10empty_typeEEEZNS1_21radix_sort_block_sortIS4_Lb0EN6thrust23THRUST_200600_302600_NS6detail15normal_iteratorINSA_10device_ptrIfEEEESF_PS6_SG_NS0_19identity_decomposerEEE10hipError_tT1_T2_T3_T4_jRjT5_jjP12ihipStream_tbEUlT_E_NS1_11comp_targetILNS1_3genE10ELNS1_11target_archE1201ELNS1_3gpuE5ELNS1_3repE0EEENS1_44radix_sort_block_sort_config_static_selectorELNS0_4arch9wavefront6targetE0EEEvSJ_
                                        ; -- End function
	.set _ZN7rocprim17ROCPRIM_400000_NS6detail17trampoline_kernelINS0_13kernel_configILj256ELj4ELj4294967295EEENS1_37radix_sort_block_sort_config_selectorIfNS0_10empty_typeEEEZNS1_21radix_sort_block_sortIS4_Lb0EN6thrust23THRUST_200600_302600_NS6detail15normal_iteratorINSA_10device_ptrIfEEEESF_PS6_SG_NS0_19identity_decomposerEEE10hipError_tT1_T2_T3_T4_jRjT5_jjP12ihipStream_tbEUlT_E_NS1_11comp_targetILNS1_3genE10ELNS1_11target_archE1201ELNS1_3gpuE5ELNS1_3repE0EEENS1_44radix_sort_block_sort_config_static_selectorELNS0_4arch9wavefront6targetE0EEEvSJ_.num_vgpr, 0
	.set _ZN7rocprim17ROCPRIM_400000_NS6detail17trampoline_kernelINS0_13kernel_configILj256ELj4ELj4294967295EEENS1_37radix_sort_block_sort_config_selectorIfNS0_10empty_typeEEEZNS1_21radix_sort_block_sortIS4_Lb0EN6thrust23THRUST_200600_302600_NS6detail15normal_iteratorINSA_10device_ptrIfEEEESF_PS6_SG_NS0_19identity_decomposerEEE10hipError_tT1_T2_T3_T4_jRjT5_jjP12ihipStream_tbEUlT_E_NS1_11comp_targetILNS1_3genE10ELNS1_11target_archE1201ELNS1_3gpuE5ELNS1_3repE0EEENS1_44radix_sort_block_sort_config_static_selectorELNS0_4arch9wavefront6targetE0EEEvSJ_.num_agpr, 0
	.set _ZN7rocprim17ROCPRIM_400000_NS6detail17trampoline_kernelINS0_13kernel_configILj256ELj4ELj4294967295EEENS1_37radix_sort_block_sort_config_selectorIfNS0_10empty_typeEEEZNS1_21radix_sort_block_sortIS4_Lb0EN6thrust23THRUST_200600_302600_NS6detail15normal_iteratorINSA_10device_ptrIfEEEESF_PS6_SG_NS0_19identity_decomposerEEE10hipError_tT1_T2_T3_T4_jRjT5_jjP12ihipStream_tbEUlT_E_NS1_11comp_targetILNS1_3genE10ELNS1_11target_archE1201ELNS1_3gpuE5ELNS1_3repE0EEENS1_44radix_sort_block_sort_config_static_selectorELNS0_4arch9wavefront6targetE0EEEvSJ_.numbered_sgpr, 0
	.set _ZN7rocprim17ROCPRIM_400000_NS6detail17trampoline_kernelINS0_13kernel_configILj256ELj4ELj4294967295EEENS1_37radix_sort_block_sort_config_selectorIfNS0_10empty_typeEEEZNS1_21radix_sort_block_sortIS4_Lb0EN6thrust23THRUST_200600_302600_NS6detail15normal_iteratorINSA_10device_ptrIfEEEESF_PS6_SG_NS0_19identity_decomposerEEE10hipError_tT1_T2_T3_T4_jRjT5_jjP12ihipStream_tbEUlT_E_NS1_11comp_targetILNS1_3genE10ELNS1_11target_archE1201ELNS1_3gpuE5ELNS1_3repE0EEENS1_44radix_sort_block_sort_config_static_selectorELNS0_4arch9wavefront6targetE0EEEvSJ_.num_named_barrier, 0
	.set _ZN7rocprim17ROCPRIM_400000_NS6detail17trampoline_kernelINS0_13kernel_configILj256ELj4ELj4294967295EEENS1_37radix_sort_block_sort_config_selectorIfNS0_10empty_typeEEEZNS1_21radix_sort_block_sortIS4_Lb0EN6thrust23THRUST_200600_302600_NS6detail15normal_iteratorINSA_10device_ptrIfEEEESF_PS6_SG_NS0_19identity_decomposerEEE10hipError_tT1_T2_T3_T4_jRjT5_jjP12ihipStream_tbEUlT_E_NS1_11comp_targetILNS1_3genE10ELNS1_11target_archE1201ELNS1_3gpuE5ELNS1_3repE0EEENS1_44radix_sort_block_sort_config_static_selectorELNS0_4arch9wavefront6targetE0EEEvSJ_.private_seg_size, 0
	.set _ZN7rocprim17ROCPRIM_400000_NS6detail17trampoline_kernelINS0_13kernel_configILj256ELj4ELj4294967295EEENS1_37radix_sort_block_sort_config_selectorIfNS0_10empty_typeEEEZNS1_21radix_sort_block_sortIS4_Lb0EN6thrust23THRUST_200600_302600_NS6detail15normal_iteratorINSA_10device_ptrIfEEEESF_PS6_SG_NS0_19identity_decomposerEEE10hipError_tT1_T2_T3_T4_jRjT5_jjP12ihipStream_tbEUlT_E_NS1_11comp_targetILNS1_3genE10ELNS1_11target_archE1201ELNS1_3gpuE5ELNS1_3repE0EEENS1_44radix_sort_block_sort_config_static_selectorELNS0_4arch9wavefront6targetE0EEEvSJ_.uses_vcc, 0
	.set _ZN7rocprim17ROCPRIM_400000_NS6detail17trampoline_kernelINS0_13kernel_configILj256ELj4ELj4294967295EEENS1_37radix_sort_block_sort_config_selectorIfNS0_10empty_typeEEEZNS1_21radix_sort_block_sortIS4_Lb0EN6thrust23THRUST_200600_302600_NS6detail15normal_iteratorINSA_10device_ptrIfEEEESF_PS6_SG_NS0_19identity_decomposerEEE10hipError_tT1_T2_T3_T4_jRjT5_jjP12ihipStream_tbEUlT_E_NS1_11comp_targetILNS1_3genE10ELNS1_11target_archE1201ELNS1_3gpuE5ELNS1_3repE0EEENS1_44radix_sort_block_sort_config_static_selectorELNS0_4arch9wavefront6targetE0EEEvSJ_.uses_flat_scratch, 0
	.set _ZN7rocprim17ROCPRIM_400000_NS6detail17trampoline_kernelINS0_13kernel_configILj256ELj4ELj4294967295EEENS1_37radix_sort_block_sort_config_selectorIfNS0_10empty_typeEEEZNS1_21radix_sort_block_sortIS4_Lb0EN6thrust23THRUST_200600_302600_NS6detail15normal_iteratorINSA_10device_ptrIfEEEESF_PS6_SG_NS0_19identity_decomposerEEE10hipError_tT1_T2_T3_T4_jRjT5_jjP12ihipStream_tbEUlT_E_NS1_11comp_targetILNS1_3genE10ELNS1_11target_archE1201ELNS1_3gpuE5ELNS1_3repE0EEENS1_44radix_sort_block_sort_config_static_selectorELNS0_4arch9wavefront6targetE0EEEvSJ_.has_dyn_sized_stack, 0
	.set _ZN7rocprim17ROCPRIM_400000_NS6detail17trampoline_kernelINS0_13kernel_configILj256ELj4ELj4294967295EEENS1_37radix_sort_block_sort_config_selectorIfNS0_10empty_typeEEEZNS1_21radix_sort_block_sortIS4_Lb0EN6thrust23THRUST_200600_302600_NS6detail15normal_iteratorINSA_10device_ptrIfEEEESF_PS6_SG_NS0_19identity_decomposerEEE10hipError_tT1_T2_T3_T4_jRjT5_jjP12ihipStream_tbEUlT_E_NS1_11comp_targetILNS1_3genE10ELNS1_11target_archE1201ELNS1_3gpuE5ELNS1_3repE0EEENS1_44radix_sort_block_sort_config_static_selectorELNS0_4arch9wavefront6targetE0EEEvSJ_.has_recursion, 0
	.set _ZN7rocprim17ROCPRIM_400000_NS6detail17trampoline_kernelINS0_13kernel_configILj256ELj4ELj4294967295EEENS1_37radix_sort_block_sort_config_selectorIfNS0_10empty_typeEEEZNS1_21radix_sort_block_sortIS4_Lb0EN6thrust23THRUST_200600_302600_NS6detail15normal_iteratorINSA_10device_ptrIfEEEESF_PS6_SG_NS0_19identity_decomposerEEE10hipError_tT1_T2_T3_T4_jRjT5_jjP12ihipStream_tbEUlT_E_NS1_11comp_targetILNS1_3genE10ELNS1_11target_archE1201ELNS1_3gpuE5ELNS1_3repE0EEENS1_44radix_sort_block_sort_config_static_selectorELNS0_4arch9wavefront6targetE0EEEvSJ_.has_indirect_call, 0
	.section	.AMDGPU.csdata,"",@progbits
; Kernel info:
; codeLenInByte = 0
; TotalNumSgprs: 0
; NumVgprs: 0
; ScratchSize: 0
; MemoryBound: 0
; FloatMode: 240
; IeeeMode: 1
; LDSByteSize: 0 bytes/workgroup (compile time only)
; SGPRBlocks: 0
; VGPRBlocks: 0
; NumSGPRsForWavesPerEU: 1
; NumVGPRsForWavesPerEU: 1
; Occupancy: 16
; WaveLimiterHint : 0
; COMPUTE_PGM_RSRC2:SCRATCH_EN: 0
; COMPUTE_PGM_RSRC2:USER_SGPR: 6
; COMPUTE_PGM_RSRC2:TRAP_HANDLER: 0
; COMPUTE_PGM_RSRC2:TGID_X_EN: 1
; COMPUTE_PGM_RSRC2:TGID_Y_EN: 0
; COMPUTE_PGM_RSRC2:TGID_Z_EN: 0
; COMPUTE_PGM_RSRC2:TIDIG_COMP_CNT: 0
	.section	.text._ZN7rocprim17ROCPRIM_400000_NS6detail17trampoline_kernelINS0_13kernel_configILj256ELj4ELj4294967295EEENS1_37radix_sort_block_sort_config_selectorIfNS0_10empty_typeEEEZNS1_21radix_sort_block_sortIS4_Lb0EN6thrust23THRUST_200600_302600_NS6detail15normal_iteratorINSA_10device_ptrIfEEEESF_PS6_SG_NS0_19identity_decomposerEEE10hipError_tT1_T2_T3_T4_jRjT5_jjP12ihipStream_tbEUlT_E_NS1_11comp_targetILNS1_3genE10ELNS1_11target_archE1200ELNS1_3gpuE4ELNS1_3repE0EEENS1_44radix_sort_block_sort_config_static_selectorELNS0_4arch9wavefront6targetE0EEEvSJ_,"axG",@progbits,_ZN7rocprim17ROCPRIM_400000_NS6detail17trampoline_kernelINS0_13kernel_configILj256ELj4ELj4294967295EEENS1_37radix_sort_block_sort_config_selectorIfNS0_10empty_typeEEEZNS1_21radix_sort_block_sortIS4_Lb0EN6thrust23THRUST_200600_302600_NS6detail15normal_iteratorINSA_10device_ptrIfEEEESF_PS6_SG_NS0_19identity_decomposerEEE10hipError_tT1_T2_T3_T4_jRjT5_jjP12ihipStream_tbEUlT_E_NS1_11comp_targetILNS1_3genE10ELNS1_11target_archE1200ELNS1_3gpuE4ELNS1_3repE0EEENS1_44radix_sort_block_sort_config_static_selectorELNS0_4arch9wavefront6targetE0EEEvSJ_,comdat
	.protected	_ZN7rocprim17ROCPRIM_400000_NS6detail17trampoline_kernelINS0_13kernel_configILj256ELj4ELj4294967295EEENS1_37radix_sort_block_sort_config_selectorIfNS0_10empty_typeEEEZNS1_21radix_sort_block_sortIS4_Lb0EN6thrust23THRUST_200600_302600_NS6detail15normal_iteratorINSA_10device_ptrIfEEEESF_PS6_SG_NS0_19identity_decomposerEEE10hipError_tT1_T2_T3_T4_jRjT5_jjP12ihipStream_tbEUlT_E_NS1_11comp_targetILNS1_3genE10ELNS1_11target_archE1200ELNS1_3gpuE4ELNS1_3repE0EEENS1_44radix_sort_block_sort_config_static_selectorELNS0_4arch9wavefront6targetE0EEEvSJ_ ; -- Begin function _ZN7rocprim17ROCPRIM_400000_NS6detail17trampoline_kernelINS0_13kernel_configILj256ELj4ELj4294967295EEENS1_37radix_sort_block_sort_config_selectorIfNS0_10empty_typeEEEZNS1_21radix_sort_block_sortIS4_Lb0EN6thrust23THRUST_200600_302600_NS6detail15normal_iteratorINSA_10device_ptrIfEEEESF_PS6_SG_NS0_19identity_decomposerEEE10hipError_tT1_T2_T3_T4_jRjT5_jjP12ihipStream_tbEUlT_E_NS1_11comp_targetILNS1_3genE10ELNS1_11target_archE1200ELNS1_3gpuE4ELNS1_3repE0EEENS1_44radix_sort_block_sort_config_static_selectorELNS0_4arch9wavefront6targetE0EEEvSJ_
	.globl	_ZN7rocprim17ROCPRIM_400000_NS6detail17trampoline_kernelINS0_13kernel_configILj256ELj4ELj4294967295EEENS1_37radix_sort_block_sort_config_selectorIfNS0_10empty_typeEEEZNS1_21radix_sort_block_sortIS4_Lb0EN6thrust23THRUST_200600_302600_NS6detail15normal_iteratorINSA_10device_ptrIfEEEESF_PS6_SG_NS0_19identity_decomposerEEE10hipError_tT1_T2_T3_T4_jRjT5_jjP12ihipStream_tbEUlT_E_NS1_11comp_targetILNS1_3genE10ELNS1_11target_archE1200ELNS1_3gpuE4ELNS1_3repE0EEENS1_44radix_sort_block_sort_config_static_selectorELNS0_4arch9wavefront6targetE0EEEvSJ_
	.p2align	8
	.type	_ZN7rocprim17ROCPRIM_400000_NS6detail17trampoline_kernelINS0_13kernel_configILj256ELj4ELj4294967295EEENS1_37radix_sort_block_sort_config_selectorIfNS0_10empty_typeEEEZNS1_21radix_sort_block_sortIS4_Lb0EN6thrust23THRUST_200600_302600_NS6detail15normal_iteratorINSA_10device_ptrIfEEEESF_PS6_SG_NS0_19identity_decomposerEEE10hipError_tT1_T2_T3_T4_jRjT5_jjP12ihipStream_tbEUlT_E_NS1_11comp_targetILNS1_3genE10ELNS1_11target_archE1200ELNS1_3gpuE4ELNS1_3repE0EEENS1_44radix_sort_block_sort_config_static_selectorELNS0_4arch9wavefront6targetE0EEEvSJ_,@function
_ZN7rocprim17ROCPRIM_400000_NS6detail17trampoline_kernelINS0_13kernel_configILj256ELj4ELj4294967295EEENS1_37radix_sort_block_sort_config_selectorIfNS0_10empty_typeEEEZNS1_21radix_sort_block_sortIS4_Lb0EN6thrust23THRUST_200600_302600_NS6detail15normal_iteratorINSA_10device_ptrIfEEEESF_PS6_SG_NS0_19identity_decomposerEEE10hipError_tT1_T2_T3_T4_jRjT5_jjP12ihipStream_tbEUlT_E_NS1_11comp_targetILNS1_3genE10ELNS1_11target_archE1200ELNS1_3gpuE4ELNS1_3repE0EEENS1_44radix_sort_block_sort_config_static_selectorELNS0_4arch9wavefront6targetE0EEEvSJ_: ; @_ZN7rocprim17ROCPRIM_400000_NS6detail17trampoline_kernelINS0_13kernel_configILj256ELj4ELj4294967295EEENS1_37radix_sort_block_sort_config_selectorIfNS0_10empty_typeEEEZNS1_21radix_sort_block_sortIS4_Lb0EN6thrust23THRUST_200600_302600_NS6detail15normal_iteratorINSA_10device_ptrIfEEEESF_PS6_SG_NS0_19identity_decomposerEEE10hipError_tT1_T2_T3_T4_jRjT5_jjP12ihipStream_tbEUlT_E_NS1_11comp_targetILNS1_3genE10ELNS1_11target_archE1200ELNS1_3gpuE4ELNS1_3repE0EEENS1_44radix_sort_block_sort_config_static_selectorELNS0_4arch9wavefront6targetE0EEEvSJ_
; %bb.0:
	.section	.rodata,"a",@progbits
	.p2align	6, 0x0
	.amdhsa_kernel _ZN7rocprim17ROCPRIM_400000_NS6detail17trampoline_kernelINS0_13kernel_configILj256ELj4ELj4294967295EEENS1_37radix_sort_block_sort_config_selectorIfNS0_10empty_typeEEEZNS1_21radix_sort_block_sortIS4_Lb0EN6thrust23THRUST_200600_302600_NS6detail15normal_iteratorINSA_10device_ptrIfEEEESF_PS6_SG_NS0_19identity_decomposerEEE10hipError_tT1_T2_T3_T4_jRjT5_jjP12ihipStream_tbEUlT_E_NS1_11comp_targetILNS1_3genE10ELNS1_11target_archE1200ELNS1_3gpuE4ELNS1_3repE0EEENS1_44radix_sort_block_sort_config_static_selectorELNS0_4arch9wavefront6targetE0EEEvSJ_
		.amdhsa_group_segment_fixed_size 0
		.amdhsa_private_segment_fixed_size 0
		.amdhsa_kernarg_size 48
		.amdhsa_user_sgpr_count 6
		.amdhsa_user_sgpr_private_segment_buffer 1
		.amdhsa_user_sgpr_dispatch_ptr 0
		.amdhsa_user_sgpr_queue_ptr 0
		.amdhsa_user_sgpr_kernarg_segment_ptr 1
		.amdhsa_user_sgpr_dispatch_id 0
		.amdhsa_user_sgpr_flat_scratch_init 0
		.amdhsa_user_sgpr_private_segment_size 0
		.amdhsa_wavefront_size32 1
		.amdhsa_uses_dynamic_stack 0
		.amdhsa_system_sgpr_private_segment_wavefront_offset 0
		.amdhsa_system_sgpr_workgroup_id_x 1
		.amdhsa_system_sgpr_workgroup_id_y 0
		.amdhsa_system_sgpr_workgroup_id_z 0
		.amdhsa_system_sgpr_workgroup_info 0
		.amdhsa_system_vgpr_workitem_id 0
		.amdhsa_next_free_vgpr 1
		.amdhsa_next_free_sgpr 1
		.amdhsa_reserve_vcc 0
		.amdhsa_reserve_flat_scratch 0
		.amdhsa_float_round_mode_32 0
		.amdhsa_float_round_mode_16_64 0
		.amdhsa_float_denorm_mode_32 3
		.amdhsa_float_denorm_mode_16_64 3
		.amdhsa_dx10_clamp 1
		.amdhsa_ieee_mode 1
		.amdhsa_fp16_overflow 0
		.amdhsa_workgroup_processor_mode 1
		.amdhsa_memory_ordered 1
		.amdhsa_forward_progress 1
		.amdhsa_shared_vgpr_count 0
		.amdhsa_exception_fp_ieee_invalid_op 0
		.amdhsa_exception_fp_denorm_src 0
		.amdhsa_exception_fp_ieee_div_zero 0
		.amdhsa_exception_fp_ieee_overflow 0
		.amdhsa_exception_fp_ieee_underflow 0
		.amdhsa_exception_fp_ieee_inexact 0
		.amdhsa_exception_int_div_zero 0
	.end_amdhsa_kernel
	.section	.text._ZN7rocprim17ROCPRIM_400000_NS6detail17trampoline_kernelINS0_13kernel_configILj256ELj4ELj4294967295EEENS1_37radix_sort_block_sort_config_selectorIfNS0_10empty_typeEEEZNS1_21radix_sort_block_sortIS4_Lb0EN6thrust23THRUST_200600_302600_NS6detail15normal_iteratorINSA_10device_ptrIfEEEESF_PS6_SG_NS0_19identity_decomposerEEE10hipError_tT1_T2_T3_T4_jRjT5_jjP12ihipStream_tbEUlT_E_NS1_11comp_targetILNS1_3genE10ELNS1_11target_archE1200ELNS1_3gpuE4ELNS1_3repE0EEENS1_44radix_sort_block_sort_config_static_selectorELNS0_4arch9wavefront6targetE0EEEvSJ_,"axG",@progbits,_ZN7rocprim17ROCPRIM_400000_NS6detail17trampoline_kernelINS0_13kernel_configILj256ELj4ELj4294967295EEENS1_37radix_sort_block_sort_config_selectorIfNS0_10empty_typeEEEZNS1_21radix_sort_block_sortIS4_Lb0EN6thrust23THRUST_200600_302600_NS6detail15normal_iteratorINSA_10device_ptrIfEEEESF_PS6_SG_NS0_19identity_decomposerEEE10hipError_tT1_T2_T3_T4_jRjT5_jjP12ihipStream_tbEUlT_E_NS1_11comp_targetILNS1_3genE10ELNS1_11target_archE1200ELNS1_3gpuE4ELNS1_3repE0EEENS1_44radix_sort_block_sort_config_static_selectorELNS0_4arch9wavefront6targetE0EEEvSJ_,comdat
.Lfunc_end463:
	.size	_ZN7rocprim17ROCPRIM_400000_NS6detail17trampoline_kernelINS0_13kernel_configILj256ELj4ELj4294967295EEENS1_37radix_sort_block_sort_config_selectorIfNS0_10empty_typeEEEZNS1_21radix_sort_block_sortIS4_Lb0EN6thrust23THRUST_200600_302600_NS6detail15normal_iteratorINSA_10device_ptrIfEEEESF_PS6_SG_NS0_19identity_decomposerEEE10hipError_tT1_T2_T3_T4_jRjT5_jjP12ihipStream_tbEUlT_E_NS1_11comp_targetILNS1_3genE10ELNS1_11target_archE1200ELNS1_3gpuE4ELNS1_3repE0EEENS1_44radix_sort_block_sort_config_static_selectorELNS0_4arch9wavefront6targetE0EEEvSJ_, .Lfunc_end463-_ZN7rocprim17ROCPRIM_400000_NS6detail17trampoline_kernelINS0_13kernel_configILj256ELj4ELj4294967295EEENS1_37radix_sort_block_sort_config_selectorIfNS0_10empty_typeEEEZNS1_21radix_sort_block_sortIS4_Lb0EN6thrust23THRUST_200600_302600_NS6detail15normal_iteratorINSA_10device_ptrIfEEEESF_PS6_SG_NS0_19identity_decomposerEEE10hipError_tT1_T2_T3_T4_jRjT5_jjP12ihipStream_tbEUlT_E_NS1_11comp_targetILNS1_3genE10ELNS1_11target_archE1200ELNS1_3gpuE4ELNS1_3repE0EEENS1_44radix_sort_block_sort_config_static_selectorELNS0_4arch9wavefront6targetE0EEEvSJ_
                                        ; -- End function
	.set _ZN7rocprim17ROCPRIM_400000_NS6detail17trampoline_kernelINS0_13kernel_configILj256ELj4ELj4294967295EEENS1_37radix_sort_block_sort_config_selectorIfNS0_10empty_typeEEEZNS1_21radix_sort_block_sortIS4_Lb0EN6thrust23THRUST_200600_302600_NS6detail15normal_iteratorINSA_10device_ptrIfEEEESF_PS6_SG_NS0_19identity_decomposerEEE10hipError_tT1_T2_T3_T4_jRjT5_jjP12ihipStream_tbEUlT_E_NS1_11comp_targetILNS1_3genE10ELNS1_11target_archE1200ELNS1_3gpuE4ELNS1_3repE0EEENS1_44radix_sort_block_sort_config_static_selectorELNS0_4arch9wavefront6targetE0EEEvSJ_.num_vgpr, 0
	.set _ZN7rocprim17ROCPRIM_400000_NS6detail17trampoline_kernelINS0_13kernel_configILj256ELj4ELj4294967295EEENS1_37radix_sort_block_sort_config_selectorIfNS0_10empty_typeEEEZNS1_21radix_sort_block_sortIS4_Lb0EN6thrust23THRUST_200600_302600_NS6detail15normal_iteratorINSA_10device_ptrIfEEEESF_PS6_SG_NS0_19identity_decomposerEEE10hipError_tT1_T2_T3_T4_jRjT5_jjP12ihipStream_tbEUlT_E_NS1_11comp_targetILNS1_3genE10ELNS1_11target_archE1200ELNS1_3gpuE4ELNS1_3repE0EEENS1_44radix_sort_block_sort_config_static_selectorELNS0_4arch9wavefront6targetE0EEEvSJ_.num_agpr, 0
	.set _ZN7rocprim17ROCPRIM_400000_NS6detail17trampoline_kernelINS0_13kernel_configILj256ELj4ELj4294967295EEENS1_37radix_sort_block_sort_config_selectorIfNS0_10empty_typeEEEZNS1_21radix_sort_block_sortIS4_Lb0EN6thrust23THRUST_200600_302600_NS6detail15normal_iteratorINSA_10device_ptrIfEEEESF_PS6_SG_NS0_19identity_decomposerEEE10hipError_tT1_T2_T3_T4_jRjT5_jjP12ihipStream_tbEUlT_E_NS1_11comp_targetILNS1_3genE10ELNS1_11target_archE1200ELNS1_3gpuE4ELNS1_3repE0EEENS1_44radix_sort_block_sort_config_static_selectorELNS0_4arch9wavefront6targetE0EEEvSJ_.numbered_sgpr, 0
	.set _ZN7rocprim17ROCPRIM_400000_NS6detail17trampoline_kernelINS0_13kernel_configILj256ELj4ELj4294967295EEENS1_37radix_sort_block_sort_config_selectorIfNS0_10empty_typeEEEZNS1_21radix_sort_block_sortIS4_Lb0EN6thrust23THRUST_200600_302600_NS6detail15normal_iteratorINSA_10device_ptrIfEEEESF_PS6_SG_NS0_19identity_decomposerEEE10hipError_tT1_T2_T3_T4_jRjT5_jjP12ihipStream_tbEUlT_E_NS1_11comp_targetILNS1_3genE10ELNS1_11target_archE1200ELNS1_3gpuE4ELNS1_3repE0EEENS1_44radix_sort_block_sort_config_static_selectorELNS0_4arch9wavefront6targetE0EEEvSJ_.num_named_barrier, 0
	.set _ZN7rocprim17ROCPRIM_400000_NS6detail17trampoline_kernelINS0_13kernel_configILj256ELj4ELj4294967295EEENS1_37radix_sort_block_sort_config_selectorIfNS0_10empty_typeEEEZNS1_21radix_sort_block_sortIS4_Lb0EN6thrust23THRUST_200600_302600_NS6detail15normal_iteratorINSA_10device_ptrIfEEEESF_PS6_SG_NS0_19identity_decomposerEEE10hipError_tT1_T2_T3_T4_jRjT5_jjP12ihipStream_tbEUlT_E_NS1_11comp_targetILNS1_3genE10ELNS1_11target_archE1200ELNS1_3gpuE4ELNS1_3repE0EEENS1_44radix_sort_block_sort_config_static_selectorELNS0_4arch9wavefront6targetE0EEEvSJ_.private_seg_size, 0
	.set _ZN7rocprim17ROCPRIM_400000_NS6detail17trampoline_kernelINS0_13kernel_configILj256ELj4ELj4294967295EEENS1_37radix_sort_block_sort_config_selectorIfNS0_10empty_typeEEEZNS1_21radix_sort_block_sortIS4_Lb0EN6thrust23THRUST_200600_302600_NS6detail15normal_iteratorINSA_10device_ptrIfEEEESF_PS6_SG_NS0_19identity_decomposerEEE10hipError_tT1_T2_T3_T4_jRjT5_jjP12ihipStream_tbEUlT_E_NS1_11comp_targetILNS1_3genE10ELNS1_11target_archE1200ELNS1_3gpuE4ELNS1_3repE0EEENS1_44radix_sort_block_sort_config_static_selectorELNS0_4arch9wavefront6targetE0EEEvSJ_.uses_vcc, 0
	.set _ZN7rocprim17ROCPRIM_400000_NS6detail17trampoline_kernelINS0_13kernel_configILj256ELj4ELj4294967295EEENS1_37radix_sort_block_sort_config_selectorIfNS0_10empty_typeEEEZNS1_21radix_sort_block_sortIS4_Lb0EN6thrust23THRUST_200600_302600_NS6detail15normal_iteratorINSA_10device_ptrIfEEEESF_PS6_SG_NS0_19identity_decomposerEEE10hipError_tT1_T2_T3_T4_jRjT5_jjP12ihipStream_tbEUlT_E_NS1_11comp_targetILNS1_3genE10ELNS1_11target_archE1200ELNS1_3gpuE4ELNS1_3repE0EEENS1_44radix_sort_block_sort_config_static_selectorELNS0_4arch9wavefront6targetE0EEEvSJ_.uses_flat_scratch, 0
	.set _ZN7rocprim17ROCPRIM_400000_NS6detail17trampoline_kernelINS0_13kernel_configILj256ELj4ELj4294967295EEENS1_37radix_sort_block_sort_config_selectorIfNS0_10empty_typeEEEZNS1_21radix_sort_block_sortIS4_Lb0EN6thrust23THRUST_200600_302600_NS6detail15normal_iteratorINSA_10device_ptrIfEEEESF_PS6_SG_NS0_19identity_decomposerEEE10hipError_tT1_T2_T3_T4_jRjT5_jjP12ihipStream_tbEUlT_E_NS1_11comp_targetILNS1_3genE10ELNS1_11target_archE1200ELNS1_3gpuE4ELNS1_3repE0EEENS1_44radix_sort_block_sort_config_static_selectorELNS0_4arch9wavefront6targetE0EEEvSJ_.has_dyn_sized_stack, 0
	.set _ZN7rocprim17ROCPRIM_400000_NS6detail17trampoline_kernelINS0_13kernel_configILj256ELj4ELj4294967295EEENS1_37radix_sort_block_sort_config_selectorIfNS0_10empty_typeEEEZNS1_21radix_sort_block_sortIS4_Lb0EN6thrust23THRUST_200600_302600_NS6detail15normal_iteratorINSA_10device_ptrIfEEEESF_PS6_SG_NS0_19identity_decomposerEEE10hipError_tT1_T2_T3_T4_jRjT5_jjP12ihipStream_tbEUlT_E_NS1_11comp_targetILNS1_3genE10ELNS1_11target_archE1200ELNS1_3gpuE4ELNS1_3repE0EEENS1_44radix_sort_block_sort_config_static_selectorELNS0_4arch9wavefront6targetE0EEEvSJ_.has_recursion, 0
	.set _ZN7rocprim17ROCPRIM_400000_NS6detail17trampoline_kernelINS0_13kernel_configILj256ELj4ELj4294967295EEENS1_37radix_sort_block_sort_config_selectorIfNS0_10empty_typeEEEZNS1_21radix_sort_block_sortIS4_Lb0EN6thrust23THRUST_200600_302600_NS6detail15normal_iteratorINSA_10device_ptrIfEEEESF_PS6_SG_NS0_19identity_decomposerEEE10hipError_tT1_T2_T3_T4_jRjT5_jjP12ihipStream_tbEUlT_E_NS1_11comp_targetILNS1_3genE10ELNS1_11target_archE1200ELNS1_3gpuE4ELNS1_3repE0EEENS1_44radix_sort_block_sort_config_static_selectorELNS0_4arch9wavefront6targetE0EEEvSJ_.has_indirect_call, 0
	.section	.AMDGPU.csdata,"",@progbits
; Kernel info:
; codeLenInByte = 0
; TotalNumSgprs: 0
; NumVgprs: 0
; ScratchSize: 0
; MemoryBound: 0
; FloatMode: 240
; IeeeMode: 1
; LDSByteSize: 0 bytes/workgroup (compile time only)
; SGPRBlocks: 0
; VGPRBlocks: 0
; NumSGPRsForWavesPerEU: 1
; NumVGPRsForWavesPerEU: 1
; Occupancy: 16
; WaveLimiterHint : 0
; COMPUTE_PGM_RSRC2:SCRATCH_EN: 0
; COMPUTE_PGM_RSRC2:USER_SGPR: 6
; COMPUTE_PGM_RSRC2:TRAP_HANDLER: 0
; COMPUTE_PGM_RSRC2:TGID_X_EN: 1
; COMPUTE_PGM_RSRC2:TGID_Y_EN: 0
; COMPUTE_PGM_RSRC2:TGID_Z_EN: 0
; COMPUTE_PGM_RSRC2:TIDIG_COMP_CNT: 0
	.section	.text._ZN7rocprim17ROCPRIM_400000_NS6detail17trampoline_kernelINS0_13kernel_configILj256ELj4ELj4294967295EEENS1_37radix_sort_block_sort_config_selectorIfNS0_10empty_typeEEEZNS1_21radix_sort_block_sortIS4_Lb0EN6thrust23THRUST_200600_302600_NS6detail15normal_iteratorINSA_10device_ptrIfEEEESF_PS6_SG_NS0_19identity_decomposerEEE10hipError_tT1_T2_T3_T4_jRjT5_jjP12ihipStream_tbEUlT_E_NS1_11comp_targetILNS1_3genE9ELNS1_11target_archE1100ELNS1_3gpuE3ELNS1_3repE0EEENS1_44radix_sort_block_sort_config_static_selectorELNS0_4arch9wavefront6targetE0EEEvSJ_,"axG",@progbits,_ZN7rocprim17ROCPRIM_400000_NS6detail17trampoline_kernelINS0_13kernel_configILj256ELj4ELj4294967295EEENS1_37radix_sort_block_sort_config_selectorIfNS0_10empty_typeEEEZNS1_21radix_sort_block_sortIS4_Lb0EN6thrust23THRUST_200600_302600_NS6detail15normal_iteratorINSA_10device_ptrIfEEEESF_PS6_SG_NS0_19identity_decomposerEEE10hipError_tT1_T2_T3_T4_jRjT5_jjP12ihipStream_tbEUlT_E_NS1_11comp_targetILNS1_3genE9ELNS1_11target_archE1100ELNS1_3gpuE3ELNS1_3repE0EEENS1_44radix_sort_block_sort_config_static_selectorELNS0_4arch9wavefront6targetE0EEEvSJ_,comdat
	.protected	_ZN7rocprim17ROCPRIM_400000_NS6detail17trampoline_kernelINS0_13kernel_configILj256ELj4ELj4294967295EEENS1_37radix_sort_block_sort_config_selectorIfNS0_10empty_typeEEEZNS1_21radix_sort_block_sortIS4_Lb0EN6thrust23THRUST_200600_302600_NS6detail15normal_iteratorINSA_10device_ptrIfEEEESF_PS6_SG_NS0_19identity_decomposerEEE10hipError_tT1_T2_T3_T4_jRjT5_jjP12ihipStream_tbEUlT_E_NS1_11comp_targetILNS1_3genE9ELNS1_11target_archE1100ELNS1_3gpuE3ELNS1_3repE0EEENS1_44radix_sort_block_sort_config_static_selectorELNS0_4arch9wavefront6targetE0EEEvSJ_ ; -- Begin function _ZN7rocprim17ROCPRIM_400000_NS6detail17trampoline_kernelINS0_13kernel_configILj256ELj4ELj4294967295EEENS1_37radix_sort_block_sort_config_selectorIfNS0_10empty_typeEEEZNS1_21radix_sort_block_sortIS4_Lb0EN6thrust23THRUST_200600_302600_NS6detail15normal_iteratorINSA_10device_ptrIfEEEESF_PS6_SG_NS0_19identity_decomposerEEE10hipError_tT1_T2_T3_T4_jRjT5_jjP12ihipStream_tbEUlT_E_NS1_11comp_targetILNS1_3genE9ELNS1_11target_archE1100ELNS1_3gpuE3ELNS1_3repE0EEENS1_44radix_sort_block_sort_config_static_selectorELNS0_4arch9wavefront6targetE0EEEvSJ_
	.globl	_ZN7rocprim17ROCPRIM_400000_NS6detail17trampoline_kernelINS0_13kernel_configILj256ELj4ELj4294967295EEENS1_37radix_sort_block_sort_config_selectorIfNS0_10empty_typeEEEZNS1_21radix_sort_block_sortIS4_Lb0EN6thrust23THRUST_200600_302600_NS6detail15normal_iteratorINSA_10device_ptrIfEEEESF_PS6_SG_NS0_19identity_decomposerEEE10hipError_tT1_T2_T3_T4_jRjT5_jjP12ihipStream_tbEUlT_E_NS1_11comp_targetILNS1_3genE9ELNS1_11target_archE1100ELNS1_3gpuE3ELNS1_3repE0EEENS1_44radix_sort_block_sort_config_static_selectorELNS0_4arch9wavefront6targetE0EEEvSJ_
	.p2align	8
	.type	_ZN7rocprim17ROCPRIM_400000_NS6detail17trampoline_kernelINS0_13kernel_configILj256ELj4ELj4294967295EEENS1_37radix_sort_block_sort_config_selectorIfNS0_10empty_typeEEEZNS1_21radix_sort_block_sortIS4_Lb0EN6thrust23THRUST_200600_302600_NS6detail15normal_iteratorINSA_10device_ptrIfEEEESF_PS6_SG_NS0_19identity_decomposerEEE10hipError_tT1_T2_T3_T4_jRjT5_jjP12ihipStream_tbEUlT_E_NS1_11comp_targetILNS1_3genE9ELNS1_11target_archE1100ELNS1_3gpuE3ELNS1_3repE0EEENS1_44radix_sort_block_sort_config_static_selectorELNS0_4arch9wavefront6targetE0EEEvSJ_,@function
_ZN7rocprim17ROCPRIM_400000_NS6detail17trampoline_kernelINS0_13kernel_configILj256ELj4ELj4294967295EEENS1_37radix_sort_block_sort_config_selectorIfNS0_10empty_typeEEEZNS1_21radix_sort_block_sortIS4_Lb0EN6thrust23THRUST_200600_302600_NS6detail15normal_iteratorINSA_10device_ptrIfEEEESF_PS6_SG_NS0_19identity_decomposerEEE10hipError_tT1_T2_T3_T4_jRjT5_jjP12ihipStream_tbEUlT_E_NS1_11comp_targetILNS1_3genE9ELNS1_11target_archE1100ELNS1_3gpuE3ELNS1_3repE0EEENS1_44radix_sort_block_sort_config_static_selectorELNS0_4arch9wavefront6targetE0EEEvSJ_: ; @_ZN7rocprim17ROCPRIM_400000_NS6detail17trampoline_kernelINS0_13kernel_configILj256ELj4ELj4294967295EEENS1_37radix_sort_block_sort_config_selectorIfNS0_10empty_typeEEEZNS1_21radix_sort_block_sortIS4_Lb0EN6thrust23THRUST_200600_302600_NS6detail15normal_iteratorINSA_10device_ptrIfEEEESF_PS6_SG_NS0_19identity_decomposerEEE10hipError_tT1_T2_T3_T4_jRjT5_jjP12ihipStream_tbEUlT_E_NS1_11comp_targetILNS1_3genE9ELNS1_11target_archE1100ELNS1_3gpuE3ELNS1_3repE0EEENS1_44radix_sort_block_sort_config_static_selectorELNS0_4arch9wavefront6targetE0EEEvSJ_
; %bb.0:
	.section	.rodata,"a",@progbits
	.p2align	6, 0x0
	.amdhsa_kernel _ZN7rocprim17ROCPRIM_400000_NS6detail17trampoline_kernelINS0_13kernel_configILj256ELj4ELj4294967295EEENS1_37radix_sort_block_sort_config_selectorIfNS0_10empty_typeEEEZNS1_21radix_sort_block_sortIS4_Lb0EN6thrust23THRUST_200600_302600_NS6detail15normal_iteratorINSA_10device_ptrIfEEEESF_PS6_SG_NS0_19identity_decomposerEEE10hipError_tT1_T2_T3_T4_jRjT5_jjP12ihipStream_tbEUlT_E_NS1_11comp_targetILNS1_3genE9ELNS1_11target_archE1100ELNS1_3gpuE3ELNS1_3repE0EEENS1_44radix_sort_block_sort_config_static_selectorELNS0_4arch9wavefront6targetE0EEEvSJ_
		.amdhsa_group_segment_fixed_size 0
		.amdhsa_private_segment_fixed_size 0
		.amdhsa_kernarg_size 48
		.amdhsa_user_sgpr_count 6
		.amdhsa_user_sgpr_private_segment_buffer 1
		.amdhsa_user_sgpr_dispatch_ptr 0
		.amdhsa_user_sgpr_queue_ptr 0
		.amdhsa_user_sgpr_kernarg_segment_ptr 1
		.amdhsa_user_sgpr_dispatch_id 0
		.amdhsa_user_sgpr_flat_scratch_init 0
		.amdhsa_user_sgpr_private_segment_size 0
		.amdhsa_wavefront_size32 1
		.amdhsa_uses_dynamic_stack 0
		.amdhsa_system_sgpr_private_segment_wavefront_offset 0
		.amdhsa_system_sgpr_workgroup_id_x 1
		.amdhsa_system_sgpr_workgroup_id_y 0
		.amdhsa_system_sgpr_workgroup_id_z 0
		.amdhsa_system_sgpr_workgroup_info 0
		.amdhsa_system_vgpr_workitem_id 0
		.amdhsa_next_free_vgpr 1
		.amdhsa_next_free_sgpr 1
		.amdhsa_reserve_vcc 0
		.amdhsa_reserve_flat_scratch 0
		.amdhsa_float_round_mode_32 0
		.amdhsa_float_round_mode_16_64 0
		.amdhsa_float_denorm_mode_32 3
		.amdhsa_float_denorm_mode_16_64 3
		.amdhsa_dx10_clamp 1
		.amdhsa_ieee_mode 1
		.amdhsa_fp16_overflow 0
		.amdhsa_workgroup_processor_mode 1
		.amdhsa_memory_ordered 1
		.amdhsa_forward_progress 1
		.amdhsa_shared_vgpr_count 0
		.amdhsa_exception_fp_ieee_invalid_op 0
		.amdhsa_exception_fp_denorm_src 0
		.amdhsa_exception_fp_ieee_div_zero 0
		.amdhsa_exception_fp_ieee_overflow 0
		.amdhsa_exception_fp_ieee_underflow 0
		.amdhsa_exception_fp_ieee_inexact 0
		.amdhsa_exception_int_div_zero 0
	.end_amdhsa_kernel
	.section	.text._ZN7rocprim17ROCPRIM_400000_NS6detail17trampoline_kernelINS0_13kernel_configILj256ELj4ELj4294967295EEENS1_37radix_sort_block_sort_config_selectorIfNS0_10empty_typeEEEZNS1_21radix_sort_block_sortIS4_Lb0EN6thrust23THRUST_200600_302600_NS6detail15normal_iteratorINSA_10device_ptrIfEEEESF_PS6_SG_NS0_19identity_decomposerEEE10hipError_tT1_T2_T3_T4_jRjT5_jjP12ihipStream_tbEUlT_E_NS1_11comp_targetILNS1_3genE9ELNS1_11target_archE1100ELNS1_3gpuE3ELNS1_3repE0EEENS1_44radix_sort_block_sort_config_static_selectorELNS0_4arch9wavefront6targetE0EEEvSJ_,"axG",@progbits,_ZN7rocprim17ROCPRIM_400000_NS6detail17trampoline_kernelINS0_13kernel_configILj256ELj4ELj4294967295EEENS1_37radix_sort_block_sort_config_selectorIfNS0_10empty_typeEEEZNS1_21radix_sort_block_sortIS4_Lb0EN6thrust23THRUST_200600_302600_NS6detail15normal_iteratorINSA_10device_ptrIfEEEESF_PS6_SG_NS0_19identity_decomposerEEE10hipError_tT1_T2_T3_T4_jRjT5_jjP12ihipStream_tbEUlT_E_NS1_11comp_targetILNS1_3genE9ELNS1_11target_archE1100ELNS1_3gpuE3ELNS1_3repE0EEENS1_44radix_sort_block_sort_config_static_selectorELNS0_4arch9wavefront6targetE0EEEvSJ_,comdat
.Lfunc_end464:
	.size	_ZN7rocprim17ROCPRIM_400000_NS6detail17trampoline_kernelINS0_13kernel_configILj256ELj4ELj4294967295EEENS1_37radix_sort_block_sort_config_selectorIfNS0_10empty_typeEEEZNS1_21radix_sort_block_sortIS4_Lb0EN6thrust23THRUST_200600_302600_NS6detail15normal_iteratorINSA_10device_ptrIfEEEESF_PS6_SG_NS0_19identity_decomposerEEE10hipError_tT1_T2_T3_T4_jRjT5_jjP12ihipStream_tbEUlT_E_NS1_11comp_targetILNS1_3genE9ELNS1_11target_archE1100ELNS1_3gpuE3ELNS1_3repE0EEENS1_44radix_sort_block_sort_config_static_selectorELNS0_4arch9wavefront6targetE0EEEvSJ_, .Lfunc_end464-_ZN7rocprim17ROCPRIM_400000_NS6detail17trampoline_kernelINS0_13kernel_configILj256ELj4ELj4294967295EEENS1_37radix_sort_block_sort_config_selectorIfNS0_10empty_typeEEEZNS1_21radix_sort_block_sortIS4_Lb0EN6thrust23THRUST_200600_302600_NS6detail15normal_iteratorINSA_10device_ptrIfEEEESF_PS6_SG_NS0_19identity_decomposerEEE10hipError_tT1_T2_T3_T4_jRjT5_jjP12ihipStream_tbEUlT_E_NS1_11comp_targetILNS1_3genE9ELNS1_11target_archE1100ELNS1_3gpuE3ELNS1_3repE0EEENS1_44radix_sort_block_sort_config_static_selectorELNS0_4arch9wavefront6targetE0EEEvSJ_
                                        ; -- End function
	.set _ZN7rocprim17ROCPRIM_400000_NS6detail17trampoline_kernelINS0_13kernel_configILj256ELj4ELj4294967295EEENS1_37radix_sort_block_sort_config_selectorIfNS0_10empty_typeEEEZNS1_21radix_sort_block_sortIS4_Lb0EN6thrust23THRUST_200600_302600_NS6detail15normal_iteratorINSA_10device_ptrIfEEEESF_PS6_SG_NS0_19identity_decomposerEEE10hipError_tT1_T2_T3_T4_jRjT5_jjP12ihipStream_tbEUlT_E_NS1_11comp_targetILNS1_3genE9ELNS1_11target_archE1100ELNS1_3gpuE3ELNS1_3repE0EEENS1_44radix_sort_block_sort_config_static_selectorELNS0_4arch9wavefront6targetE0EEEvSJ_.num_vgpr, 0
	.set _ZN7rocprim17ROCPRIM_400000_NS6detail17trampoline_kernelINS0_13kernel_configILj256ELj4ELj4294967295EEENS1_37radix_sort_block_sort_config_selectorIfNS0_10empty_typeEEEZNS1_21radix_sort_block_sortIS4_Lb0EN6thrust23THRUST_200600_302600_NS6detail15normal_iteratorINSA_10device_ptrIfEEEESF_PS6_SG_NS0_19identity_decomposerEEE10hipError_tT1_T2_T3_T4_jRjT5_jjP12ihipStream_tbEUlT_E_NS1_11comp_targetILNS1_3genE9ELNS1_11target_archE1100ELNS1_3gpuE3ELNS1_3repE0EEENS1_44radix_sort_block_sort_config_static_selectorELNS0_4arch9wavefront6targetE0EEEvSJ_.num_agpr, 0
	.set _ZN7rocprim17ROCPRIM_400000_NS6detail17trampoline_kernelINS0_13kernel_configILj256ELj4ELj4294967295EEENS1_37radix_sort_block_sort_config_selectorIfNS0_10empty_typeEEEZNS1_21radix_sort_block_sortIS4_Lb0EN6thrust23THRUST_200600_302600_NS6detail15normal_iteratorINSA_10device_ptrIfEEEESF_PS6_SG_NS0_19identity_decomposerEEE10hipError_tT1_T2_T3_T4_jRjT5_jjP12ihipStream_tbEUlT_E_NS1_11comp_targetILNS1_3genE9ELNS1_11target_archE1100ELNS1_3gpuE3ELNS1_3repE0EEENS1_44radix_sort_block_sort_config_static_selectorELNS0_4arch9wavefront6targetE0EEEvSJ_.numbered_sgpr, 0
	.set _ZN7rocprim17ROCPRIM_400000_NS6detail17trampoline_kernelINS0_13kernel_configILj256ELj4ELj4294967295EEENS1_37radix_sort_block_sort_config_selectorIfNS0_10empty_typeEEEZNS1_21radix_sort_block_sortIS4_Lb0EN6thrust23THRUST_200600_302600_NS6detail15normal_iteratorINSA_10device_ptrIfEEEESF_PS6_SG_NS0_19identity_decomposerEEE10hipError_tT1_T2_T3_T4_jRjT5_jjP12ihipStream_tbEUlT_E_NS1_11comp_targetILNS1_3genE9ELNS1_11target_archE1100ELNS1_3gpuE3ELNS1_3repE0EEENS1_44radix_sort_block_sort_config_static_selectorELNS0_4arch9wavefront6targetE0EEEvSJ_.num_named_barrier, 0
	.set _ZN7rocprim17ROCPRIM_400000_NS6detail17trampoline_kernelINS0_13kernel_configILj256ELj4ELj4294967295EEENS1_37radix_sort_block_sort_config_selectorIfNS0_10empty_typeEEEZNS1_21radix_sort_block_sortIS4_Lb0EN6thrust23THRUST_200600_302600_NS6detail15normal_iteratorINSA_10device_ptrIfEEEESF_PS6_SG_NS0_19identity_decomposerEEE10hipError_tT1_T2_T3_T4_jRjT5_jjP12ihipStream_tbEUlT_E_NS1_11comp_targetILNS1_3genE9ELNS1_11target_archE1100ELNS1_3gpuE3ELNS1_3repE0EEENS1_44radix_sort_block_sort_config_static_selectorELNS0_4arch9wavefront6targetE0EEEvSJ_.private_seg_size, 0
	.set _ZN7rocprim17ROCPRIM_400000_NS6detail17trampoline_kernelINS0_13kernel_configILj256ELj4ELj4294967295EEENS1_37radix_sort_block_sort_config_selectorIfNS0_10empty_typeEEEZNS1_21radix_sort_block_sortIS4_Lb0EN6thrust23THRUST_200600_302600_NS6detail15normal_iteratorINSA_10device_ptrIfEEEESF_PS6_SG_NS0_19identity_decomposerEEE10hipError_tT1_T2_T3_T4_jRjT5_jjP12ihipStream_tbEUlT_E_NS1_11comp_targetILNS1_3genE9ELNS1_11target_archE1100ELNS1_3gpuE3ELNS1_3repE0EEENS1_44radix_sort_block_sort_config_static_selectorELNS0_4arch9wavefront6targetE0EEEvSJ_.uses_vcc, 0
	.set _ZN7rocprim17ROCPRIM_400000_NS6detail17trampoline_kernelINS0_13kernel_configILj256ELj4ELj4294967295EEENS1_37radix_sort_block_sort_config_selectorIfNS0_10empty_typeEEEZNS1_21radix_sort_block_sortIS4_Lb0EN6thrust23THRUST_200600_302600_NS6detail15normal_iteratorINSA_10device_ptrIfEEEESF_PS6_SG_NS0_19identity_decomposerEEE10hipError_tT1_T2_T3_T4_jRjT5_jjP12ihipStream_tbEUlT_E_NS1_11comp_targetILNS1_3genE9ELNS1_11target_archE1100ELNS1_3gpuE3ELNS1_3repE0EEENS1_44radix_sort_block_sort_config_static_selectorELNS0_4arch9wavefront6targetE0EEEvSJ_.uses_flat_scratch, 0
	.set _ZN7rocprim17ROCPRIM_400000_NS6detail17trampoline_kernelINS0_13kernel_configILj256ELj4ELj4294967295EEENS1_37radix_sort_block_sort_config_selectorIfNS0_10empty_typeEEEZNS1_21radix_sort_block_sortIS4_Lb0EN6thrust23THRUST_200600_302600_NS6detail15normal_iteratorINSA_10device_ptrIfEEEESF_PS6_SG_NS0_19identity_decomposerEEE10hipError_tT1_T2_T3_T4_jRjT5_jjP12ihipStream_tbEUlT_E_NS1_11comp_targetILNS1_3genE9ELNS1_11target_archE1100ELNS1_3gpuE3ELNS1_3repE0EEENS1_44radix_sort_block_sort_config_static_selectorELNS0_4arch9wavefront6targetE0EEEvSJ_.has_dyn_sized_stack, 0
	.set _ZN7rocprim17ROCPRIM_400000_NS6detail17trampoline_kernelINS0_13kernel_configILj256ELj4ELj4294967295EEENS1_37radix_sort_block_sort_config_selectorIfNS0_10empty_typeEEEZNS1_21radix_sort_block_sortIS4_Lb0EN6thrust23THRUST_200600_302600_NS6detail15normal_iteratorINSA_10device_ptrIfEEEESF_PS6_SG_NS0_19identity_decomposerEEE10hipError_tT1_T2_T3_T4_jRjT5_jjP12ihipStream_tbEUlT_E_NS1_11comp_targetILNS1_3genE9ELNS1_11target_archE1100ELNS1_3gpuE3ELNS1_3repE0EEENS1_44radix_sort_block_sort_config_static_selectorELNS0_4arch9wavefront6targetE0EEEvSJ_.has_recursion, 0
	.set _ZN7rocprim17ROCPRIM_400000_NS6detail17trampoline_kernelINS0_13kernel_configILj256ELj4ELj4294967295EEENS1_37radix_sort_block_sort_config_selectorIfNS0_10empty_typeEEEZNS1_21radix_sort_block_sortIS4_Lb0EN6thrust23THRUST_200600_302600_NS6detail15normal_iteratorINSA_10device_ptrIfEEEESF_PS6_SG_NS0_19identity_decomposerEEE10hipError_tT1_T2_T3_T4_jRjT5_jjP12ihipStream_tbEUlT_E_NS1_11comp_targetILNS1_3genE9ELNS1_11target_archE1100ELNS1_3gpuE3ELNS1_3repE0EEENS1_44radix_sort_block_sort_config_static_selectorELNS0_4arch9wavefront6targetE0EEEvSJ_.has_indirect_call, 0
	.section	.AMDGPU.csdata,"",@progbits
; Kernel info:
; codeLenInByte = 0
; TotalNumSgprs: 0
; NumVgprs: 0
; ScratchSize: 0
; MemoryBound: 0
; FloatMode: 240
; IeeeMode: 1
; LDSByteSize: 0 bytes/workgroup (compile time only)
; SGPRBlocks: 0
; VGPRBlocks: 0
; NumSGPRsForWavesPerEU: 1
; NumVGPRsForWavesPerEU: 1
; Occupancy: 16
; WaveLimiterHint : 0
; COMPUTE_PGM_RSRC2:SCRATCH_EN: 0
; COMPUTE_PGM_RSRC2:USER_SGPR: 6
; COMPUTE_PGM_RSRC2:TRAP_HANDLER: 0
; COMPUTE_PGM_RSRC2:TGID_X_EN: 1
; COMPUTE_PGM_RSRC2:TGID_Y_EN: 0
; COMPUTE_PGM_RSRC2:TGID_Z_EN: 0
; COMPUTE_PGM_RSRC2:TIDIG_COMP_CNT: 0
	.section	.text._ZN7rocprim17ROCPRIM_400000_NS6detail17trampoline_kernelINS0_13kernel_configILj256ELj4ELj4294967295EEENS1_37radix_sort_block_sort_config_selectorIfNS0_10empty_typeEEEZNS1_21radix_sort_block_sortIS4_Lb0EN6thrust23THRUST_200600_302600_NS6detail15normal_iteratorINSA_10device_ptrIfEEEESF_PS6_SG_NS0_19identity_decomposerEEE10hipError_tT1_T2_T3_T4_jRjT5_jjP12ihipStream_tbEUlT_E_NS1_11comp_targetILNS1_3genE8ELNS1_11target_archE1030ELNS1_3gpuE2ELNS1_3repE0EEENS1_44radix_sort_block_sort_config_static_selectorELNS0_4arch9wavefront6targetE0EEEvSJ_,"axG",@progbits,_ZN7rocprim17ROCPRIM_400000_NS6detail17trampoline_kernelINS0_13kernel_configILj256ELj4ELj4294967295EEENS1_37radix_sort_block_sort_config_selectorIfNS0_10empty_typeEEEZNS1_21radix_sort_block_sortIS4_Lb0EN6thrust23THRUST_200600_302600_NS6detail15normal_iteratorINSA_10device_ptrIfEEEESF_PS6_SG_NS0_19identity_decomposerEEE10hipError_tT1_T2_T3_T4_jRjT5_jjP12ihipStream_tbEUlT_E_NS1_11comp_targetILNS1_3genE8ELNS1_11target_archE1030ELNS1_3gpuE2ELNS1_3repE0EEENS1_44radix_sort_block_sort_config_static_selectorELNS0_4arch9wavefront6targetE0EEEvSJ_,comdat
	.protected	_ZN7rocprim17ROCPRIM_400000_NS6detail17trampoline_kernelINS0_13kernel_configILj256ELj4ELj4294967295EEENS1_37radix_sort_block_sort_config_selectorIfNS0_10empty_typeEEEZNS1_21radix_sort_block_sortIS4_Lb0EN6thrust23THRUST_200600_302600_NS6detail15normal_iteratorINSA_10device_ptrIfEEEESF_PS6_SG_NS0_19identity_decomposerEEE10hipError_tT1_T2_T3_T4_jRjT5_jjP12ihipStream_tbEUlT_E_NS1_11comp_targetILNS1_3genE8ELNS1_11target_archE1030ELNS1_3gpuE2ELNS1_3repE0EEENS1_44radix_sort_block_sort_config_static_selectorELNS0_4arch9wavefront6targetE0EEEvSJ_ ; -- Begin function _ZN7rocprim17ROCPRIM_400000_NS6detail17trampoline_kernelINS0_13kernel_configILj256ELj4ELj4294967295EEENS1_37radix_sort_block_sort_config_selectorIfNS0_10empty_typeEEEZNS1_21radix_sort_block_sortIS4_Lb0EN6thrust23THRUST_200600_302600_NS6detail15normal_iteratorINSA_10device_ptrIfEEEESF_PS6_SG_NS0_19identity_decomposerEEE10hipError_tT1_T2_T3_T4_jRjT5_jjP12ihipStream_tbEUlT_E_NS1_11comp_targetILNS1_3genE8ELNS1_11target_archE1030ELNS1_3gpuE2ELNS1_3repE0EEENS1_44radix_sort_block_sort_config_static_selectorELNS0_4arch9wavefront6targetE0EEEvSJ_
	.globl	_ZN7rocprim17ROCPRIM_400000_NS6detail17trampoline_kernelINS0_13kernel_configILj256ELj4ELj4294967295EEENS1_37radix_sort_block_sort_config_selectorIfNS0_10empty_typeEEEZNS1_21radix_sort_block_sortIS4_Lb0EN6thrust23THRUST_200600_302600_NS6detail15normal_iteratorINSA_10device_ptrIfEEEESF_PS6_SG_NS0_19identity_decomposerEEE10hipError_tT1_T2_T3_T4_jRjT5_jjP12ihipStream_tbEUlT_E_NS1_11comp_targetILNS1_3genE8ELNS1_11target_archE1030ELNS1_3gpuE2ELNS1_3repE0EEENS1_44radix_sort_block_sort_config_static_selectorELNS0_4arch9wavefront6targetE0EEEvSJ_
	.p2align	8
	.type	_ZN7rocprim17ROCPRIM_400000_NS6detail17trampoline_kernelINS0_13kernel_configILj256ELj4ELj4294967295EEENS1_37radix_sort_block_sort_config_selectorIfNS0_10empty_typeEEEZNS1_21radix_sort_block_sortIS4_Lb0EN6thrust23THRUST_200600_302600_NS6detail15normal_iteratorINSA_10device_ptrIfEEEESF_PS6_SG_NS0_19identity_decomposerEEE10hipError_tT1_T2_T3_T4_jRjT5_jjP12ihipStream_tbEUlT_E_NS1_11comp_targetILNS1_3genE8ELNS1_11target_archE1030ELNS1_3gpuE2ELNS1_3repE0EEENS1_44radix_sort_block_sort_config_static_selectorELNS0_4arch9wavefront6targetE0EEEvSJ_,@function
_ZN7rocprim17ROCPRIM_400000_NS6detail17trampoline_kernelINS0_13kernel_configILj256ELj4ELj4294967295EEENS1_37radix_sort_block_sort_config_selectorIfNS0_10empty_typeEEEZNS1_21radix_sort_block_sortIS4_Lb0EN6thrust23THRUST_200600_302600_NS6detail15normal_iteratorINSA_10device_ptrIfEEEESF_PS6_SG_NS0_19identity_decomposerEEE10hipError_tT1_T2_T3_T4_jRjT5_jjP12ihipStream_tbEUlT_E_NS1_11comp_targetILNS1_3genE8ELNS1_11target_archE1030ELNS1_3gpuE2ELNS1_3repE0EEENS1_44radix_sort_block_sort_config_static_selectorELNS0_4arch9wavefront6targetE0EEEvSJ_: ; @_ZN7rocprim17ROCPRIM_400000_NS6detail17trampoline_kernelINS0_13kernel_configILj256ELj4ELj4294967295EEENS1_37radix_sort_block_sort_config_selectorIfNS0_10empty_typeEEEZNS1_21radix_sort_block_sortIS4_Lb0EN6thrust23THRUST_200600_302600_NS6detail15normal_iteratorINSA_10device_ptrIfEEEESF_PS6_SG_NS0_19identity_decomposerEEE10hipError_tT1_T2_T3_T4_jRjT5_jjP12ihipStream_tbEUlT_E_NS1_11comp_targetILNS1_3genE8ELNS1_11target_archE1030ELNS1_3gpuE2ELNS1_3repE0EEENS1_44radix_sort_block_sort_config_static_selectorELNS0_4arch9wavefront6targetE0EEEvSJ_
; %bb.0:
	s_clause 0x1
	s_load_dword s2, s[4:5], 0x20
	s_load_dwordx4 s[12:15], s[4:5], 0x0
	v_lshlrev_b32_e32 v13, 2, v0
	v_mbcnt_lo_u32_b32 v9, -1, 0
	s_lshl_b32 s0, s6, 10
	s_mov_b32 s1, 0
	v_and_b32_e32 v11, 0x380, v13
	v_lshlrev_b32_e32 v3, 2, v9
	v_lshlrev_b32_e32 v10, 2, v11
	s_waitcnt lgkmcnt(0)
	s_lshr_b32 s3, s2, 10
	s_cmp_lg_u32 s6, s3
	s_cselect_b32 s21, -1, 0
	s_lshl_b64 s[16:17], s[0:1], 2
	s_add_u32 s7, s12, s16
	s_addc_u32 s8, s13, s17
	v_add_co_u32 v3, s7, s7, v3
	v_add_co_ci_u32_e64 v4, null, s8, 0, s7
	s_cmp_eq_u32 s6, s3
	v_add_co_u32 v7, vcc_lo, v3, v10
	v_add_co_ci_u32_e64 v8, null, 0, v4, vcc_lo
	s_mov_b32 s3, -1
                                        ; implicit-def: $vgpr3_vgpr4_vgpr5_vgpr6
	s_cbranch_scc0 .LBB465_26
; %bb.1:
	s_load_dwordx2 s[18:19], s[4:5], 0x28
	s_andn2_b32 vcc_lo, exec_lo, s3
	s_sub_i32 s20, s2, s0
	s_cbranch_vccz .LBB465_27
.LBB465_2:
	s_and_saveexec_b32 s0, s1
	s_cbranch_execz .LBB465_4
.LBB465_3:
	global_load_dword v6, v[7:8], off offset:384
.LBB465_4:
	s_or_b32 exec_lo, exec_lo, s0
	s_load_dword s3, s[4:5], 0x3c
	s_waitcnt vmcnt(2)
	v_cmp_lt_i32_e32 vcc_lo, -1, v3
	s_getpc_b64 s[4:5]
	s_add_u32 s4, s4, _ZN7rocprim17ROCPRIM_400000_NS16block_radix_sortIfLj256ELj4ENS0_10empty_typeELj1ELj1ELj0ELNS0_26block_radix_rank_algorithmE1ELNS0_18block_padding_hintE2ELNS0_4arch9wavefront6targetE0EE19radix_bits_per_passE@rel32@lo+4
	s_addc_u32 s5, s5, _ZN7rocprim17ROCPRIM_400000_NS16block_radix_sortIfLj256ELj4ENS0_10empty_typeELj1ELj1ELj0ELNS0_26block_radix_rank_algorithmE1ELNS0_18block_padding_hintE2ELNS0_4arch9wavefront6targetE0EE19radix_bits_per_passE@rel32@hi+12
	v_sub_co_u32 v19, s2, v9, 1
	s_load_dword s22, s[4:5], 0x0
	v_cndmask_b32_e64 v7, -1, 0x80000000, vcc_lo
	s_waitcnt vmcnt(0)
	v_cmp_lt_i32_e32 vcc_lo, -1, v4
	v_and_b32_e32 v17, 16, v9
	v_lshrrev_b32_e32 v20, 3, v0
	v_lshlrev_b32_e32 v14, 5, v0
	v_and_b32_e32 v16, 15, v9
	v_cndmask_b32_e64 v11, -1, 0x80000000, vcc_lo
	v_cmp_lt_i32_e32 vcc_lo, -1, v5
	s_mov_b32 s24, 0
	v_or_b32_e32 v18, 31, v0
	v_and_b32_e32 v21, 7, v9
	v_cmp_eq_u32_e64 s7, 0, v17
	v_cndmask_b32_e64 v12, -1, 0x80000000, vcc_lo
	v_cmp_lt_i32_e32 vcc_lo, -1, v6
	s_waitcnt lgkmcnt(0)
	s_lshr_b32 s6, s3, 16
	s_and_b32 s3, s3, 0xffff
	v_mad_u32_u24 v2, v2, s6, v1
	v_xor_b32_e32 v1, v7, v3
	v_cndmask_b32_e64 v15, -1, 0x80000000, vcc_lo
	v_xor_b32_e32 v3, v12, v5
	v_cmp_gt_i32_e32 vcc_lo, 0, v19
	v_and_b32_e32 v17, 28, v20
	v_mad_u64_u32 v[7:8], null, v2, s3, v[0:1]
	v_xor_b32_e32 v2, v11, v4
	v_xor_b32_e32 v4, v15, v6
	v_cndmask_b32_e32 v6, v19, v9, vcc_lo
	s_mov_b32 s26, s24
	s_mov_b32 s25, s24
	;; [unrolled: 1-line block ×3, first 2 shown]
	v_lshrrev_b32_e32 v5, 3, v7
	v_lshl_add_u32 v20, v9, 2, v10
	v_mov_b32_e32 v9, s24
	v_mov_b32_e32 v11, s26
	v_cmp_gt_u32_e64 s0, 8, v0
	v_and_b32_e32 v15, 0x1ffffffc, v5
	v_mul_i32_i24_e32 v5, 0xffffffe4, v0
	v_cmp_lt_u32_e64 s1, 31, v0
	v_cmp_eq_u32_e64 s3, 0, v16
	v_cmp_lt_u32_e64 s4, 1, v16
	v_cmp_lt_u32_e64 s5, 3, v16
	v_cmp_lt_u32_e64 s6, 7, v16
	v_cmp_eq_u32_e64 s8, v0, v18
	v_lshlrev_b32_e32 v16, 2, v6
	v_cmp_eq_u32_e64 s9, 0, v0
	v_cmp_eq_u32_e64 s10, 0, v21
	v_cmp_lt_u32_e64 s11, 1, v21
	v_cmp_lt_u32_e64 s12, 3, v21
	v_add_nc_u32_e32 v19, -4, v17
	v_mov_b32_e32 v10, s25
	v_mov_b32_e32 v12, s27
	v_add_nc_u32_e32 v18, v14, v5
	s_add_i32 s23, s19, s18
	s_branch .LBB465_6
.LBB465_5:                              ;   in Loop: Header=BB465_6 Depth=1
	s_andn2_b32 vcc_lo, exec_lo, s13
	s_cbranch_vccz .LBB465_22
.LBB465_6:                              ; =>This Inner Loop Header: Depth=1
	v_mov_b32_e32 v21, v1
	s_min_u32 s13, s22, s19
	ds_write2_b64 v14, v[9:10], v[11:12] offset0:4 offset1:5
	ds_write2_b64 v14, v[9:10], v[11:12] offset0:6 offset1:7
	s_lshl_b32 s13, -1, s13
	s_waitcnt lgkmcnt(0)
	v_cmp_ne_u32_e32 vcc_lo, 0x7fffffff, v21
	s_not_b32 s24, s13
	s_barrier
	buffer_gl0_inv
	v_cndmask_b32_e32 v1, 0x80000000, v21, vcc_lo
	; wave barrier
	v_lshrrev_b32_e32 v1, s18, v1
	v_and_b32_e32 v5, s24, v1
	v_and_b32_e32 v1, 1, v5
	v_lshlrev_b32_e32 v6, 30, v5
	v_lshlrev_b32_e32 v7, 29, v5
	;; [unrolled: 1-line block ×4, first 2 shown]
	v_add_co_u32 v1, s13, v1, -1
	v_cndmask_b32_e64 v22, 0, 1, s13
	v_not_b32_e32 v26, v6
	v_cmp_gt_i32_e64 s13, 0, v6
	v_not_b32_e32 v6, v7
	v_lshlrev_b32_e32 v24, 26, v5
	v_cmp_ne_u32_e32 vcc_lo, 0, v22
	v_ashrrev_i32_e32 v26, 31, v26
	v_lshlrev_b32_e32 v25, 25, v5
	v_ashrrev_i32_e32 v6, 31, v6
	v_lshlrev_b32_e32 v22, 24, v5
	v_xor_b32_e32 v1, vcc_lo, v1
	v_cmp_gt_i32_e32 vcc_lo, 0, v7
	v_not_b32_e32 v7, v8
	v_xor_b32_e32 v26, s13, v26
	v_cmp_gt_i32_e64 s13, 0, v8
	v_and_b32_e32 v1, exec_lo, v1
	v_not_b32_e32 v8, v23
	v_ashrrev_i32_e32 v7, 31, v7
	v_xor_b32_e32 v6, vcc_lo, v6
	v_cmp_gt_i32_e32 vcc_lo, 0, v23
	v_and_b32_e32 v1, v1, v26
	v_not_b32_e32 v23, v24
	v_ashrrev_i32_e32 v8, 31, v8
	v_xor_b32_e32 v7, s13, v7
	v_cmp_gt_i32_e64 s13, 0, v24
	v_and_b32_e32 v1, v1, v6
	v_not_b32_e32 v6, v25
	v_ashrrev_i32_e32 v23, 31, v23
	v_xor_b32_e32 v8, vcc_lo, v8
	v_cmp_gt_i32_e32 vcc_lo, 0, v25
	v_and_b32_e32 v1, v1, v7
	v_not_b32_e32 v7, v22
	v_ashrrev_i32_e32 v6, 31, v6
	v_xor_b32_e32 v23, s13, v23
	v_cmp_gt_i32_e64 s13, 0, v22
	v_and_b32_e32 v1, v1, v8
	v_ashrrev_i32_e32 v7, 31, v7
	v_xor_b32_e32 v6, vcc_lo, v6
	v_mov_b32_e32 v24, v2
	v_lshlrev_b32_e32 v2, 5, v5
	v_and_b32_e32 v1, v1, v23
	v_xor_b32_e32 v7, s13, v7
	v_mov_b32_e32 v22, v4
	v_mov_b32_e32 v23, v3
	v_add_nc_u32_e32 v26, v15, v2
	v_and_b32_e32 v1, v1, v6
	v_and_b32_e32 v1, v1, v7
	v_mbcnt_lo_u32_b32 v25, v1, 0
	v_cmp_ne_u32_e64 s13, 0, v1
	v_cmp_eq_u32_e32 vcc_lo, 0, v25
	s_and_b32 s25, s13, vcc_lo
	s_and_saveexec_b32 s13, s25
; %bb.7:                                ;   in Loop: Header=BB465_6 Depth=1
	v_bcnt_u32_b32 v1, v1, 0
	ds_write_b32 v26, v1 offset:32
; %bb.8:                                ;   in Loop: Header=BB465_6 Depth=1
	s_or_b32 exec_lo, exec_lo, s13
	v_cmp_ne_u32_e32 vcc_lo, 0x7fffffff, v24
	; wave barrier
	v_cndmask_b32_e32 v1, 0x80000000, v24, vcc_lo
	v_lshrrev_b32_e32 v1, s18, v1
	v_and_b32_e32 v1, s24, v1
	v_and_b32_e32 v2, 1, v1
	v_lshlrev_b32_e32 v3, 30, v1
	v_lshlrev_b32_e32 v4, 29, v1
	;; [unrolled: 1-line block ×4, first 2 shown]
	v_add_co_u32 v2, s13, v2, -1
	v_cndmask_b32_e64 v6, 0, 1, s13
	v_not_b32_e32 v28, v3
	v_cmp_gt_i32_e64 s13, 0, v3
	v_not_b32_e32 v3, v4
	v_lshlrev_b32_e32 v8, 26, v1
	v_cmp_ne_u32_e32 vcc_lo, 0, v6
	v_ashrrev_i32_e32 v28, 31, v28
	v_lshlrev_b32_e32 v27, 25, v1
	v_ashrrev_i32_e32 v3, 31, v3
	v_lshlrev_b32_e32 v6, 24, v1
	v_xor_b32_e32 v2, vcc_lo, v2
	v_cmp_gt_i32_e32 vcc_lo, 0, v4
	v_not_b32_e32 v4, v5
	v_xor_b32_e32 v28, s13, v28
	v_cmp_gt_i32_e64 s13, 0, v5
	v_and_b32_e32 v2, exec_lo, v2
	v_not_b32_e32 v5, v7
	v_ashrrev_i32_e32 v4, 31, v4
	v_xor_b32_e32 v3, vcc_lo, v3
	v_cmp_gt_i32_e32 vcc_lo, 0, v7
	v_and_b32_e32 v2, v2, v28
	v_not_b32_e32 v7, v8
	v_ashrrev_i32_e32 v5, 31, v5
	v_xor_b32_e32 v4, s13, v4
	v_cmp_gt_i32_e64 s13, 0, v8
	v_and_b32_e32 v2, v2, v3
	v_not_b32_e32 v3, v27
	v_ashrrev_i32_e32 v7, 31, v7
	v_xor_b32_e32 v5, vcc_lo, v5
	v_cmp_gt_i32_e32 vcc_lo, 0, v27
	v_and_b32_e32 v2, v2, v4
	v_not_b32_e32 v4, v6
	v_ashrrev_i32_e32 v3, 31, v3
	v_xor_b32_e32 v7, s13, v7
	v_lshlrev_b32_e32 v1, 5, v1
	v_and_b32_e32 v2, v2, v5
	v_cmp_gt_i32_e64 s13, 0, v6
	v_ashrrev_i32_e32 v4, 31, v4
	v_xor_b32_e32 v3, vcc_lo, v3
	v_add_nc_u32_e32 v28, v15, v1
	v_and_b32_e32 v2, v2, v7
	v_xor_b32_e32 v1, s13, v4
	ds_read_b32 v27, v28 offset:32
	v_and_b32_e32 v2, v2, v3
	; wave barrier
	v_and_b32_e32 v1, v2, v1
	v_mbcnt_lo_u32_b32 v29, v1, 0
	v_cmp_ne_u32_e64 s13, 0, v1
	v_cmp_eq_u32_e32 vcc_lo, 0, v29
	s_and_b32 s25, s13, vcc_lo
	s_and_saveexec_b32 s13, s25
	s_cbranch_execz .LBB465_10
; %bb.9:                                ;   in Loop: Header=BB465_6 Depth=1
	s_waitcnt lgkmcnt(0)
	v_bcnt_u32_b32 v1, v1, v27
	ds_write_b32 v28, v1 offset:32
.LBB465_10:                             ;   in Loop: Header=BB465_6 Depth=1
	s_or_b32 exec_lo, exec_lo, s13
	v_cmp_ne_u32_e32 vcc_lo, 0x7fffffff, v23
	; wave barrier
	v_cndmask_b32_e32 v1, 0x80000000, v23, vcc_lo
	v_lshrrev_b32_e32 v1, s18, v1
	v_and_b32_e32 v1, s24, v1
	v_and_b32_e32 v2, 1, v1
	v_lshlrev_b32_e32 v3, 30, v1
	v_lshlrev_b32_e32 v4, 29, v1
	;; [unrolled: 1-line block ×4, first 2 shown]
	v_add_co_u32 v2, s13, v2, -1
	v_cndmask_b32_e64 v6, 0, 1, s13
	v_not_b32_e32 v31, v3
	v_cmp_gt_i32_e64 s13, 0, v3
	v_not_b32_e32 v3, v4
	v_lshlrev_b32_e32 v8, 26, v1
	v_cmp_ne_u32_e32 vcc_lo, 0, v6
	v_ashrrev_i32_e32 v31, 31, v31
	v_lshlrev_b32_e32 v30, 25, v1
	v_ashrrev_i32_e32 v3, 31, v3
	v_lshlrev_b32_e32 v6, 24, v1
	v_xor_b32_e32 v2, vcc_lo, v2
	v_cmp_gt_i32_e32 vcc_lo, 0, v4
	v_not_b32_e32 v4, v5
	v_xor_b32_e32 v31, s13, v31
	v_cmp_gt_i32_e64 s13, 0, v5
	v_and_b32_e32 v2, exec_lo, v2
	v_not_b32_e32 v5, v7
	v_ashrrev_i32_e32 v4, 31, v4
	v_xor_b32_e32 v3, vcc_lo, v3
	v_cmp_gt_i32_e32 vcc_lo, 0, v7
	v_and_b32_e32 v2, v2, v31
	v_not_b32_e32 v7, v8
	v_ashrrev_i32_e32 v5, 31, v5
	v_xor_b32_e32 v4, s13, v4
	v_cmp_gt_i32_e64 s13, 0, v8
	v_and_b32_e32 v2, v2, v3
	v_not_b32_e32 v3, v30
	v_ashrrev_i32_e32 v7, 31, v7
	v_xor_b32_e32 v5, vcc_lo, v5
	v_cmp_gt_i32_e32 vcc_lo, 0, v30
	v_and_b32_e32 v2, v2, v4
	v_not_b32_e32 v4, v6
	v_ashrrev_i32_e32 v3, 31, v3
	v_xor_b32_e32 v7, s13, v7
	v_lshlrev_b32_e32 v1, 5, v1
	v_and_b32_e32 v2, v2, v5
	v_cmp_gt_i32_e64 s13, 0, v6
	v_ashrrev_i32_e32 v4, 31, v4
	v_xor_b32_e32 v3, vcc_lo, v3
	v_add_nc_u32_e32 v32, v15, v1
	v_and_b32_e32 v2, v2, v7
	v_xor_b32_e32 v1, s13, v4
	ds_read_b32 v30, v32 offset:32
	v_and_b32_e32 v2, v2, v3
	; wave barrier
	v_and_b32_e32 v1, v2, v1
	v_mbcnt_lo_u32_b32 v31, v1, 0
	v_cmp_ne_u32_e64 s13, 0, v1
	v_cmp_eq_u32_e32 vcc_lo, 0, v31
	s_and_b32 s25, s13, vcc_lo
	s_and_saveexec_b32 s13, s25
	s_cbranch_execz .LBB465_12
; %bb.11:                               ;   in Loop: Header=BB465_6 Depth=1
	s_waitcnt lgkmcnt(0)
	v_bcnt_u32_b32 v1, v1, v30
	ds_write_b32 v32, v1 offset:32
.LBB465_12:                             ;   in Loop: Header=BB465_6 Depth=1
	s_or_b32 exec_lo, exec_lo, s13
	v_cmp_ne_u32_e32 vcc_lo, 0x7fffffff, v22
	; wave barrier
	v_cndmask_b32_e32 v1, 0x80000000, v22, vcc_lo
	v_lshrrev_b32_e32 v1, s18, v1
	v_and_b32_e32 v1, s24, v1
	v_and_b32_e32 v2, 1, v1
	v_lshlrev_b32_e32 v3, 30, v1
	v_lshlrev_b32_e32 v4, 29, v1
	;; [unrolled: 1-line block ×4, first 2 shown]
	v_add_co_u32 v2, s13, v2, -1
	v_cndmask_b32_e64 v6, 0, 1, s13
	v_not_b32_e32 v34, v3
	v_cmp_gt_i32_e64 s13, 0, v3
	v_not_b32_e32 v3, v4
	v_lshlrev_b32_e32 v8, 26, v1
	v_cmp_ne_u32_e32 vcc_lo, 0, v6
	v_ashrrev_i32_e32 v34, 31, v34
	v_lshlrev_b32_e32 v33, 25, v1
	v_ashrrev_i32_e32 v3, 31, v3
	v_lshlrev_b32_e32 v6, 24, v1
	v_xor_b32_e32 v2, vcc_lo, v2
	v_cmp_gt_i32_e32 vcc_lo, 0, v4
	v_not_b32_e32 v4, v5
	v_xor_b32_e32 v34, s13, v34
	v_cmp_gt_i32_e64 s13, 0, v5
	v_and_b32_e32 v2, exec_lo, v2
	v_not_b32_e32 v5, v7
	v_ashrrev_i32_e32 v4, 31, v4
	v_xor_b32_e32 v3, vcc_lo, v3
	v_cmp_gt_i32_e32 vcc_lo, 0, v7
	v_and_b32_e32 v2, v2, v34
	v_not_b32_e32 v7, v8
	v_ashrrev_i32_e32 v5, 31, v5
	v_xor_b32_e32 v4, s13, v4
	v_cmp_gt_i32_e64 s13, 0, v8
	v_and_b32_e32 v2, v2, v3
	v_not_b32_e32 v3, v33
	v_ashrrev_i32_e32 v7, 31, v7
	v_xor_b32_e32 v5, vcc_lo, v5
	v_cmp_gt_i32_e32 vcc_lo, 0, v33
	v_and_b32_e32 v2, v2, v4
	v_not_b32_e32 v4, v6
	v_ashrrev_i32_e32 v3, 31, v3
	v_xor_b32_e32 v7, s13, v7
	v_lshlrev_b32_e32 v1, 5, v1
	v_and_b32_e32 v2, v2, v5
	v_cmp_gt_i32_e64 s13, 0, v6
	v_ashrrev_i32_e32 v4, 31, v4
	v_xor_b32_e32 v3, vcc_lo, v3
	v_add_nc_u32_e32 v35, v15, v1
	v_and_b32_e32 v2, v2, v7
	v_xor_b32_e32 v1, s13, v4
	ds_read_b32 v33, v35 offset:32
	v_and_b32_e32 v2, v2, v3
	; wave barrier
	v_and_b32_e32 v1, v2, v1
	v_mbcnt_lo_u32_b32 v34, v1, 0
	v_cmp_ne_u32_e64 s13, 0, v1
	v_cmp_eq_u32_e32 vcc_lo, 0, v34
	s_and_b32 s24, s13, vcc_lo
	s_and_saveexec_b32 s13, s24
	s_cbranch_execz .LBB465_14
; %bb.13:                               ;   in Loop: Header=BB465_6 Depth=1
	s_waitcnt lgkmcnt(0)
	v_bcnt_u32_b32 v1, v1, v33
	ds_write_b32 v35, v1 offset:32
.LBB465_14:                             ;   in Loop: Header=BB465_6 Depth=1
	s_or_b32 exec_lo, exec_lo, s13
	; wave barrier
	s_waitcnt lgkmcnt(0)
	s_barrier
	buffer_gl0_inv
	ds_read2_b64 v[5:8], v14 offset0:4 offset1:5
	ds_read2_b64 v[1:4], v14 offset0:6 offset1:7
	s_waitcnt lgkmcnt(1)
	v_add_nc_u32_e32 v36, v6, v5
	v_add3_u32 v36, v36, v7, v8
	s_waitcnt lgkmcnt(0)
	v_add3_u32 v36, v36, v1, v2
	v_add3_u32 v4, v36, v3, v4
	v_mov_b32_dpp v36, v4 row_shr:1 row_mask:0xf bank_mask:0xf
	v_cndmask_b32_e64 v36, v36, 0, s3
	v_add_nc_u32_e32 v4, v36, v4
	v_mov_b32_dpp v36, v4 row_shr:2 row_mask:0xf bank_mask:0xf
	v_cndmask_b32_e64 v36, 0, v36, s4
	v_add_nc_u32_e32 v4, v4, v36
	;; [unrolled: 3-line block ×4, first 2 shown]
	ds_swizzle_b32 v36, v4 offset:swizzle(BROADCAST,32,15)
	s_waitcnt lgkmcnt(0)
	v_cndmask_b32_e64 v36, v36, 0, s7
	v_add_nc_u32_e32 v4, v4, v36
	s_and_saveexec_b32 s13, s8
; %bb.15:                               ;   in Loop: Header=BB465_6 Depth=1
	ds_write_b32 v17, v4
; %bb.16:                               ;   in Loop: Header=BB465_6 Depth=1
	s_or_b32 exec_lo, exec_lo, s13
	s_waitcnt lgkmcnt(0)
	s_barrier
	buffer_gl0_inv
	s_and_saveexec_b32 s13, s0
	s_cbranch_execz .LBB465_18
; %bb.17:                               ;   in Loop: Header=BB465_6 Depth=1
	ds_read_b32 v36, v18
	s_waitcnt lgkmcnt(0)
	v_mov_b32_dpp v37, v36 row_shr:1 row_mask:0xf bank_mask:0xf
	v_cndmask_b32_e64 v37, v37, 0, s10
	v_add_nc_u32_e32 v36, v37, v36
	v_mov_b32_dpp v37, v36 row_shr:2 row_mask:0xf bank_mask:0xf
	v_cndmask_b32_e64 v37, 0, v37, s11
	v_add_nc_u32_e32 v36, v36, v37
	;; [unrolled: 3-line block ×3, first 2 shown]
	ds_write_b32 v18, v36
.LBB465_18:                             ;   in Loop: Header=BB465_6 Depth=1
	s_or_b32 exec_lo, exec_lo, s13
	v_mov_b32_e32 v36, 0
	s_waitcnt lgkmcnt(0)
	s_barrier
	buffer_gl0_inv
	s_and_saveexec_b32 s13, s1
; %bb.19:                               ;   in Loop: Header=BB465_6 Depth=1
	ds_read_b32 v36, v19
; %bb.20:                               ;   in Loop: Header=BB465_6 Depth=1
	s_or_b32 exec_lo, exec_lo, s13
	s_waitcnt lgkmcnt(0)
	v_add_nc_u32_e32 v4, v36, v4
	s_add_i32 s18, s18, 8
	s_mov_b32 s13, -1
	s_cmp_ge_u32 s18, s23
	ds_bpermute_b32 v4, v16, v4
	s_waitcnt lgkmcnt(0)
	v_cndmask_b32_e64 v4, v4, v36, s2
	v_cndmask_b32_e64 v4, v4, 0, s9
	v_add_nc_u32_e32 v5, v4, v5
	v_add_nc_u32_e32 v6, v5, v6
	;; [unrolled: 1-line block ×4, first 2 shown]
	v_lshlrev_b32_e32 v8, 2, v31
	v_add_nc_u32_e32 v37, v36, v1
	v_add_nc_u32_e32 v1, v37, v2
	;; [unrolled: 1-line block ×3, first 2 shown]
	ds_write2_b64 v14, v[4:5], v[6:7] offset0:4 offset1:5
	ds_write2_b64 v14, v[36:37], v[1:2] offset0:6 offset1:7
	s_waitcnt lgkmcnt(0)
	s_barrier
	buffer_gl0_inv
	ds_read_b32 v1, v28 offset:32
	ds_read_b32 v2, v32 offset:32
	;; [unrolled: 1-line block ×4, first 2 shown]
	v_lshlrev_b32_e32 v5, 2, v25
	v_lshlrev_b32_e32 v6, 2, v29
	;; [unrolled: 1-line block ×6, first 2 shown]
	s_waitcnt lgkmcnt(0)
	v_lshlrev_b32_e32 v1, 2, v1
	v_lshlrev_b32_e32 v2, 2, v2
	;; [unrolled: 1-line block ×3, first 2 shown]
	v_lshl_add_u32 v5, v4, 2, v5
	v_add3_u32 v6, v6, v7, v1
	v_add3_u32 v7, v8, v25, v2
	v_add3_u32 v8, v26, v27, v3
                                        ; implicit-def: $vgpr4
                                        ; implicit-def: $vgpr2
	s_cbranch_scc1 .LBB465_5
; %bb.21:                               ;   in Loop: Header=BB465_6 Depth=1
	s_barrier
	buffer_gl0_inv
	ds_write_b32 v5, v21
	ds_write_b32 v6, v24
	;; [unrolled: 1-line block ×4, first 2 shown]
	s_waitcnt lgkmcnt(0)
	s_barrier
	buffer_gl0_inv
	ds_read2_b32 v[1:2], v20 offset1:32
	ds_read2_b32 v[3:4], v20 offset0:64 offset1:96
	s_add_i32 s19, s19, -8
	s_mov_b32 s13, 0
	s_waitcnt lgkmcnt(0)
	s_barrier
	buffer_gl0_inv
	s_branch .LBB465_5
.LBB465_22:
	s_barrier
	buffer_gl0_inv
	ds_write_b32 v5, v21
	ds_write_b32 v6, v24
	;; [unrolled: 1-line block ×4, first 2 shown]
	s_waitcnt lgkmcnt(0)
	s_barrier
	buffer_gl0_inv
	ds_read2st64_b32 v[3:4], v18 offset1:4
	ds_read2st64_b32 v[1:2], v18 offset0:8 offset1:12
	s_add_u32 s0, s14, s16
	s_addc_u32 s1, s15, s17
	s_waitcnt lgkmcnt(1)
	v_cmp_lt_i32_e32 vcc_lo, -1, v3
	v_cndmask_b32_e64 v5, 0x80000000, -1, vcc_lo
	v_cmp_lt_i32_e32 vcc_lo, -1, v4
	v_xor_b32_e32 v6, v5, v3
	v_cndmask_b32_e64 v7, 0x80000000, -1, vcc_lo
	s_waitcnt lgkmcnt(0)
	v_cmp_lt_i32_e32 vcc_lo, -1, v1
	v_add_co_u32 v3, s0, s0, v13
	v_xor_b32_e32 v5, v7, v4
	v_cndmask_b32_e64 v8, 0x80000000, -1, vcc_lo
	v_add_co_ci_u32_e64 v4, null, s1, 0, s0
	s_mov_b32 s1, -1
	s_andn2_b32 vcc_lo, exec_lo, s21
	v_xor_b32_e32 v1, v8, v1
	s_mov_b32 s0, 0
	s_cbranch_vccz .LBB465_34
; %bb.23:
	s_andn2_b32 vcc_lo, exec_lo, s1
	s_cbranch_vccz .LBB465_35
.LBB465_24:
	s_and_saveexec_b32 s1, s0
	s_cbranch_execnz .LBB465_42
.LBB465_25:
	s_endpgm
.LBB465_26:
	s_clause 0x2
	global_load_dword v3, v[7:8], off
	global_load_dword v4, v[7:8], off offset:128
	global_load_dword v5, v[7:8], off offset:256
	s_mov_b32 s1, -1
	s_load_dwordx2 s[18:19], s[4:5], 0x28
	s_sub_i32 s20, s2, s0
	s_cbranch_execnz .LBB465_2
.LBB465_27:
	s_waitcnt vmcnt(2)
	v_bfrev_b32_e32 v3, -2
	v_or_b32_e32 v11, v9, v11
	s_mov_b32 s0, exec_lo
	s_waitcnt vmcnt(1)
	v_mov_b32_e32 v4, v3
	s_waitcnt vmcnt(0)
	v_mov_b32_e32 v5, v3
	v_mov_b32_e32 v6, v3
	v_cmpx_gt_u32_e64 s20, v11
	s_cbranch_execz .LBB465_29
; %bb.28:
	global_load_dword v14, v[7:8], off
	v_mov_b32_e32 v15, v3
	v_mov_b32_e32 v16, v3
	;; [unrolled: 1-line block ×3, first 2 shown]
	s_waitcnt vmcnt(0)
	v_mov_b32_e32 v3, v14
	v_mov_b32_e32 v4, v15
	;; [unrolled: 1-line block ×4, first 2 shown]
.LBB465_29:
	s_or_b32 exec_lo, exec_lo, s0
	v_or_b32_e32 v12, 32, v11
	s_mov_b32 s0, exec_lo
	v_cmpx_gt_u32_e64 s20, v12
	s_cbranch_execz .LBB465_31
; %bb.30:
	global_load_dword v4, v[7:8], off offset:128
.LBB465_31:
	s_or_b32 exec_lo, exec_lo, s0
	v_or_b32_e32 v12, 64, v11
	s_mov_b32 s0, exec_lo
	v_cmpx_gt_u32_e64 s20, v12
	s_cbranch_execz .LBB465_33
; %bb.32:
	global_load_dword v5, v[7:8], off offset:256
.LBB465_33:
	s_or_b32 exec_lo, exec_lo, s0
	v_or_b32_e32 v11, 0x60, v11
	v_cmp_gt_u32_e64 s1, s20, v11
	s_and_saveexec_b32 s0, s1
	s_cbranch_execnz .LBB465_3
	s_branch .LBB465_4
.LBB465_34:
	v_add_co_u32 v7, vcc_lo, 0x800, v3
	v_add_co_ci_u32_e64 v8, null, 0, v4, vcc_lo
	s_mov_b32 s0, -1
	global_store_dword v[3:4], v6, off
	global_store_dword v[3:4], v5, off offset:1024
	global_store_dword v[7:8], v1, off
	s_cbranch_execnz .LBB465_24
.LBB465_35:
	s_mov_b32 s0, exec_lo
	v_cmpx_gt_u32_e64 s20, v0
	s_cbranch_execz .LBB465_37
; %bb.36:
	global_store_dword v[3:4], v6, off
.LBB465_37:
	s_or_b32 exec_lo, exec_lo, s0
	v_or_b32_e32 v6, 0x100, v0
	s_mov_b32 s0, exec_lo
	v_cmpx_gt_u32_e64 s20, v6
	s_cbranch_execz .LBB465_39
; %bb.38:
	global_store_dword v[3:4], v5, off offset:1024
.LBB465_39:
	s_or_b32 exec_lo, exec_lo, s0
	v_or_b32_e32 v5, 0x200, v0
	s_mov_b32 s0, exec_lo
	v_cmpx_gt_u32_e64 s20, v5
	s_cbranch_execz .LBB465_41
; %bb.40:
	v_add_co_u32 v5, vcc_lo, 0x800, v3
	v_add_co_ci_u32_e64 v6, null, 0, v4, vcc_lo
	global_store_dword v[5:6], v1, off
.LBB465_41:
	s_or_b32 exec_lo, exec_lo, s0
	v_or_b32_e32 v0, 0x300, v0
	v_cmp_gt_u32_e64 s0, s20, v0
	s_and_saveexec_b32 s1, s0
	s_cbranch_execz .LBB465_25
.LBB465_42:
	v_cmp_lt_i32_e32 vcc_lo, -1, v2
	v_cndmask_b32_e64 v0, 0x80000000, -1, vcc_lo
	v_xor_b32_e32 v2, v0, v2
	v_add_co_u32 v0, vcc_lo, 0x800, v3
	v_add_co_ci_u32_e64 v1, null, 0, v4, vcc_lo
	global_store_dword v[0:1], v2, off offset:1024
	s_endpgm
	.section	.rodata,"a",@progbits
	.p2align	6, 0x0
	.amdhsa_kernel _ZN7rocprim17ROCPRIM_400000_NS6detail17trampoline_kernelINS0_13kernel_configILj256ELj4ELj4294967295EEENS1_37radix_sort_block_sort_config_selectorIfNS0_10empty_typeEEEZNS1_21radix_sort_block_sortIS4_Lb0EN6thrust23THRUST_200600_302600_NS6detail15normal_iteratorINSA_10device_ptrIfEEEESF_PS6_SG_NS0_19identity_decomposerEEE10hipError_tT1_T2_T3_T4_jRjT5_jjP12ihipStream_tbEUlT_E_NS1_11comp_targetILNS1_3genE8ELNS1_11target_archE1030ELNS1_3gpuE2ELNS1_3repE0EEENS1_44radix_sort_block_sort_config_static_selectorELNS0_4arch9wavefront6targetE0EEEvSJ_
		.amdhsa_group_segment_fixed_size 8224
		.amdhsa_private_segment_fixed_size 0
		.amdhsa_kernarg_size 304
		.amdhsa_user_sgpr_count 6
		.amdhsa_user_sgpr_private_segment_buffer 1
		.amdhsa_user_sgpr_dispatch_ptr 0
		.amdhsa_user_sgpr_queue_ptr 0
		.amdhsa_user_sgpr_kernarg_segment_ptr 1
		.amdhsa_user_sgpr_dispatch_id 0
		.amdhsa_user_sgpr_flat_scratch_init 0
		.amdhsa_user_sgpr_private_segment_size 0
		.amdhsa_wavefront_size32 1
		.amdhsa_uses_dynamic_stack 0
		.amdhsa_system_sgpr_private_segment_wavefront_offset 0
		.amdhsa_system_sgpr_workgroup_id_x 1
		.amdhsa_system_sgpr_workgroup_id_y 0
		.amdhsa_system_sgpr_workgroup_id_z 0
		.amdhsa_system_sgpr_workgroup_info 0
		.amdhsa_system_vgpr_workitem_id 2
		.amdhsa_next_free_vgpr 38
		.amdhsa_next_free_sgpr 28
		.amdhsa_reserve_vcc 1
		.amdhsa_reserve_flat_scratch 0
		.amdhsa_float_round_mode_32 0
		.amdhsa_float_round_mode_16_64 0
		.amdhsa_float_denorm_mode_32 3
		.amdhsa_float_denorm_mode_16_64 3
		.amdhsa_dx10_clamp 1
		.amdhsa_ieee_mode 1
		.amdhsa_fp16_overflow 0
		.amdhsa_workgroup_processor_mode 1
		.amdhsa_memory_ordered 1
		.amdhsa_forward_progress 1
		.amdhsa_shared_vgpr_count 0
		.amdhsa_exception_fp_ieee_invalid_op 0
		.amdhsa_exception_fp_denorm_src 0
		.amdhsa_exception_fp_ieee_div_zero 0
		.amdhsa_exception_fp_ieee_overflow 0
		.amdhsa_exception_fp_ieee_underflow 0
		.amdhsa_exception_fp_ieee_inexact 0
		.amdhsa_exception_int_div_zero 0
	.end_amdhsa_kernel
	.section	.text._ZN7rocprim17ROCPRIM_400000_NS6detail17trampoline_kernelINS0_13kernel_configILj256ELj4ELj4294967295EEENS1_37radix_sort_block_sort_config_selectorIfNS0_10empty_typeEEEZNS1_21radix_sort_block_sortIS4_Lb0EN6thrust23THRUST_200600_302600_NS6detail15normal_iteratorINSA_10device_ptrIfEEEESF_PS6_SG_NS0_19identity_decomposerEEE10hipError_tT1_T2_T3_T4_jRjT5_jjP12ihipStream_tbEUlT_E_NS1_11comp_targetILNS1_3genE8ELNS1_11target_archE1030ELNS1_3gpuE2ELNS1_3repE0EEENS1_44radix_sort_block_sort_config_static_selectorELNS0_4arch9wavefront6targetE0EEEvSJ_,"axG",@progbits,_ZN7rocprim17ROCPRIM_400000_NS6detail17trampoline_kernelINS0_13kernel_configILj256ELj4ELj4294967295EEENS1_37radix_sort_block_sort_config_selectorIfNS0_10empty_typeEEEZNS1_21radix_sort_block_sortIS4_Lb0EN6thrust23THRUST_200600_302600_NS6detail15normal_iteratorINSA_10device_ptrIfEEEESF_PS6_SG_NS0_19identity_decomposerEEE10hipError_tT1_T2_T3_T4_jRjT5_jjP12ihipStream_tbEUlT_E_NS1_11comp_targetILNS1_3genE8ELNS1_11target_archE1030ELNS1_3gpuE2ELNS1_3repE0EEENS1_44radix_sort_block_sort_config_static_selectorELNS0_4arch9wavefront6targetE0EEEvSJ_,comdat
.Lfunc_end465:
	.size	_ZN7rocprim17ROCPRIM_400000_NS6detail17trampoline_kernelINS0_13kernel_configILj256ELj4ELj4294967295EEENS1_37radix_sort_block_sort_config_selectorIfNS0_10empty_typeEEEZNS1_21radix_sort_block_sortIS4_Lb0EN6thrust23THRUST_200600_302600_NS6detail15normal_iteratorINSA_10device_ptrIfEEEESF_PS6_SG_NS0_19identity_decomposerEEE10hipError_tT1_T2_T3_T4_jRjT5_jjP12ihipStream_tbEUlT_E_NS1_11comp_targetILNS1_3genE8ELNS1_11target_archE1030ELNS1_3gpuE2ELNS1_3repE0EEENS1_44radix_sort_block_sort_config_static_selectorELNS0_4arch9wavefront6targetE0EEEvSJ_, .Lfunc_end465-_ZN7rocprim17ROCPRIM_400000_NS6detail17trampoline_kernelINS0_13kernel_configILj256ELj4ELj4294967295EEENS1_37radix_sort_block_sort_config_selectorIfNS0_10empty_typeEEEZNS1_21radix_sort_block_sortIS4_Lb0EN6thrust23THRUST_200600_302600_NS6detail15normal_iteratorINSA_10device_ptrIfEEEESF_PS6_SG_NS0_19identity_decomposerEEE10hipError_tT1_T2_T3_T4_jRjT5_jjP12ihipStream_tbEUlT_E_NS1_11comp_targetILNS1_3genE8ELNS1_11target_archE1030ELNS1_3gpuE2ELNS1_3repE0EEENS1_44radix_sort_block_sort_config_static_selectorELNS0_4arch9wavefront6targetE0EEEvSJ_
                                        ; -- End function
	.set _ZN7rocprim17ROCPRIM_400000_NS6detail17trampoline_kernelINS0_13kernel_configILj256ELj4ELj4294967295EEENS1_37radix_sort_block_sort_config_selectorIfNS0_10empty_typeEEEZNS1_21radix_sort_block_sortIS4_Lb0EN6thrust23THRUST_200600_302600_NS6detail15normal_iteratorINSA_10device_ptrIfEEEESF_PS6_SG_NS0_19identity_decomposerEEE10hipError_tT1_T2_T3_T4_jRjT5_jjP12ihipStream_tbEUlT_E_NS1_11comp_targetILNS1_3genE8ELNS1_11target_archE1030ELNS1_3gpuE2ELNS1_3repE0EEENS1_44radix_sort_block_sort_config_static_selectorELNS0_4arch9wavefront6targetE0EEEvSJ_.num_vgpr, 38
	.set _ZN7rocprim17ROCPRIM_400000_NS6detail17trampoline_kernelINS0_13kernel_configILj256ELj4ELj4294967295EEENS1_37radix_sort_block_sort_config_selectorIfNS0_10empty_typeEEEZNS1_21radix_sort_block_sortIS4_Lb0EN6thrust23THRUST_200600_302600_NS6detail15normal_iteratorINSA_10device_ptrIfEEEESF_PS6_SG_NS0_19identity_decomposerEEE10hipError_tT1_T2_T3_T4_jRjT5_jjP12ihipStream_tbEUlT_E_NS1_11comp_targetILNS1_3genE8ELNS1_11target_archE1030ELNS1_3gpuE2ELNS1_3repE0EEENS1_44radix_sort_block_sort_config_static_selectorELNS0_4arch9wavefront6targetE0EEEvSJ_.num_agpr, 0
	.set _ZN7rocprim17ROCPRIM_400000_NS6detail17trampoline_kernelINS0_13kernel_configILj256ELj4ELj4294967295EEENS1_37radix_sort_block_sort_config_selectorIfNS0_10empty_typeEEEZNS1_21radix_sort_block_sortIS4_Lb0EN6thrust23THRUST_200600_302600_NS6detail15normal_iteratorINSA_10device_ptrIfEEEESF_PS6_SG_NS0_19identity_decomposerEEE10hipError_tT1_T2_T3_T4_jRjT5_jjP12ihipStream_tbEUlT_E_NS1_11comp_targetILNS1_3genE8ELNS1_11target_archE1030ELNS1_3gpuE2ELNS1_3repE0EEENS1_44radix_sort_block_sort_config_static_selectorELNS0_4arch9wavefront6targetE0EEEvSJ_.numbered_sgpr, 28
	.set _ZN7rocprim17ROCPRIM_400000_NS6detail17trampoline_kernelINS0_13kernel_configILj256ELj4ELj4294967295EEENS1_37radix_sort_block_sort_config_selectorIfNS0_10empty_typeEEEZNS1_21radix_sort_block_sortIS4_Lb0EN6thrust23THRUST_200600_302600_NS6detail15normal_iteratorINSA_10device_ptrIfEEEESF_PS6_SG_NS0_19identity_decomposerEEE10hipError_tT1_T2_T3_T4_jRjT5_jjP12ihipStream_tbEUlT_E_NS1_11comp_targetILNS1_3genE8ELNS1_11target_archE1030ELNS1_3gpuE2ELNS1_3repE0EEENS1_44radix_sort_block_sort_config_static_selectorELNS0_4arch9wavefront6targetE0EEEvSJ_.num_named_barrier, 0
	.set _ZN7rocprim17ROCPRIM_400000_NS6detail17trampoline_kernelINS0_13kernel_configILj256ELj4ELj4294967295EEENS1_37radix_sort_block_sort_config_selectorIfNS0_10empty_typeEEEZNS1_21radix_sort_block_sortIS4_Lb0EN6thrust23THRUST_200600_302600_NS6detail15normal_iteratorINSA_10device_ptrIfEEEESF_PS6_SG_NS0_19identity_decomposerEEE10hipError_tT1_T2_T3_T4_jRjT5_jjP12ihipStream_tbEUlT_E_NS1_11comp_targetILNS1_3genE8ELNS1_11target_archE1030ELNS1_3gpuE2ELNS1_3repE0EEENS1_44radix_sort_block_sort_config_static_selectorELNS0_4arch9wavefront6targetE0EEEvSJ_.private_seg_size, 0
	.set _ZN7rocprim17ROCPRIM_400000_NS6detail17trampoline_kernelINS0_13kernel_configILj256ELj4ELj4294967295EEENS1_37radix_sort_block_sort_config_selectorIfNS0_10empty_typeEEEZNS1_21radix_sort_block_sortIS4_Lb0EN6thrust23THRUST_200600_302600_NS6detail15normal_iteratorINSA_10device_ptrIfEEEESF_PS6_SG_NS0_19identity_decomposerEEE10hipError_tT1_T2_T3_T4_jRjT5_jjP12ihipStream_tbEUlT_E_NS1_11comp_targetILNS1_3genE8ELNS1_11target_archE1030ELNS1_3gpuE2ELNS1_3repE0EEENS1_44radix_sort_block_sort_config_static_selectorELNS0_4arch9wavefront6targetE0EEEvSJ_.uses_vcc, 1
	.set _ZN7rocprim17ROCPRIM_400000_NS6detail17trampoline_kernelINS0_13kernel_configILj256ELj4ELj4294967295EEENS1_37radix_sort_block_sort_config_selectorIfNS0_10empty_typeEEEZNS1_21radix_sort_block_sortIS4_Lb0EN6thrust23THRUST_200600_302600_NS6detail15normal_iteratorINSA_10device_ptrIfEEEESF_PS6_SG_NS0_19identity_decomposerEEE10hipError_tT1_T2_T3_T4_jRjT5_jjP12ihipStream_tbEUlT_E_NS1_11comp_targetILNS1_3genE8ELNS1_11target_archE1030ELNS1_3gpuE2ELNS1_3repE0EEENS1_44radix_sort_block_sort_config_static_selectorELNS0_4arch9wavefront6targetE0EEEvSJ_.uses_flat_scratch, 0
	.set _ZN7rocprim17ROCPRIM_400000_NS6detail17trampoline_kernelINS0_13kernel_configILj256ELj4ELj4294967295EEENS1_37radix_sort_block_sort_config_selectorIfNS0_10empty_typeEEEZNS1_21radix_sort_block_sortIS4_Lb0EN6thrust23THRUST_200600_302600_NS6detail15normal_iteratorINSA_10device_ptrIfEEEESF_PS6_SG_NS0_19identity_decomposerEEE10hipError_tT1_T2_T3_T4_jRjT5_jjP12ihipStream_tbEUlT_E_NS1_11comp_targetILNS1_3genE8ELNS1_11target_archE1030ELNS1_3gpuE2ELNS1_3repE0EEENS1_44radix_sort_block_sort_config_static_selectorELNS0_4arch9wavefront6targetE0EEEvSJ_.has_dyn_sized_stack, 0
	.set _ZN7rocprim17ROCPRIM_400000_NS6detail17trampoline_kernelINS0_13kernel_configILj256ELj4ELj4294967295EEENS1_37radix_sort_block_sort_config_selectorIfNS0_10empty_typeEEEZNS1_21radix_sort_block_sortIS4_Lb0EN6thrust23THRUST_200600_302600_NS6detail15normal_iteratorINSA_10device_ptrIfEEEESF_PS6_SG_NS0_19identity_decomposerEEE10hipError_tT1_T2_T3_T4_jRjT5_jjP12ihipStream_tbEUlT_E_NS1_11comp_targetILNS1_3genE8ELNS1_11target_archE1030ELNS1_3gpuE2ELNS1_3repE0EEENS1_44radix_sort_block_sort_config_static_selectorELNS0_4arch9wavefront6targetE0EEEvSJ_.has_recursion, 0
	.set _ZN7rocprim17ROCPRIM_400000_NS6detail17trampoline_kernelINS0_13kernel_configILj256ELj4ELj4294967295EEENS1_37radix_sort_block_sort_config_selectorIfNS0_10empty_typeEEEZNS1_21radix_sort_block_sortIS4_Lb0EN6thrust23THRUST_200600_302600_NS6detail15normal_iteratorINSA_10device_ptrIfEEEESF_PS6_SG_NS0_19identity_decomposerEEE10hipError_tT1_T2_T3_T4_jRjT5_jjP12ihipStream_tbEUlT_E_NS1_11comp_targetILNS1_3genE8ELNS1_11target_archE1030ELNS1_3gpuE2ELNS1_3repE0EEENS1_44radix_sort_block_sort_config_static_selectorELNS0_4arch9wavefront6targetE0EEEvSJ_.has_indirect_call, 0
	.section	.AMDGPU.csdata,"",@progbits
; Kernel info:
; codeLenInByte = 3184
; TotalNumSgprs: 30
; NumVgprs: 38
; ScratchSize: 0
; MemoryBound: 0
; FloatMode: 240
; IeeeMode: 1
; LDSByteSize: 8224 bytes/workgroup (compile time only)
; SGPRBlocks: 0
; VGPRBlocks: 4
; NumSGPRsForWavesPerEU: 30
; NumVGPRsForWavesPerEU: 38
; Occupancy: 16
; WaveLimiterHint : 1
; COMPUTE_PGM_RSRC2:SCRATCH_EN: 0
; COMPUTE_PGM_RSRC2:USER_SGPR: 6
; COMPUTE_PGM_RSRC2:TRAP_HANDLER: 0
; COMPUTE_PGM_RSRC2:TGID_X_EN: 1
; COMPUTE_PGM_RSRC2:TGID_Y_EN: 0
; COMPUTE_PGM_RSRC2:TGID_Z_EN: 0
; COMPUTE_PGM_RSRC2:TIDIG_COMP_CNT: 2
	.section	.text._ZN7rocprim17ROCPRIM_400000_NS6detail44device_merge_sort_compile_time_verifier_archINS1_11comp_targetILNS1_3genE0ELNS1_11target_archE4294967295ELNS1_3gpuE0ELNS1_3repE0EEES8_NS1_28merge_sort_block_sort_configILj256ELj4ELNS0_20block_sort_algorithmE0EEENS0_14default_configENS1_37merge_sort_block_sort_config_selectorIfNS0_10empty_typeEEENS1_38merge_sort_block_merge_config_selectorIfSE_EEEEvv,"axG",@progbits,_ZN7rocprim17ROCPRIM_400000_NS6detail44device_merge_sort_compile_time_verifier_archINS1_11comp_targetILNS1_3genE0ELNS1_11target_archE4294967295ELNS1_3gpuE0ELNS1_3repE0EEES8_NS1_28merge_sort_block_sort_configILj256ELj4ELNS0_20block_sort_algorithmE0EEENS0_14default_configENS1_37merge_sort_block_sort_config_selectorIfNS0_10empty_typeEEENS1_38merge_sort_block_merge_config_selectorIfSE_EEEEvv,comdat
	.protected	_ZN7rocprim17ROCPRIM_400000_NS6detail44device_merge_sort_compile_time_verifier_archINS1_11comp_targetILNS1_3genE0ELNS1_11target_archE4294967295ELNS1_3gpuE0ELNS1_3repE0EEES8_NS1_28merge_sort_block_sort_configILj256ELj4ELNS0_20block_sort_algorithmE0EEENS0_14default_configENS1_37merge_sort_block_sort_config_selectorIfNS0_10empty_typeEEENS1_38merge_sort_block_merge_config_selectorIfSE_EEEEvv ; -- Begin function _ZN7rocprim17ROCPRIM_400000_NS6detail44device_merge_sort_compile_time_verifier_archINS1_11comp_targetILNS1_3genE0ELNS1_11target_archE4294967295ELNS1_3gpuE0ELNS1_3repE0EEES8_NS1_28merge_sort_block_sort_configILj256ELj4ELNS0_20block_sort_algorithmE0EEENS0_14default_configENS1_37merge_sort_block_sort_config_selectorIfNS0_10empty_typeEEENS1_38merge_sort_block_merge_config_selectorIfSE_EEEEvv
	.globl	_ZN7rocprim17ROCPRIM_400000_NS6detail44device_merge_sort_compile_time_verifier_archINS1_11comp_targetILNS1_3genE0ELNS1_11target_archE4294967295ELNS1_3gpuE0ELNS1_3repE0EEES8_NS1_28merge_sort_block_sort_configILj256ELj4ELNS0_20block_sort_algorithmE0EEENS0_14default_configENS1_37merge_sort_block_sort_config_selectorIfNS0_10empty_typeEEENS1_38merge_sort_block_merge_config_selectorIfSE_EEEEvv
	.p2align	8
	.type	_ZN7rocprim17ROCPRIM_400000_NS6detail44device_merge_sort_compile_time_verifier_archINS1_11comp_targetILNS1_3genE0ELNS1_11target_archE4294967295ELNS1_3gpuE0ELNS1_3repE0EEES8_NS1_28merge_sort_block_sort_configILj256ELj4ELNS0_20block_sort_algorithmE0EEENS0_14default_configENS1_37merge_sort_block_sort_config_selectorIfNS0_10empty_typeEEENS1_38merge_sort_block_merge_config_selectorIfSE_EEEEvv,@function
_ZN7rocprim17ROCPRIM_400000_NS6detail44device_merge_sort_compile_time_verifier_archINS1_11comp_targetILNS1_3genE0ELNS1_11target_archE4294967295ELNS1_3gpuE0ELNS1_3repE0EEES8_NS1_28merge_sort_block_sort_configILj256ELj4ELNS0_20block_sort_algorithmE0EEENS0_14default_configENS1_37merge_sort_block_sort_config_selectorIfNS0_10empty_typeEEENS1_38merge_sort_block_merge_config_selectorIfSE_EEEEvv: ; @_ZN7rocprim17ROCPRIM_400000_NS6detail44device_merge_sort_compile_time_verifier_archINS1_11comp_targetILNS1_3genE0ELNS1_11target_archE4294967295ELNS1_3gpuE0ELNS1_3repE0EEES8_NS1_28merge_sort_block_sort_configILj256ELj4ELNS0_20block_sort_algorithmE0EEENS0_14default_configENS1_37merge_sort_block_sort_config_selectorIfNS0_10empty_typeEEENS1_38merge_sort_block_merge_config_selectorIfSE_EEEEvv
; %bb.0:
	s_endpgm
	.section	.rodata,"a",@progbits
	.p2align	6, 0x0
	.amdhsa_kernel _ZN7rocprim17ROCPRIM_400000_NS6detail44device_merge_sort_compile_time_verifier_archINS1_11comp_targetILNS1_3genE0ELNS1_11target_archE4294967295ELNS1_3gpuE0ELNS1_3repE0EEES8_NS1_28merge_sort_block_sort_configILj256ELj4ELNS0_20block_sort_algorithmE0EEENS0_14default_configENS1_37merge_sort_block_sort_config_selectorIfNS0_10empty_typeEEENS1_38merge_sort_block_merge_config_selectorIfSE_EEEEvv
		.amdhsa_group_segment_fixed_size 0
		.amdhsa_private_segment_fixed_size 0
		.amdhsa_kernarg_size 0
		.amdhsa_user_sgpr_count 4
		.amdhsa_user_sgpr_private_segment_buffer 1
		.amdhsa_user_sgpr_dispatch_ptr 0
		.amdhsa_user_sgpr_queue_ptr 0
		.amdhsa_user_sgpr_kernarg_segment_ptr 0
		.amdhsa_user_sgpr_dispatch_id 0
		.amdhsa_user_sgpr_flat_scratch_init 0
		.amdhsa_user_sgpr_private_segment_size 0
		.amdhsa_wavefront_size32 1
		.amdhsa_uses_dynamic_stack 0
		.amdhsa_system_sgpr_private_segment_wavefront_offset 0
		.amdhsa_system_sgpr_workgroup_id_x 1
		.amdhsa_system_sgpr_workgroup_id_y 0
		.amdhsa_system_sgpr_workgroup_id_z 0
		.amdhsa_system_sgpr_workgroup_info 0
		.amdhsa_system_vgpr_workitem_id 0
		.amdhsa_next_free_vgpr 1
		.amdhsa_next_free_sgpr 1
		.amdhsa_reserve_vcc 0
		.amdhsa_reserve_flat_scratch 0
		.amdhsa_float_round_mode_32 0
		.amdhsa_float_round_mode_16_64 0
		.amdhsa_float_denorm_mode_32 3
		.amdhsa_float_denorm_mode_16_64 3
		.amdhsa_dx10_clamp 1
		.amdhsa_ieee_mode 1
		.amdhsa_fp16_overflow 0
		.amdhsa_workgroup_processor_mode 1
		.amdhsa_memory_ordered 1
		.amdhsa_forward_progress 1
		.amdhsa_shared_vgpr_count 0
		.amdhsa_exception_fp_ieee_invalid_op 0
		.amdhsa_exception_fp_denorm_src 0
		.amdhsa_exception_fp_ieee_div_zero 0
		.amdhsa_exception_fp_ieee_overflow 0
		.amdhsa_exception_fp_ieee_underflow 0
		.amdhsa_exception_fp_ieee_inexact 0
		.amdhsa_exception_int_div_zero 0
	.end_amdhsa_kernel
	.section	.text._ZN7rocprim17ROCPRIM_400000_NS6detail44device_merge_sort_compile_time_verifier_archINS1_11comp_targetILNS1_3genE0ELNS1_11target_archE4294967295ELNS1_3gpuE0ELNS1_3repE0EEES8_NS1_28merge_sort_block_sort_configILj256ELj4ELNS0_20block_sort_algorithmE0EEENS0_14default_configENS1_37merge_sort_block_sort_config_selectorIfNS0_10empty_typeEEENS1_38merge_sort_block_merge_config_selectorIfSE_EEEEvv,"axG",@progbits,_ZN7rocprim17ROCPRIM_400000_NS6detail44device_merge_sort_compile_time_verifier_archINS1_11comp_targetILNS1_3genE0ELNS1_11target_archE4294967295ELNS1_3gpuE0ELNS1_3repE0EEES8_NS1_28merge_sort_block_sort_configILj256ELj4ELNS0_20block_sort_algorithmE0EEENS0_14default_configENS1_37merge_sort_block_sort_config_selectorIfNS0_10empty_typeEEENS1_38merge_sort_block_merge_config_selectorIfSE_EEEEvv,comdat
.Lfunc_end466:
	.size	_ZN7rocprim17ROCPRIM_400000_NS6detail44device_merge_sort_compile_time_verifier_archINS1_11comp_targetILNS1_3genE0ELNS1_11target_archE4294967295ELNS1_3gpuE0ELNS1_3repE0EEES8_NS1_28merge_sort_block_sort_configILj256ELj4ELNS0_20block_sort_algorithmE0EEENS0_14default_configENS1_37merge_sort_block_sort_config_selectorIfNS0_10empty_typeEEENS1_38merge_sort_block_merge_config_selectorIfSE_EEEEvv, .Lfunc_end466-_ZN7rocprim17ROCPRIM_400000_NS6detail44device_merge_sort_compile_time_verifier_archINS1_11comp_targetILNS1_3genE0ELNS1_11target_archE4294967295ELNS1_3gpuE0ELNS1_3repE0EEES8_NS1_28merge_sort_block_sort_configILj256ELj4ELNS0_20block_sort_algorithmE0EEENS0_14default_configENS1_37merge_sort_block_sort_config_selectorIfNS0_10empty_typeEEENS1_38merge_sort_block_merge_config_selectorIfSE_EEEEvv
                                        ; -- End function
	.set _ZN7rocprim17ROCPRIM_400000_NS6detail44device_merge_sort_compile_time_verifier_archINS1_11comp_targetILNS1_3genE0ELNS1_11target_archE4294967295ELNS1_3gpuE0ELNS1_3repE0EEES8_NS1_28merge_sort_block_sort_configILj256ELj4ELNS0_20block_sort_algorithmE0EEENS0_14default_configENS1_37merge_sort_block_sort_config_selectorIfNS0_10empty_typeEEENS1_38merge_sort_block_merge_config_selectorIfSE_EEEEvv.num_vgpr, 0
	.set _ZN7rocprim17ROCPRIM_400000_NS6detail44device_merge_sort_compile_time_verifier_archINS1_11comp_targetILNS1_3genE0ELNS1_11target_archE4294967295ELNS1_3gpuE0ELNS1_3repE0EEES8_NS1_28merge_sort_block_sort_configILj256ELj4ELNS0_20block_sort_algorithmE0EEENS0_14default_configENS1_37merge_sort_block_sort_config_selectorIfNS0_10empty_typeEEENS1_38merge_sort_block_merge_config_selectorIfSE_EEEEvv.num_agpr, 0
	.set _ZN7rocprim17ROCPRIM_400000_NS6detail44device_merge_sort_compile_time_verifier_archINS1_11comp_targetILNS1_3genE0ELNS1_11target_archE4294967295ELNS1_3gpuE0ELNS1_3repE0EEES8_NS1_28merge_sort_block_sort_configILj256ELj4ELNS0_20block_sort_algorithmE0EEENS0_14default_configENS1_37merge_sort_block_sort_config_selectorIfNS0_10empty_typeEEENS1_38merge_sort_block_merge_config_selectorIfSE_EEEEvv.numbered_sgpr, 0
	.set _ZN7rocprim17ROCPRIM_400000_NS6detail44device_merge_sort_compile_time_verifier_archINS1_11comp_targetILNS1_3genE0ELNS1_11target_archE4294967295ELNS1_3gpuE0ELNS1_3repE0EEES8_NS1_28merge_sort_block_sort_configILj256ELj4ELNS0_20block_sort_algorithmE0EEENS0_14default_configENS1_37merge_sort_block_sort_config_selectorIfNS0_10empty_typeEEENS1_38merge_sort_block_merge_config_selectorIfSE_EEEEvv.num_named_barrier, 0
	.set _ZN7rocprim17ROCPRIM_400000_NS6detail44device_merge_sort_compile_time_verifier_archINS1_11comp_targetILNS1_3genE0ELNS1_11target_archE4294967295ELNS1_3gpuE0ELNS1_3repE0EEES8_NS1_28merge_sort_block_sort_configILj256ELj4ELNS0_20block_sort_algorithmE0EEENS0_14default_configENS1_37merge_sort_block_sort_config_selectorIfNS0_10empty_typeEEENS1_38merge_sort_block_merge_config_selectorIfSE_EEEEvv.private_seg_size, 0
	.set _ZN7rocprim17ROCPRIM_400000_NS6detail44device_merge_sort_compile_time_verifier_archINS1_11comp_targetILNS1_3genE0ELNS1_11target_archE4294967295ELNS1_3gpuE0ELNS1_3repE0EEES8_NS1_28merge_sort_block_sort_configILj256ELj4ELNS0_20block_sort_algorithmE0EEENS0_14default_configENS1_37merge_sort_block_sort_config_selectorIfNS0_10empty_typeEEENS1_38merge_sort_block_merge_config_selectorIfSE_EEEEvv.uses_vcc, 0
	.set _ZN7rocprim17ROCPRIM_400000_NS6detail44device_merge_sort_compile_time_verifier_archINS1_11comp_targetILNS1_3genE0ELNS1_11target_archE4294967295ELNS1_3gpuE0ELNS1_3repE0EEES8_NS1_28merge_sort_block_sort_configILj256ELj4ELNS0_20block_sort_algorithmE0EEENS0_14default_configENS1_37merge_sort_block_sort_config_selectorIfNS0_10empty_typeEEENS1_38merge_sort_block_merge_config_selectorIfSE_EEEEvv.uses_flat_scratch, 0
	.set _ZN7rocprim17ROCPRIM_400000_NS6detail44device_merge_sort_compile_time_verifier_archINS1_11comp_targetILNS1_3genE0ELNS1_11target_archE4294967295ELNS1_3gpuE0ELNS1_3repE0EEES8_NS1_28merge_sort_block_sort_configILj256ELj4ELNS0_20block_sort_algorithmE0EEENS0_14default_configENS1_37merge_sort_block_sort_config_selectorIfNS0_10empty_typeEEENS1_38merge_sort_block_merge_config_selectorIfSE_EEEEvv.has_dyn_sized_stack, 0
	.set _ZN7rocprim17ROCPRIM_400000_NS6detail44device_merge_sort_compile_time_verifier_archINS1_11comp_targetILNS1_3genE0ELNS1_11target_archE4294967295ELNS1_3gpuE0ELNS1_3repE0EEES8_NS1_28merge_sort_block_sort_configILj256ELj4ELNS0_20block_sort_algorithmE0EEENS0_14default_configENS1_37merge_sort_block_sort_config_selectorIfNS0_10empty_typeEEENS1_38merge_sort_block_merge_config_selectorIfSE_EEEEvv.has_recursion, 0
	.set _ZN7rocprim17ROCPRIM_400000_NS6detail44device_merge_sort_compile_time_verifier_archINS1_11comp_targetILNS1_3genE0ELNS1_11target_archE4294967295ELNS1_3gpuE0ELNS1_3repE0EEES8_NS1_28merge_sort_block_sort_configILj256ELj4ELNS0_20block_sort_algorithmE0EEENS0_14default_configENS1_37merge_sort_block_sort_config_selectorIfNS0_10empty_typeEEENS1_38merge_sort_block_merge_config_selectorIfSE_EEEEvv.has_indirect_call, 0
	.section	.AMDGPU.csdata,"",@progbits
; Kernel info:
; codeLenInByte = 4
; TotalNumSgprs: 0
; NumVgprs: 0
; ScratchSize: 0
; MemoryBound: 0
; FloatMode: 240
; IeeeMode: 1
; LDSByteSize: 0 bytes/workgroup (compile time only)
; SGPRBlocks: 0
; VGPRBlocks: 0
; NumSGPRsForWavesPerEU: 1
; NumVGPRsForWavesPerEU: 1
; Occupancy: 16
; WaveLimiterHint : 0
; COMPUTE_PGM_RSRC2:SCRATCH_EN: 0
; COMPUTE_PGM_RSRC2:USER_SGPR: 4
; COMPUTE_PGM_RSRC2:TRAP_HANDLER: 0
; COMPUTE_PGM_RSRC2:TGID_X_EN: 1
; COMPUTE_PGM_RSRC2:TGID_Y_EN: 0
; COMPUTE_PGM_RSRC2:TGID_Z_EN: 0
; COMPUTE_PGM_RSRC2:TIDIG_COMP_CNT: 0
	.section	.text._ZN7rocprim17ROCPRIM_400000_NS6detail44device_merge_sort_compile_time_verifier_archINS1_11comp_targetILNS1_3genE5ELNS1_11target_archE942ELNS1_3gpuE9ELNS1_3repE0EEES8_NS1_28merge_sort_block_sort_configILj256ELj4ELNS0_20block_sort_algorithmE0EEENS0_14default_configENS1_37merge_sort_block_sort_config_selectorIfNS0_10empty_typeEEENS1_38merge_sort_block_merge_config_selectorIfSE_EEEEvv,"axG",@progbits,_ZN7rocprim17ROCPRIM_400000_NS6detail44device_merge_sort_compile_time_verifier_archINS1_11comp_targetILNS1_3genE5ELNS1_11target_archE942ELNS1_3gpuE9ELNS1_3repE0EEES8_NS1_28merge_sort_block_sort_configILj256ELj4ELNS0_20block_sort_algorithmE0EEENS0_14default_configENS1_37merge_sort_block_sort_config_selectorIfNS0_10empty_typeEEENS1_38merge_sort_block_merge_config_selectorIfSE_EEEEvv,comdat
	.protected	_ZN7rocprim17ROCPRIM_400000_NS6detail44device_merge_sort_compile_time_verifier_archINS1_11comp_targetILNS1_3genE5ELNS1_11target_archE942ELNS1_3gpuE9ELNS1_3repE0EEES8_NS1_28merge_sort_block_sort_configILj256ELj4ELNS0_20block_sort_algorithmE0EEENS0_14default_configENS1_37merge_sort_block_sort_config_selectorIfNS0_10empty_typeEEENS1_38merge_sort_block_merge_config_selectorIfSE_EEEEvv ; -- Begin function _ZN7rocprim17ROCPRIM_400000_NS6detail44device_merge_sort_compile_time_verifier_archINS1_11comp_targetILNS1_3genE5ELNS1_11target_archE942ELNS1_3gpuE9ELNS1_3repE0EEES8_NS1_28merge_sort_block_sort_configILj256ELj4ELNS0_20block_sort_algorithmE0EEENS0_14default_configENS1_37merge_sort_block_sort_config_selectorIfNS0_10empty_typeEEENS1_38merge_sort_block_merge_config_selectorIfSE_EEEEvv
	.globl	_ZN7rocprim17ROCPRIM_400000_NS6detail44device_merge_sort_compile_time_verifier_archINS1_11comp_targetILNS1_3genE5ELNS1_11target_archE942ELNS1_3gpuE9ELNS1_3repE0EEES8_NS1_28merge_sort_block_sort_configILj256ELj4ELNS0_20block_sort_algorithmE0EEENS0_14default_configENS1_37merge_sort_block_sort_config_selectorIfNS0_10empty_typeEEENS1_38merge_sort_block_merge_config_selectorIfSE_EEEEvv
	.p2align	8
	.type	_ZN7rocprim17ROCPRIM_400000_NS6detail44device_merge_sort_compile_time_verifier_archINS1_11comp_targetILNS1_3genE5ELNS1_11target_archE942ELNS1_3gpuE9ELNS1_3repE0EEES8_NS1_28merge_sort_block_sort_configILj256ELj4ELNS0_20block_sort_algorithmE0EEENS0_14default_configENS1_37merge_sort_block_sort_config_selectorIfNS0_10empty_typeEEENS1_38merge_sort_block_merge_config_selectorIfSE_EEEEvv,@function
_ZN7rocprim17ROCPRIM_400000_NS6detail44device_merge_sort_compile_time_verifier_archINS1_11comp_targetILNS1_3genE5ELNS1_11target_archE942ELNS1_3gpuE9ELNS1_3repE0EEES8_NS1_28merge_sort_block_sort_configILj256ELj4ELNS0_20block_sort_algorithmE0EEENS0_14default_configENS1_37merge_sort_block_sort_config_selectorIfNS0_10empty_typeEEENS1_38merge_sort_block_merge_config_selectorIfSE_EEEEvv: ; @_ZN7rocprim17ROCPRIM_400000_NS6detail44device_merge_sort_compile_time_verifier_archINS1_11comp_targetILNS1_3genE5ELNS1_11target_archE942ELNS1_3gpuE9ELNS1_3repE0EEES8_NS1_28merge_sort_block_sort_configILj256ELj4ELNS0_20block_sort_algorithmE0EEENS0_14default_configENS1_37merge_sort_block_sort_config_selectorIfNS0_10empty_typeEEENS1_38merge_sort_block_merge_config_selectorIfSE_EEEEvv
; %bb.0:
	s_endpgm
	.section	.rodata,"a",@progbits
	.p2align	6, 0x0
	.amdhsa_kernel _ZN7rocprim17ROCPRIM_400000_NS6detail44device_merge_sort_compile_time_verifier_archINS1_11comp_targetILNS1_3genE5ELNS1_11target_archE942ELNS1_3gpuE9ELNS1_3repE0EEES8_NS1_28merge_sort_block_sort_configILj256ELj4ELNS0_20block_sort_algorithmE0EEENS0_14default_configENS1_37merge_sort_block_sort_config_selectorIfNS0_10empty_typeEEENS1_38merge_sort_block_merge_config_selectorIfSE_EEEEvv
		.amdhsa_group_segment_fixed_size 0
		.amdhsa_private_segment_fixed_size 0
		.amdhsa_kernarg_size 0
		.amdhsa_user_sgpr_count 4
		.amdhsa_user_sgpr_private_segment_buffer 1
		.amdhsa_user_sgpr_dispatch_ptr 0
		.amdhsa_user_sgpr_queue_ptr 0
		.amdhsa_user_sgpr_kernarg_segment_ptr 0
		.amdhsa_user_sgpr_dispatch_id 0
		.amdhsa_user_sgpr_flat_scratch_init 0
		.amdhsa_user_sgpr_private_segment_size 0
		.amdhsa_wavefront_size32 1
		.amdhsa_uses_dynamic_stack 0
		.amdhsa_system_sgpr_private_segment_wavefront_offset 0
		.amdhsa_system_sgpr_workgroup_id_x 1
		.amdhsa_system_sgpr_workgroup_id_y 0
		.amdhsa_system_sgpr_workgroup_id_z 0
		.amdhsa_system_sgpr_workgroup_info 0
		.amdhsa_system_vgpr_workitem_id 0
		.amdhsa_next_free_vgpr 1
		.amdhsa_next_free_sgpr 1
		.amdhsa_reserve_vcc 0
		.amdhsa_reserve_flat_scratch 0
		.amdhsa_float_round_mode_32 0
		.amdhsa_float_round_mode_16_64 0
		.amdhsa_float_denorm_mode_32 3
		.amdhsa_float_denorm_mode_16_64 3
		.amdhsa_dx10_clamp 1
		.amdhsa_ieee_mode 1
		.amdhsa_fp16_overflow 0
		.amdhsa_workgroup_processor_mode 1
		.amdhsa_memory_ordered 1
		.amdhsa_forward_progress 1
		.amdhsa_shared_vgpr_count 0
		.amdhsa_exception_fp_ieee_invalid_op 0
		.amdhsa_exception_fp_denorm_src 0
		.amdhsa_exception_fp_ieee_div_zero 0
		.amdhsa_exception_fp_ieee_overflow 0
		.amdhsa_exception_fp_ieee_underflow 0
		.amdhsa_exception_fp_ieee_inexact 0
		.amdhsa_exception_int_div_zero 0
	.end_amdhsa_kernel
	.section	.text._ZN7rocprim17ROCPRIM_400000_NS6detail44device_merge_sort_compile_time_verifier_archINS1_11comp_targetILNS1_3genE5ELNS1_11target_archE942ELNS1_3gpuE9ELNS1_3repE0EEES8_NS1_28merge_sort_block_sort_configILj256ELj4ELNS0_20block_sort_algorithmE0EEENS0_14default_configENS1_37merge_sort_block_sort_config_selectorIfNS0_10empty_typeEEENS1_38merge_sort_block_merge_config_selectorIfSE_EEEEvv,"axG",@progbits,_ZN7rocprim17ROCPRIM_400000_NS6detail44device_merge_sort_compile_time_verifier_archINS1_11comp_targetILNS1_3genE5ELNS1_11target_archE942ELNS1_3gpuE9ELNS1_3repE0EEES8_NS1_28merge_sort_block_sort_configILj256ELj4ELNS0_20block_sort_algorithmE0EEENS0_14default_configENS1_37merge_sort_block_sort_config_selectorIfNS0_10empty_typeEEENS1_38merge_sort_block_merge_config_selectorIfSE_EEEEvv,comdat
.Lfunc_end467:
	.size	_ZN7rocprim17ROCPRIM_400000_NS6detail44device_merge_sort_compile_time_verifier_archINS1_11comp_targetILNS1_3genE5ELNS1_11target_archE942ELNS1_3gpuE9ELNS1_3repE0EEES8_NS1_28merge_sort_block_sort_configILj256ELj4ELNS0_20block_sort_algorithmE0EEENS0_14default_configENS1_37merge_sort_block_sort_config_selectorIfNS0_10empty_typeEEENS1_38merge_sort_block_merge_config_selectorIfSE_EEEEvv, .Lfunc_end467-_ZN7rocprim17ROCPRIM_400000_NS6detail44device_merge_sort_compile_time_verifier_archINS1_11comp_targetILNS1_3genE5ELNS1_11target_archE942ELNS1_3gpuE9ELNS1_3repE0EEES8_NS1_28merge_sort_block_sort_configILj256ELj4ELNS0_20block_sort_algorithmE0EEENS0_14default_configENS1_37merge_sort_block_sort_config_selectorIfNS0_10empty_typeEEENS1_38merge_sort_block_merge_config_selectorIfSE_EEEEvv
                                        ; -- End function
	.set _ZN7rocprim17ROCPRIM_400000_NS6detail44device_merge_sort_compile_time_verifier_archINS1_11comp_targetILNS1_3genE5ELNS1_11target_archE942ELNS1_3gpuE9ELNS1_3repE0EEES8_NS1_28merge_sort_block_sort_configILj256ELj4ELNS0_20block_sort_algorithmE0EEENS0_14default_configENS1_37merge_sort_block_sort_config_selectorIfNS0_10empty_typeEEENS1_38merge_sort_block_merge_config_selectorIfSE_EEEEvv.num_vgpr, 0
	.set _ZN7rocprim17ROCPRIM_400000_NS6detail44device_merge_sort_compile_time_verifier_archINS1_11comp_targetILNS1_3genE5ELNS1_11target_archE942ELNS1_3gpuE9ELNS1_3repE0EEES8_NS1_28merge_sort_block_sort_configILj256ELj4ELNS0_20block_sort_algorithmE0EEENS0_14default_configENS1_37merge_sort_block_sort_config_selectorIfNS0_10empty_typeEEENS1_38merge_sort_block_merge_config_selectorIfSE_EEEEvv.num_agpr, 0
	.set _ZN7rocprim17ROCPRIM_400000_NS6detail44device_merge_sort_compile_time_verifier_archINS1_11comp_targetILNS1_3genE5ELNS1_11target_archE942ELNS1_3gpuE9ELNS1_3repE0EEES8_NS1_28merge_sort_block_sort_configILj256ELj4ELNS0_20block_sort_algorithmE0EEENS0_14default_configENS1_37merge_sort_block_sort_config_selectorIfNS0_10empty_typeEEENS1_38merge_sort_block_merge_config_selectorIfSE_EEEEvv.numbered_sgpr, 0
	.set _ZN7rocprim17ROCPRIM_400000_NS6detail44device_merge_sort_compile_time_verifier_archINS1_11comp_targetILNS1_3genE5ELNS1_11target_archE942ELNS1_3gpuE9ELNS1_3repE0EEES8_NS1_28merge_sort_block_sort_configILj256ELj4ELNS0_20block_sort_algorithmE0EEENS0_14default_configENS1_37merge_sort_block_sort_config_selectorIfNS0_10empty_typeEEENS1_38merge_sort_block_merge_config_selectorIfSE_EEEEvv.num_named_barrier, 0
	.set _ZN7rocprim17ROCPRIM_400000_NS6detail44device_merge_sort_compile_time_verifier_archINS1_11comp_targetILNS1_3genE5ELNS1_11target_archE942ELNS1_3gpuE9ELNS1_3repE0EEES8_NS1_28merge_sort_block_sort_configILj256ELj4ELNS0_20block_sort_algorithmE0EEENS0_14default_configENS1_37merge_sort_block_sort_config_selectorIfNS0_10empty_typeEEENS1_38merge_sort_block_merge_config_selectorIfSE_EEEEvv.private_seg_size, 0
	.set _ZN7rocprim17ROCPRIM_400000_NS6detail44device_merge_sort_compile_time_verifier_archINS1_11comp_targetILNS1_3genE5ELNS1_11target_archE942ELNS1_3gpuE9ELNS1_3repE0EEES8_NS1_28merge_sort_block_sort_configILj256ELj4ELNS0_20block_sort_algorithmE0EEENS0_14default_configENS1_37merge_sort_block_sort_config_selectorIfNS0_10empty_typeEEENS1_38merge_sort_block_merge_config_selectorIfSE_EEEEvv.uses_vcc, 0
	.set _ZN7rocprim17ROCPRIM_400000_NS6detail44device_merge_sort_compile_time_verifier_archINS1_11comp_targetILNS1_3genE5ELNS1_11target_archE942ELNS1_3gpuE9ELNS1_3repE0EEES8_NS1_28merge_sort_block_sort_configILj256ELj4ELNS0_20block_sort_algorithmE0EEENS0_14default_configENS1_37merge_sort_block_sort_config_selectorIfNS0_10empty_typeEEENS1_38merge_sort_block_merge_config_selectorIfSE_EEEEvv.uses_flat_scratch, 0
	.set _ZN7rocprim17ROCPRIM_400000_NS6detail44device_merge_sort_compile_time_verifier_archINS1_11comp_targetILNS1_3genE5ELNS1_11target_archE942ELNS1_3gpuE9ELNS1_3repE0EEES8_NS1_28merge_sort_block_sort_configILj256ELj4ELNS0_20block_sort_algorithmE0EEENS0_14default_configENS1_37merge_sort_block_sort_config_selectorIfNS0_10empty_typeEEENS1_38merge_sort_block_merge_config_selectorIfSE_EEEEvv.has_dyn_sized_stack, 0
	.set _ZN7rocprim17ROCPRIM_400000_NS6detail44device_merge_sort_compile_time_verifier_archINS1_11comp_targetILNS1_3genE5ELNS1_11target_archE942ELNS1_3gpuE9ELNS1_3repE0EEES8_NS1_28merge_sort_block_sort_configILj256ELj4ELNS0_20block_sort_algorithmE0EEENS0_14default_configENS1_37merge_sort_block_sort_config_selectorIfNS0_10empty_typeEEENS1_38merge_sort_block_merge_config_selectorIfSE_EEEEvv.has_recursion, 0
	.set _ZN7rocprim17ROCPRIM_400000_NS6detail44device_merge_sort_compile_time_verifier_archINS1_11comp_targetILNS1_3genE5ELNS1_11target_archE942ELNS1_3gpuE9ELNS1_3repE0EEES8_NS1_28merge_sort_block_sort_configILj256ELj4ELNS0_20block_sort_algorithmE0EEENS0_14default_configENS1_37merge_sort_block_sort_config_selectorIfNS0_10empty_typeEEENS1_38merge_sort_block_merge_config_selectorIfSE_EEEEvv.has_indirect_call, 0
	.section	.AMDGPU.csdata,"",@progbits
; Kernel info:
; codeLenInByte = 4
; TotalNumSgprs: 0
; NumVgprs: 0
; ScratchSize: 0
; MemoryBound: 0
; FloatMode: 240
; IeeeMode: 1
; LDSByteSize: 0 bytes/workgroup (compile time only)
; SGPRBlocks: 0
; VGPRBlocks: 0
; NumSGPRsForWavesPerEU: 1
; NumVGPRsForWavesPerEU: 1
; Occupancy: 16
; WaveLimiterHint : 0
; COMPUTE_PGM_RSRC2:SCRATCH_EN: 0
; COMPUTE_PGM_RSRC2:USER_SGPR: 4
; COMPUTE_PGM_RSRC2:TRAP_HANDLER: 0
; COMPUTE_PGM_RSRC2:TGID_X_EN: 1
; COMPUTE_PGM_RSRC2:TGID_Y_EN: 0
; COMPUTE_PGM_RSRC2:TGID_Z_EN: 0
; COMPUTE_PGM_RSRC2:TIDIG_COMP_CNT: 0
	.section	.text._ZN7rocprim17ROCPRIM_400000_NS6detail44device_merge_sort_compile_time_verifier_archINS1_11comp_targetILNS1_3genE4ELNS1_11target_archE910ELNS1_3gpuE8ELNS1_3repE0EEES8_NS1_28merge_sort_block_sort_configILj256ELj4ELNS0_20block_sort_algorithmE0EEENS0_14default_configENS1_37merge_sort_block_sort_config_selectorIfNS0_10empty_typeEEENS1_38merge_sort_block_merge_config_selectorIfSE_EEEEvv,"axG",@progbits,_ZN7rocprim17ROCPRIM_400000_NS6detail44device_merge_sort_compile_time_verifier_archINS1_11comp_targetILNS1_3genE4ELNS1_11target_archE910ELNS1_3gpuE8ELNS1_3repE0EEES8_NS1_28merge_sort_block_sort_configILj256ELj4ELNS0_20block_sort_algorithmE0EEENS0_14default_configENS1_37merge_sort_block_sort_config_selectorIfNS0_10empty_typeEEENS1_38merge_sort_block_merge_config_selectorIfSE_EEEEvv,comdat
	.protected	_ZN7rocprim17ROCPRIM_400000_NS6detail44device_merge_sort_compile_time_verifier_archINS1_11comp_targetILNS1_3genE4ELNS1_11target_archE910ELNS1_3gpuE8ELNS1_3repE0EEES8_NS1_28merge_sort_block_sort_configILj256ELj4ELNS0_20block_sort_algorithmE0EEENS0_14default_configENS1_37merge_sort_block_sort_config_selectorIfNS0_10empty_typeEEENS1_38merge_sort_block_merge_config_selectorIfSE_EEEEvv ; -- Begin function _ZN7rocprim17ROCPRIM_400000_NS6detail44device_merge_sort_compile_time_verifier_archINS1_11comp_targetILNS1_3genE4ELNS1_11target_archE910ELNS1_3gpuE8ELNS1_3repE0EEES8_NS1_28merge_sort_block_sort_configILj256ELj4ELNS0_20block_sort_algorithmE0EEENS0_14default_configENS1_37merge_sort_block_sort_config_selectorIfNS0_10empty_typeEEENS1_38merge_sort_block_merge_config_selectorIfSE_EEEEvv
	.globl	_ZN7rocprim17ROCPRIM_400000_NS6detail44device_merge_sort_compile_time_verifier_archINS1_11comp_targetILNS1_3genE4ELNS1_11target_archE910ELNS1_3gpuE8ELNS1_3repE0EEES8_NS1_28merge_sort_block_sort_configILj256ELj4ELNS0_20block_sort_algorithmE0EEENS0_14default_configENS1_37merge_sort_block_sort_config_selectorIfNS0_10empty_typeEEENS1_38merge_sort_block_merge_config_selectorIfSE_EEEEvv
	.p2align	8
	.type	_ZN7rocprim17ROCPRIM_400000_NS6detail44device_merge_sort_compile_time_verifier_archINS1_11comp_targetILNS1_3genE4ELNS1_11target_archE910ELNS1_3gpuE8ELNS1_3repE0EEES8_NS1_28merge_sort_block_sort_configILj256ELj4ELNS0_20block_sort_algorithmE0EEENS0_14default_configENS1_37merge_sort_block_sort_config_selectorIfNS0_10empty_typeEEENS1_38merge_sort_block_merge_config_selectorIfSE_EEEEvv,@function
_ZN7rocprim17ROCPRIM_400000_NS6detail44device_merge_sort_compile_time_verifier_archINS1_11comp_targetILNS1_3genE4ELNS1_11target_archE910ELNS1_3gpuE8ELNS1_3repE0EEES8_NS1_28merge_sort_block_sort_configILj256ELj4ELNS0_20block_sort_algorithmE0EEENS0_14default_configENS1_37merge_sort_block_sort_config_selectorIfNS0_10empty_typeEEENS1_38merge_sort_block_merge_config_selectorIfSE_EEEEvv: ; @_ZN7rocprim17ROCPRIM_400000_NS6detail44device_merge_sort_compile_time_verifier_archINS1_11comp_targetILNS1_3genE4ELNS1_11target_archE910ELNS1_3gpuE8ELNS1_3repE0EEES8_NS1_28merge_sort_block_sort_configILj256ELj4ELNS0_20block_sort_algorithmE0EEENS0_14default_configENS1_37merge_sort_block_sort_config_selectorIfNS0_10empty_typeEEENS1_38merge_sort_block_merge_config_selectorIfSE_EEEEvv
; %bb.0:
	s_endpgm
	.section	.rodata,"a",@progbits
	.p2align	6, 0x0
	.amdhsa_kernel _ZN7rocprim17ROCPRIM_400000_NS6detail44device_merge_sort_compile_time_verifier_archINS1_11comp_targetILNS1_3genE4ELNS1_11target_archE910ELNS1_3gpuE8ELNS1_3repE0EEES8_NS1_28merge_sort_block_sort_configILj256ELj4ELNS0_20block_sort_algorithmE0EEENS0_14default_configENS1_37merge_sort_block_sort_config_selectorIfNS0_10empty_typeEEENS1_38merge_sort_block_merge_config_selectorIfSE_EEEEvv
		.amdhsa_group_segment_fixed_size 0
		.amdhsa_private_segment_fixed_size 0
		.amdhsa_kernarg_size 0
		.amdhsa_user_sgpr_count 4
		.amdhsa_user_sgpr_private_segment_buffer 1
		.amdhsa_user_sgpr_dispatch_ptr 0
		.amdhsa_user_sgpr_queue_ptr 0
		.amdhsa_user_sgpr_kernarg_segment_ptr 0
		.amdhsa_user_sgpr_dispatch_id 0
		.amdhsa_user_sgpr_flat_scratch_init 0
		.amdhsa_user_sgpr_private_segment_size 0
		.amdhsa_wavefront_size32 1
		.amdhsa_uses_dynamic_stack 0
		.amdhsa_system_sgpr_private_segment_wavefront_offset 0
		.amdhsa_system_sgpr_workgroup_id_x 1
		.amdhsa_system_sgpr_workgroup_id_y 0
		.amdhsa_system_sgpr_workgroup_id_z 0
		.amdhsa_system_sgpr_workgroup_info 0
		.amdhsa_system_vgpr_workitem_id 0
		.amdhsa_next_free_vgpr 1
		.amdhsa_next_free_sgpr 1
		.amdhsa_reserve_vcc 0
		.amdhsa_reserve_flat_scratch 0
		.amdhsa_float_round_mode_32 0
		.amdhsa_float_round_mode_16_64 0
		.amdhsa_float_denorm_mode_32 3
		.amdhsa_float_denorm_mode_16_64 3
		.amdhsa_dx10_clamp 1
		.amdhsa_ieee_mode 1
		.amdhsa_fp16_overflow 0
		.amdhsa_workgroup_processor_mode 1
		.amdhsa_memory_ordered 1
		.amdhsa_forward_progress 1
		.amdhsa_shared_vgpr_count 0
		.amdhsa_exception_fp_ieee_invalid_op 0
		.amdhsa_exception_fp_denorm_src 0
		.amdhsa_exception_fp_ieee_div_zero 0
		.amdhsa_exception_fp_ieee_overflow 0
		.amdhsa_exception_fp_ieee_underflow 0
		.amdhsa_exception_fp_ieee_inexact 0
		.amdhsa_exception_int_div_zero 0
	.end_amdhsa_kernel
	.section	.text._ZN7rocprim17ROCPRIM_400000_NS6detail44device_merge_sort_compile_time_verifier_archINS1_11comp_targetILNS1_3genE4ELNS1_11target_archE910ELNS1_3gpuE8ELNS1_3repE0EEES8_NS1_28merge_sort_block_sort_configILj256ELj4ELNS0_20block_sort_algorithmE0EEENS0_14default_configENS1_37merge_sort_block_sort_config_selectorIfNS0_10empty_typeEEENS1_38merge_sort_block_merge_config_selectorIfSE_EEEEvv,"axG",@progbits,_ZN7rocprim17ROCPRIM_400000_NS6detail44device_merge_sort_compile_time_verifier_archINS1_11comp_targetILNS1_3genE4ELNS1_11target_archE910ELNS1_3gpuE8ELNS1_3repE0EEES8_NS1_28merge_sort_block_sort_configILj256ELj4ELNS0_20block_sort_algorithmE0EEENS0_14default_configENS1_37merge_sort_block_sort_config_selectorIfNS0_10empty_typeEEENS1_38merge_sort_block_merge_config_selectorIfSE_EEEEvv,comdat
.Lfunc_end468:
	.size	_ZN7rocprim17ROCPRIM_400000_NS6detail44device_merge_sort_compile_time_verifier_archINS1_11comp_targetILNS1_3genE4ELNS1_11target_archE910ELNS1_3gpuE8ELNS1_3repE0EEES8_NS1_28merge_sort_block_sort_configILj256ELj4ELNS0_20block_sort_algorithmE0EEENS0_14default_configENS1_37merge_sort_block_sort_config_selectorIfNS0_10empty_typeEEENS1_38merge_sort_block_merge_config_selectorIfSE_EEEEvv, .Lfunc_end468-_ZN7rocprim17ROCPRIM_400000_NS6detail44device_merge_sort_compile_time_verifier_archINS1_11comp_targetILNS1_3genE4ELNS1_11target_archE910ELNS1_3gpuE8ELNS1_3repE0EEES8_NS1_28merge_sort_block_sort_configILj256ELj4ELNS0_20block_sort_algorithmE0EEENS0_14default_configENS1_37merge_sort_block_sort_config_selectorIfNS0_10empty_typeEEENS1_38merge_sort_block_merge_config_selectorIfSE_EEEEvv
                                        ; -- End function
	.set _ZN7rocprim17ROCPRIM_400000_NS6detail44device_merge_sort_compile_time_verifier_archINS1_11comp_targetILNS1_3genE4ELNS1_11target_archE910ELNS1_3gpuE8ELNS1_3repE0EEES8_NS1_28merge_sort_block_sort_configILj256ELj4ELNS0_20block_sort_algorithmE0EEENS0_14default_configENS1_37merge_sort_block_sort_config_selectorIfNS0_10empty_typeEEENS1_38merge_sort_block_merge_config_selectorIfSE_EEEEvv.num_vgpr, 0
	.set _ZN7rocprim17ROCPRIM_400000_NS6detail44device_merge_sort_compile_time_verifier_archINS1_11comp_targetILNS1_3genE4ELNS1_11target_archE910ELNS1_3gpuE8ELNS1_3repE0EEES8_NS1_28merge_sort_block_sort_configILj256ELj4ELNS0_20block_sort_algorithmE0EEENS0_14default_configENS1_37merge_sort_block_sort_config_selectorIfNS0_10empty_typeEEENS1_38merge_sort_block_merge_config_selectorIfSE_EEEEvv.num_agpr, 0
	.set _ZN7rocprim17ROCPRIM_400000_NS6detail44device_merge_sort_compile_time_verifier_archINS1_11comp_targetILNS1_3genE4ELNS1_11target_archE910ELNS1_3gpuE8ELNS1_3repE0EEES8_NS1_28merge_sort_block_sort_configILj256ELj4ELNS0_20block_sort_algorithmE0EEENS0_14default_configENS1_37merge_sort_block_sort_config_selectorIfNS0_10empty_typeEEENS1_38merge_sort_block_merge_config_selectorIfSE_EEEEvv.numbered_sgpr, 0
	.set _ZN7rocprim17ROCPRIM_400000_NS6detail44device_merge_sort_compile_time_verifier_archINS1_11comp_targetILNS1_3genE4ELNS1_11target_archE910ELNS1_3gpuE8ELNS1_3repE0EEES8_NS1_28merge_sort_block_sort_configILj256ELj4ELNS0_20block_sort_algorithmE0EEENS0_14default_configENS1_37merge_sort_block_sort_config_selectorIfNS0_10empty_typeEEENS1_38merge_sort_block_merge_config_selectorIfSE_EEEEvv.num_named_barrier, 0
	.set _ZN7rocprim17ROCPRIM_400000_NS6detail44device_merge_sort_compile_time_verifier_archINS1_11comp_targetILNS1_3genE4ELNS1_11target_archE910ELNS1_3gpuE8ELNS1_3repE0EEES8_NS1_28merge_sort_block_sort_configILj256ELj4ELNS0_20block_sort_algorithmE0EEENS0_14default_configENS1_37merge_sort_block_sort_config_selectorIfNS0_10empty_typeEEENS1_38merge_sort_block_merge_config_selectorIfSE_EEEEvv.private_seg_size, 0
	.set _ZN7rocprim17ROCPRIM_400000_NS6detail44device_merge_sort_compile_time_verifier_archINS1_11comp_targetILNS1_3genE4ELNS1_11target_archE910ELNS1_3gpuE8ELNS1_3repE0EEES8_NS1_28merge_sort_block_sort_configILj256ELj4ELNS0_20block_sort_algorithmE0EEENS0_14default_configENS1_37merge_sort_block_sort_config_selectorIfNS0_10empty_typeEEENS1_38merge_sort_block_merge_config_selectorIfSE_EEEEvv.uses_vcc, 0
	.set _ZN7rocprim17ROCPRIM_400000_NS6detail44device_merge_sort_compile_time_verifier_archINS1_11comp_targetILNS1_3genE4ELNS1_11target_archE910ELNS1_3gpuE8ELNS1_3repE0EEES8_NS1_28merge_sort_block_sort_configILj256ELj4ELNS0_20block_sort_algorithmE0EEENS0_14default_configENS1_37merge_sort_block_sort_config_selectorIfNS0_10empty_typeEEENS1_38merge_sort_block_merge_config_selectorIfSE_EEEEvv.uses_flat_scratch, 0
	.set _ZN7rocprim17ROCPRIM_400000_NS6detail44device_merge_sort_compile_time_verifier_archINS1_11comp_targetILNS1_3genE4ELNS1_11target_archE910ELNS1_3gpuE8ELNS1_3repE0EEES8_NS1_28merge_sort_block_sort_configILj256ELj4ELNS0_20block_sort_algorithmE0EEENS0_14default_configENS1_37merge_sort_block_sort_config_selectorIfNS0_10empty_typeEEENS1_38merge_sort_block_merge_config_selectorIfSE_EEEEvv.has_dyn_sized_stack, 0
	.set _ZN7rocprim17ROCPRIM_400000_NS6detail44device_merge_sort_compile_time_verifier_archINS1_11comp_targetILNS1_3genE4ELNS1_11target_archE910ELNS1_3gpuE8ELNS1_3repE0EEES8_NS1_28merge_sort_block_sort_configILj256ELj4ELNS0_20block_sort_algorithmE0EEENS0_14default_configENS1_37merge_sort_block_sort_config_selectorIfNS0_10empty_typeEEENS1_38merge_sort_block_merge_config_selectorIfSE_EEEEvv.has_recursion, 0
	.set _ZN7rocprim17ROCPRIM_400000_NS6detail44device_merge_sort_compile_time_verifier_archINS1_11comp_targetILNS1_3genE4ELNS1_11target_archE910ELNS1_3gpuE8ELNS1_3repE0EEES8_NS1_28merge_sort_block_sort_configILj256ELj4ELNS0_20block_sort_algorithmE0EEENS0_14default_configENS1_37merge_sort_block_sort_config_selectorIfNS0_10empty_typeEEENS1_38merge_sort_block_merge_config_selectorIfSE_EEEEvv.has_indirect_call, 0
	.section	.AMDGPU.csdata,"",@progbits
; Kernel info:
; codeLenInByte = 4
; TotalNumSgprs: 0
; NumVgprs: 0
; ScratchSize: 0
; MemoryBound: 0
; FloatMode: 240
; IeeeMode: 1
; LDSByteSize: 0 bytes/workgroup (compile time only)
; SGPRBlocks: 0
; VGPRBlocks: 0
; NumSGPRsForWavesPerEU: 1
; NumVGPRsForWavesPerEU: 1
; Occupancy: 16
; WaveLimiterHint : 0
; COMPUTE_PGM_RSRC2:SCRATCH_EN: 0
; COMPUTE_PGM_RSRC2:USER_SGPR: 4
; COMPUTE_PGM_RSRC2:TRAP_HANDLER: 0
; COMPUTE_PGM_RSRC2:TGID_X_EN: 1
; COMPUTE_PGM_RSRC2:TGID_Y_EN: 0
; COMPUTE_PGM_RSRC2:TGID_Z_EN: 0
; COMPUTE_PGM_RSRC2:TIDIG_COMP_CNT: 0
	.section	.text._ZN7rocprim17ROCPRIM_400000_NS6detail44device_merge_sort_compile_time_verifier_archINS1_11comp_targetILNS1_3genE3ELNS1_11target_archE908ELNS1_3gpuE7ELNS1_3repE0EEES8_NS1_28merge_sort_block_sort_configILj256ELj4ELNS0_20block_sort_algorithmE0EEENS0_14default_configENS1_37merge_sort_block_sort_config_selectorIfNS0_10empty_typeEEENS1_38merge_sort_block_merge_config_selectorIfSE_EEEEvv,"axG",@progbits,_ZN7rocprim17ROCPRIM_400000_NS6detail44device_merge_sort_compile_time_verifier_archINS1_11comp_targetILNS1_3genE3ELNS1_11target_archE908ELNS1_3gpuE7ELNS1_3repE0EEES8_NS1_28merge_sort_block_sort_configILj256ELj4ELNS0_20block_sort_algorithmE0EEENS0_14default_configENS1_37merge_sort_block_sort_config_selectorIfNS0_10empty_typeEEENS1_38merge_sort_block_merge_config_selectorIfSE_EEEEvv,comdat
	.protected	_ZN7rocprim17ROCPRIM_400000_NS6detail44device_merge_sort_compile_time_verifier_archINS1_11comp_targetILNS1_3genE3ELNS1_11target_archE908ELNS1_3gpuE7ELNS1_3repE0EEES8_NS1_28merge_sort_block_sort_configILj256ELj4ELNS0_20block_sort_algorithmE0EEENS0_14default_configENS1_37merge_sort_block_sort_config_selectorIfNS0_10empty_typeEEENS1_38merge_sort_block_merge_config_selectorIfSE_EEEEvv ; -- Begin function _ZN7rocprim17ROCPRIM_400000_NS6detail44device_merge_sort_compile_time_verifier_archINS1_11comp_targetILNS1_3genE3ELNS1_11target_archE908ELNS1_3gpuE7ELNS1_3repE0EEES8_NS1_28merge_sort_block_sort_configILj256ELj4ELNS0_20block_sort_algorithmE0EEENS0_14default_configENS1_37merge_sort_block_sort_config_selectorIfNS0_10empty_typeEEENS1_38merge_sort_block_merge_config_selectorIfSE_EEEEvv
	.globl	_ZN7rocprim17ROCPRIM_400000_NS6detail44device_merge_sort_compile_time_verifier_archINS1_11comp_targetILNS1_3genE3ELNS1_11target_archE908ELNS1_3gpuE7ELNS1_3repE0EEES8_NS1_28merge_sort_block_sort_configILj256ELj4ELNS0_20block_sort_algorithmE0EEENS0_14default_configENS1_37merge_sort_block_sort_config_selectorIfNS0_10empty_typeEEENS1_38merge_sort_block_merge_config_selectorIfSE_EEEEvv
	.p2align	8
	.type	_ZN7rocprim17ROCPRIM_400000_NS6detail44device_merge_sort_compile_time_verifier_archINS1_11comp_targetILNS1_3genE3ELNS1_11target_archE908ELNS1_3gpuE7ELNS1_3repE0EEES8_NS1_28merge_sort_block_sort_configILj256ELj4ELNS0_20block_sort_algorithmE0EEENS0_14default_configENS1_37merge_sort_block_sort_config_selectorIfNS0_10empty_typeEEENS1_38merge_sort_block_merge_config_selectorIfSE_EEEEvv,@function
_ZN7rocprim17ROCPRIM_400000_NS6detail44device_merge_sort_compile_time_verifier_archINS1_11comp_targetILNS1_3genE3ELNS1_11target_archE908ELNS1_3gpuE7ELNS1_3repE0EEES8_NS1_28merge_sort_block_sort_configILj256ELj4ELNS0_20block_sort_algorithmE0EEENS0_14default_configENS1_37merge_sort_block_sort_config_selectorIfNS0_10empty_typeEEENS1_38merge_sort_block_merge_config_selectorIfSE_EEEEvv: ; @_ZN7rocprim17ROCPRIM_400000_NS6detail44device_merge_sort_compile_time_verifier_archINS1_11comp_targetILNS1_3genE3ELNS1_11target_archE908ELNS1_3gpuE7ELNS1_3repE0EEES8_NS1_28merge_sort_block_sort_configILj256ELj4ELNS0_20block_sort_algorithmE0EEENS0_14default_configENS1_37merge_sort_block_sort_config_selectorIfNS0_10empty_typeEEENS1_38merge_sort_block_merge_config_selectorIfSE_EEEEvv
; %bb.0:
	s_endpgm
	.section	.rodata,"a",@progbits
	.p2align	6, 0x0
	.amdhsa_kernel _ZN7rocprim17ROCPRIM_400000_NS6detail44device_merge_sort_compile_time_verifier_archINS1_11comp_targetILNS1_3genE3ELNS1_11target_archE908ELNS1_3gpuE7ELNS1_3repE0EEES8_NS1_28merge_sort_block_sort_configILj256ELj4ELNS0_20block_sort_algorithmE0EEENS0_14default_configENS1_37merge_sort_block_sort_config_selectorIfNS0_10empty_typeEEENS1_38merge_sort_block_merge_config_selectorIfSE_EEEEvv
		.amdhsa_group_segment_fixed_size 0
		.amdhsa_private_segment_fixed_size 0
		.amdhsa_kernarg_size 0
		.amdhsa_user_sgpr_count 4
		.amdhsa_user_sgpr_private_segment_buffer 1
		.amdhsa_user_sgpr_dispatch_ptr 0
		.amdhsa_user_sgpr_queue_ptr 0
		.amdhsa_user_sgpr_kernarg_segment_ptr 0
		.amdhsa_user_sgpr_dispatch_id 0
		.amdhsa_user_sgpr_flat_scratch_init 0
		.amdhsa_user_sgpr_private_segment_size 0
		.amdhsa_wavefront_size32 1
		.amdhsa_uses_dynamic_stack 0
		.amdhsa_system_sgpr_private_segment_wavefront_offset 0
		.amdhsa_system_sgpr_workgroup_id_x 1
		.amdhsa_system_sgpr_workgroup_id_y 0
		.amdhsa_system_sgpr_workgroup_id_z 0
		.amdhsa_system_sgpr_workgroup_info 0
		.amdhsa_system_vgpr_workitem_id 0
		.amdhsa_next_free_vgpr 1
		.amdhsa_next_free_sgpr 1
		.amdhsa_reserve_vcc 0
		.amdhsa_reserve_flat_scratch 0
		.amdhsa_float_round_mode_32 0
		.amdhsa_float_round_mode_16_64 0
		.amdhsa_float_denorm_mode_32 3
		.amdhsa_float_denorm_mode_16_64 3
		.amdhsa_dx10_clamp 1
		.amdhsa_ieee_mode 1
		.amdhsa_fp16_overflow 0
		.amdhsa_workgroup_processor_mode 1
		.amdhsa_memory_ordered 1
		.amdhsa_forward_progress 1
		.amdhsa_shared_vgpr_count 0
		.amdhsa_exception_fp_ieee_invalid_op 0
		.amdhsa_exception_fp_denorm_src 0
		.amdhsa_exception_fp_ieee_div_zero 0
		.amdhsa_exception_fp_ieee_overflow 0
		.amdhsa_exception_fp_ieee_underflow 0
		.amdhsa_exception_fp_ieee_inexact 0
		.amdhsa_exception_int_div_zero 0
	.end_amdhsa_kernel
	.section	.text._ZN7rocprim17ROCPRIM_400000_NS6detail44device_merge_sort_compile_time_verifier_archINS1_11comp_targetILNS1_3genE3ELNS1_11target_archE908ELNS1_3gpuE7ELNS1_3repE0EEES8_NS1_28merge_sort_block_sort_configILj256ELj4ELNS0_20block_sort_algorithmE0EEENS0_14default_configENS1_37merge_sort_block_sort_config_selectorIfNS0_10empty_typeEEENS1_38merge_sort_block_merge_config_selectorIfSE_EEEEvv,"axG",@progbits,_ZN7rocprim17ROCPRIM_400000_NS6detail44device_merge_sort_compile_time_verifier_archINS1_11comp_targetILNS1_3genE3ELNS1_11target_archE908ELNS1_3gpuE7ELNS1_3repE0EEES8_NS1_28merge_sort_block_sort_configILj256ELj4ELNS0_20block_sort_algorithmE0EEENS0_14default_configENS1_37merge_sort_block_sort_config_selectorIfNS0_10empty_typeEEENS1_38merge_sort_block_merge_config_selectorIfSE_EEEEvv,comdat
.Lfunc_end469:
	.size	_ZN7rocprim17ROCPRIM_400000_NS6detail44device_merge_sort_compile_time_verifier_archINS1_11comp_targetILNS1_3genE3ELNS1_11target_archE908ELNS1_3gpuE7ELNS1_3repE0EEES8_NS1_28merge_sort_block_sort_configILj256ELj4ELNS0_20block_sort_algorithmE0EEENS0_14default_configENS1_37merge_sort_block_sort_config_selectorIfNS0_10empty_typeEEENS1_38merge_sort_block_merge_config_selectorIfSE_EEEEvv, .Lfunc_end469-_ZN7rocprim17ROCPRIM_400000_NS6detail44device_merge_sort_compile_time_verifier_archINS1_11comp_targetILNS1_3genE3ELNS1_11target_archE908ELNS1_3gpuE7ELNS1_3repE0EEES8_NS1_28merge_sort_block_sort_configILj256ELj4ELNS0_20block_sort_algorithmE0EEENS0_14default_configENS1_37merge_sort_block_sort_config_selectorIfNS0_10empty_typeEEENS1_38merge_sort_block_merge_config_selectorIfSE_EEEEvv
                                        ; -- End function
	.set _ZN7rocprim17ROCPRIM_400000_NS6detail44device_merge_sort_compile_time_verifier_archINS1_11comp_targetILNS1_3genE3ELNS1_11target_archE908ELNS1_3gpuE7ELNS1_3repE0EEES8_NS1_28merge_sort_block_sort_configILj256ELj4ELNS0_20block_sort_algorithmE0EEENS0_14default_configENS1_37merge_sort_block_sort_config_selectorIfNS0_10empty_typeEEENS1_38merge_sort_block_merge_config_selectorIfSE_EEEEvv.num_vgpr, 0
	.set _ZN7rocprim17ROCPRIM_400000_NS6detail44device_merge_sort_compile_time_verifier_archINS1_11comp_targetILNS1_3genE3ELNS1_11target_archE908ELNS1_3gpuE7ELNS1_3repE0EEES8_NS1_28merge_sort_block_sort_configILj256ELj4ELNS0_20block_sort_algorithmE0EEENS0_14default_configENS1_37merge_sort_block_sort_config_selectorIfNS0_10empty_typeEEENS1_38merge_sort_block_merge_config_selectorIfSE_EEEEvv.num_agpr, 0
	.set _ZN7rocprim17ROCPRIM_400000_NS6detail44device_merge_sort_compile_time_verifier_archINS1_11comp_targetILNS1_3genE3ELNS1_11target_archE908ELNS1_3gpuE7ELNS1_3repE0EEES8_NS1_28merge_sort_block_sort_configILj256ELj4ELNS0_20block_sort_algorithmE0EEENS0_14default_configENS1_37merge_sort_block_sort_config_selectorIfNS0_10empty_typeEEENS1_38merge_sort_block_merge_config_selectorIfSE_EEEEvv.numbered_sgpr, 0
	.set _ZN7rocprim17ROCPRIM_400000_NS6detail44device_merge_sort_compile_time_verifier_archINS1_11comp_targetILNS1_3genE3ELNS1_11target_archE908ELNS1_3gpuE7ELNS1_3repE0EEES8_NS1_28merge_sort_block_sort_configILj256ELj4ELNS0_20block_sort_algorithmE0EEENS0_14default_configENS1_37merge_sort_block_sort_config_selectorIfNS0_10empty_typeEEENS1_38merge_sort_block_merge_config_selectorIfSE_EEEEvv.num_named_barrier, 0
	.set _ZN7rocprim17ROCPRIM_400000_NS6detail44device_merge_sort_compile_time_verifier_archINS1_11comp_targetILNS1_3genE3ELNS1_11target_archE908ELNS1_3gpuE7ELNS1_3repE0EEES8_NS1_28merge_sort_block_sort_configILj256ELj4ELNS0_20block_sort_algorithmE0EEENS0_14default_configENS1_37merge_sort_block_sort_config_selectorIfNS0_10empty_typeEEENS1_38merge_sort_block_merge_config_selectorIfSE_EEEEvv.private_seg_size, 0
	.set _ZN7rocprim17ROCPRIM_400000_NS6detail44device_merge_sort_compile_time_verifier_archINS1_11comp_targetILNS1_3genE3ELNS1_11target_archE908ELNS1_3gpuE7ELNS1_3repE0EEES8_NS1_28merge_sort_block_sort_configILj256ELj4ELNS0_20block_sort_algorithmE0EEENS0_14default_configENS1_37merge_sort_block_sort_config_selectorIfNS0_10empty_typeEEENS1_38merge_sort_block_merge_config_selectorIfSE_EEEEvv.uses_vcc, 0
	.set _ZN7rocprim17ROCPRIM_400000_NS6detail44device_merge_sort_compile_time_verifier_archINS1_11comp_targetILNS1_3genE3ELNS1_11target_archE908ELNS1_3gpuE7ELNS1_3repE0EEES8_NS1_28merge_sort_block_sort_configILj256ELj4ELNS0_20block_sort_algorithmE0EEENS0_14default_configENS1_37merge_sort_block_sort_config_selectorIfNS0_10empty_typeEEENS1_38merge_sort_block_merge_config_selectorIfSE_EEEEvv.uses_flat_scratch, 0
	.set _ZN7rocprim17ROCPRIM_400000_NS6detail44device_merge_sort_compile_time_verifier_archINS1_11comp_targetILNS1_3genE3ELNS1_11target_archE908ELNS1_3gpuE7ELNS1_3repE0EEES8_NS1_28merge_sort_block_sort_configILj256ELj4ELNS0_20block_sort_algorithmE0EEENS0_14default_configENS1_37merge_sort_block_sort_config_selectorIfNS0_10empty_typeEEENS1_38merge_sort_block_merge_config_selectorIfSE_EEEEvv.has_dyn_sized_stack, 0
	.set _ZN7rocprim17ROCPRIM_400000_NS6detail44device_merge_sort_compile_time_verifier_archINS1_11comp_targetILNS1_3genE3ELNS1_11target_archE908ELNS1_3gpuE7ELNS1_3repE0EEES8_NS1_28merge_sort_block_sort_configILj256ELj4ELNS0_20block_sort_algorithmE0EEENS0_14default_configENS1_37merge_sort_block_sort_config_selectorIfNS0_10empty_typeEEENS1_38merge_sort_block_merge_config_selectorIfSE_EEEEvv.has_recursion, 0
	.set _ZN7rocprim17ROCPRIM_400000_NS6detail44device_merge_sort_compile_time_verifier_archINS1_11comp_targetILNS1_3genE3ELNS1_11target_archE908ELNS1_3gpuE7ELNS1_3repE0EEES8_NS1_28merge_sort_block_sort_configILj256ELj4ELNS0_20block_sort_algorithmE0EEENS0_14default_configENS1_37merge_sort_block_sort_config_selectorIfNS0_10empty_typeEEENS1_38merge_sort_block_merge_config_selectorIfSE_EEEEvv.has_indirect_call, 0
	.section	.AMDGPU.csdata,"",@progbits
; Kernel info:
; codeLenInByte = 4
; TotalNumSgprs: 0
; NumVgprs: 0
; ScratchSize: 0
; MemoryBound: 0
; FloatMode: 240
; IeeeMode: 1
; LDSByteSize: 0 bytes/workgroup (compile time only)
; SGPRBlocks: 0
; VGPRBlocks: 0
; NumSGPRsForWavesPerEU: 1
; NumVGPRsForWavesPerEU: 1
; Occupancy: 16
; WaveLimiterHint : 0
; COMPUTE_PGM_RSRC2:SCRATCH_EN: 0
; COMPUTE_PGM_RSRC2:USER_SGPR: 4
; COMPUTE_PGM_RSRC2:TRAP_HANDLER: 0
; COMPUTE_PGM_RSRC2:TGID_X_EN: 1
; COMPUTE_PGM_RSRC2:TGID_Y_EN: 0
; COMPUTE_PGM_RSRC2:TGID_Z_EN: 0
; COMPUTE_PGM_RSRC2:TIDIG_COMP_CNT: 0
	.section	.text._ZN7rocprim17ROCPRIM_400000_NS6detail44device_merge_sort_compile_time_verifier_archINS1_11comp_targetILNS1_3genE2ELNS1_11target_archE906ELNS1_3gpuE6ELNS1_3repE0EEES8_NS1_28merge_sort_block_sort_configILj256ELj4ELNS0_20block_sort_algorithmE0EEENS0_14default_configENS1_37merge_sort_block_sort_config_selectorIfNS0_10empty_typeEEENS1_38merge_sort_block_merge_config_selectorIfSE_EEEEvv,"axG",@progbits,_ZN7rocprim17ROCPRIM_400000_NS6detail44device_merge_sort_compile_time_verifier_archINS1_11comp_targetILNS1_3genE2ELNS1_11target_archE906ELNS1_3gpuE6ELNS1_3repE0EEES8_NS1_28merge_sort_block_sort_configILj256ELj4ELNS0_20block_sort_algorithmE0EEENS0_14default_configENS1_37merge_sort_block_sort_config_selectorIfNS0_10empty_typeEEENS1_38merge_sort_block_merge_config_selectorIfSE_EEEEvv,comdat
	.protected	_ZN7rocprim17ROCPRIM_400000_NS6detail44device_merge_sort_compile_time_verifier_archINS1_11comp_targetILNS1_3genE2ELNS1_11target_archE906ELNS1_3gpuE6ELNS1_3repE0EEES8_NS1_28merge_sort_block_sort_configILj256ELj4ELNS0_20block_sort_algorithmE0EEENS0_14default_configENS1_37merge_sort_block_sort_config_selectorIfNS0_10empty_typeEEENS1_38merge_sort_block_merge_config_selectorIfSE_EEEEvv ; -- Begin function _ZN7rocprim17ROCPRIM_400000_NS6detail44device_merge_sort_compile_time_verifier_archINS1_11comp_targetILNS1_3genE2ELNS1_11target_archE906ELNS1_3gpuE6ELNS1_3repE0EEES8_NS1_28merge_sort_block_sort_configILj256ELj4ELNS0_20block_sort_algorithmE0EEENS0_14default_configENS1_37merge_sort_block_sort_config_selectorIfNS0_10empty_typeEEENS1_38merge_sort_block_merge_config_selectorIfSE_EEEEvv
	.globl	_ZN7rocprim17ROCPRIM_400000_NS6detail44device_merge_sort_compile_time_verifier_archINS1_11comp_targetILNS1_3genE2ELNS1_11target_archE906ELNS1_3gpuE6ELNS1_3repE0EEES8_NS1_28merge_sort_block_sort_configILj256ELj4ELNS0_20block_sort_algorithmE0EEENS0_14default_configENS1_37merge_sort_block_sort_config_selectorIfNS0_10empty_typeEEENS1_38merge_sort_block_merge_config_selectorIfSE_EEEEvv
	.p2align	8
	.type	_ZN7rocprim17ROCPRIM_400000_NS6detail44device_merge_sort_compile_time_verifier_archINS1_11comp_targetILNS1_3genE2ELNS1_11target_archE906ELNS1_3gpuE6ELNS1_3repE0EEES8_NS1_28merge_sort_block_sort_configILj256ELj4ELNS0_20block_sort_algorithmE0EEENS0_14default_configENS1_37merge_sort_block_sort_config_selectorIfNS0_10empty_typeEEENS1_38merge_sort_block_merge_config_selectorIfSE_EEEEvv,@function
_ZN7rocprim17ROCPRIM_400000_NS6detail44device_merge_sort_compile_time_verifier_archINS1_11comp_targetILNS1_3genE2ELNS1_11target_archE906ELNS1_3gpuE6ELNS1_3repE0EEES8_NS1_28merge_sort_block_sort_configILj256ELj4ELNS0_20block_sort_algorithmE0EEENS0_14default_configENS1_37merge_sort_block_sort_config_selectorIfNS0_10empty_typeEEENS1_38merge_sort_block_merge_config_selectorIfSE_EEEEvv: ; @_ZN7rocprim17ROCPRIM_400000_NS6detail44device_merge_sort_compile_time_verifier_archINS1_11comp_targetILNS1_3genE2ELNS1_11target_archE906ELNS1_3gpuE6ELNS1_3repE0EEES8_NS1_28merge_sort_block_sort_configILj256ELj4ELNS0_20block_sort_algorithmE0EEENS0_14default_configENS1_37merge_sort_block_sort_config_selectorIfNS0_10empty_typeEEENS1_38merge_sort_block_merge_config_selectorIfSE_EEEEvv
; %bb.0:
	s_endpgm
	.section	.rodata,"a",@progbits
	.p2align	6, 0x0
	.amdhsa_kernel _ZN7rocprim17ROCPRIM_400000_NS6detail44device_merge_sort_compile_time_verifier_archINS1_11comp_targetILNS1_3genE2ELNS1_11target_archE906ELNS1_3gpuE6ELNS1_3repE0EEES8_NS1_28merge_sort_block_sort_configILj256ELj4ELNS0_20block_sort_algorithmE0EEENS0_14default_configENS1_37merge_sort_block_sort_config_selectorIfNS0_10empty_typeEEENS1_38merge_sort_block_merge_config_selectorIfSE_EEEEvv
		.amdhsa_group_segment_fixed_size 0
		.amdhsa_private_segment_fixed_size 0
		.amdhsa_kernarg_size 0
		.amdhsa_user_sgpr_count 4
		.amdhsa_user_sgpr_private_segment_buffer 1
		.amdhsa_user_sgpr_dispatch_ptr 0
		.amdhsa_user_sgpr_queue_ptr 0
		.amdhsa_user_sgpr_kernarg_segment_ptr 0
		.amdhsa_user_sgpr_dispatch_id 0
		.amdhsa_user_sgpr_flat_scratch_init 0
		.amdhsa_user_sgpr_private_segment_size 0
		.amdhsa_wavefront_size32 1
		.amdhsa_uses_dynamic_stack 0
		.amdhsa_system_sgpr_private_segment_wavefront_offset 0
		.amdhsa_system_sgpr_workgroup_id_x 1
		.amdhsa_system_sgpr_workgroup_id_y 0
		.amdhsa_system_sgpr_workgroup_id_z 0
		.amdhsa_system_sgpr_workgroup_info 0
		.amdhsa_system_vgpr_workitem_id 0
		.amdhsa_next_free_vgpr 1
		.amdhsa_next_free_sgpr 1
		.amdhsa_reserve_vcc 0
		.amdhsa_reserve_flat_scratch 0
		.amdhsa_float_round_mode_32 0
		.amdhsa_float_round_mode_16_64 0
		.amdhsa_float_denorm_mode_32 3
		.amdhsa_float_denorm_mode_16_64 3
		.amdhsa_dx10_clamp 1
		.amdhsa_ieee_mode 1
		.amdhsa_fp16_overflow 0
		.amdhsa_workgroup_processor_mode 1
		.amdhsa_memory_ordered 1
		.amdhsa_forward_progress 1
		.amdhsa_shared_vgpr_count 0
		.amdhsa_exception_fp_ieee_invalid_op 0
		.amdhsa_exception_fp_denorm_src 0
		.amdhsa_exception_fp_ieee_div_zero 0
		.amdhsa_exception_fp_ieee_overflow 0
		.amdhsa_exception_fp_ieee_underflow 0
		.amdhsa_exception_fp_ieee_inexact 0
		.amdhsa_exception_int_div_zero 0
	.end_amdhsa_kernel
	.section	.text._ZN7rocprim17ROCPRIM_400000_NS6detail44device_merge_sort_compile_time_verifier_archINS1_11comp_targetILNS1_3genE2ELNS1_11target_archE906ELNS1_3gpuE6ELNS1_3repE0EEES8_NS1_28merge_sort_block_sort_configILj256ELj4ELNS0_20block_sort_algorithmE0EEENS0_14default_configENS1_37merge_sort_block_sort_config_selectorIfNS0_10empty_typeEEENS1_38merge_sort_block_merge_config_selectorIfSE_EEEEvv,"axG",@progbits,_ZN7rocprim17ROCPRIM_400000_NS6detail44device_merge_sort_compile_time_verifier_archINS1_11comp_targetILNS1_3genE2ELNS1_11target_archE906ELNS1_3gpuE6ELNS1_3repE0EEES8_NS1_28merge_sort_block_sort_configILj256ELj4ELNS0_20block_sort_algorithmE0EEENS0_14default_configENS1_37merge_sort_block_sort_config_selectorIfNS0_10empty_typeEEENS1_38merge_sort_block_merge_config_selectorIfSE_EEEEvv,comdat
.Lfunc_end470:
	.size	_ZN7rocprim17ROCPRIM_400000_NS6detail44device_merge_sort_compile_time_verifier_archINS1_11comp_targetILNS1_3genE2ELNS1_11target_archE906ELNS1_3gpuE6ELNS1_3repE0EEES8_NS1_28merge_sort_block_sort_configILj256ELj4ELNS0_20block_sort_algorithmE0EEENS0_14default_configENS1_37merge_sort_block_sort_config_selectorIfNS0_10empty_typeEEENS1_38merge_sort_block_merge_config_selectorIfSE_EEEEvv, .Lfunc_end470-_ZN7rocprim17ROCPRIM_400000_NS6detail44device_merge_sort_compile_time_verifier_archINS1_11comp_targetILNS1_3genE2ELNS1_11target_archE906ELNS1_3gpuE6ELNS1_3repE0EEES8_NS1_28merge_sort_block_sort_configILj256ELj4ELNS0_20block_sort_algorithmE0EEENS0_14default_configENS1_37merge_sort_block_sort_config_selectorIfNS0_10empty_typeEEENS1_38merge_sort_block_merge_config_selectorIfSE_EEEEvv
                                        ; -- End function
	.set _ZN7rocprim17ROCPRIM_400000_NS6detail44device_merge_sort_compile_time_verifier_archINS1_11comp_targetILNS1_3genE2ELNS1_11target_archE906ELNS1_3gpuE6ELNS1_3repE0EEES8_NS1_28merge_sort_block_sort_configILj256ELj4ELNS0_20block_sort_algorithmE0EEENS0_14default_configENS1_37merge_sort_block_sort_config_selectorIfNS0_10empty_typeEEENS1_38merge_sort_block_merge_config_selectorIfSE_EEEEvv.num_vgpr, 0
	.set _ZN7rocprim17ROCPRIM_400000_NS6detail44device_merge_sort_compile_time_verifier_archINS1_11comp_targetILNS1_3genE2ELNS1_11target_archE906ELNS1_3gpuE6ELNS1_3repE0EEES8_NS1_28merge_sort_block_sort_configILj256ELj4ELNS0_20block_sort_algorithmE0EEENS0_14default_configENS1_37merge_sort_block_sort_config_selectorIfNS0_10empty_typeEEENS1_38merge_sort_block_merge_config_selectorIfSE_EEEEvv.num_agpr, 0
	.set _ZN7rocprim17ROCPRIM_400000_NS6detail44device_merge_sort_compile_time_verifier_archINS1_11comp_targetILNS1_3genE2ELNS1_11target_archE906ELNS1_3gpuE6ELNS1_3repE0EEES8_NS1_28merge_sort_block_sort_configILj256ELj4ELNS0_20block_sort_algorithmE0EEENS0_14default_configENS1_37merge_sort_block_sort_config_selectorIfNS0_10empty_typeEEENS1_38merge_sort_block_merge_config_selectorIfSE_EEEEvv.numbered_sgpr, 0
	.set _ZN7rocprim17ROCPRIM_400000_NS6detail44device_merge_sort_compile_time_verifier_archINS1_11comp_targetILNS1_3genE2ELNS1_11target_archE906ELNS1_3gpuE6ELNS1_3repE0EEES8_NS1_28merge_sort_block_sort_configILj256ELj4ELNS0_20block_sort_algorithmE0EEENS0_14default_configENS1_37merge_sort_block_sort_config_selectorIfNS0_10empty_typeEEENS1_38merge_sort_block_merge_config_selectorIfSE_EEEEvv.num_named_barrier, 0
	.set _ZN7rocprim17ROCPRIM_400000_NS6detail44device_merge_sort_compile_time_verifier_archINS1_11comp_targetILNS1_3genE2ELNS1_11target_archE906ELNS1_3gpuE6ELNS1_3repE0EEES8_NS1_28merge_sort_block_sort_configILj256ELj4ELNS0_20block_sort_algorithmE0EEENS0_14default_configENS1_37merge_sort_block_sort_config_selectorIfNS0_10empty_typeEEENS1_38merge_sort_block_merge_config_selectorIfSE_EEEEvv.private_seg_size, 0
	.set _ZN7rocprim17ROCPRIM_400000_NS6detail44device_merge_sort_compile_time_verifier_archINS1_11comp_targetILNS1_3genE2ELNS1_11target_archE906ELNS1_3gpuE6ELNS1_3repE0EEES8_NS1_28merge_sort_block_sort_configILj256ELj4ELNS0_20block_sort_algorithmE0EEENS0_14default_configENS1_37merge_sort_block_sort_config_selectorIfNS0_10empty_typeEEENS1_38merge_sort_block_merge_config_selectorIfSE_EEEEvv.uses_vcc, 0
	.set _ZN7rocprim17ROCPRIM_400000_NS6detail44device_merge_sort_compile_time_verifier_archINS1_11comp_targetILNS1_3genE2ELNS1_11target_archE906ELNS1_3gpuE6ELNS1_3repE0EEES8_NS1_28merge_sort_block_sort_configILj256ELj4ELNS0_20block_sort_algorithmE0EEENS0_14default_configENS1_37merge_sort_block_sort_config_selectorIfNS0_10empty_typeEEENS1_38merge_sort_block_merge_config_selectorIfSE_EEEEvv.uses_flat_scratch, 0
	.set _ZN7rocprim17ROCPRIM_400000_NS6detail44device_merge_sort_compile_time_verifier_archINS1_11comp_targetILNS1_3genE2ELNS1_11target_archE906ELNS1_3gpuE6ELNS1_3repE0EEES8_NS1_28merge_sort_block_sort_configILj256ELj4ELNS0_20block_sort_algorithmE0EEENS0_14default_configENS1_37merge_sort_block_sort_config_selectorIfNS0_10empty_typeEEENS1_38merge_sort_block_merge_config_selectorIfSE_EEEEvv.has_dyn_sized_stack, 0
	.set _ZN7rocprim17ROCPRIM_400000_NS6detail44device_merge_sort_compile_time_verifier_archINS1_11comp_targetILNS1_3genE2ELNS1_11target_archE906ELNS1_3gpuE6ELNS1_3repE0EEES8_NS1_28merge_sort_block_sort_configILj256ELj4ELNS0_20block_sort_algorithmE0EEENS0_14default_configENS1_37merge_sort_block_sort_config_selectorIfNS0_10empty_typeEEENS1_38merge_sort_block_merge_config_selectorIfSE_EEEEvv.has_recursion, 0
	.set _ZN7rocprim17ROCPRIM_400000_NS6detail44device_merge_sort_compile_time_verifier_archINS1_11comp_targetILNS1_3genE2ELNS1_11target_archE906ELNS1_3gpuE6ELNS1_3repE0EEES8_NS1_28merge_sort_block_sort_configILj256ELj4ELNS0_20block_sort_algorithmE0EEENS0_14default_configENS1_37merge_sort_block_sort_config_selectorIfNS0_10empty_typeEEENS1_38merge_sort_block_merge_config_selectorIfSE_EEEEvv.has_indirect_call, 0
	.section	.AMDGPU.csdata,"",@progbits
; Kernel info:
; codeLenInByte = 4
; TotalNumSgprs: 0
; NumVgprs: 0
; ScratchSize: 0
; MemoryBound: 0
; FloatMode: 240
; IeeeMode: 1
; LDSByteSize: 0 bytes/workgroup (compile time only)
; SGPRBlocks: 0
; VGPRBlocks: 0
; NumSGPRsForWavesPerEU: 1
; NumVGPRsForWavesPerEU: 1
; Occupancy: 16
; WaveLimiterHint : 0
; COMPUTE_PGM_RSRC2:SCRATCH_EN: 0
; COMPUTE_PGM_RSRC2:USER_SGPR: 4
; COMPUTE_PGM_RSRC2:TRAP_HANDLER: 0
; COMPUTE_PGM_RSRC2:TGID_X_EN: 1
; COMPUTE_PGM_RSRC2:TGID_Y_EN: 0
; COMPUTE_PGM_RSRC2:TGID_Z_EN: 0
; COMPUTE_PGM_RSRC2:TIDIG_COMP_CNT: 0
	.section	.text._ZN7rocprim17ROCPRIM_400000_NS6detail44device_merge_sort_compile_time_verifier_archINS1_11comp_targetILNS1_3genE10ELNS1_11target_archE1201ELNS1_3gpuE5ELNS1_3repE0EEES8_NS1_28merge_sort_block_sort_configILj256ELj4ELNS0_20block_sort_algorithmE0EEENS0_14default_configENS1_37merge_sort_block_sort_config_selectorIfNS0_10empty_typeEEENS1_38merge_sort_block_merge_config_selectorIfSE_EEEEvv,"axG",@progbits,_ZN7rocprim17ROCPRIM_400000_NS6detail44device_merge_sort_compile_time_verifier_archINS1_11comp_targetILNS1_3genE10ELNS1_11target_archE1201ELNS1_3gpuE5ELNS1_3repE0EEES8_NS1_28merge_sort_block_sort_configILj256ELj4ELNS0_20block_sort_algorithmE0EEENS0_14default_configENS1_37merge_sort_block_sort_config_selectorIfNS0_10empty_typeEEENS1_38merge_sort_block_merge_config_selectorIfSE_EEEEvv,comdat
	.protected	_ZN7rocprim17ROCPRIM_400000_NS6detail44device_merge_sort_compile_time_verifier_archINS1_11comp_targetILNS1_3genE10ELNS1_11target_archE1201ELNS1_3gpuE5ELNS1_3repE0EEES8_NS1_28merge_sort_block_sort_configILj256ELj4ELNS0_20block_sort_algorithmE0EEENS0_14default_configENS1_37merge_sort_block_sort_config_selectorIfNS0_10empty_typeEEENS1_38merge_sort_block_merge_config_selectorIfSE_EEEEvv ; -- Begin function _ZN7rocprim17ROCPRIM_400000_NS6detail44device_merge_sort_compile_time_verifier_archINS1_11comp_targetILNS1_3genE10ELNS1_11target_archE1201ELNS1_3gpuE5ELNS1_3repE0EEES8_NS1_28merge_sort_block_sort_configILj256ELj4ELNS0_20block_sort_algorithmE0EEENS0_14default_configENS1_37merge_sort_block_sort_config_selectorIfNS0_10empty_typeEEENS1_38merge_sort_block_merge_config_selectorIfSE_EEEEvv
	.globl	_ZN7rocprim17ROCPRIM_400000_NS6detail44device_merge_sort_compile_time_verifier_archINS1_11comp_targetILNS1_3genE10ELNS1_11target_archE1201ELNS1_3gpuE5ELNS1_3repE0EEES8_NS1_28merge_sort_block_sort_configILj256ELj4ELNS0_20block_sort_algorithmE0EEENS0_14default_configENS1_37merge_sort_block_sort_config_selectorIfNS0_10empty_typeEEENS1_38merge_sort_block_merge_config_selectorIfSE_EEEEvv
	.p2align	8
	.type	_ZN7rocprim17ROCPRIM_400000_NS6detail44device_merge_sort_compile_time_verifier_archINS1_11comp_targetILNS1_3genE10ELNS1_11target_archE1201ELNS1_3gpuE5ELNS1_3repE0EEES8_NS1_28merge_sort_block_sort_configILj256ELj4ELNS0_20block_sort_algorithmE0EEENS0_14default_configENS1_37merge_sort_block_sort_config_selectorIfNS0_10empty_typeEEENS1_38merge_sort_block_merge_config_selectorIfSE_EEEEvv,@function
_ZN7rocprim17ROCPRIM_400000_NS6detail44device_merge_sort_compile_time_verifier_archINS1_11comp_targetILNS1_3genE10ELNS1_11target_archE1201ELNS1_3gpuE5ELNS1_3repE0EEES8_NS1_28merge_sort_block_sort_configILj256ELj4ELNS0_20block_sort_algorithmE0EEENS0_14default_configENS1_37merge_sort_block_sort_config_selectorIfNS0_10empty_typeEEENS1_38merge_sort_block_merge_config_selectorIfSE_EEEEvv: ; @_ZN7rocprim17ROCPRIM_400000_NS6detail44device_merge_sort_compile_time_verifier_archINS1_11comp_targetILNS1_3genE10ELNS1_11target_archE1201ELNS1_3gpuE5ELNS1_3repE0EEES8_NS1_28merge_sort_block_sort_configILj256ELj4ELNS0_20block_sort_algorithmE0EEENS0_14default_configENS1_37merge_sort_block_sort_config_selectorIfNS0_10empty_typeEEENS1_38merge_sort_block_merge_config_selectorIfSE_EEEEvv
; %bb.0:
	s_endpgm
	.section	.rodata,"a",@progbits
	.p2align	6, 0x0
	.amdhsa_kernel _ZN7rocprim17ROCPRIM_400000_NS6detail44device_merge_sort_compile_time_verifier_archINS1_11comp_targetILNS1_3genE10ELNS1_11target_archE1201ELNS1_3gpuE5ELNS1_3repE0EEES8_NS1_28merge_sort_block_sort_configILj256ELj4ELNS0_20block_sort_algorithmE0EEENS0_14default_configENS1_37merge_sort_block_sort_config_selectorIfNS0_10empty_typeEEENS1_38merge_sort_block_merge_config_selectorIfSE_EEEEvv
		.amdhsa_group_segment_fixed_size 0
		.amdhsa_private_segment_fixed_size 0
		.amdhsa_kernarg_size 0
		.amdhsa_user_sgpr_count 4
		.amdhsa_user_sgpr_private_segment_buffer 1
		.amdhsa_user_sgpr_dispatch_ptr 0
		.amdhsa_user_sgpr_queue_ptr 0
		.amdhsa_user_sgpr_kernarg_segment_ptr 0
		.amdhsa_user_sgpr_dispatch_id 0
		.amdhsa_user_sgpr_flat_scratch_init 0
		.amdhsa_user_sgpr_private_segment_size 0
		.amdhsa_wavefront_size32 1
		.amdhsa_uses_dynamic_stack 0
		.amdhsa_system_sgpr_private_segment_wavefront_offset 0
		.amdhsa_system_sgpr_workgroup_id_x 1
		.amdhsa_system_sgpr_workgroup_id_y 0
		.amdhsa_system_sgpr_workgroup_id_z 0
		.amdhsa_system_sgpr_workgroup_info 0
		.amdhsa_system_vgpr_workitem_id 0
		.amdhsa_next_free_vgpr 1
		.amdhsa_next_free_sgpr 1
		.amdhsa_reserve_vcc 0
		.amdhsa_reserve_flat_scratch 0
		.amdhsa_float_round_mode_32 0
		.amdhsa_float_round_mode_16_64 0
		.amdhsa_float_denorm_mode_32 3
		.amdhsa_float_denorm_mode_16_64 3
		.amdhsa_dx10_clamp 1
		.amdhsa_ieee_mode 1
		.amdhsa_fp16_overflow 0
		.amdhsa_workgroup_processor_mode 1
		.amdhsa_memory_ordered 1
		.amdhsa_forward_progress 1
		.amdhsa_shared_vgpr_count 0
		.amdhsa_exception_fp_ieee_invalid_op 0
		.amdhsa_exception_fp_denorm_src 0
		.amdhsa_exception_fp_ieee_div_zero 0
		.amdhsa_exception_fp_ieee_overflow 0
		.amdhsa_exception_fp_ieee_underflow 0
		.amdhsa_exception_fp_ieee_inexact 0
		.amdhsa_exception_int_div_zero 0
	.end_amdhsa_kernel
	.section	.text._ZN7rocprim17ROCPRIM_400000_NS6detail44device_merge_sort_compile_time_verifier_archINS1_11comp_targetILNS1_3genE10ELNS1_11target_archE1201ELNS1_3gpuE5ELNS1_3repE0EEES8_NS1_28merge_sort_block_sort_configILj256ELj4ELNS0_20block_sort_algorithmE0EEENS0_14default_configENS1_37merge_sort_block_sort_config_selectorIfNS0_10empty_typeEEENS1_38merge_sort_block_merge_config_selectorIfSE_EEEEvv,"axG",@progbits,_ZN7rocprim17ROCPRIM_400000_NS6detail44device_merge_sort_compile_time_verifier_archINS1_11comp_targetILNS1_3genE10ELNS1_11target_archE1201ELNS1_3gpuE5ELNS1_3repE0EEES8_NS1_28merge_sort_block_sort_configILj256ELj4ELNS0_20block_sort_algorithmE0EEENS0_14default_configENS1_37merge_sort_block_sort_config_selectorIfNS0_10empty_typeEEENS1_38merge_sort_block_merge_config_selectorIfSE_EEEEvv,comdat
.Lfunc_end471:
	.size	_ZN7rocprim17ROCPRIM_400000_NS6detail44device_merge_sort_compile_time_verifier_archINS1_11comp_targetILNS1_3genE10ELNS1_11target_archE1201ELNS1_3gpuE5ELNS1_3repE0EEES8_NS1_28merge_sort_block_sort_configILj256ELj4ELNS0_20block_sort_algorithmE0EEENS0_14default_configENS1_37merge_sort_block_sort_config_selectorIfNS0_10empty_typeEEENS1_38merge_sort_block_merge_config_selectorIfSE_EEEEvv, .Lfunc_end471-_ZN7rocprim17ROCPRIM_400000_NS6detail44device_merge_sort_compile_time_verifier_archINS1_11comp_targetILNS1_3genE10ELNS1_11target_archE1201ELNS1_3gpuE5ELNS1_3repE0EEES8_NS1_28merge_sort_block_sort_configILj256ELj4ELNS0_20block_sort_algorithmE0EEENS0_14default_configENS1_37merge_sort_block_sort_config_selectorIfNS0_10empty_typeEEENS1_38merge_sort_block_merge_config_selectorIfSE_EEEEvv
                                        ; -- End function
	.set _ZN7rocprim17ROCPRIM_400000_NS6detail44device_merge_sort_compile_time_verifier_archINS1_11comp_targetILNS1_3genE10ELNS1_11target_archE1201ELNS1_3gpuE5ELNS1_3repE0EEES8_NS1_28merge_sort_block_sort_configILj256ELj4ELNS0_20block_sort_algorithmE0EEENS0_14default_configENS1_37merge_sort_block_sort_config_selectorIfNS0_10empty_typeEEENS1_38merge_sort_block_merge_config_selectorIfSE_EEEEvv.num_vgpr, 0
	.set _ZN7rocprim17ROCPRIM_400000_NS6detail44device_merge_sort_compile_time_verifier_archINS1_11comp_targetILNS1_3genE10ELNS1_11target_archE1201ELNS1_3gpuE5ELNS1_3repE0EEES8_NS1_28merge_sort_block_sort_configILj256ELj4ELNS0_20block_sort_algorithmE0EEENS0_14default_configENS1_37merge_sort_block_sort_config_selectorIfNS0_10empty_typeEEENS1_38merge_sort_block_merge_config_selectorIfSE_EEEEvv.num_agpr, 0
	.set _ZN7rocprim17ROCPRIM_400000_NS6detail44device_merge_sort_compile_time_verifier_archINS1_11comp_targetILNS1_3genE10ELNS1_11target_archE1201ELNS1_3gpuE5ELNS1_3repE0EEES8_NS1_28merge_sort_block_sort_configILj256ELj4ELNS0_20block_sort_algorithmE0EEENS0_14default_configENS1_37merge_sort_block_sort_config_selectorIfNS0_10empty_typeEEENS1_38merge_sort_block_merge_config_selectorIfSE_EEEEvv.numbered_sgpr, 0
	.set _ZN7rocprim17ROCPRIM_400000_NS6detail44device_merge_sort_compile_time_verifier_archINS1_11comp_targetILNS1_3genE10ELNS1_11target_archE1201ELNS1_3gpuE5ELNS1_3repE0EEES8_NS1_28merge_sort_block_sort_configILj256ELj4ELNS0_20block_sort_algorithmE0EEENS0_14default_configENS1_37merge_sort_block_sort_config_selectorIfNS0_10empty_typeEEENS1_38merge_sort_block_merge_config_selectorIfSE_EEEEvv.num_named_barrier, 0
	.set _ZN7rocprim17ROCPRIM_400000_NS6detail44device_merge_sort_compile_time_verifier_archINS1_11comp_targetILNS1_3genE10ELNS1_11target_archE1201ELNS1_3gpuE5ELNS1_3repE0EEES8_NS1_28merge_sort_block_sort_configILj256ELj4ELNS0_20block_sort_algorithmE0EEENS0_14default_configENS1_37merge_sort_block_sort_config_selectorIfNS0_10empty_typeEEENS1_38merge_sort_block_merge_config_selectorIfSE_EEEEvv.private_seg_size, 0
	.set _ZN7rocprim17ROCPRIM_400000_NS6detail44device_merge_sort_compile_time_verifier_archINS1_11comp_targetILNS1_3genE10ELNS1_11target_archE1201ELNS1_3gpuE5ELNS1_3repE0EEES8_NS1_28merge_sort_block_sort_configILj256ELj4ELNS0_20block_sort_algorithmE0EEENS0_14default_configENS1_37merge_sort_block_sort_config_selectorIfNS0_10empty_typeEEENS1_38merge_sort_block_merge_config_selectorIfSE_EEEEvv.uses_vcc, 0
	.set _ZN7rocprim17ROCPRIM_400000_NS6detail44device_merge_sort_compile_time_verifier_archINS1_11comp_targetILNS1_3genE10ELNS1_11target_archE1201ELNS1_3gpuE5ELNS1_3repE0EEES8_NS1_28merge_sort_block_sort_configILj256ELj4ELNS0_20block_sort_algorithmE0EEENS0_14default_configENS1_37merge_sort_block_sort_config_selectorIfNS0_10empty_typeEEENS1_38merge_sort_block_merge_config_selectorIfSE_EEEEvv.uses_flat_scratch, 0
	.set _ZN7rocprim17ROCPRIM_400000_NS6detail44device_merge_sort_compile_time_verifier_archINS1_11comp_targetILNS1_3genE10ELNS1_11target_archE1201ELNS1_3gpuE5ELNS1_3repE0EEES8_NS1_28merge_sort_block_sort_configILj256ELj4ELNS0_20block_sort_algorithmE0EEENS0_14default_configENS1_37merge_sort_block_sort_config_selectorIfNS0_10empty_typeEEENS1_38merge_sort_block_merge_config_selectorIfSE_EEEEvv.has_dyn_sized_stack, 0
	.set _ZN7rocprim17ROCPRIM_400000_NS6detail44device_merge_sort_compile_time_verifier_archINS1_11comp_targetILNS1_3genE10ELNS1_11target_archE1201ELNS1_3gpuE5ELNS1_3repE0EEES8_NS1_28merge_sort_block_sort_configILj256ELj4ELNS0_20block_sort_algorithmE0EEENS0_14default_configENS1_37merge_sort_block_sort_config_selectorIfNS0_10empty_typeEEENS1_38merge_sort_block_merge_config_selectorIfSE_EEEEvv.has_recursion, 0
	.set _ZN7rocprim17ROCPRIM_400000_NS6detail44device_merge_sort_compile_time_verifier_archINS1_11comp_targetILNS1_3genE10ELNS1_11target_archE1201ELNS1_3gpuE5ELNS1_3repE0EEES8_NS1_28merge_sort_block_sort_configILj256ELj4ELNS0_20block_sort_algorithmE0EEENS0_14default_configENS1_37merge_sort_block_sort_config_selectorIfNS0_10empty_typeEEENS1_38merge_sort_block_merge_config_selectorIfSE_EEEEvv.has_indirect_call, 0
	.section	.AMDGPU.csdata,"",@progbits
; Kernel info:
; codeLenInByte = 4
; TotalNumSgprs: 0
; NumVgprs: 0
; ScratchSize: 0
; MemoryBound: 0
; FloatMode: 240
; IeeeMode: 1
; LDSByteSize: 0 bytes/workgroup (compile time only)
; SGPRBlocks: 0
; VGPRBlocks: 0
; NumSGPRsForWavesPerEU: 1
; NumVGPRsForWavesPerEU: 1
; Occupancy: 16
; WaveLimiterHint : 0
; COMPUTE_PGM_RSRC2:SCRATCH_EN: 0
; COMPUTE_PGM_RSRC2:USER_SGPR: 4
; COMPUTE_PGM_RSRC2:TRAP_HANDLER: 0
; COMPUTE_PGM_RSRC2:TGID_X_EN: 1
; COMPUTE_PGM_RSRC2:TGID_Y_EN: 0
; COMPUTE_PGM_RSRC2:TGID_Z_EN: 0
; COMPUTE_PGM_RSRC2:TIDIG_COMP_CNT: 0
	.section	.text._ZN7rocprim17ROCPRIM_400000_NS6detail44device_merge_sort_compile_time_verifier_archINS1_11comp_targetILNS1_3genE10ELNS1_11target_archE1200ELNS1_3gpuE4ELNS1_3repE0EEENS3_ILS4_10ELS5_1201ELS6_5ELS7_0EEENS1_28merge_sort_block_sort_configILj256ELj4ELNS0_20block_sort_algorithmE0EEENS0_14default_configENS1_37merge_sort_block_sort_config_selectorIfNS0_10empty_typeEEENS1_38merge_sort_block_merge_config_selectorIfSF_EEEEvv,"axG",@progbits,_ZN7rocprim17ROCPRIM_400000_NS6detail44device_merge_sort_compile_time_verifier_archINS1_11comp_targetILNS1_3genE10ELNS1_11target_archE1200ELNS1_3gpuE4ELNS1_3repE0EEENS3_ILS4_10ELS5_1201ELS6_5ELS7_0EEENS1_28merge_sort_block_sort_configILj256ELj4ELNS0_20block_sort_algorithmE0EEENS0_14default_configENS1_37merge_sort_block_sort_config_selectorIfNS0_10empty_typeEEENS1_38merge_sort_block_merge_config_selectorIfSF_EEEEvv,comdat
	.protected	_ZN7rocprim17ROCPRIM_400000_NS6detail44device_merge_sort_compile_time_verifier_archINS1_11comp_targetILNS1_3genE10ELNS1_11target_archE1200ELNS1_3gpuE4ELNS1_3repE0EEENS3_ILS4_10ELS5_1201ELS6_5ELS7_0EEENS1_28merge_sort_block_sort_configILj256ELj4ELNS0_20block_sort_algorithmE0EEENS0_14default_configENS1_37merge_sort_block_sort_config_selectorIfNS0_10empty_typeEEENS1_38merge_sort_block_merge_config_selectorIfSF_EEEEvv ; -- Begin function _ZN7rocprim17ROCPRIM_400000_NS6detail44device_merge_sort_compile_time_verifier_archINS1_11comp_targetILNS1_3genE10ELNS1_11target_archE1200ELNS1_3gpuE4ELNS1_3repE0EEENS3_ILS4_10ELS5_1201ELS6_5ELS7_0EEENS1_28merge_sort_block_sort_configILj256ELj4ELNS0_20block_sort_algorithmE0EEENS0_14default_configENS1_37merge_sort_block_sort_config_selectorIfNS0_10empty_typeEEENS1_38merge_sort_block_merge_config_selectorIfSF_EEEEvv
	.globl	_ZN7rocprim17ROCPRIM_400000_NS6detail44device_merge_sort_compile_time_verifier_archINS1_11comp_targetILNS1_3genE10ELNS1_11target_archE1200ELNS1_3gpuE4ELNS1_3repE0EEENS3_ILS4_10ELS5_1201ELS6_5ELS7_0EEENS1_28merge_sort_block_sort_configILj256ELj4ELNS0_20block_sort_algorithmE0EEENS0_14default_configENS1_37merge_sort_block_sort_config_selectorIfNS0_10empty_typeEEENS1_38merge_sort_block_merge_config_selectorIfSF_EEEEvv
	.p2align	8
	.type	_ZN7rocprim17ROCPRIM_400000_NS6detail44device_merge_sort_compile_time_verifier_archINS1_11comp_targetILNS1_3genE10ELNS1_11target_archE1200ELNS1_3gpuE4ELNS1_3repE0EEENS3_ILS4_10ELS5_1201ELS6_5ELS7_0EEENS1_28merge_sort_block_sort_configILj256ELj4ELNS0_20block_sort_algorithmE0EEENS0_14default_configENS1_37merge_sort_block_sort_config_selectorIfNS0_10empty_typeEEENS1_38merge_sort_block_merge_config_selectorIfSF_EEEEvv,@function
_ZN7rocprim17ROCPRIM_400000_NS6detail44device_merge_sort_compile_time_verifier_archINS1_11comp_targetILNS1_3genE10ELNS1_11target_archE1200ELNS1_3gpuE4ELNS1_3repE0EEENS3_ILS4_10ELS5_1201ELS6_5ELS7_0EEENS1_28merge_sort_block_sort_configILj256ELj4ELNS0_20block_sort_algorithmE0EEENS0_14default_configENS1_37merge_sort_block_sort_config_selectorIfNS0_10empty_typeEEENS1_38merge_sort_block_merge_config_selectorIfSF_EEEEvv: ; @_ZN7rocprim17ROCPRIM_400000_NS6detail44device_merge_sort_compile_time_verifier_archINS1_11comp_targetILNS1_3genE10ELNS1_11target_archE1200ELNS1_3gpuE4ELNS1_3repE0EEENS3_ILS4_10ELS5_1201ELS6_5ELS7_0EEENS1_28merge_sort_block_sort_configILj256ELj4ELNS0_20block_sort_algorithmE0EEENS0_14default_configENS1_37merge_sort_block_sort_config_selectorIfNS0_10empty_typeEEENS1_38merge_sort_block_merge_config_selectorIfSF_EEEEvv
; %bb.0:
	s_endpgm
	.section	.rodata,"a",@progbits
	.p2align	6, 0x0
	.amdhsa_kernel _ZN7rocprim17ROCPRIM_400000_NS6detail44device_merge_sort_compile_time_verifier_archINS1_11comp_targetILNS1_3genE10ELNS1_11target_archE1200ELNS1_3gpuE4ELNS1_3repE0EEENS3_ILS4_10ELS5_1201ELS6_5ELS7_0EEENS1_28merge_sort_block_sort_configILj256ELj4ELNS0_20block_sort_algorithmE0EEENS0_14default_configENS1_37merge_sort_block_sort_config_selectorIfNS0_10empty_typeEEENS1_38merge_sort_block_merge_config_selectorIfSF_EEEEvv
		.amdhsa_group_segment_fixed_size 0
		.amdhsa_private_segment_fixed_size 0
		.amdhsa_kernarg_size 0
		.amdhsa_user_sgpr_count 4
		.amdhsa_user_sgpr_private_segment_buffer 1
		.amdhsa_user_sgpr_dispatch_ptr 0
		.amdhsa_user_sgpr_queue_ptr 0
		.amdhsa_user_sgpr_kernarg_segment_ptr 0
		.amdhsa_user_sgpr_dispatch_id 0
		.amdhsa_user_sgpr_flat_scratch_init 0
		.amdhsa_user_sgpr_private_segment_size 0
		.amdhsa_wavefront_size32 1
		.amdhsa_uses_dynamic_stack 0
		.amdhsa_system_sgpr_private_segment_wavefront_offset 0
		.amdhsa_system_sgpr_workgroup_id_x 1
		.amdhsa_system_sgpr_workgroup_id_y 0
		.amdhsa_system_sgpr_workgroup_id_z 0
		.amdhsa_system_sgpr_workgroup_info 0
		.amdhsa_system_vgpr_workitem_id 0
		.amdhsa_next_free_vgpr 1
		.amdhsa_next_free_sgpr 1
		.amdhsa_reserve_vcc 0
		.amdhsa_reserve_flat_scratch 0
		.amdhsa_float_round_mode_32 0
		.amdhsa_float_round_mode_16_64 0
		.amdhsa_float_denorm_mode_32 3
		.amdhsa_float_denorm_mode_16_64 3
		.amdhsa_dx10_clamp 1
		.amdhsa_ieee_mode 1
		.amdhsa_fp16_overflow 0
		.amdhsa_workgroup_processor_mode 1
		.amdhsa_memory_ordered 1
		.amdhsa_forward_progress 1
		.amdhsa_shared_vgpr_count 0
		.amdhsa_exception_fp_ieee_invalid_op 0
		.amdhsa_exception_fp_denorm_src 0
		.amdhsa_exception_fp_ieee_div_zero 0
		.amdhsa_exception_fp_ieee_overflow 0
		.amdhsa_exception_fp_ieee_underflow 0
		.amdhsa_exception_fp_ieee_inexact 0
		.amdhsa_exception_int_div_zero 0
	.end_amdhsa_kernel
	.section	.text._ZN7rocprim17ROCPRIM_400000_NS6detail44device_merge_sort_compile_time_verifier_archINS1_11comp_targetILNS1_3genE10ELNS1_11target_archE1200ELNS1_3gpuE4ELNS1_3repE0EEENS3_ILS4_10ELS5_1201ELS6_5ELS7_0EEENS1_28merge_sort_block_sort_configILj256ELj4ELNS0_20block_sort_algorithmE0EEENS0_14default_configENS1_37merge_sort_block_sort_config_selectorIfNS0_10empty_typeEEENS1_38merge_sort_block_merge_config_selectorIfSF_EEEEvv,"axG",@progbits,_ZN7rocprim17ROCPRIM_400000_NS6detail44device_merge_sort_compile_time_verifier_archINS1_11comp_targetILNS1_3genE10ELNS1_11target_archE1200ELNS1_3gpuE4ELNS1_3repE0EEENS3_ILS4_10ELS5_1201ELS6_5ELS7_0EEENS1_28merge_sort_block_sort_configILj256ELj4ELNS0_20block_sort_algorithmE0EEENS0_14default_configENS1_37merge_sort_block_sort_config_selectorIfNS0_10empty_typeEEENS1_38merge_sort_block_merge_config_selectorIfSF_EEEEvv,comdat
.Lfunc_end472:
	.size	_ZN7rocprim17ROCPRIM_400000_NS6detail44device_merge_sort_compile_time_verifier_archINS1_11comp_targetILNS1_3genE10ELNS1_11target_archE1200ELNS1_3gpuE4ELNS1_3repE0EEENS3_ILS4_10ELS5_1201ELS6_5ELS7_0EEENS1_28merge_sort_block_sort_configILj256ELj4ELNS0_20block_sort_algorithmE0EEENS0_14default_configENS1_37merge_sort_block_sort_config_selectorIfNS0_10empty_typeEEENS1_38merge_sort_block_merge_config_selectorIfSF_EEEEvv, .Lfunc_end472-_ZN7rocprim17ROCPRIM_400000_NS6detail44device_merge_sort_compile_time_verifier_archINS1_11comp_targetILNS1_3genE10ELNS1_11target_archE1200ELNS1_3gpuE4ELNS1_3repE0EEENS3_ILS4_10ELS5_1201ELS6_5ELS7_0EEENS1_28merge_sort_block_sort_configILj256ELj4ELNS0_20block_sort_algorithmE0EEENS0_14default_configENS1_37merge_sort_block_sort_config_selectorIfNS0_10empty_typeEEENS1_38merge_sort_block_merge_config_selectorIfSF_EEEEvv
                                        ; -- End function
	.set _ZN7rocprim17ROCPRIM_400000_NS6detail44device_merge_sort_compile_time_verifier_archINS1_11comp_targetILNS1_3genE10ELNS1_11target_archE1200ELNS1_3gpuE4ELNS1_3repE0EEENS3_ILS4_10ELS5_1201ELS6_5ELS7_0EEENS1_28merge_sort_block_sort_configILj256ELj4ELNS0_20block_sort_algorithmE0EEENS0_14default_configENS1_37merge_sort_block_sort_config_selectorIfNS0_10empty_typeEEENS1_38merge_sort_block_merge_config_selectorIfSF_EEEEvv.num_vgpr, 0
	.set _ZN7rocprim17ROCPRIM_400000_NS6detail44device_merge_sort_compile_time_verifier_archINS1_11comp_targetILNS1_3genE10ELNS1_11target_archE1200ELNS1_3gpuE4ELNS1_3repE0EEENS3_ILS4_10ELS5_1201ELS6_5ELS7_0EEENS1_28merge_sort_block_sort_configILj256ELj4ELNS0_20block_sort_algorithmE0EEENS0_14default_configENS1_37merge_sort_block_sort_config_selectorIfNS0_10empty_typeEEENS1_38merge_sort_block_merge_config_selectorIfSF_EEEEvv.num_agpr, 0
	.set _ZN7rocprim17ROCPRIM_400000_NS6detail44device_merge_sort_compile_time_verifier_archINS1_11comp_targetILNS1_3genE10ELNS1_11target_archE1200ELNS1_3gpuE4ELNS1_3repE0EEENS3_ILS4_10ELS5_1201ELS6_5ELS7_0EEENS1_28merge_sort_block_sort_configILj256ELj4ELNS0_20block_sort_algorithmE0EEENS0_14default_configENS1_37merge_sort_block_sort_config_selectorIfNS0_10empty_typeEEENS1_38merge_sort_block_merge_config_selectorIfSF_EEEEvv.numbered_sgpr, 0
	.set _ZN7rocprim17ROCPRIM_400000_NS6detail44device_merge_sort_compile_time_verifier_archINS1_11comp_targetILNS1_3genE10ELNS1_11target_archE1200ELNS1_3gpuE4ELNS1_3repE0EEENS3_ILS4_10ELS5_1201ELS6_5ELS7_0EEENS1_28merge_sort_block_sort_configILj256ELj4ELNS0_20block_sort_algorithmE0EEENS0_14default_configENS1_37merge_sort_block_sort_config_selectorIfNS0_10empty_typeEEENS1_38merge_sort_block_merge_config_selectorIfSF_EEEEvv.num_named_barrier, 0
	.set _ZN7rocprim17ROCPRIM_400000_NS6detail44device_merge_sort_compile_time_verifier_archINS1_11comp_targetILNS1_3genE10ELNS1_11target_archE1200ELNS1_3gpuE4ELNS1_3repE0EEENS3_ILS4_10ELS5_1201ELS6_5ELS7_0EEENS1_28merge_sort_block_sort_configILj256ELj4ELNS0_20block_sort_algorithmE0EEENS0_14default_configENS1_37merge_sort_block_sort_config_selectorIfNS0_10empty_typeEEENS1_38merge_sort_block_merge_config_selectorIfSF_EEEEvv.private_seg_size, 0
	.set _ZN7rocprim17ROCPRIM_400000_NS6detail44device_merge_sort_compile_time_verifier_archINS1_11comp_targetILNS1_3genE10ELNS1_11target_archE1200ELNS1_3gpuE4ELNS1_3repE0EEENS3_ILS4_10ELS5_1201ELS6_5ELS7_0EEENS1_28merge_sort_block_sort_configILj256ELj4ELNS0_20block_sort_algorithmE0EEENS0_14default_configENS1_37merge_sort_block_sort_config_selectorIfNS0_10empty_typeEEENS1_38merge_sort_block_merge_config_selectorIfSF_EEEEvv.uses_vcc, 0
	.set _ZN7rocprim17ROCPRIM_400000_NS6detail44device_merge_sort_compile_time_verifier_archINS1_11comp_targetILNS1_3genE10ELNS1_11target_archE1200ELNS1_3gpuE4ELNS1_3repE0EEENS3_ILS4_10ELS5_1201ELS6_5ELS7_0EEENS1_28merge_sort_block_sort_configILj256ELj4ELNS0_20block_sort_algorithmE0EEENS0_14default_configENS1_37merge_sort_block_sort_config_selectorIfNS0_10empty_typeEEENS1_38merge_sort_block_merge_config_selectorIfSF_EEEEvv.uses_flat_scratch, 0
	.set _ZN7rocprim17ROCPRIM_400000_NS6detail44device_merge_sort_compile_time_verifier_archINS1_11comp_targetILNS1_3genE10ELNS1_11target_archE1200ELNS1_3gpuE4ELNS1_3repE0EEENS3_ILS4_10ELS5_1201ELS6_5ELS7_0EEENS1_28merge_sort_block_sort_configILj256ELj4ELNS0_20block_sort_algorithmE0EEENS0_14default_configENS1_37merge_sort_block_sort_config_selectorIfNS0_10empty_typeEEENS1_38merge_sort_block_merge_config_selectorIfSF_EEEEvv.has_dyn_sized_stack, 0
	.set _ZN7rocprim17ROCPRIM_400000_NS6detail44device_merge_sort_compile_time_verifier_archINS1_11comp_targetILNS1_3genE10ELNS1_11target_archE1200ELNS1_3gpuE4ELNS1_3repE0EEENS3_ILS4_10ELS5_1201ELS6_5ELS7_0EEENS1_28merge_sort_block_sort_configILj256ELj4ELNS0_20block_sort_algorithmE0EEENS0_14default_configENS1_37merge_sort_block_sort_config_selectorIfNS0_10empty_typeEEENS1_38merge_sort_block_merge_config_selectorIfSF_EEEEvv.has_recursion, 0
	.set _ZN7rocprim17ROCPRIM_400000_NS6detail44device_merge_sort_compile_time_verifier_archINS1_11comp_targetILNS1_3genE10ELNS1_11target_archE1200ELNS1_3gpuE4ELNS1_3repE0EEENS3_ILS4_10ELS5_1201ELS6_5ELS7_0EEENS1_28merge_sort_block_sort_configILj256ELj4ELNS0_20block_sort_algorithmE0EEENS0_14default_configENS1_37merge_sort_block_sort_config_selectorIfNS0_10empty_typeEEENS1_38merge_sort_block_merge_config_selectorIfSF_EEEEvv.has_indirect_call, 0
	.section	.AMDGPU.csdata,"",@progbits
; Kernel info:
; codeLenInByte = 4
; TotalNumSgprs: 0
; NumVgprs: 0
; ScratchSize: 0
; MemoryBound: 0
; FloatMode: 240
; IeeeMode: 1
; LDSByteSize: 0 bytes/workgroup (compile time only)
; SGPRBlocks: 0
; VGPRBlocks: 0
; NumSGPRsForWavesPerEU: 1
; NumVGPRsForWavesPerEU: 1
; Occupancy: 16
; WaveLimiterHint : 0
; COMPUTE_PGM_RSRC2:SCRATCH_EN: 0
; COMPUTE_PGM_RSRC2:USER_SGPR: 4
; COMPUTE_PGM_RSRC2:TRAP_HANDLER: 0
; COMPUTE_PGM_RSRC2:TGID_X_EN: 1
; COMPUTE_PGM_RSRC2:TGID_Y_EN: 0
; COMPUTE_PGM_RSRC2:TGID_Z_EN: 0
; COMPUTE_PGM_RSRC2:TIDIG_COMP_CNT: 0
	.section	.text._ZN7rocprim17ROCPRIM_400000_NS6detail44device_merge_sort_compile_time_verifier_archINS1_11comp_targetILNS1_3genE9ELNS1_11target_archE1100ELNS1_3gpuE3ELNS1_3repE0EEES8_NS1_28merge_sort_block_sort_configILj256ELj4ELNS0_20block_sort_algorithmE0EEENS0_14default_configENS1_37merge_sort_block_sort_config_selectorIfNS0_10empty_typeEEENS1_38merge_sort_block_merge_config_selectorIfSE_EEEEvv,"axG",@progbits,_ZN7rocprim17ROCPRIM_400000_NS6detail44device_merge_sort_compile_time_verifier_archINS1_11comp_targetILNS1_3genE9ELNS1_11target_archE1100ELNS1_3gpuE3ELNS1_3repE0EEES8_NS1_28merge_sort_block_sort_configILj256ELj4ELNS0_20block_sort_algorithmE0EEENS0_14default_configENS1_37merge_sort_block_sort_config_selectorIfNS0_10empty_typeEEENS1_38merge_sort_block_merge_config_selectorIfSE_EEEEvv,comdat
	.protected	_ZN7rocprim17ROCPRIM_400000_NS6detail44device_merge_sort_compile_time_verifier_archINS1_11comp_targetILNS1_3genE9ELNS1_11target_archE1100ELNS1_3gpuE3ELNS1_3repE0EEES8_NS1_28merge_sort_block_sort_configILj256ELj4ELNS0_20block_sort_algorithmE0EEENS0_14default_configENS1_37merge_sort_block_sort_config_selectorIfNS0_10empty_typeEEENS1_38merge_sort_block_merge_config_selectorIfSE_EEEEvv ; -- Begin function _ZN7rocprim17ROCPRIM_400000_NS6detail44device_merge_sort_compile_time_verifier_archINS1_11comp_targetILNS1_3genE9ELNS1_11target_archE1100ELNS1_3gpuE3ELNS1_3repE0EEES8_NS1_28merge_sort_block_sort_configILj256ELj4ELNS0_20block_sort_algorithmE0EEENS0_14default_configENS1_37merge_sort_block_sort_config_selectorIfNS0_10empty_typeEEENS1_38merge_sort_block_merge_config_selectorIfSE_EEEEvv
	.globl	_ZN7rocprim17ROCPRIM_400000_NS6detail44device_merge_sort_compile_time_verifier_archINS1_11comp_targetILNS1_3genE9ELNS1_11target_archE1100ELNS1_3gpuE3ELNS1_3repE0EEES8_NS1_28merge_sort_block_sort_configILj256ELj4ELNS0_20block_sort_algorithmE0EEENS0_14default_configENS1_37merge_sort_block_sort_config_selectorIfNS0_10empty_typeEEENS1_38merge_sort_block_merge_config_selectorIfSE_EEEEvv
	.p2align	8
	.type	_ZN7rocprim17ROCPRIM_400000_NS6detail44device_merge_sort_compile_time_verifier_archINS1_11comp_targetILNS1_3genE9ELNS1_11target_archE1100ELNS1_3gpuE3ELNS1_3repE0EEES8_NS1_28merge_sort_block_sort_configILj256ELj4ELNS0_20block_sort_algorithmE0EEENS0_14default_configENS1_37merge_sort_block_sort_config_selectorIfNS0_10empty_typeEEENS1_38merge_sort_block_merge_config_selectorIfSE_EEEEvv,@function
_ZN7rocprim17ROCPRIM_400000_NS6detail44device_merge_sort_compile_time_verifier_archINS1_11comp_targetILNS1_3genE9ELNS1_11target_archE1100ELNS1_3gpuE3ELNS1_3repE0EEES8_NS1_28merge_sort_block_sort_configILj256ELj4ELNS0_20block_sort_algorithmE0EEENS0_14default_configENS1_37merge_sort_block_sort_config_selectorIfNS0_10empty_typeEEENS1_38merge_sort_block_merge_config_selectorIfSE_EEEEvv: ; @_ZN7rocprim17ROCPRIM_400000_NS6detail44device_merge_sort_compile_time_verifier_archINS1_11comp_targetILNS1_3genE9ELNS1_11target_archE1100ELNS1_3gpuE3ELNS1_3repE0EEES8_NS1_28merge_sort_block_sort_configILj256ELj4ELNS0_20block_sort_algorithmE0EEENS0_14default_configENS1_37merge_sort_block_sort_config_selectorIfNS0_10empty_typeEEENS1_38merge_sort_block_merge_config_selectorIfSE_EEEEvv
; %bb.0:
	s_endpgm
	.section	.rodata,"a",@progbits
	.p2align	6, 0x0
	.amdhsa_kernel _ZN7rocprim17ROCPRIM_400000_NS6detail44device_merge_sort_compile_time_verifier_archINS1_11comp_targetILNS1_3genE9ELNS1_11target_archE1100ELNS1_3gpuE3ELNS1_3repE0EEES8_NS1_28merge_sort_block_sort_configILj256ELj4ELNS0_20block_sort_algorithmE0EEENS0_14default_configENS1_37merge_sort_block_sort_config_selectorIfNS0_10empty_typeEEENS1_38merge_sort_block_merge_config_selectorIfSE_EEEEvv
		.amdhsa_group_segment_fixed_size 0
		.amdhsa_private_segment_fixed_size 0
		.amdhsa_kernarg_size 0
		.amdhsa_user_sgpr_count 4
		.amdhsa_user_sgpr_private_segment_buffer 1
		.amdhsa_user_sgpr_dispatch_ptr 0
		.amdhsa_user_sgpr_queue_ptr 0
		.amdhsa_user_sgpr_kernarg_segment_ptr 0
		.amdhsa_user_sgpr_dispatch_id 0
		.amdhsa_user_sgpr_flat_scratch_init 0
		.amdhsa_user_sgpr_private_segment_size 0
		.amdhsa_wavefront_size32 1
		.amdhsa_uses_dynamic_stack 0
		.amdhsa_system_sgpr_private_segment_wavefront_offset 0
		.amdhsa_system_sgpr_workgroup_id_x 1
		.amdhsa_system_sgpr_workgroup_id_y 0
		.amdhsa_system_sgpr_workgroup_id_z 0
		.amdhsa_system_sgpr_workgroup_info 0
		.amdhsa_system_vgpr_workitem_id 0
		.amdhsa_next_free_vgpr 1
		.amdhsa_next_free_sgpr 1
		.amdhsa_reserve_vcc 0
		.amdhsa_reserve_flat_scratch 0
		.amdhsa_float_round_mode_32 0
		.amdhsa_float_round_mode_16_64 0
		.amdhsa_float_denorm_mode_32 3
		.amdhsa_float_denorm_mode_16_64 3
		.amdhsa_dx10_clamp 1
		.amdhsa_ieee_mode 1
		.amdhsa_fp16_overflow 0
		.amdhsa_workgroup_processor_mode 1
		.amdhsa_memory_ordered 1
		.amdhsa_forward_progress 1
		.amdhsa_shared_vgpr_count 0
		.amdhsa_exception_fp_ieee_invalid_op 0
		.amdhsa_exception_fp_denorm_src 0
		.amdhsa_exception_fp_ieee_div_zero 0
		.amdhsa_exception_fp_ieee_overflow 0
		.amdhsa_exception_fp_ieee_underflow 0
		.amdhsa_exception_fp_ieee_inexact 0
		.amdhsa_exception_int_div_zero 0
	.end_amdhsa_kernel
	.section	.text._ZN7rocprim17ROCPRIM_400000_NS6detail44device_merge_sort_compile_time_verifier_archINS1_11comp_targetILNS1_3genE9ELNS1_11target_archE1100ELNS1_3gpuE3ELNS1_3repE0EEES8_NS1_28merge_sort_block_sort_configILj256ELj4ELNS0_20block_sort_algorithmE0EEENS0_14default_configENS1_37merge_sort_block_sort_config_selectorIfNS0_10empty_typeEEENS1_38merge_sort_block_merge_config_selectorIfSE_EEEEvv,"axG",@progbits,_ZN7rocprim17ROCPRIM_400000_NS6detail44device_merge_sort_compile_time_verifier_archINS1_11comp_targetILNS1_3genE9ELNS1_11target_archE1100ELNS1_3gpuE3ELNS1_3repE0EEES8_NS1_28merge_sort_block_sort_configILj256ELj4ELNS0_20block_sort_algorithmE0EEENS0_14default_configENS1_37merge_sort_block_sort_config_selectorIfNS0_10empty_typeEEENS1_38merge_sort_block_merge_config_selectorIfSE_EEEEvv,comdat
.Lfunc_end473:
	.size	_ZN7rocprim17ROCPRIM_400000_NS6detail44device_merge_sort_compile_time_verifier_archINS1_11comp_targetILNS1_3genE9ELNS1_11target_archE1100ELNS1_3gpuE3ELNS1_3repE0EEES8_NS1_28merge_sort_block_sort_configILj256ELj4ELNS0_20block_sort_algorithmE0EEENS0_14default_configENS1_37merge_sort_block_sort_config_selectorIfNS0_10empty_typeEEENS1_38merge_sort_block_merge_config_selectorIfSE_EEEEvv, .Lfunc_end473-_ZN7rocprim17ROCPRIM_400000_NS6detail44device_merge_sort_compile_time_verifier_archINS1_11comp_targetILNS1_3genE9ELNS1_11target_archE1100ELNS1_3gpuE3ELNS1_3repE0EEES8_NS1_28merge_sort_block_sort_configILj256ELj4ELNS0_20block_sort_algorithmE0EEENS0_14default_configENS1_37merge_sort_block_sort_config_selectorIfNS0_10empty_typeEEENS1_38merge_sort_block_merge_config_selectorIfSE_EEEEvv
                                        ; -- End function
	.set _ZN7rocprim17ROCPRIM_400000_NS6detail44device_merge_sort_compile_time_verifier_archINS1_11comp_targetILNS1_3genE9ELNS1_11target_archE1100ELNS1_3gpuE3ELNS1_3repE0EEES8_NS1_28merge_sort_block_sort_configILj256ELj4ELNS0_20block_sort_algorithmE0EEENS0_14default_configENS1_37merge_sort_block_sort_config_selectorIfNS0_10empty_typeEEENS1_38merge_sort_block_merge_config_selectorIfSE_EEEEvv.num_vgpr, 0
	.set _ZN7rocprim17ROCPRIM_400000_NS6detail44device_merge_sort_compile_time_verifier_archINS1_11comp_targetILNS1_3genE9ELNS1_11target_archE1100ELNS1_3gpuE3ELNS1_3repE0EEES8_NS1_28merge_sort_block_sort_configILj256ELj4ELNS0_20block_sort_algorithmE0EEENS0_14default_configENS1_37merge_sort_block_sort_config_selectorIfNS0_10empty_typeEEENS1_38merge_sort_block_merge_config_selectorIfSE_EEEEvv.num_agpr, 0
	.set _ZN7rocprim17ROCPRIM_400000_NS6detail44device_merge_sort_compile_time_verifier_archINS1_11comp_targetILNS1_3genE9ELNS1_11target_archE1100ELNS1_3gpuE3ELNS1_3repE0EEES8_NS1_28merge_sort_block_sort_configILj256ELj4ELNS0_20block_sort_algorithmE0EEENS0_14default_configENS1_37merge_sort_block_sort_config_selectorIfNS0_10empty_typeEEENS1_38merge_sort_block_merge_config_selectorIfSE_EEEEvv.numbered_sgpr, 0
	.set _ZN7rocprim17ROCPRIM_400000_NS6detail44device_merge_sort_compile_time_verifier_archINS1_11comp_targetILNS1_3genE9ELNS1_11target_archE1100ELNS1_3gpuE3ELNS1_3repE0EEES8_NS1_28merge_sort_block_sort_configILj256ELj4ELNS0_20block_sort_algorithmE0EEENS0_14default_configENS1_37merge_sort_block_sort_config_selectorIfNS0_10empty_typeEEENS1_38merge_sort_block_merge_config_selectorIfSE_EEEEvv.num_named_barrier, 0
	.set _ZN7rocprim17ROCPRIM_400000_NS6detail44device_merge_sort_compile_time_verifier_archINS1_11comp_targetILNS1_3genE9ELNS1_11target_archE1100ELNS1_3gpuE3ELNS1_3repE0EEES8_NS1_28merge_sort_block_sort_configILj256ELj4ELNS0_20block_sort_algorithmE0EEENS0_14default_configENS1_37merge_sort_block_sort_config_selectorIfNS0_10empty_typeEEENS1_38merge_sort_block_merge_config_selectorIfSE_EEEEvv.private_seg_size, 0
	.set _ZN7rocprim17ROCPRIM_400000_NS6detail44device_merge_sort_compile_time_verifier_archINS1_11comp_targetILNS1_3genE9ELNS1_11target_archE1100ELNS1_3gpuE3ELNS1_3repE0EEES8_NS1_28merge_sort_block_sort_configILj256ELj4ELNS0_20block_sort_algorithmE0EEENS0_14default_configENS1_37merge_sort_block_sort_config_selectorIfNS0_10empty_typeEEENS1_38merge_sort_block_merge_config_selectorIfSE_EEEEvv.uses_vcc, 0
	.set _ZN7rocprim17ROCPRIM_400000_NS6detail44device_merge_sort_compile_time_verifier_archINS1_11comp_targetILNS1_3genE9ELNS1_11target_archE1100ELNS1_3gpuE3ELNS1_3repE0EEES8_NS1_28merge_sort_block_sort_configILj256ELj4ELNS0_20block_sort_algorithmE0EEENS0_14default_configENS1_37merge_sort_block_sort_config_selectorIfNS0_10empty_typeEEENS1_38merge_sort_block_merge_config_selectorIfSE_EEEEvv.uses_flat_scratch, 0
	.set _ZN7rocprim17ROCPRIM_400000_NS6detail44device_merge_sort_compile_time_verifier_archINS1_11comp_targetILNS1_3genE9ELNS1_11target_archE1100ELNS1_3gpuE3ELNS1_3repE0EEES8_NS1_28merge_sort_block_sort_configILj256ELj4ELNS0_20block_sort_algorithmE0EEENS0_14default_configENS1_37merge_sort_block_sort_config_selectorIfNS0_10empty_typeEEENS1_38merge_sort_block_merge_config_selectorIfSE_EEEEvv.has_dyn_sized_stack, 0
	.set _ZN7rocprim17ROCPRIM_400000_NS6detail44device_merge_sort_compile_time_verifier_archINS1_11comp_targetILNS1_3genE9ELNS1_11target_archE1100ELNS1_3gpuE3ELNS1_3repE0EEES8_NS1_28merge_sort_block_sort_configILj256ELj4ELNS0_20block_sort_algorithmE0EEENS0_14default_configENS1_37merge_sort_block_sort_config_selectorIfNS0_10empty_typeEEENS1_38merge_sort_block_merge_config_selectorIfSE_EEEEvv.has_recursion, 0
	.set _ZN7rocprim17ROCPRIM_400000_NS6detail44device_merge_sort_compile_time_verifier_archINS1_11comp_targetILNS1_3genE9ELNS1_11target_archE1100ELNS1_3gpuE3ELNS1_3repE0EEES8_NS1_28merge_sort_block_sort_configILj256ELj4ELNS0_20block_sort_algorithmE0EEENS0_14default_configENS1_37merge_sort_block_sort_config_selectorIfNS0_10empty_typeEEENS1_38merge_sort_block_merge_config_selectorIfSE_EEEEvv.has_indirect_call, 0
	.section	.AMDGPU.csdata,"",@progbits
; Kernel info:
; codeLenInByte = 4
; TotalNumSgprs: 0
; NumVgprs: 0
; ScratchSize: 0
; MemoryBound: 0
; FloatMode: 240
; IeeeMode: 1
; LDSByteSize: 0 bytes/workgroup (compile time only)
; SGPRBlocks: 0
; VGPRBlocks: 0
; NumSGPRsForWavesPerEU: 1
; NumVGPRsForWavesPerEU: 1
; Occupancy: 16
; WaveLimiterHint : 0
; COMPUTE_PGM_RSRC2:SCRATCH_EN: 0
; COMPUTE_PGM_RSRC2:USER_SGPR: 4
; COMPUTE_PGM_RSRC2:TRAP_HANDLER: 0
; COMPUTE_PGM_RSRC2:TGID_X_EN: 1
; COMPUTE_PGM_RSRC2:TGID_Y_EN: 0
; COMPUTE_PGM_RSRC2:TGID_Z_EN: 0
; COMPUTE_PGM_RSRC2:TIDIG_COMP_CNT: 0
	.section	.text._ZN7rocprim17ROCPRIM_400000_NS6detail44device_merge_sort_compile_time_verifier_archINS1_11comp_targetILNS1_3genE8ELNS1_11target_archE1030ELNS1_3gpuE2ELNS1_3repE0EEES8_NS1_28merge_sort_block_sort_configILj256ELj4ELNS0_20block_sort_algorithmE0EEENS0_14default_configENS1_37merge_sort_block_sort_config_selectorIfNS0_10empty_typeEEENS1_38merge_sort_block_merge_config_selectorIfSE_EEEEvv,"axG",@progbits,_ZN7rocprim17ROCPRIM_400000_NS6detail44device_merge_sort_compile_time_verifier_archINS1_11comp_targetILNS1_3genE8ELNS1_11target_archE1030ELNS1_3gpuE2ELNS1_3repE0EEES8_NS1_28merge_sort_block_sort_configILj256ELj4ELNS0_20block_sort_algorithmE0EEENS0_14default_configENS1_37merge_sort_block_sort_config_selectorIfNS0_10empty_typeEEENS1_38merge_sort_block_merge_config_selectorIfSE_EEEEvv,comdat
	.protected	_ZN7rocprim17ROCPRIM_400000_NS6detail44device_merge_sort_compile_time_verifier_archINS1_11comp_targetILNS1_3genE8ELNS1_11target_archE1030ELNS1_3gpuE2ELNS1_3repE0EEES8_NS1_28merge_sort_block_sort_configILj256ELj4ELNS0_20block_sort_algorithmE0EEENS0_14default_configENS1_37merge_sort_block_sort_config_selectorIfNS0_10empty_typeEEENS1_38merge_sort_block_merge_config_selectorIfSE_EEEEvv ; -- Begin function _ZN7rocprim17ROCPRIM_400000_NS6detail44device_merge_sort_compile_time_verifier_archINS1_11comp_targetILNS1_3genE8ELNS1_11target_archE1030ELNS1_3gpuE2ELNS1_3repE0EEES8_NS1_28merge_sort_block_sort_configILj256ELj4ELNS0_20block_sort_algorithmE0EEENS0_14default_configENS1_37merge_sort_block_sort_config_selectorIfNS0_10empty_typeEEENS1_38merge_sort_block_merge_config_selectorIfSE_EEEEvv
	.globl	_ZN7rocprim17ROCPRIM_400000_NS6detail44device_merge_sort_compile_time_verifier_archINS1_11comp_targetILNS1_3genE8ELNS1_11target_archE1030ELNS1_3gpuE2ELNS1_3repE0EEES8_NS1_28merge_sort_block_sort_configILj256ELj4ELNS0_20block_sort_algorithmE0EEENS0_14default_configENS1_37merge_sort_block_sort_config_selectorIfNS0_10empty_typeEEENS1_38merge_sort_block_merge_config_selectorIfSE_EEEEvv
	.p2align	8
	.type	_ZN7rocprim17ROCPRIM_400000_NS6detail44device_merge_sort_compile_time_verifier_archINS1_11comp_targetILNS1_3genE8ELNS1_11target_archE1030ELNS1_3gpuE2ELNS1_3repE0EEES8_NS1_28merge_sort_block_sort_configILj256ELj4ELNS0_20block_sort_algorithmE0EEENS0_14default_configENS1_37merge_sort_block_sort_config_selectorIfNS0_10empty_typeEEENS1_38merge_sort_block_merge_config_selectorIfSE_EEEEvv,@function
_ZN7rocprim17ROCPRIM_400000_NS6detail44device_merge_sort_compile_time_verifier_archINS1_11comp_targetILNS1_3genE8ELNS1_11target_archE1030ELNS1_3gpuE2ELNS1_3repE0EEES8_NS1_28merge_sort_block_sort_configILj256ELj4ELNS0_20block_sort_algorithmE0EEENS0_14default_configENS1_37merge_sort_block_sort_config_selectorIfNS0_10empty_typeEEENS1_38merge_sort_block_merge_config_selectorIfSE_EEEEvv: ; @_ZN7rocprim17ROCPRIM_400000_NS6detail44device_merge_sort_compile_time_verifier_archINS1_11comp_targetILNS1_3genE8ELNS1_11target_archE1030ELNS1_3gpuE2ELNS1_3repE0EEES8_NS1_28merge_sort_block_sort_configILj256ELj4ELNS0_20block_sort_algorithmE0EEENS0_14default_configENS1_37merge_sort_block_sort_config_selectorIfNS0_10empty_typeEEENS1_38merge_sort_block_merge_config_selectorIfSE_EEEEvv
; %bb.0:
	s_endpgm
	.section	.rodata,"a",@progbits
	.p2align	6, 0x0
	.amdhsa_kernel _ZN7rocprim17ROCPRIM_400000_NS6detail44device_merge_sort_compile_time_verifier_archINS1_11comp_targetILNS1_3genE8ELNS1_11target_archE1030ELNS1_3gpuE2ELNS1_3repE0EEES8_NS1_28merge_sort_block_sort_configILj256ELj4ELNS0_20block_sort_algorithmE0EEENS0_14default_configENS1_37merge_sort_block_sort_config_selectorIfNS0_10empty_typeEEENS1_38merge_sort_block_merge_config_selectorIfSE_EEEEvv
		.amdhsa_group_segment_fixed_size 0
		.amdhsa_private_segment_fixed_size 0
		.amdhsa_kernarg_size 0
		.amdhsa_user_sgpr_count 4
		.amdhsa_user_sgpr_private_segment_buffer 1
		.amdhsa_user_sgpr_dispatch_ptr 0
		.amdhsa_user_sgpr_queue_ptr 0
		.amdhsa_user_sgpr_kernarg_segment_ptr 0
		.amdhsa_user_sgpr_dispatch_id 0
		.amdhsa_user_sgpr_flat_scratch_init 0
		.amdhsa_user_sgpr_private_segment_size 0
		.amdhsa_wavefront_size32 1
		.amdhsa_uses_dynamic_stack 0
		.amdhsa_system_sgpr_private_segment_wavefront_offset 0
		.amdhsa_system_sgpr_workgroup_id_x 1
		.amdhsa_system_sgpr_workgroup_id_y 0
		.amdhsa_system_sgpr_workgroup_id_z 0
		.amdhsa_system_sgpr_workgroup_info 0
		.amdhsa_system_vgpr_workitem_id 0
		.amdhsa_next_free_vgpr 1
		.amdhsa_next_free_sgpr 1
		.amdhsa_reserve_vcc 0
		.amdhsa_reserve_flat_scratch 0
		.amdhsa_float_round_mode_32 0
		.amdhsa_float_round_mode_16_64 0
		.amdhsa_float_denorm_mode_32 3
		.amdhsa_float_denorm_mode_16_64 3
		.amdhsa_dx10_clamp 1
		.amdhsa_ieee_mode 1
		.amdhsa_fp16_overflow 0
		.amdhsa_workgroup_processor_mode 1
		.amdhsa_memory_ordered 1
		.amdhsa_forward_progress 1
		.amdhsa_shared_vgpr_count 0
		.amdhsa_exception_fp_ieee_invalid_op 0
		.amdhsa_exception_fp_denorm_src 0
		.amdhsa_exception_fp_ieee_div_zero 0
		.amdhsa_exception_fp_ieee_overflow 0
		.amdhsa_exception_fp_ieee_underflow 0
		.amdhsa_exception_fp_ieee_inexact 0
		.amdhsa_exception_int_div_zero 0
	.end_amdhsa_kernel
	.section	.text._ZN7rocprim17ROCPRIM_400000_NS6detail44device_merge_sort_compile_time_verifier_archINS1_11comp_targetILNS1_3genE8ELNS1_11target_archE1030ELNS1_3gpuE2ELNS1_3repE0EEES8_NS1_28merge_sort_block_sort_configILj256ELj4ELNS0_20block_sort_algorithmE0EEENS0_14default_configENS1_37merge_sort_block_sort_config_selectorIfNS0_10empty_typeEEENS1_38merge_sort_block_merge_config_selectorIfSE_EEEEvv,"axG",@progbits,_ZN7rocprim17ROCPRIM_400000_NS6detail44device_merge_sort_compile_time_verifier_archINS1_11comp_targetILNS1_3genE8ELNS1_11target_archE1030ELNS1_3gpuE2ELNS1_3repE0EEES8_NS1_28merge_sort_block_sort_configILj256ELj4ELNS0_20block_sort_algorithmE0EEENS0_14default_configENS1_37merge_sort_block_sort_config_selectorIfNS0_10empty_typeEEENS1_38merge_sort_block_merge_config_selectorIfSE_EEEEvv,comdat
.Lfunc_end474:
	.size	_ZN7rocprim17ROCPRIM_400000_NS6detail44device_merge_sort_compile_time_verifier_archINS1_11comp_targetILNS1_3genE8ELNS1_11target_archE1030ELNS1_3gpuE2ELNS1_3repE0EEES8_NS1_28merge_sort_block_sort_configILj256ELj4ELNS0_20block_sort_algorithmE0EEENS0_14default_configENS1_37merge_sort_block_sort_config_selectorIfNS0_10empty_typeEEENS1_38merge_sort_block_merge_config_selectorIfSE_EEEEvv, .Lfunc_end474-_ZN7rocprim17ROCPRIM_400000_NS6detail44device_merge_sort_compile_time_verifier_archINS1_11comp_targetILNS1_3genE8ELNS1_11target_archE1030ELNS1_3gpuE2ELNS1_3repE0EEES8_NS1_28merge_sort_block_sort_configILj256ELj4ELNS0_20block_sort_algorithmE0EEENS0_14default_configENS1_37merge_sort_block_sort_config_selectorIfNS0_10empty_typeEEENS1_38merge_sort_block_merge_config_selectorIfSE_EEEEvv
                                        ; -- End function
	.set _ZN7rocprim17ROCPRIM_400000_NS6detail44device_merge_sort_compile_time_verifier_archINS1_11comp_targetILNS1_3genE8ELNS1_11target_archE1030ELNS1_3gpuE2ELNS1_3repE0EEES8_NS1_28merge_sort_block_sort_configILj256ELj4ELNS0_20block_sort_algorithmE0EEENS0_14default_configENS1_37merge_sort_block_sort_config_selectorIfNS0_10empty_typeEEENS1_38merge_sort_block_merge_config_selectorIfSE_EEEEvv.num_vgpr, 0
	.set _ZN7rocprim17ROCPRIM_400000_NS6detail44device_merge_sort_compile_time_verifier_archINS1_11comp_targetILNS1_3genE8ELNS1_11target_archE1030ELNS1_3gpuE2ELNS1_3repE0EEES8_NS1_28merge_sort_block_sort_configILj256ELj4ELNS0_20block_sort_algorithmE0EEENS0_14default_configENS1_37merge_sort_block_sort_config_selectorIfNS0_10empty_typeEEENS1_38merge_sort_block_merge_config_selectorIfSE_EEEEvv.num_agpr, 0
	.set _ZN7rocprim17ROCPRIM_400000_NS6detail44device_merge_sort_compile_time_verifier_archINS1_11comp_targetILNS1_3genE8ELNS1_11target_archE1030ELNS1_3gpuE2ELNS1_3repE0EEES8_NS1_28merge_sort_block_sort_configILj256ELj4ELNS0_20block_sort_algorithmE0EEENS0_14default_configENS1_37merge_sort_block_sort_config_selectorIfNS0_10empty_typeEEENS1_38merge_sort_block_merge_config_selectorIfSE_EEEEvv.numbered_sgpr, 0
	.set _ZN7rocprim17ROCPRIM_400000_NS6detail44device_merge_sort_compile_time_verifier_archINS1_11comp_targetILNS1_3genE8ELNS1_11target_archE1030ELNS1_3gpuE2ELNS1_3repE0EEES8_NS1_28merge_sort_block_sort_configILj256ELj4ELNS0_20block_sort_algorithmE0EEENS0_14default_configENS1_37merge_sort_block_sort_config_selectorIfNS0_10empty_typeEEENS1_38merge_sort_block_merge_config_selectorIfSE_EEEEvv.num_named_barrier, 0
	.set _ZN7rocprim17ROCPRIM_400000_NS6detail44device_merge_sort_compile_time_verifier_archINS1_11comp_targetILNS1_3genE8ELNS1_11target_archE1030ELNS1_3gpuE2ELNS1_3repE0EEES8_NS1_28merge_sort_block_sort_configILj256ELj4ELNS0_20block_sort_algorithmE0EEENS0_14default_configENS1_37merge_sort_block_sort_config_selectorIfNS0_10empty_typeEEENS1_38merge_sort_block_merge_config_selectorIfSE_EEEEvv.private_seg_size, 0
	.set _ZN7rocprim17ROCPRIM_400000_NS6detail44device_merge_sort_compile_time_verifier_archINS1_11comp_targetILNS1_3genE8ELNS1_11target_archE1030ELNS1_3gpuE2ELNS1_3repE0EEES8_NS1_28merge_sort_block_sort_configILj256ELj4ELNS0_20block_sort_algorithmE0EEENS0_14default_configENS1_37merge_sort_block_sort_config_selectorIfNS0_10empty_typeEEENS1_38merge_sort_block_merge_config_selectorIfSE_EEEEvv.uses_vcc, 0
	.set _ZN7rocprim17ROCPRIM_400000_NS6detail44device_merge_sort_compile_time_verifier_archINS1_11comp_targetILNS1_3genE8ELNS1_11target_archE1030ELNS1_3gpuE2ELNS1_3repE0EEES8_NS1_28merge_sort_block_sort_configILj256ELj4ELNS0_20block_sort_algorithmE0EEENS0_14default_configENS1_37merge_sort_block_sort_config_selectorIfNS0_10empty_typeEEENS1_38merge_sort_block_merge_config_selectorIfSE_EEEEvv.uses_flat_scratch, 0
	.set _ZN7rocprim17ROCPRIM_400000_NS6detail44device_merge_sort_compile_time_verifier_archINS1_11comp_targetILNS1_3genE8ELNS1_11target_archE1030ELNS1_3gpuE2ELNS1_3repE0EEES8_NS1_28merge_sort_block_sort_configILj256ELj4ELNS0_20block_sort_algorithmE0EEENS0_14default_configENS1_37merge_sort_block_sort_config_selectorIfNS0_10empty_typeEEENS1_38merge_sort_block_merge_config_selectorIfSE_EEEEvv.has_dyn_sized_stack, 0
	.set _ZN7rocprim17ROCPRIM_400000_NS6detail44device_merge_sort_compile_time_verifier_archINS1_11comp_targetILNS1_3genE8ELNS1_11target_archE1030ELNS1_3gpuE2ELNS1_3repE0EEES8_NS1_28merge_sort_block_sort_configILj256ELj4ELNS0_20block_sort_algorithmE0EEENS0_14default_configENS1_37merge_sort_block_sort_config_selectorIfNS0_10empty_typeEEENS1_38merge_sort_block_merge_config_selectorIfSE_EEEEvv.has_recursion, 0
	.set _ZN7rocprim17ROCPRIM_400000_NS6detail44device_merge_sort_compile_time_verifier_archINS1_11comp_targetILNS1_3genE8ELNS1_11target_archE1030ELNS1_3gpuE2ELNS1_3repE0EEES8_NS1_28merge_sort_block_sort_configILj256ELj4ELNS0_20block_sort_algorithmE0EEENS0_14default_configENS1_37merge_sort_block_sort_config_selectorIfNS0_10empty_typeEEENS1_38merge_sort_block_merge_config_selectorIfSE_EEEEvv.has_indirect_call, 0
	.section	.AMDGPU.csdata,"",@progbits
; Kernel info:
; codeLenInByte = 4
; TotalNumSgprs: 0
; NumVgprs: 0
; ScratchSize: 0
; MemoryBound: 0
; FloatMode: 240
; IeeeMode: 1
; LDSByteSize: 0 bytes/workgroup (compile time only)
; SGPRBlocks: 0
; VGPRBlocks: 0
; NumSGPRsForWavesPerEU: 1
; NumVGPRsForWavesPerEU: 1
; Occupancy: 16
; WaveLimiterHint : 0
; COMPUTE_PGM_RSRC2:SCRATCH_EN: 0
; COMPUTE_PGM_RSRC2:USER_SGPR: 4
; COMPUTE_PGM_RSRC2:TRAP_HANDLER: 0
; COMPUTE_PGM_RSRC2:TGID_X_EN: 1
; COMPUTE_PGM_RSRC2:TGID_Y_EN: 0
; COMPUTE_PGM_RSRC2:TGID_Z_EN: 0
; COMPUTE_PGM_RSRC2:TIDIG_COMP_CNT: 0
	.section	.text._ZN7rocprim17ROCPRIM_400000_NS6detail17trampoline_kernelINS0_14default_configENS1_38merge_sort_block_merge_config_selectorIfNS0_10empty_typeEEEZZNS1_27merge_sort_block_merge_implIS3_N6thrust23THRUST_200600_302600_NS6detail15normal_iteratorINS9_10device_ptrIfEEEEPS5_jNS1_19radix_merge_compareILb0ELb0EfNS0_19identity_decomposerEEEEE10hipError_tT0_T1_T2_jT3_P12ihipStream_tbPNSt15iterator_traitsISK_E10value_typeEPNSQ_ISL_E10value_typeEPSM_NS1_7vsmem_tEENKUlT_SK_SL_SM_E_clIPfSE_SF_SF_EESJ_SZ_SK_SL_SM_EUlSZ_E_NS1_11comp_targetILNS1_3genE0ELNS1_11target_archE4294967295ELNS1_3gpuE0ELNS1_3repE0EEENS1_48merge_mergepath_partition_config_static_selectorELNS0_4arch9wavefront6targetE0EEEvSL_,"axG",@progbits,_ZN7rocprim17ROCPRIM_400000_NS6detail17trampoline_kernelINS0_14default_configENS1_38merge_sort_block_merge_config_selectorIfNS0_10empty_typeEEEZZNS1_27merge_sort_block_merge_implIS3_N6thrust23THRUST_200600_302600_NS6detail15normal_iteratorINS9_10device_ptrIfEEEEPS5_jNS1_19radix_merge_compareILb0ELb0EfNS0_19identity_decomposerEEEEE10hipError_tT0_T1_T2_jT3_P12ihipStream_tbPNSt15iterator_traitsISK_E10value_typeEPNSQ_ISL_E10value_typeEPSM_NS1_7vsmem_tEENKUlT_SK_SL_SM_E_clIPfSE_SF_SF_EESJ_SZ_SK_SL_SM_EUlSZ_E_NS1_11comp_targetILNS1_3genE0ELNS1_11target_archE4294967295ELNS1_3gpuE0ELNS1_3repE0EEENS1_48merge_mergepath_partition_config_static_selectorELNS0_4arch9wavefront6targetE0EEEvSL_,comdat
	.protected	_ZN7rocprim17ROCPRIM_400000_NS6detail17trampoline_kernelINS0_14default_configENS1_38merge_sort_block_merge_config_selectorIfNS0_10empty_typeEEEZZNS1_27merge_sort_block_merge_implIS3_N6thrust23THRUST_200600_302600_NS6detail15normal_iteratorINS9_10device_ptrIfEEEEPS5_jNS1_19radix_merge_compareILb0ELb0EfNS0_19identity_decomposerEEEEE10hipError_tT0_T1_T2_jT3_P12ihipStream_tbPNSt15iterator_traitsISK_E10value_typeEPNSQ_ISL_E10value_typeEPSM_NS1_7vsmem_tEENKUlT_SK_SL_SM_E_clIPfSE_SF_SF_EESJ_SZ_SK_SL_SM_EUlSZ_E_NS1_11comp_targetILNS1_3genE0ELNS1_11target_archE4294967295ELNS1_3gpuE0ELNS1_3repE0EEENS1_48merge_mergepath_partition_config_static_selectorELNS0_4arch9wavefront6targetE0EEEvSL_ ; -- Begin function _ZN7rocprim17ROCPRIM_400000_NS6detail17trampoline_kernelINS0_14default_configENS1_38merge_sort_block_merge_config_selectorIfNS0_10empty_typeEEEZZNS1_27merge_sort_block_merge_implIS3_N6thrust23THRUST_200600_302600_NS6detail15normal_iteratorINS9_10device_ptrIfEEEEPS5_jNS1_19radix_merge_compareILb0ELb0EfNS0_19identity_decomposerEEEEE10hipError_tT0_T1_T2_jT3_P12ihipStream_tbPNSt15iterator_traitsISK_E10value_typeEPNSQ_ISL_E10value_typeEPSM_NS1_7vsmem_tEENKUlT_SK_SL_SM_E_clIPfSE_SF_SF_EESJ_SZ_SK_SL_SM_EUlSZ_E_NS1_11comp_targetILNS1_3genE0ELNS1_11target_archE4294967295ELNS1_3gpuE0ELNS1_3repE0EEENS1_48merge_mergepath_partition_config_static_selectorELNS0_4arch9wavefront6targetE0EEEvSL_
	.globl	_ZN7rocprim17ROCPRIM_400000_NS6detail17trampoline_kernelINS0_14default_configENS1_38merge_sort_block_merge_config_selectorIfNS0_10empty_typeEEEZZNS1_27merge_sort_block_merge_implIS3_N6thrust23THRUST_200600_302600_NS6detail15normal_iteratorINS9_10device_ptrIfEEEEPS5_jNS1_19radix_merge_compareILb0ELb0EfNS0_19identity_decomposerEEEEE10hipError_tT0_T1_T2_jT3_P12ihipStream_tbPNSt15iterator_traitsISK_E10value_typeEPNSQ_ISL_E10value_typeEPSM_NS1_7vsmem_tEENKUlT_SK_SL_SM_E_clIPfSE_SF_SF_EESJ_SZ_SK_SL_SM_EUlSZ_E_NS1_11comp_targetILNS1_3genE0ELNS1_11target_archE4294967295ELNS1_3gpuE0ELNS1_3repE0EEENS1_48merge_mergepath_partition_config_static_selectorELNS0_4arch9wavefront6targetE0EEEvSL_
	.p2align	8
	.type	_ZN7rocprim17ROCPRIM_400000_NS6detail17trampoline_kernelINS0_14default_configENS1_38merge_sort_block_merge_config_selectorIfNS0_10empty_typeEEEZZNS1_27merge_sort_block_merge_implIS3_N6thrust23THRUST_200600_302600_NS6detail15normal_iteratorINS9_10device_ptrIfEEEEPS5_jNS1_19radix_merge_compareILb0ELb0EfNS0_19identity_decomposerEEEEE10hipError_tT0_T1_T2_jT3_P12ihipStream_tbPNSt15iterator_traitsISK_E10value_typeEPNSQ_ISL_E10value_typeEPSM_NS1_7vsmem_tEENKUlT_SK_SL_SM_E_clIPfSE_SF_SF_EESJ_SZ_SK_SL_SM_EUlSZ_E_NS1_11comp_targetILNS1_3genE0ELNS1_11target_archE4294967295ELNS1_3gpuE0ELNS1_3repE0EEENS1_48merge_mergepath_partition_config_static_selectorELNS0_4arch9wavefront6targetE0EEEvSL_,@function
_ZN7rocprim17ROCPRIM_400000_NS6detail17trampoline_kernelINS0_14default_configENS1_38merge_sort_block_merge_config_selectorIfNS0_10empty_typeEEEZZNS1_27merge_sort_block_merge_implIS3_N6thrust23THRUST_200600_302600_NS6detail15normal_iteratorINS9_10device_ptrIfEEEEPS5_jNS1_19radix_merge_compareILb0ELb0EfNS0_19identity_decomposerEEEEE10hipError_tT0_T1_T2_jT3_P12ihipStream_tbPNSt15iterator_traitsISK_E10value_typeEPNSQ_ISL_E10value_typeEPSM_NS1_7vsmem_tEENKUlT_SK_SL_SM_E_clIPfSE_SF_SF_EESJ_SZ_SK_SL_SM_EUlSZ_E_NS1_11comp_targetILNS1_3genE0ELNS1_11target_archE4294967295ELNS1_3gpuE0ELNS1_3repE0EEENS1_48merge_mergepath_partition_config_static_selectorELNS0_4arch9wavefront6targetE0EEEvSL_: ; @_ZN7rocprim17ROCPRIM_400000_NS6detail17trampoline_kernelINS0_14default_configENS1_38merge_sort_block_merge_config_selectorIfNS0_10empty_typeEEEZZNS1_27merge_sort_block_merge_implIS3_N6thrust23THRUST_200600_302600_NS6detail15normal_iteratorINS9_10device_ptrIfEEEEPS5_jNS1_19radix_merge_compareILb0ELb0EfNS0_19identity_decomposerEEEEE10hipError_tT0_T1_T2_jT3_P12ihipStream_tbPNSt15iterator_traitsISK_E10value_typeEPNSQ_ISL_E10value_typeEPSM_NS1_7vsmem_tEENKUlT_SK_SL_SM_E_clIPfSE_SF_SF_EESJ_SZ_SK_SL_SM_EUlSZ_E_NS1_11comp_targetILNS1_3genE0ELNS1_11target_archE4294967295ELNS1_3gpuE0ELNS1_3repE0EEENS1_48merge_mergepath_partition_config_static_selectorELNS0_4arch9wavefront6targetE0EEEvSL_
; %bb.0:
	.section	.rodata,"a",@progbits
	.p2align	6, 0x0
	.amdhsa_kernel _ZN7rocprim17ROCPRIM_400000_NS6detail17trampoline_kernelINS0_14default_configENS1_38merge_sort_block_merge_config_selectorIfNS0_10empty_typeEEEZZNS1_27merge_sort_block_merge_implIS3_N6thrust23THRUST_200600_302600_NS6detail15normal_iteratorINS9_10device_ptrIfEEEEPS5_jNS1_19radix_merge_compareILb0ELb0EfNS0_19identity_decomposerEEEEE10hipError_tT0_T1_T2_jT3_P12ihipStream_tbPNSt15iterator_traitsISK_E10value_typeEPNSQ_ISL_E10value_typeEPSM_NS1_7vsmem_tEENKUlT_SK_SL_SM_E_clIPfSE_SF_SF_EESJ_SZ_SK_SL_SM_EUlSZ_E_NS1_11comp_targetILNS1_3genE0ELNS1_11target_archE4294967295ELNS1_3gpuE0ELNS1_3repE0EEENS1_48merge_mergepath_partition_config_static_selectorELNS0_4arch9wavefront6targetE0EEEvSL_
		.amdhsa_group_segment_fixed_size 0
		.amdhsa_private_segment_fixed_size 0
		.amdhsa_kernarg_size 40
		.amdhsa_user_sgpr_count 6
		.amdhsa_user_sgpr_private_segment_buffer 1
		.amdhsa_user_sgpr_dispatch_ptr 0
		.amdhsa_user_sgpr_queue_ptr 0
		.amdhsa_user_sgpr_kernarg_segment_ptr 1
		.amdhsa_user_sgpr_dispatch_id 0
		.amdhsa_user_sgpr_flat_scratch_init 0
		.amdhsa_user_sgpr_private_segment_size 0
		.amdhsa_wavefront_size32 1
		.amdhsa_uses_dynamic_stack 0
		.amdhsa_system_sgpr_private_segment_wavefront_offset 0
		.amdhsa_system_sgpr_workgroup_id_x 1
		.amdhsa_system_sgpr_workgroup_id_y 0
		.amdhsa_system_sgpr_workgroup_id_z 0
		.amdhsa_system_sgpr_workgroup_info 0
		.amdhsa_system_vgpr_workitem_id 0
		.amdhsa_next_free_vgpr 1
		.amdhsa_next_free_sgpr 1
		.amdhsa_reserve_vcc 0
		.amdhsa_reserve_flat_scratch 0
		.amdhsa_float_round_mode_32 0
		.amdhsa_float_round_mode_16_64 0
		.amdhsa_float_denorm_mode_32 3
		.amdhsa_float_denorm_mode_16_64 3
		.amdhsa_dx10_clamp 1
		.amdhsa_ieee_mode 1
		.amdhsa_fp16_overflow 0
		.amdhsa_workgroup_processor_mode 1
		.amdhsa_memory_ordered 1
		.amdhsa_forward_progress 1
		.amdhsa_shared_vgpr_count 0
		.amdhsa_exception_fp_ieee_invalid_op 0
		.amdhsa_exception_fp_denorm_src 0
		.amdhsa_exception_fp_ieee_div_zero 0
		.amdhsa_exception_fp_ieee_overflow 0
		.amdhsa_exception_fp_ieee_underflow 0
		.amdhsa_exception_fp_ieee_inexact 0
		.amdhsa_exception_int_div_zero 0
	.end_amdhsa_kernel
	.section	.text._ZN7rocprim17ROCPRIM_400000_NS6detail17trampoline_kernelINS0_14default_configENS1_38merge_sort_block_merge_config_selectorIfNS0_10empty_typeEEEZZNS1_27merge_sort_block_merge_implIS3_N6thrust23THRUST_200600_302600_NS6detail15normal_iteratorINS9_10device_ptrIfEEEEPS5_jNS1_19radix_merge_compareILb0ELb0EfNS0_19identity_decomposerEEEEE10hipError_tT0_T1_T2_jT3_P12ihipStream_tbPNSt15iterator_traitsISK_E10value_typeEPNSQ_ISL_E10value_typeEPSM_NS1_7vsmem_tEENKUlT_SK_SL_SM_E_clIPfSE_SF_SF_EESJ_SZ_SK_SL_SM_EUlSZ_E_NS1_11comp_targetILNS1_3genE0ELNS1_11target_archE4294967295ELNS1_3gpuE0ELNS1_3repE0EEENS1_48merge_mergepath_partition_config_static_selectorELNS0_4arch9wavefront6targetE0EEEvSL_,"axG",@progbits,_ZN7rocprim17ROCPRIM_400000_NS6detail17trampoline_kernelINS0_14default_configENS1_38merge_sort_block_merge_config_selectorIfNS0_10empty_typeEEEZZNS1_27merge_sort_block_merge_implIS3_N6thrust23THRUST_200600_302600_NS6detail15normal_iteratorINS9_10device_ptrIfEEEEPS5_jNS1_19radix_merge_compareILb0ELb0EfNS0_19identity_decomposerEEEEE10hipError_tT0_T1_T2_jT3_P12ihipStream_tbPNSt15iterator_traitsISK_E10value_typeEPNSQ_ISL_E10value_typeEPSM_NS1_7vsmem_tEENKUlT_SK_SL_SM_E_clIPfSE_SF_SF_EESJ_SZ_SK_SL_SM_EUlSZ_E_NS1_11comp_targetILNS1_3genE0ELNS1_11target_archE4294967295ELNS1_3gpuE0ELNS1_3repE0EEENS1_48merge_mergepath_partition_config_static_selectorELNS0_4arch9wavefront6targetE0EEEvSL_,comdat
.Lfunc_end475:
	.size	_ZN7rocprim17ROCPRIM_400000_NS6detail17trampoline_kernelINS0_14default_configENS1_38merge_sort_block_merge_config_selectorIfNS0_10empty_typeEEEZZNS1_27merge_sort_block_merge_implIS3_N6thrust23THRUST_200600_302600_NS6detail15normal_iteratorINS9_10device_ptrIfEEEEPS5_jNS1_19radix_merge_compareILb0ELb0EfNS0_19identity_decomposerEEEEE10hipError_tT0_T1_T2_jT3_P12ihipStream_tbPNSt15iterator_traitsISK_E10value_typeEPNSQ_ISL_E10value_typeEPSM_NS1_7vsmem_tEENKUlT_SK_SL_SM_E_clIPfSE_SF_SF_EESJ_SZ_SK_SL_SM_EUlSZ_E_NS1_11comp_targetILNS1_3genE0ELNS1_11target_archE4294967295ELNS1_3gpuE0ELNS1_3repE0EEENS1_48merge_mergepath_partition_config_static_selectorELNS0_4arch9wavefront6targetE0EEEvSL_, .Lfunc_end475-_ZN7rocprim17ROCPRIM_400000_NS6detail17trampoline_kernelINS0_14default_configENS1_38merge_sort_block_merge_config_selectorIfNS0_10empty_typeEEEZZNS1_27merge_sort_block_merge_implIS3_N6thrust23THRUST_200600_302600_NS6detail15normal_iteratorINS9_10device_ptrIfEEEEPS5_jNS1_19radix_merge_compareILb0ELb0EfNS0_19identity_decomposerEEEEE10hipError_tT0_T1_T2_jT3_P12ihipStream_tbPNSt15iterator_traitsISK_E10value_typeEPNSQ_ISL_E10value_typeEPSM_NS1_7vsmem_tEENKUlT_SK_SL_SM_E_clIPfSE_SF_SF_EESJ_SZ_SK_SL_SM_EUlSZ_E_NS1_11comp_targetILNS1_3genE0ELNS1_11target_archE4294967295ELNS1_3gpuE0ELNS1_3repE0EEENS1_48merge_mergepath_partition_config_static_selectorELNS0_4arch9wavefront6targetE0EEEvSL_
                                        ; -- End function
	.set _ZN7rocprim17ROCPRIM_400000_NS6detail17trampoline_kernelINS0_14default_configENS1_38merge_sort_block_merge_config_selectorIfNS0_10empty_typeEEEZZNS1_27merge_sort_block_merge_implIS3_N6thrust23THRUST_200600_302600_NS6detail15normal_iteratorINS9_10device_ptrIfEEEEPS5_jNS1_19radix_merge_compareILb0ELb0EfNS0_19identity_decomposerEEEEE10hipError_tT0_T1_T2_jT3_P12ihipStream_tbPNSt15iterator_traitsISK_E10value_typeEPNSQ_ISL_E10value_typeEPSM_NS1_7vsmem_tEENKUlT_SK_SL_SM_E_clIPfSE_SF_SF_EESJ_SZ_SK_SL_SM_EUlSZ_E_NS1_11comp_targetILNS1_3genE0ELNS1_11target_archE4294967295ELNS1_3gpuE0ELNS1_3repE0EEENS1_48merge_mergepath_partition_config_static_selectorELNS0_4arch9wavefront6targetE0EEEvSL_.num_vgpr, 0
	.set _ZN7rocprim17ROCPRIM_400000_NS6detail17trampoline_kernelINS0_14default_configENS1_38merge_sort_block_merge_config_selectorIfNS0_10empty_typeEEEZZNS1_27merge_sort_block_merge_implIS3_N6thrust23THRUST_200600_302600_NS6detail15normal_iteratorINS9_10device_ptrIfEEEEPS5_jNS1_19radix_merge_compareILb0ELb0EfNS0_19identity_decomposerEEEEE10hipError_tT0_T1_T2_jT3_P12ihipStream_tbPNSt15iterator_traitsISK_E10value_typeEPNSQ_ISL_E10value_typeEPSM_NS1_7vsmem_tEENKUlT_SK_SL_SM_E_clIPfSE_SF_SF_EESJ_SZ_SK_SL_SM_EUlSZ_E_NS1_11comp_targetILNS1_3genE0ELNS1_11target_archE4294967295ELNS1_3gpuE0ELNS1_3repE0EEENS1_48merge_mergepath_partition_config_static_selectorELNS0_4arch9wavefront6targetE0EEEvSL_.num_agpr, 0
	.set _ZN7rocprim17ROCPRIM_400000_NS6detail17trampoline_kernelINS0_14default_configENS1_38merge_sort_block_merge_config_selectorIfNS0_10empty_typeEEEZZNS1_27merge_sort_block_merge_implIS3_N6thrust23THRUST_200600_302600_NS6detail15normal_iteratorINS9_10device_ptrIfEEEEPS5_jNS1_19radix_merge_compareILb0ELb0EfNS0_19identity_decomposerEEEEE10hipError_tT0_T1_T2_jT3_P12ihipStream_tbPNSt15iterator_traitsISK_E10value_typeEPNSQ_ISL_E10value_typeEPSM_NS1_7vsmem_tEENKUlT_SK_SL_SM_E_clIPfSE_SF_SF_EESJ_SZ_SK_SL_SM_EUlSZ_E_NS1_11comp_targetILNS1_3genE0ELNS1_11target_archE4294967295ELNS1_3gpuE0ELNS1_3repE0EEENS1_48merge_mergepath_partition_config_static_selectorELNS0_4arch9wavefront6targetE0EEEvSL_.numbered_sgpr, 0
	.set _ZN7rocprim17ROCPRIM_400000_NS6detail17trampoline_kernelINS0_14default_configENS1_38merge_sort_block_merge_config_selectorIfNS0_10empty_typeEEEZZNS1_27merge_sort_block_merge_implIS3_N6thrust23THRUST_200600_302600_NS6detail15normal_iteratorINS9_10device_ptrIfEEEEPS5_jNS1_19radix_merge_compareILb0ELb0EfNS0_19identity_decomposerEEEEE10hipError_tT0_T1_T2_jT3_P12ihipStream_tbPNSt15iterator_traitsISK_E10value_typeEPNSQ_ISL_E10value_typeEPSM_NS1_7vsmem_tEENKUlT_SK_SL_SM_E_clIPfSE_SF_SF_EESJ_SZ_SK_SL_SM_EUlSZ_E_NS1_11comp_targetILNS1_3genE0ELNS1_11target_archE4294967295ELNS1_3gpuE0ELNS1_3repE0EEENS1_48merge_mergepath_partition_config_static_selectorELNS0_4arch9wavefront6targetE0EEEvSL_.num_named_barrier, 0
	.set _ZN7rocprim17ROCPRIM_400000_NS6detail17trampoline_kernelINS0_14default_configENS1_38merge_sort_block_merge_config_selectorIfNS0_10empty_typeEEEZZNS1_27merge_sort_block_merge_implIS3_N6thrust23THRUST_200600_302600_NS6detail15normal_iteratorINS9_10device_ptrIfEEEEPS5_jNS1_19radix_merge_compareILb0ELb0EfNS0_19identity_decomposerEEEEE10hipError_tT0_T1_T2_jT3_P12ihipStream_tbPNSt15iterator_traitsISK_E10value_typeEPNSQ_ISL_E10value_typeEPSM_NS1_7vsmem_tEENKUlT_SK_SL_SM_E_clIPfSE_SF_SF_EESJ_SZ_SK_SL_SM_EUlSZ_E_NS1_11comp_targetILNS1_3genE0ELNS1_11target_archE4294967295ELNS1_3gpuE0ELNS1_3repE0EEENS1_48merge_mergepath_partition_config_static_selectorELNS0_4arch9wavefront6targetE0EEEvSL_.private_seg_size, 0
	.set _ZN7rocprim17ROCPRIM_400000_NS6detail17trampoline_kernelINS0_14default_configENS1_38merge_sort_block_merge_config_selectorIfNS0_10empty_typeEEEZZNS1_27merge_sort_block_merge_implIS3_N6thrust23THRUST_200600_302600_NS6detail15normal_iteratorINS9_10device_ptrIfEEEEPS5_jNS1_19radix_merge_compareILb0ELb0EfNS0_19identity_decomposerEEEEE10hipError_tT0_T1_T2_jT3_P12ihipStream_tbPNSt15iterator_traitsISK_E10value_typeEPNSQ_ISL_E10value_typeEPSM_NS1_7vsmem_tEENKUlT_SK_SL_SM_E_clIPfSE_SF_SF_EESJ_SZ_SK_SL_SM_EUlSZ_E_NS1_11comp_targetILNS1_3genE0ELNS1_11target_archE4294967295ELNS1_3gpuE0ELNS1_3repE0EEENS1_48merge_mergepath_partition_config_static_selectorELNS0_4arch9wavefront6targetE0EEEvSL_.uses_vcc, 0
	.set _ZN7rocprim17ROCPRIM_400000_NS6detail17trampoline_kernelINS0_14default_configENS1_38merge_sort_block_merge_config_selectorIfNS0_10empty_typeEEEZZNS1_27merge_sort_block_merge_implIS3_N6thrust23THRUST_200600_302600_NS6detail15normal_iteratorINS9_10device_ptrIfEEEEPS5_jNS1_19radix_merge_compareILb0ELb0EfNS0_19identity_decomposerEEEEE10hipError_tT0_T1_T2_jT3_P12ihipStream_tbPNSt15iterator_traitsISK_E10value_typeEPNSQ_ISL_E10value_typeEPSM_NS1_7vsmem_tEENKUlT_SK_SL_SM_E_clIPfSE_SF_SF_EESJ_SZ_SK_SL_SM_EUlSZ_E_NS1_11comp_targetILNS1_3genE0ELNS1_11target_archE4294967295ELNS1_3gpuE0ELNS1_3repE0EEENS1_48merge_mergepath_partition_config_static_selectorELNS0_4arch9wavefront6targetE0EEEvSL_.uses_flat_scratch, 0
	.set _ZN7rocprim17ROCPRIM_400000_NS6detail17trampoline_kernelINS0_14default_configENS1_38merge_sort_block_merge_config_selectorIfNS0_10empty_typeEEEZZNS1_27merge_sort_block_merge_implIS3_N6thrust23THRUST_200600_302600_NS6detail15normal_iteratorINS9_10device_ptrIfEEEEPS5_jNS1_19radix_merge_compareILb0ELb0EfNS0_19identity_decomposerEEEEE10hipError_tT0_T1_T2_jT3_P12ihipStream_tbPNSt15iterator_traitsISK_E10value_typeEPNSQ_ISL_E10value_typeEPSM_NS1_7vsmem_tEENKUlT_SK_SL_SM_E_clIPfSE_SF_SF_EESJ_SZ_SK_SL_SM_EUlSZ_E_NS1_11comp_targetILNS1_3genE0ELNS1_11target_archE4294967295ELNS1_3gpuE0ELNS1_3repE0EEENS1_48merge_mergepath_partition_config_static_selectorELNS0_4arch9wavefront6targetE0EEEvSL_.has_dyn_sized_stack, 0
	.set _ZN7rocprim17ROCPRIM_400000_NS6detail17trampoline_kernelINS0_14default_configENS1_38merge_sort_block_merge_config_selectorIfNS0_10empty_typeEEEZZNS1_27merge_sort_block_merge_implIS3_N6thrust23THRUST_200600_302600_NS6detail15normal_iteratorINS9_10device_ptrIfEEEEPS5_jNS1_19radix_merge_compareILb0ELb0EfNS0_19identity_decomposerEEEEE10hipError_tT0_T1_T2_jT3_P12ihipStream_tbPNSt15iterator_traitsISK_E10value_typeEPNSQ_ISL_E10value_typeEPSM_NS1_7vsmem_tEENKUlT_SK_SL_SM_E_clIPfSE_SF_SF_EESJ_SZ_SK_SL_SM_EUlSZ_E_NS1_11comp_targetILNS1_3genE0ELNS1_11target_archE4294967295ELNS1_3gpuE0ELNS1_3repE0EEENS1_48merge_mergepath_partition_config_static_selectorELNS0_4arch9wavefront6targetE0EEEvSL_.has_recursion, 0
	.set _ZN7rocprim17ROCPRIM_400000_NS6detail17trampoline_kernelINS0_14default_configENS1_38merge_sort_block_merge_config_selectorIfNS0_10empty_typeEEEZZNS1_27merge_sort_block_merge_implIS3_N6thrust23THRUST_200600_302600_NS6detail15normal_iteratorINS9_10device_ptrIfEEEEPS5_jNS1_19radix_merge_compareILb0ELb0EfNS0_19identity_decomposerEEEEE10hipError_tT0_T1_T2_jT3_P12ihipStream_tbPNSt15iterator_traitsISK_E10value_typeEPNSQ_ISL_E10value_typeEPSM_NS1_7vsmem_tEENKUlT_SK_SL_SM_E_clIPfSE_SF_SF_EESJ_SZ_SK_SL_SM_EUlSZ_E_NS1_11comp_targetILNS1_3genE0ELNS1_11target_archE4294967295ELNS1_3gpuE0ELNS1_3repE0EEENS1_48merge_mergepath_partition_config_static_selectorELNS0_4arch9wavefront6targetE0EEEvSL_.has_indirect_call, 0
	.section	.AMDGPU.csdata,"",@progbits
; Kernel info:
; codeLenInByte = 0
; TotalNumSgprs: 0
; NumVgprs: 0
; ScratchSize: 0
; MemoryBound: 0
; FloatMode: 240
; IeeeMode: 1
; LDSByteSize: 0 bytes/workgroup (compile time only)
; SGPRBlocks: 0
; VGPRBlocks: 0
; NumSGPRsForWavesPerEU: 1
; NumVGPRsForWavesPerEU: 1
; Occupancy: 16
; WaveLimiterHint : 0
; COMPUTE_PGM_RSRC2:SCRATCH_EN: 0
; COMPUTE_PGM_RSRC2:USER_SGPR: 6
; COMPUTE_PGM_RSRC2:TRAP_HANDLER: 0
; COMPUTE_PGM_RSRC2:TGID_X_EN: 1
; COMPUTE_PGM_RSRC2:TGID_Y_EN: 0
; COMPUTE_PGM_RSRC2:TGID_Z_EN: 0
; COMPUTE_PGM_RSRC2:TIDIG_COMP_CNT: 0
	.section	.text._ZN7rocprim17ROCPRIM_400000_NS6detail17trampoline_kernelINS0_14default_configENS1_38merge_sort_block_merge_config_selectorIfNS0_10empty_typeEEEZZNS1_27merge_sort_block_merge_implIS3_N6thrust23THRUST_200600_302600_NS6detail15normal_iteratorINS9_10device_ptrIfEEEEPS5_jNS1_19radix_merge_compareILb0ELb0EfNS0_19identity_decomposerEEEEE10hipError_tT0_T1_T2_jT3_P12ihipStream_tbPNSt15iterator_traitsISK_E10value_typeEPNSQ_ISL_E10value_typeEPSM_NS1_7vsmem_tEENKUlT_SK_SL_SM_E_clIPfSE_SF_SF_EESJ_SZ_SK_SL_SM_EUlSZ_E_NS1_11comp_targetILNS1_3genE10ELNS1_11target_archE1201ELNS1_3gpuE5ELNS1_3repE0EEENS1_48merge_mergepath_partition_config_static_selectorELNS0_4arch9wavefront6targetE0EEEvSL_,"axG",@progbits,_ZN7rocprim17ROCPRIM_400000_NS6detail17trampoline_kernelINS0_14default_configENS1_38merge_sort_block_merge_config_selectorIfNS0_10empty_typeEEEZZNS1_27merge_sort_block_merge_implIS3_N6thrust23THRUST_200600_302600_NS6detail15normal_iteratorINS9_10device_ptrIfEEEEPS5_jNS1_19radix_merge_compareILb0ELb0EfNS0_19identity_decomposerEEEEE10hipError_tT0_T1_T2_jT3_P12ihipStream_tbPNSt15iterator_traitsISK_E10value_typeEPNSQ_ISL_E10value_typeEPSM_NS1_7vsmem_tEENKUlT_SK_SL_SM_E_clIPfSE_SF_SF_EESJ_SZ_SK_SL_SM_EUlSZ_E_NS1_11comp_targetILNS1_3genE10ELNS1_11target_archE1201ELNS1_3gpuE5ELNS1_3repE0EEENS1_48merge_mergepath_partition_config_static_selectorELNS0_4arch9wavefront6targetE0EEEvSL_,comdat
	.protected	_ZN7rocprim17ROCPRIM_400000_NS6detail17trampoline_kernelINS0_14default_configENS1_38merge_sort_block_merge_config_selectorIfNS0_10empty_typeEEEZZNS1_27merge_sort_block_merge_implIS3_N6thrust23THRUST_200600_302600_NS6detail15normal_iteratorINS9_10device_ptrIfEEEEPS5_jNS1_19radix_merge_compareILb0ELb0EfNS0_19identity_decomposerEEEEE10hipError_tT0_T1_T2_jT3_P12ihipStream_tbPNSt15iterator_traitsISK_E10value_typeEPNSQ_ISL_E10value_typeEPSM_NS1_7vsmem_tEENKUlT_SK_SL_SM_E_clIPfSE_SF_SF_EESJ_SZ_SK_SL_SM_EUlSZ_E_NS1_11comp_targetILNS1_3genE10ELNS1_11target_archE1201ELNS1_3gpuE5ELNS1_3repE0EEENS1_48merge_mergepath_partition_config_static_selectorELNS0_4arch9wavefront6targetE0EEEvSL_ ; -- Begin function _ZN7rocprim17ROCPRIM_400000_NS6detail17trampoline_kernelINS0_14default_configENS1_38merge_sort_block_merge_config_selectorIfNS0_10empty_typeEEEZZNS1_27merge_sort_block_merge_implIS3_N6thrust23THRUST_200600_302600_NS6detail15normal_iteratorINS9_10device_ptrIfEEEEPS5_jNS1_19radix_merge_compareILb0ELb0EfNS0_19identity_decomposerEEEEE10hipError_tT0_T1_T2_jT3_P12ihipStream_tbPNSt15iterator_traitsISK_E10value_typeEPNSQ_ISL_E10value_typeEPSM_NS1_7vsmem_tEENKUlT_SK_SL_SM_E_clIPfSE_SF_SF_EESJ_SZ_SK_SL_SM_EUlSZ_E_NS1_11comp_targetILNS1_3genE10ELNS1_11target_archE1201ELNS1_3gpuE5ELNS1_3repE0EEENS1_48merge_mergepath_partition_config_static_selectorELNS0_4arch9wavefront6targetE0EEEvSL_
	.globl	_ZN7rocprim17ROCPRIM_400000_NS6detail17trampoline_kernelINS0_14default_configENS1_38merge_sort_block_merge_config_selectorIfNS0_10empty_typeEEEZZNS1_27merge_sort_block_merge_implIS3_N6thrust23THRUST_200600_302600_NS6detail15normal_iteratorINS9_10device_ptrIfEEEEPS5_jNS1_19radix_merge_compareILb0ELb0EfNS0_19identity_decomposerEEEEE10hipError_tT0_T1_T2_jT3_P12ihipStream_tbPNSt15iterator_traitsISK_E10value_typeEPNSQ_ISL_E10value_typeEPSM_NS1_7vsmem_tEENKUlT_SK_SL_SM_E_clIPfSE_SF_SF_EESJ_SZ_SK_SL_SM_EUlSZ_E_NS1_11comp_targetILNS1_3genE10ELNS1_11target_archE1201ELNS1_3gpuE5ELNS1_3repE0EEENS1_48merge_mergepath_partition_config_static_selectorELNS0_4arch9wavefront6targetE0EEEvSL_
	.p2align	8
	.type	_ZN7rocprim17ROCPRIM_400000_NS6detail17trampoline_kernelINS0_14default_configENS1_38merge_sort_block_merge_config_selectorIfNS0_10empty_typeEEEZZNS1_27merge_sort_block_merge_implIS3_N6thrust23THRUST_200600_302600_NS6detail15normal_iteratorINS9_10device_ptrIfEEEEPS5_jNS1_19radix_merge_compareILb0ELb0EfNS0_19identity_decomposerEEEEE10hipError_tT0_T1_T2_jT3_P12ihipStream_tbPNSt15iterator_traitsISK_E10value_typeEPNSQ_ISL_E10value_typeEPSM_NS1_7vsmem_tEENKUlT_SK_SL_SM_E_clIPfSE_SF_SF_EESJ_SZ_SK_SL_SM_EUlSZ_E_NS1_11comp_targetILNS1_3genE10ELNS1_11target_archE1201ELNS1_3gpuE5ELNS1_3repE0EEENS1_48merge_mergepath_partition_config_static_selectorELNS0_4arch9wavefront6targetE0EEEvSL_,@function
_ZN7rocprim17ROCPRIM_400000_NS6detail17trampoline_kernelINS0_14default_configENS1_38merge_sort_block_merge_config_selectorIfNS0_10empty_typeEEEZZNS1_27merge_sort_block_merge_implIS3_N6thrust23THRUST_200600_302600_NS6detail15normal_iteratorINS9_10device_ptrIfEEEEPS5_jNS1_19radix_merge_compareILb0ELb0EfNS0_19identity_decomposerEEEEE10hipError_tT0_T1_T2_jT3_P12ihipStream_tbPNSt15iterator_traitsISK_E10value_typeEPNSQ_ISL_E10value_typeEPSM_NS1_7vsmem_tEENKUlT_SK_SL_SM_E_clIPfSE_SF_SF_EESJ_SZ_SK_SL_SM_EUlSZ_E_NS1_11comp_targetILNS1_3genE10ELNS1_11target_archE1201ELNS1_3gpuE5ELNS1_3repE0EEENS1_48merge_mergepath_partition_config_static_selectorELNS0_4arch9wavefront6targetE0EEEvSL_: ; @_ZN7rocprim17ROCPRIM_400000_NS6detail17trampoline_kernelINS0_14default_configENS1_38merge_sort_block_merge_config_selectorIfNS0_10empty_typeEEEZZNS1_27merge_sort_block_merge_implIS3_N6thrust23THRUST_200600_302600_NS6detail15normal_iteratorINS9_10device_ptrIfEEEEPS5_jNS1_19radix_merge_compareILb0ELb0EfNS0_19identity_decomposerEEEEE10hipError_tT0_T1_T2_jT3_P12ihipStream_tbPNSt15iterator_traitsISK_E10value_typeEPNSQ_ISL_E10value_typeEPSM_NS1_7vsmem_tEENKUlT_SK_SL_SM_E_clIPfSE_SF_SF_EESJ_SZ_SK_SL_SM_EUlSZ_E_NS1_11comp_targetILNS1_3genE10ELNS1_11target_archE1201ELNS1_3gpuE5ELNS1_3repE0EEENS1_48merge_mergepath_partition_config_static_selectorELNS0_4arch9wavefront6targetE0EEEvSL_
; %bb.0:
	.section	.rodata,"a",@progbits
	.p2align	6, 0x0
	.amdhsa_kernel _ZN7rocprim17ROCPRIM_400000_NS6detail17trampoline_kernelINS0_14default_configENS1_38merge_sort_block_merge_config_selectorIfNS0_10empty_typeEEEZZNS1_27merge_sort_block_merge_implIS3_N6thrust23THRUST_200600_302600_NS6detail15normal_iteratorINS9_10device_ptrIfEEEEPS5_jNS1_19radix_merge_compareILb0ELb0EfNS0_19identity_decomposerEEEEE10hipError_tT0_T1_T2_jT3_P12ihipStream_tbPNSt15iterator_traitsISK_E10value_typeEPNSQ_ISL_E10value_typeEPSM_NS1_7vsmem_tEENKUlT_SK_SL_SM_E_clIPfSE_SF_SF_EESJ_SZ_SK_SL_SM_EUlSZ_E_NS1_11comp_targetILNS1_3genE10ELNS1_11target_archE1201ELNS1_3gpuE5ELNS1_3repE0EEENS1_48merge_mergepath_partition_config_static_selectorELNS0_4arch9wavefront6targetE0EEEvSL_
		.amdhsa_group_segment_fixed_size 0
		.amdhsa_private_segment_fixed_size 0
		.amdhsa_kernarg_size 40
		.amdhsa_user_sgpr_count 6
		.amdhsa_user_sgpr_private_segment_buffer 1
		.amdhsa_user_sgpr_dispatch_ptr 0
		.amdhsa_user_sgpr_queue_ptr 0
		.amdhsa_user_sgpr_kernarg_segment_ptr 1
		.amdhsa_user_sgpr_dispatch_id 0
		.amdhsa_user_sgpr_flat_scratch_init 0
		.amdhsa_user_sgpr_private_segment_size 0
		.amdhsa_wavefront_size32 1
		.amdhsa_uses_dynamic_stack 0
		.amdhsa_system_sgpr_private_segment_wavefront_offset 0
		.amdhsa_system_sgpr_workgroup_id_x 1
		.amdhsa_system_sgpr_workgroup_id_y 0
		.amdhsa_system_sgpr_workgroup_id_z 0
		.amdhsa_system_sgpr_workgroup_info 0
		.amdhsa_system_vgpr_workitem_id 0
		.amdhsa_next_free_vgpr 1
		.amdhsa_next_free_sgpr 1
		.amdhsa_reserve_vcc 0
		.amdhsa_reserve_flat_scratch 0
		.amdhsa_float_round_mode_32 0
		.amdhsa_float_round_mode_16_64 0
		.amdhsa_float_denorm_mode_32 3
		.amdhsa_float_denorm_mode_16_64 3
		.amdhsa_dx10_clamp 1
		.amdhsa_ieee_mode 1
		.amdhsa_fp16_overflow 0
		.amdhsa_workgroup_processor_mode 1
		.amdhsa_memory_ordered 1
		.amdhsa_forward_progress 1
		.amdhsa_shared_vgpr_count 0
		.amdhsa_exception_fp_ieee_invalid_op 0
		.amdhsa_exception_fp_denorm_src 0
		.amdhsa_exception_fp_ieee_div_zero 0
		.amdhsa_exception_fp_ieee_overflow 0
		.amdhsa_exception_fp_ieee_underflow 0
		.amdhsa_exception_fp_ieee_inexact 0
		.amdhsa_exception_int_div_zero 0
	.end_amdhsa_kernel
	.section	.text._ZN7rocprim17ROCPRIM_400000_NS6detail17trampoline_kernelINS0_14default_configENS1_38merge_sort_block_merge_config_selectorIfNS0_10empty_typeEEEZZNS1_27merge_sort_block_merge_implIS3_N6thrust23THRUST_200600_302600_NS6detail15normal_iteratorINS9_10device_ptrIfEEEEPS5_jNS1_19radix_merge_compareILb0ELb0EfNS0_19identity_decomposerEEEEE10hipError_tT0_T1_T2_jT3_P12ihipStream_tbPNSt15iterator_traitsISK_E10value_typeEPNSQ_ISL_E10value_typeEPSM_NS1_7vsmem_tEENKUlT_SK_SL_SM_E_clIPfSE_SF_SF_EESJ_SZ_SK_SL_SM_EUlSZ_E_NS1_11comp_targetILNS1_3genE10ELNS1_11target_archE1201ELNS1_3gpuE5ELNS1_3repE0EEENS1_48merge_mergepath_partition_config_static_selectorELNS0_4arch9wavefront6targetE0EEEvSL_,"axG",@progbits,_ZN7rocprim17ROCPRIM_400000_NS6detail17trampoline_kernelINS0_14default_configENS1_38merge_sort_block_merge_config_selectorIfNS0_10empty_typeEEEZZNS1_27merge_sort_block_merge_implIS3_N6thrust23THRUST_200600_302600_NS6detail15normal_iteratorINS9_10device_ptrIfEEEEPS5_jNS1_19radix_merge_compareILb0ELb0EfNS0_19identity_decomposerEEEEE10hipError_tT0_T1_T2_jT3_P12ihipStream_tbPNSt15iterator_traitsISK_E10value_typeEPNSQ_ISL_E10value_typeEPSM_NS1_7vsmem_tEENKUlT_SK_SL_SM_E_clIPfSE_SF_SF_EESJ_SZ_SK_SL_SM_EUlSZ_E_NS1_11comp_targetILNS1_3genE10ELNS1_11target_archE1201ELNS1_3gpuE5ELNS1_3repE0EEENS1_48merge_mergepath_partition_config_static_selectorELNS0_4arch9wavefront6targetE0EEEvSL_,comdat
.Lfunc_end476:
	.size	_ZN7rocprim17ROCPRIM_400000_NS6detail17trampoline_kernelINS0_14default_configENS1_38merge_sort_block_merge_config_selectorIfNS0_10empty_typeEEEZZNS1_27merge_sort_block_merge_implIS3_N6thrust23THRUST_200600_302600_NS6detail15normal_iteratorINS9_10device_ptrIfEEEEPS5_jNS1_19radix_merge_compareILb0ELb0EfNS0_19identity_decomposerEEEEE10hipError_tT0_T1_T2_jT3_P12ihipStream_tbPNSt15iterator_traitsISK_E10value_typeEPNSQ_ISL_E10value_typeEPSM_NS1_7vsmem_tEENKUlT_SK_SL_SM_E_clIPfSE_SF_SF_EESJ_SZ_SK_SL_SM_EUlSZ_E_NS1_11comp_targetILNS1_3genE10ELNS1_11target_archE1201ELNS1_3gpuE5ELNS1_3repE0EEENS1_48merge_mergepath_partition_config_static_selectorELNS0_4arch9wavefront6targetE0EEEvSL_, .Lfunc_end476-_ZN7rocprim17ROCPRIM_400000_NS6detail17trampoline_kernelINS0_14default_configENS1_38merge_sort_block_merge_config_selectorIfNS0_10empty_typeEEEZZNS1_27merge_sort_block_merge_implIS3_N6thrust23THRUST_200600_302600_NS6detail15normal_iteratorINS9_10device_ptrIfEEEEPS5_jNS1_19radix_merge_compareILb0ELb0EfNS0_19identity_decomposerEEEEE10hipError_tT0_T1_T2_jT3_P12ihipStream_tbPNSt15iterator_traitsISK_E10value_typeEPNSQ_ISL_E10value_typeEPSM_NS1_7vsmem_tEENKUlT_SK_SL_SM_E_clIPfSE_SF_SF_EESJ_SZ_SK_SL_SM_EUlSZ_E_NS1_11comp_targetILNS1_3genE10ELNS1_11target_archE1201ELNS1_3gpuE5ELNS1_3repE0EEENS1_48merge_mergepath_partition_config_static_selectorELNS0_4arch9wavefront6targetE0EEEvSL_
                                        ; -- End function
	.set _ZN7rocprim17ROCPRIM_400000_NS6detail17trampoline_kernelINS0_14default_configENS1_38merge_sort_block_merge_config_selectorIfNS0_10empty_typeEEEZZNS1_27merge_sort_block_merge_implIS3_N6thrust23THRUST_200600_302600_NS6detail15normal_iteratorINS9_10device_ptrIfEEEEPS5_jNS1_19radix_merge_compareILb0ELb0EfNS0_19identity_decomposerEEEEE10hipError_tT0_T1_T2_jT3_P12ihipStream_tbPNSt15iterator_traitsISK_E10value_typeEPNSQ_ISL_E10value_typeEPSM_NS1_7vsmem_tEENKUlT_SK_SL_SM_E_clIPfSE_SF_SF_EESJ_SZ_SK_SL_SM_EUlSZ_E_NS1_11comp_targetILNS1_3genE10ELNS1_11target_archE1201ELNS1_3gpuE5ELNS1_3repE0EEENS1_48merge_mergepath_partition_config_static_selectorELNS0_4arch9wavefront6targetE0EEEvSL_.num_vgpr, 0
	.set _ZN7rocprim17ROCPRIM_400000_NS6detail17trampoline_kernelINS0_14default_configENS1_38merge_sort_block_merge_config_selectorIfNS0_10empty_typeEEEZZNS1_27merge_sort_block_merge_implIS3_N6thrust23THRUST_200600_302600_NS6detail15normal_iteratorINS9_10device_ptrIfEEEEPS5_jNS1_19radix_merge_compareILb0ELb0EfNS0_19identity_decomposerEEEEE10hipError_tT0_T1_T2_jT3_P12ihipStream_tbPNSt15iterator_traitsISK_E10value_typeEPNSQ_ISL_E10value_typeEPSM_NS1_7vsmem_tEENKUlT_SK_SL_SM_E_clIPfSE_SF_SF_EESJ_SZ_SK_SL_SM_EUlSZ_E_NS1_11comp_targetILNS1_3genE10ELNS1_11target_archE1201ELNS1_3gpuE5ELNS1_3repE0EEENS1_48merge_mergepath_partition_config_static_selectorELNS0_4arch9wavefront6targetE0EEEvSL_.num_agpr, 0
	.set _ZN7rocprim17ROCPRIM_400000_NS6detail17trampoline_kernelINS0_14default_configENS1_38merge_sort_block_merge_config_selectorIfNS0_10empty_typeEEEZZNS1_27merge_sort_block_merge_implIS3_N6thrust23THRUST_200600_302600_NS6detail15normal_iteratorINS9_10device_ptrIfEEEEPS5_jNS1_19radix_merge_compareILb0ELb0EfNS0_19identity_decomposerEEEEE10hipError_tT0_T1_T2_jT3_P12ihipStream_tbPNSt15iterator_traitsISK_E10value_typeEPNSQ_ISL_E10value_typeEPSM_NS1_7vsmem_tEENKUlT_SK_SL_SM_E_clIPfSE_SF_SF_EESJ_SZ_SK_SL_SM_EUlSZ_E_NS1_11comp_targetILNS1_3genE10ELNS1_11target_archE1201ELNS1_3gpuE5ELNS1_3repE0EEENS1_48merge_mergepath_partition_config_static_selectorELNS0_4arch9wavefront6targetE0EEEvSL_.numbered_sgpr, 0
	.set _ZN7rocprim17ROCPRIM_400000_NS6detail17trampoline_kernelINS0_14default_configENS1_38merge_sort_block_merge_config_selectorIfNS0_10empty_typeEEEZZNS1_27merge_sort_block_merge_implIS3_N6thrust23THRUST_200600_302600_NS6detail15normal_iteratorINS9_10device_ptrIfEEEEPS5_jNS1_19radix_merge_compareILb0ELb0EfNS0_19identity_decomposerEEEEE10hipError_tT0_T1_T2_jT3_P12ihipStream_tbPNSt15iterator_traitsISK_E10value_typeEPNSQ_ISL_E10value_typeEPSM_NS1_7vsmem_tEENKUlT_SK_SL_SM_E_clIPfSE_SF_SF_EESJ_SZ_SK_SL_SM_EUlSZ_E_NS1_11comp_targetILNS1_3genE10ELNS1_11target_archE1201ELNS1_3gpuE5ELNS1_3repE0EEENS1_48merge_mergepath_partition_config_static_selectorELNS0_4arch9wavefront6targetE0EEEvSL_.num_named_barrier, 0
	.set _ZN7rocprim17ROCPRIM_400000_NS6detail17trampoline_kernelINS0_14default_configENS1_38merge_sort_block_merge_config_selectorIfNS0_10empty_typeEEEZZNS1_27merge_sort_block_merge_implIS3_N6thrust23THRUST_200600_302600_NS6detail15normal_iteratorINS9_10device_ptrIfEEEEPS5_jNS1_19radix_merge_compareILb0ELb0EfNS0_19identity_decomposerEEEEE10hipError_tT0_T1_T2_jT3_P12ihipStream_tbPNSt15iterator_traitsISK_E10value_typeEPNSQ_ISL_E10value_typeEPSM_NS1_7vsmem_tEENKUlT_SK_SL_SM_E_clIPfSE_SF_SF_EESJ_SZ_SK_SL_SM_EUlSZ_E_NS1_11comp_targetILNS1_3genE10ELNS1_11target_archE1201ELNS1_3gpuE5ELNS1_3repE0EEENS1_48merge_mergepath_partition_config_static_selectorELNS0_4arch9wavefront6targetE0EEEvSL_.private_seg_size, 0
	.set _ZN7rocprim17ROCPRIM_400000_NS6detail17trampoline_kernelINS0_14default_configENS1_38merge_sort_block_merge_config_selectorIfNS0_10empty_typeEEEZZNS1_27merge_sort_block_merge_implIS3_N6thrust23THRUST_200600_302600_NS6detail15normal_iteratorINS9_10device_ptrIfEEEEPS5_jNS1_19radix_merge_compareILb0ELb0EfNS0_19identity_decomposerEEEEE10hipError_tT0_T1_T2_jT3_P12ihipStream_tbPNSt15iterator_traitsISK_E10value_typeEPNSQ_ISL_E10value_typeEPSM_NS1_7vsmem_tEENKUlT_SK_SL_SM_E_clIPfSE_SF_SF_EESJ_SZ_SK_SL_SM_EUlSZ_E_NS1_11comp_targetILNS1_3genE10ELNS1_11target_archE1201ELNS1_3gpuE5ELNS1_3repE0EEENS1_48merge_mergepath_partition_config_static_selectorELNS0_4arch9wavefront6targetE0EEEvSL_.uses_vcc, 0
	.set _ZN7rocprim17ROCPRIM_400000_NS6detail17trampoline_kernelINS0_14default_configENS1_38merge_sort_block_merge_config_selectorIfNS0_10empty_typeEEEZZNS1_27merge_sort_block_merge_implIS3_N6thrust23THRUST_200600_302600_NS6detail15normal_iteratorINS9_10device_ptrIfEEEEPS5_jNS1_19radix_merge_compareILb0ELb0EfNS0_19identity_decomposerEEEEE10hipError_tT0_T1_T2_jT3_P12ihipStream_tbPNSt15iterator_traitsISK_E10value_typeEPNSQ_ISL_E10value_typeEPSM_NS1_7vsmem_tEENKUlT_SK_SL_SM_E_clIPfSE_SF_SF_EESJ_SZ_SK_SL_SM_EUlSZ_E_NS1_11comp_targetILNS1_3genE10ELNS1_11target_archE1201ELNS1_3gpuE5ELNS1_3repE0EEENS1_48merge_mergepath_partition_config_static_selectorELNS0_4arch9wavefront6targetE0EEEvSL_.uses_flat_scratch, 0
	.set _ZN7rocprim17ROCPRIM_400000_NS6detail17trampoline_kernelINS0_14default_configENS1_38merge_sort_block_merge_config_selectorIfNS0_10empty_typeEEEZZNS1_27merge_sort_block_merge_implIS3_N6thrust23THRUST_200600_302600_NS6detail15normal_iteratorINS9_10device_ptrIfEEEEPS5_jNS1_19radix_merge_compareILb0ELb0EfNS0_19identity_decomposerEEEEE10hipError_tT0_T1_T2_jT3_P12ihipStream_tbPNSt15iterator_traitsISK_E10value_typeEPNSQ_ISL_E10value_typeEPSM_NS1_7vsmem_tEENKUlT_SK_SL_SM_E_clIPfSE_SF_SF_EESJ_SZ_SK_SL_SM_EUlSZ_E_NS1_11comp_targetILNS1_3genE10ELNS1_11target_archE1201ELNS1_3gpuE5ELNS1_3repE0EEENS1_48merge_mergepath_partition_config_static_selectorELNS0_4arch9wavefront6targetE0EEEvSL_.has_dyn_sized_stack, 0
	.set _ZN7rocprim17ROCPRIM_400000_NS6detail17trampoline_kernelINS0_14default_configENS1_38merge_sort_block_merge_config_selectorIfNS0_10empty_typeEEEZZNS1_27merge_sort_block_merge_implIS3_N6thrust23THRUST_200600_302600_NS6detail15normal_iteratorINS9_10device_ptrIfEEEEPS5_jNS1_19radix_merge_compareILb0ELb0EfNS0_19identity_decomposerEEEEE10hipError_tT0_T1_T2_jT3_P12ihipStream_tbPNSt15iterator_traitsISK_E10value_typeEPNSQ_ISL_E10value_typeEPSM_NS1_7vsmem_tEENKUlT_SK_SL_SM_E_clIPfSE_SF_SF_EESJ_SZ_SK_SL_SM_EUlSZ_E_NS1_11comp_targetILNS1_3genE10ELNS1_11target_archE1201ELNS1_3gpuE5ELNS1_3repE0EEENS1_48merge_mergepath_partition_config_static_selectorELNS0_4arch9wavefront6targetE0EEEvSL_.has_recursion, 0
	.set _ZN7rocprim17ROCPRIM_400000_NS6detail17trampoline_kernelINS0_14default_configENS1_38merge_sort_block_merge_config_selectorIfNS0_10empty_typeEEEZZNS1_27merge_sort_block_merge_implIS3_N6thrust23THRUST_200600_302600_NS6detail15normal_iteratorINS9_10device_ptrIfEEEEPS5_jNS1_19radix_merge_compareILb0ELb0EfNS0_19identity_decomposerEEEEE10hipError_tT0_T1_T2_jT3_P12ihipStream_tbPNSt15iterator_traitsISK_E10value_typeEPNSQ_ISL_E10value_typeEPSM_NS1_7vsmem_tEENKUlT_SK_SL_SM_E_clIPfSE_SF_SF_EESJ_SZ_SK_SL_SM_EUlSZ_E_NS1_11comp_targetILNS1_3genE10ELNS1_11target_archE1201ELNS1_3gpuE5ELNS1_3repE0EEENS1_48merge_mergepath_partition_config_static_selectorELNS0_4arch9wavefront6targetE0EEEvSL_.has_indirect_call, 0
	.section	.AMDGPU.csdata,"",@progbits
; Kernel info:
; codeLenInByte = 0
; TotalNumSgprs: 0
; NumVgprs: 0
; ScratchSize: 0
; MemoryBound: 0
; FloatMode: 240
; IeeeMode: 1
; LDSByteSize: 0 bytes/workgroup (compile time only)
; SGPRBlocks: 0
; VGPRBlocks: 0
; NumSGPRsForWavesPerEU: 1
; NumVGPRsForWavesPerEU: 1
; Occupancy: 16
; WaveLimiterHint : 0
; COMPUTE_PGM_RSRC2:SCRATCH_EN: 0
; COMPUTE_PGM_RSRC2:USER_SGPR: 6
; COMPUTE_PGM_RSRC2:TRAP_HANDLER: 0
; COMPUTE_PGM_RSRC2:TGID_X_EN: 1
; COMPUTE_PGM_RSRC2:TGID_Y_EN: 0
; COMPUTE_PGM_RSRC2:TGID_Z_EN: 0
; COMPUTE_PGM_RSRC2:TIDIG_COMP_CNT: 0
	.section	.text._ZN7rocprim17ROCPRIM_400000_NS6detail17trampoline_kernelINS0_14default_configENS1_38merge_sort_block_merge_config_selectorIfNS0_10empty_typeEEEZZNS1_27merge_sort_block_merge_implIS3_N6thrust23THRUST_200600_302600_NS6detail15normal_iteratorINS9_10device_ptrIfEEEEPS5_jNS1_19radix_merge_compareILb0ELb0EfNS0_19identity_decomposerEEEEE10hipError_tT0_T1_T2_jT3_P12ihipStream_tbPNSt15iterator_traitsISK_E10value_typeEPNSQ_ISL_E10value_typeEPSM_NS1_7vsmem_tEENKUlT_SK_SL_SM_E_clIPfSE_SF_SF_EESJ_SZ_SK_SL_SM_EUlSZ_E_NS1_11comp_targetILNS1_3genE5ELNS1_11target_archE942ELNS1_3gpuE9ELNS1_3repE0EEENS1_48merge_mergepath_partition_config_static_selectorELNS0_4arch9wavefront6targetE0EEEvSL_,"axG",@progbits,_ZN7rocprim17ROCPRIM_400000_NS6detail17trampoline_kernelINS0_14default_configENS1_38merge_sort_block_merge_config_selectorIfNS0_10empty_typeEEEZZNS1_27merge_sort_block_merge_implIS3_N6thrust23THRUST_200600_302600_NS6detail15normal_iteratorINS9_10device_ptrIfEEEEPS5_jNS1_19radix_merge_compareILb0ELb0EfNS0_19identity_decomposerEEEEE10hipError_tT0_T1_T2_jT3_P12ihipStream_tbPNSt15iterator_traitsISK_E10value_typeEPNSQ_ISL_E10value_typeEPSM_NS1_7vsmem_tEENKUlT_SK_SL_SM_E_clIPfSE_SF_SF_EESJ_SZ_SK_SL_SM_EUlSZ_E_NS1_11comp_targetILNS1_3genE5ELNS1_11target_archE942ELNS1_3gpuE9ELNS1_3repE0EEENS1_48merge_mergepath_partition_config_static_selectorELNS0_4arch9wavefront6targetE0EEEvSL_,comdat
	.protected	_ZN7rocprim17ROCPRIM_400000_NS6detail17trampoline_kernelINS0_14default_configENS1_38merge_sort_block_merge_config_selectorIfNS0_10empty_typeEEEZZNS1_27merge_sort_block_merge_implIS3_N6thrust23THRUST_200600_302600_NS6detail15normal_iteratorINS9_10device_ptrIfEEEEPS5_jNS1_19radix_merge_compareILb0ELb0EfNS0_19identity_decomposerEEEEE10hipError_tT0_T1_T2_jT3_P12ihipStream_tbPNSt15iterator_traitsISK_E10value_typeEPNSQ_ISL_E10value_typeEPSM_NS1_7vsmem_tEENKUlT_SK_SL_SM_E_clIPfSE_SF_SF_EESJ_SZ_SK_SL_SM_EUlSZ_E_NS1_11comp_targetILNS1_3genE5ELNS1_11target_archE942ELNS1_3gpuE9ELNS1_3repE0EEENS1_48merge_mergepath_partition_config_static_selectorELNS0_4arch9wavefront6targetE0EEEvSL_ ; -- Begin function _ZN7rocprim17ROCPRIM_400000_NS6detail17trampoline_kernelINS0_14default_configENS1_38merge_sort_block_merge_config_selectorIfNS0_10empty_typeEEEZZNS1_27merge_sort_block_merge_implIS3_N6thrust23THRUST_200600_302600_NS6detail15normal_iteratorINS9_10device_ptrIfEEEEPS5_jNS1_19radix_merge_compareILb0ELb0EfNS0_19identity_decomposerEEEEE10hipError_tT0_T1_T2_jT3_P12ihipStream_tbPNSt15iterator_traitsISK_E10value_typeEPNSQ_ISL_E10value_typeEPSM_NS1_7vsmem_tEENKUlT_SK_SL_SM_E_clIPfSE_SF_SF_EESJ_SZ_SK_SL_SM_EUlSZ_E_NS1_11comp_targetILNS1_3genE5ELNS1_11target_archE942ELNS1_3gpuE9ELNS1_3repE0EEENS1_48merge_mergepath_partition_config_static_selectorELNS0_4arch9wavefront6targetE0EEEvSL_
	.globl	_ZN7rocprim17ROCPRIM_400000_NS6detail17trampoline_kernelINS0_14default_configENS1_38merge_sort_block_merge_config_selectorIfNS0_10empty_typeEEEZZNS1_27merge_sort_block_merge_implIS3_N6thrust23THRUST_200600_302600_NS6detail15normal_iteratorINS9_10device_ptrIfEEEEPS5_jNS1_19radix_merge_compareILb0ELb0EfNS0_19identity_decomposerEEEEE10hipError_tT0_T1_T2_jT3_P12ihipStream_tbPNSt15iterator_traitsISK_E10value_typeEPNSQ_ISL_E10value_typeEPSM_NS1_7vsmem_tEENKUlT_SK_SL_SM_E_clIPfSE_SF_SF_EESJ_SZ_SK_SL_SM_EUlSZ_E_NS1_11comp_targetILNS1_3genE5ELNS1_11target_archE942ELNS1_3gpuE9ELNS1_3repE0EEENS1_48merge_mergepath_partition_config_static_selectorELNS0_4arch9wavefront6targetE0EEEvSL_
	.p2align	8
	.type	_ZN7rocprim17ROCPRIM_400000_NS6detail17trampoline_kernelINS0_14default_configENS1_38merge_sort_block_merge_config_selectorIfNS0_10empty_typeEEEZZNS1_27merge_sort_block_merge_implIS3_N6thrust23THRUST_200600_302600_NS6detail15normal_iteratorINS9_10device_ptrIfEEEEPS5_jNS1_19radix_merge_compareILb0ELb0EfNS0_19identity_decomposerEEEEE10hipError_tT0_T1_T2_jT3_P12ihipStream_tbPNSt15iterator_traitsISK_E10value_typeEPNSQ_ISL_E10value_typeEPSM_NS1_7vsmem_tEENKUlT_SK_SL_SM_E_clIPfSE_SF_SF_EESJ_SZ_SK_SL_SM_EUlSZ_E_NS1_11comp_targetILNS1_3genE5ELNS1_11target_archE942ELNS1_3gpuE9ELNS1_3repE0EEENS1_48merge_mergepath_partition_config_static_selectorELNS0_4arch9wavefront6targetE0EEEvSL_,@function
_ZN7rocprim17ROCPRIM_400000_NS6detail17trampoline_kernelINS0_14default_configENS1_38merge_sort_block_merge_config_selectorIfNS0_10empty_typeEEEZZNS1_27merge_sort_block_merge_implIS3_N6thrust23THRUST_200600_302600_NS6detail15normal_iteratorINS9_10device_ptrIfEEEEPS5_jNS1_19radix_merge_compareILb0ELb0EfNS0_19identity_decomposerEEEEE10hipError_tT0_T1_T2_jT3_P12ihipStream_tbPNSt15iterator_traitsISK_E10value_typeEPNSQ_ISL_E10value_typeEPSM_NS1_7vsmem_tEENKUlT_SK_SL_SM_E_clIPfSE_SF_SF_EESJ_SZ_SK_SL_SM_EUlSZ_E_NS1_11comp_targetILNS1_3genE5ELNS1_11target_archE942ELNS1_3gpuE9ELNS1_3repE0EEENS1_48merge_mergepath_partition_config_static_selectorELNS0_4arch9wavefront6targetE0EEEvSL_: ; @_ZN7rocprim17ROCPRIM_400000_NS6detail17trampoline_kernelINS0_14default_configENS1_38merge_sort_block_merge_config_selectorIfNS0_10empty_typeEEEZZNS1_27merge_sort_block_merge_implIS3_N6thrust23THRUST_200600_302600_NS6detail15normal_iteratorINS9_10device_ptrIfEEEEPS5_jNS1_19radix_merge_compareILb0ELb0EfNS0_19identity_decomposerEEEEE10hipError_tT0_T1_T2_jT3_P12ihipStream_tbPNSt15iterator_traitsISK_E10value_typeEPNSQ_ISL_E10value_typeEPSM_NS1_7vsmem_tEENKUlT_SK_SL_SM_E_clIPfSE_SF_SF_EESJ_SZ_SK_SL_SM_EUlSZ_E_NS1_11comp_targetILNS1_3genE5ELNS1_11target_archE942ELNS1_3gpuE9ELNS1_3repE0EEENS1_48merge_mergepath_partition_config_static_selectorELNS0_4arch9wavefront6targetE0EEEvSL_
; %bb.0:
	.section	.rodata,"a",@progbits
	.p2align	6, 0x0
	.amdhsa_kernel _ZN7rocprim17ROCPRIM_400000_NS6detail17trampoline_kernelINS0_14default_configENS1_38merge_sort_block_merge_config_selectorIfNS0_10empty_typeEEEZZNS1_27merge_sort_block_merge_implIS3_N6thrust23THRUST_200600_302600_NS6detail15normal_iteratorINS9_10device_ptrIfEEEEPS5_jNS1_19radix_merge_compareILb0ELb0EfNS0_19identity_decomposerEEEEE10hipError_tT0_T1_T2_jT3_P12ihipStream_tbPNSt15iterator_traitsISK_E10value_typeEPNSQ_ISL_E10value_typeEPSM_NS1_7vsmem_tEENKUlT_SK_SL_SM_E_clIPfSE_SF_SF_EESJ_SZ_SK_SL_SM_EUlSZ_E_NS1_11comp_targetILNS1_3genE5ELNS1_11target_archE942ELNS1_3gpuE9ELNS1_3repE0EEENS1_48merge_mergepath_partition_config_static_selectorELNS0_4arch9wavefront6targetE0EEEvSL_
		.amdhsa_group_segment_fixed_size 0
		.amdhsa_private_segment_fixed_size 0
		.amdhsa_kernarg_size 40
		.amdhsa_user_sgpr_count 6
		.amdhsa_user_sgpr_private_segment_buffer 1
		.amdhsa_user_sgpr_dispatch_ptr 0
		.amdhsa_user_sgpr_queue_ptr 0
		.amdhsa_user_sgpr_kernarg_segment_ptr 1
		.amdhsa_user_sgpr_dispatch_id 0
		.amdhsa_user_sgpr_flat_scratch_init 0
		.amdhsa_user_sgpr_private_segment_size 0
		.amdhsa_wavefront_size32 1
		.amdhsa_uses_dynamic_stack 0
		.amdhsa_system_sgpr_private_segment_wavefront_offset 0
		.amdhsa_system_sgpr_workgroup_id_x 1
		.amdhsa_system_sgpr_workgroup_id_y 0
		.amdhsa_system_sgpr_workgroup_id_z 0
		.amdhsa_system_sgpr_workgroup_info 0
		.amdhsa_system_vgpr_workitem_id 0
		.amdhsa_next_free_vgpr 1
		.amdhsa_next_free_sgpr 1
		.amdhsa_reserve_vcc 0
		.amdhsa_reserve_flat_scratch 0
		.amdhsa_float_round_mode_32 0
		.amdhsa_float_round_mode_16_64 0
		.amdhsa_float_denorm_mode_32 3
		.amdhsa_float_denorm_mode_16_64 3
		.amdhsa_dx10_clamp 1
		.amdhsa_ieee_mode 1
		.amdhsa_fp16_overflow 0
		.amdhsa_workgroup_processor_mode 1
		.amdhsa_memory_ordered 1
		.amdhsa_forward_progress 1
		.amdhsa_shared_vgpr_count 0
		.amdhsa_exception_fp_ieee_invalid_op 0
		.amdhsa_exception_fp_denorm_src 0
		.amdhsa_exception_fp_ieee_div_zero 0
		.amdhsa_exception_fp_ieee_overflow 0
		.amdhsa_exception_fp_ieee_underflow 0
		.amdhsa_exception_fp_ieee_inexact 0
		.amdhsa_exception_int_div_zero 0
	.end_amdhsa_kernel
	.section	.text._ZN7rocprim17ROCPRIM_400000_NS6detail17trampoline_kernelINS0_14default_configENS1_38merge_sort_block_merge_config_selectorIfNS0_10empty_typeEEEZZNS1_27merge_sort_block_merge_implIS3_N6thrust23THRUST_200600_302600_NS6detail15normal_iteratorINS9_10device_ptrIfEEEEPS5_jNS1_19radix_merge_compareILb0ELb0EfNS0_19identity_decomposerEEEEE10hipError_tT0_T1_T2_jT3_P12ihipStream_tbPNSt15iterator_traitsISK_E10value_typeEPNSQ_ISL_E10value_typeEPSM_NS1_7vsmem_tEENKUlT_SK_SL_SM_E_clIPfSE_SF_SF_EESJ_SZ_SK_SL_SM_EUlSZ_E_NS1_11comp_targetILNS1_3genE5ELNS1_11target_archE942ELNS1_3gpuE9ELNS1_3repE0EEENS1_48merge_mergepath_partition_config_static_selectorELNS0_4arch9wavefront6targetE0EEEvSL_,"axG",@progbits,_ZN7rocprim17ROCPRIM_400000_NS6detail17trampoline_kernelINS0_14default_configENS1_38merge_sort_block_merge_config_selectorIfNS0_10empty_typeEEEZZNS1_27merge_sort_block_merge_implIS3_N6thrust23THRUST_200600_302600_NS6detail15normal_iteratorINS9_10device_ptrIfEEEEPS5_jNS1_19radix_merge_compareILb0ELb0EfNS0_19identity_decomposerEEEEE10hipError_tT0_T1_T2_jT3_P12ihipStream_tbPNSt15iterator_traitsISK_E10value_typeEPNSQ_ISL_E10value_typeEPSM_NS1_7vsmem_tEENKUlT_SK_SL_SM_E_clIPfSE_SF_SF_EESJ_SZ_SK_SL_SM_EUlSZ_E_NS1_11comp_targetILNS1_3genE5ELNS1_11target_archE942ELNS1_3gpuE9ELNS1_3repE0EEENS1_48merge_mergepath_partition_config_static_selectorELNS0_4arch9wavefront6targetE0EEEvSL_,comdat
.Lfunc_end477:
	.size	_ZN7rocprim17ROCPRIM_400000_NS6detail17trampoline_kernelINS0_14default_configENS1_38merge_sort_block_merge_config_selectorIfNS0_10empty_typeEEEZZNS1_27merge_sort_block_merge_implIS3_N6thrust23THRUST_200600_302600_NS6detail15normal_iteratorINS9_10device_ptrIfEEEEPS5_jNS1_19radix_merge_compareILb0ELb0EfNS0_19identity_decomposerEEEEE10hipError_tT0_T1_T2_jT3_P12ihipStream_tbPNSt15iterator_traitsISK_E10value_typeEPNSQ_ISL_E10value_typeEPSM_NS1_7vsmem_tEENKUlT_SK_SL_SM_E_clIPfSE_SF_SF_EESJ_SZ_SK_SL_SM_EUlSZ_E_NS1_11comp_targetILNS1_3genE5ELNS1_11target_archE942ELNS1_3gpuE9ELNS1_3repE0EEENS1_48merge_mergepath_partition_config_static_selectorELNS0_4arch9wavefront6targetE0EEEvSL_, .Lfunc_end477-_ZN7rocprim17ROCPRIM_400000_NS6detail17trampoline_kernelINS0_14default_configENS1_38merge_sort_block_merge_config_selectorIfNS0_10empty_typeEEEZZNS1_27merge_sort_block_merge_implIS3_N6thrust23THRUST_200600_302600_NS6detail15normal_iteratorINS9_10device_ptrIfEEEEPS5_jNS1_19radix_merge_compareILb0ELb0EfNS0_19identity_decomposerEEEEE10hipError_tT0_T1_T2_jT3_P12ihipStream_tbPNSt15iterator_traitsISK_E10value_typeEPNSQ_ISL_E10value_typeEPSM_NS1_7vsmem_tEENKUlT_SK_SL_SM_E_clIPfSE_SF_SF_EESJ_SZ_SK_SL_SM_EUlSZ_E_NS1_11comp_targetILNS1_3genE5ELNS1_11target_archE942ELNS1_3gpuE9ELNS1_3repE0EEENS1_48merge_mergepath_partition_config_static_selectorELNS0_4arch9wavefront6targetE0EEEvSL_
                                        ; -- End function
	.set _ZN7rocprim17ROCPRIM_400000_NS6detail17trampoline_kernelINS0_14default_configENS1_38merge_sort_block_merge_config_selectorIfNS0_10empty_typeEEEZZNS1_27merge_sort_block_merge_implIS3_N6thrust23THRUST_200600_302600_NS6detail15normal_iteratorINS9_10device_ptrIfEEEEPS5_jNS1_19radix_merge_compareILb0ELb0EfNS0_19identity_decomposerEEEEE10hipError_tT0_T1_T2_jT3_P12ihipStream_tbPNSt15iterator_traitsISK_E10value_typeEPNSQ_ISL_E10value_typeEPSM_NS1_7vsmem_tEENKUlT_SK_SL_SM_E_clIPfSE_SF_SF_EESJ_SZ_SK_SL_SM_EUlSZ_E_NS1_11comp_targetILNS1_3genE5ELNS1_11target_archE942ELNS1_3gpuE9ELNS1_3repE0EEENS1_48merge_mergepath_partition_config_static_selectorELNS0_4arch9wavefront6targetE0EEEvSL_.num_vgpr, 0
	.set _ZN7rocprim17ROCPRIM_400000_NS6detail17trampoline_kernelINS0_14default_configENS1_38merge_sort_block_merge_config_selectorIfNS0_10empty_typeEEEZZNS1_27merge_sort_block_merge_implIS3_N6thrust23THRUST_200600_302600_NS6detail15normal_iteratorINS9_10device_ptrIfEEEEPS5_jNS1_19radix_merge_compareILb0ELb0EfNS0_19identity_decomposerEEEEE10hipError_tT0_T1_T2_jT3_P12ihipStream_tbPNSt15iterator_traitsISK_E10value_typeEPNSQ_ISL_E10value_typeEPSM_NS1_7vsmem_tEENKUlT_SK_SL_SM_E_clIPfSE_SF_SF_EESJ_SZ_SK_SL_SM_EUlSZ_E_NS1_11comp_targetILNS1_3genE5ELNS1_11target_archE942ELNS1_3gpuE9ELNS1_3repE0EEENS1_48merge_mergepath_partition_config_static_selectorELNS0_4arch9wavefront6targetE0EEEvSL_.num_agpr, 0
	.set _ZN7rocprim17ROCPRIM_400000_NS6detail17trampoline_kernelINS0_14default_configENS1_38merge_sort_block_merge_config_selectorIfNS0_10empty_typeEEEZZNS1_27merge_sort_block_merge_implIS3_N6thrust23THRUST_200600_302600_NS6detail15normal_iteratorINS9_10device_ptrIfEEEEPS5_jNS1_19radix_merge_compareILb0ELb0EfNS0_19identity_decomposerEEEEE10hipError_tT0_T1_T2_jT3_P12ihipStream_tbPNSt15iterator_traitsISK_E10value_typeEPNSQ_ISL_E10value_typeEPSM_NS1_7vsmem_tEENKUlT_SK_SL_SM_E_clIPfSE_SF_SF_EESJ_SZ_SK_SL_SM_EUlSZ_E_NS1_11comp_targetILNS1_3genE5ELNS1_11target_archE942ELNS1_3gpuE9ELNS1_3repE0EEENS1_48merge_mergepath_partition_config_static_selectorELNS0_4arch9wavefront6targetE0EEEvSL_.numbered_sgpr, 0
	.set _ZN7rocprim17ROCPRIM_400000_NS6detail17trampoline_kernelINS0_14default_configENS1_38merge_sort_block_merge_config_selectorIfNS0_10empty_typeEEEZZNS1_27merge_sort_block_merge_implIS3_N6thrust23THRUST_200600_302600_NS6detail15normal_iteratorINS9_10device_ptrIfEEEEPS5_jNS1_19radix_merge_compareILb0ELb0EfNS0_19identity_decomposerEEEEE10hipError_tT0_T1_T2_jT3_P12ihipStream_tbPNSt15iterator_traitsISK_E10value_typeEPNSQ_ISL_E10value_typeEPSM_NS1_7vsmem_tEENKUlT_SK_SL_SM_E_clIPfSE_SF_SF_EESJ_SZ_SK_SL_SM_EUlSZ_E_NS1_11comp_targetILNS1_3genE5ELNS1_11target_archE942ELNS1_3gpuE9ELNS1_3repE0EEENS1_48merge_mergepath_partition_config_static_selectorELNS0_4arch9wavefront6targetE0EEEvSL_.num_named_barrier, 0
	.set _ZN7rocprim17ROCPRIM_400000_NS6detail17trampoline_kernelINS0_14default_configENS1_38merge_sort_block_merge_config_selectorIfNS0_10empty_typeEEEZZNS1_27merge_sort_block_merge_implIS3_N6thrust23THRUST_200600_302600_NS6detail15normal_iteratorINS9_10device_ptrIfEEEEPS5_jNS1_19radix_merge_compareILb0ELb0EfNS0_19identity_decomposerEEEEE10hipError_tT0_T1_T2_jT3_P12ihipStream_tbPNSt15iterator_traitsISK_E10value_typeEPNSQ_ISL_E10value_typeEPSM_NS1_7vsmem_tEENKUlT_SK_SL_SM_E_clIPfSE_SF_SF_EESJ_SZ_SK_SL_SM_EUlSZ_E_NS1_11comp_targetILNS1_3genE5ELNS1_11target_archE942ELNS1_3gpuE9ELNS1_3repE0EEENS1_48merge_mergepath_partition_config_static_selectorELNS0_4arch9wavefront6targetE0EEEvSL_.private_seg_size, 0
	.set _ZN7rocprim17ROCPRIM_400000_NS6detail17trampoline_kernelINS0_14default_configENS1_38merge_sort_block_merge_config_selectorIfNS0_10empty_typeEEEZZNS1_27merge_sort_block_merge_implIS3_N6thrust23THRUST_200600_302600_NS6detail15normal_iteratorINS9_10device_ptrIfEEEEPS5_jNS1_19radix_merge_compareILb0ELb0EfNS0_19identity_decomposerEEEEE10hipError_tT0_T1_T2_jT3_P12ihipStream_tbPNSt15iterator_traitsISK_E10value_typeEPNSQ_ISL_E10value_typeEPSM_NS1_7vsmem_tEENKUlT_SK_SL_SM_E_clIPfSE_SF_SF_EESJ_SZ_SK_SL_SM_EUlSZ_E_NS1_11comp_targetILNS1_3genE5ELNS1_11target_archE942ELNS1_3gpuE9ELNS1_3repE0EEENS1_48merge_mergepath_partition_config_static_selectorELNS0_4arch9wavefront6targetE0EEEvSL_.uses_vcc, 0
	.set _ZN7rocprim17ROCPRIM_400000_NS6detail17trampoline_kernelINS0_14default_configENS1_38merge_sort_block_merge_config_selectorIfNS0_10empty_typeEEEZZNS1_27merge_sort_block_merge_implIS3_N6thrust23THRUST_200600_302600_NS6detail15normal_iteratorINS9_10device_ptrIfEEEEPS5_jNS1_19radix_merge_compareILb0ELb0EfNS0_19identity_decomposerEEEEE10hipError_tT0_T1_T2_jT3_P12ihipStream_tbPNSt15iterator_traitsISK_E10value_typeEPNSQ_ISL_E10value_typeEPSM_NS1_7vsmem_tEENKUlT_SK_SL_SM_E_clIPfSE_SF_SF_EESJ_SZ_SK_SL_SM_EUlSZ_E_NS1_11comp_targetILNS1_3genE5ELNS1_11target_archE942ELNS1_3gpuE9ELNS1_3repE0EEENS1_48merge_mergepath_partition_config_static_selectorELNS0_4arch9wavefront6targetE0EEEvSL_.uses_flat_scratch, 0
	.set _ZN7rocprim17ROCPRIM_400000_NS6detail17trampoline_kernelINS0_14default_configENS1_38merge_sort_block_merge_config_selectorIfNS0_10empty_typeEEEZZNS1_27merge_sort_block_merge_implIS3_N6thrust23THRUST_200600_302600_NS6detail15normal_iteratorINS9_10device_ptrIfEEEEPS5_jNS1_19radix_merge_compareILb0ELb0EfNS0_19identity_decomposerEEEEE10hipError_tT0_T1_T2_jT3_P12ihipStream_tbPNSt15iterator_traitsISK_E10value_typeEPNSQ_ISL_E10value_typeEPSM_NS1_7vsmem_tEENKUlT_SK_SL_SM_E_clIPfSE_SF_SF_EESJ_SZ_SK_SL_SM_EUlSZ_E_NS1_11comp_targetILNS1_3genE5ELNS1_11target_archE942ELNS1_3gpuE9ELNS1_3repE0EEENS1_48merge_mergepath_partition_config_static_selectorELNS0_4arch9wavefront6targetE0EEEvSL_.has_dyn_sized_stack, 0
	.set _ZN7rocprim17ROCPRIM_400000_NS6detail17trampoline_kernelINS0_14default_configENS1_38merge_sort_block_merge_config_selectorIfNS0_10empty_typeEEEZZNS1_27merge_sort_block_merge_implIS3_N6thrust23THRUST_200600_302600_NS6detail15normal_iteratorINS9_10device_ptrIfEEEEPS5_jNS1_19radix_merge_compareILb0ELb0EfNS0_19identity_decomposerEEEEE10hipError_tT0_T1_T2_jT3_P12ihipStream_tbPNSt15iterator_traitsISK_E10value_typeEPNSQ_ISL_E10value_typeEPSM_NS1_7vsmem_tEENKUlT_SK_SL_SM_E_clIPfSE_SF_SF_EESJ_SZ_SK_SL_SM_EUlSZ_E_NS1_11comp_targetILNS1_3genE5ELNS1_11target_archE942ELNS1_3gpuE9ELNS1_3repE0EEENS1_48merge_mergepath_partition_config_static_selectorELNS0_4arch9wavefront6targetE0EEEvSL_.has_recursion, 0
	.set _ZN7rocprim17ROCPRIM_400000_NS6detail17trampoline_kernelINS0_14default_configENS1_38merge_sort_block_merge_config_selectorIfNS0_10empty_typeEEEZZNS1_27merge_sort_block_merge_implIS3_N6thrust23THRUST_200600_302600_NS6detail15normal_iteratorINS9_10device_ptrIfEEEEPS5_jNS1_19radix_merge_compareILb0ELb0EfNS0_19identity_decomposerEEEEE10hipError_tT0_T1_T2_jT3_P12ihipStream_tbPNSt15iterator_traitsISK_E10value_typeEPNSQ_ISL_E10value_typeEPSM_NS1_7vsmem_tEENKUlT_SK_SL_SM_E_clIPfSE_SF_SF_EESJ_SZ_SK_SL_SM_EUlSZ_E_NS1_11comp_targetILNS1_3genE5ELNS1_11target_archE942ELNS1_3gpuE9ELNS1_3repE0EEENS1_48merge_mergepath_partition_config_static_selectorELNS0_4arch9wavefront6targetE0EEEvSL_.has_indirect_call, 0
	.section	.AMDGPU.csdata,"",@progbits
; Kernel info:
; codeLenInByte = 0
; TotalNumSgprs: 0
; NumVgprs: 0
; ScratchSize: 0
; MemoryBound: 0
; FloatMode: 240
; IeeeMode: 1
; LDSByteSize: 0 bytes/workgroup (compile time only)
; SGPRBlocks: 0
; VGPRBlocks: 0
; NumSGPRsForWavesPerEU: 1
; NumVGPRsForWavesPerEU: 1
; Occupancy: 16
; WaveLimiterHint : 0
; COMPUTE_PGM_RSRC2:SCRATCH_EN: 0
; COMPUTE_PGM_RSRC2:USER_SGPR: 6
; COMPUTE_PGM_RSRC2:TRAP_HANDLER: 0
; COMPUTE_PGM_RSRC2:TGID_X_EN: 1
; COMPUTE_PGM_RSRC2:TGID_Y_EN: 0
; COMPUTE_PGM_RSRC2:TGID_Z_EN: 0
; COMPUTE_PGM_RSRC2:TIDIG_COMP_CNT: 0
	.section	.text._ZN7rocprim17ROCPRIM_400000_NS6detail17trampoline_kernelINS0_14default_configENS1_38merge_sort_block_merge_config_selectorIfNS0_10empty_typeEEEZZNS1_27merge_sort_block_merge_implIS3_N6thrust23THRUST_200600_302600_NS6detail15normal_iteratorINS9_10device_ptrIfEEEEPS5_jNS1_19radix_merge_compareILb0ELb0EfNS0_19identity_decomposerEEEEE10hipError_tT0_T1_T2_jT3_P12ihipStream_tbPNSt15iterator_traitsISK_E10value_typeEPNSQ_ISL_E10value_typeEPSM_NS1_7vsmem_tEENKUlT_SK_SL_SM_E_clIPfSE_SF_SF_EESJ_SZ_SK_SL_SM_EUlSZ_E_NS1_11comp_targetILNS1_3genE4ELNS1_11target_archE910ELNS1_3gpuE8ELNS1_3repE0EEENS1_48merge_mergepath_partition_config_static_selectorELNS0_4arch9wavefront6targetE0EEEvSL_,"axG",@progbits,_ZN7rocprim17ROCPRIM_400000_NS6detail17trampoline_kernelINS0_14default_configENS1_38merge_sort_block_merge_config_selectorIfNS0_10empty_typeEEEZZNS1_27merge_sort_block_merge_implIS3_N6thrust23THRUST_200600_302600_NS6detail15normal_iteratorINS9_10device_ptrIfEEEEPS5_jNS1_19radix_merge_compareILb0ELb0EfNS0_19identity_decomposerEEEEE10hipError_tT0_T1_T2_jT3_P12ihipStream_tbPNSt15iterator_traitsISK_E10value_typeEPNSQ_ISL_E10value_typeEPSM_NS1_7vsmem_tEENKUlT_SK_SL_SM_E_clIPfSE_SF_SF_EESJ_SZ_SK_SL_SM_EUlSZ_E_NS1_11comp_targetILNS1_3genE4ELNS1_11target_archE910ELNS1_3gpuE8ELNS1_3repE0EEENS1_48merge_mergepath_partition_config_static_selectorELNS0_4arch9wavefront6targetE0EEEvSL_,comdat
	.protected	_ZN7rocprim17ROCPRIM_400000_NS6detail17trampoline_kernelINS0_14default_configENS1_38merge_sort_block_merge_config_selectorIfNS0_10empty_typeEEEZZNS1_27merge_sort_block_merge_implIS3_N6thrust23THRUST_200600_302600_NS6detail15normal_iteratorINS9_10device_ptrIfEEEEPS5_jNS1_19radix_merge_compareILb0ELb0EfNS0_19identity_decomposerEEEEE10hipError_tT0_T1_T2_jT3_P12ihipStream_tbPNSt15iterator_traitsISK_E10value_typeEPNSQ_ISL_E10value_typeEPSM_NS1_7vsmem_tEENKUlT_SK_SL_SM_E_clIPfSE_SF_SF_EESJ_SZ_SK_SL_SM_EUlSZ_E_NS1_11comp_targetILNS1_3genE4ELNS1_11target_archE910ELNS1_3gpuE8ELNS1_3repE0EEENS1_48merge_mergepath_partition_config_static_selectorELNS0_4arch9wavefront6targetE0EEEvSL_ ; -- Begin function _ZN7rocprim17ROCPRIM_400000_NS6detail17trampoline_kernelINS0_14default_configENS1_38merge_sort_block_merge_config_selectorIfNS0_10empty_typeEEEZZNS1_27merge_sort_block_merge_implIS3_N6thrust23THRUST_200600_302600_NS6detail15normal_iteratorINS9_10device_ptrIfEEEEPS5_jNS1_19radix_merge_compareILb0ELb0EfNS0_19identity_decomposerEEEEE10hipError_tT0_T1_T2_jT3_P12ihipStream_tbPNSt15iterator_traitsISK_E10value_typeEPNSQ_ISL_E10value_typeEPSM_NS1_7vsmem_tEENKUlT_SK_SL_SM_E_clIPfSE_SF_SF_EESJ_SZ_SK_SL_SM_EUlSZ_E_NS1_11comp_targetILNS1_3genE4ELNS1_11target_archE910ELNS1_3gpuE8ELNS1_3repE0EEENS1_48merge_mergepath_partition_config_static_selectorELNS0_4arch9wavefront6targetE0EEEvSL_
	.globl	_ZN7rocprim17ROCPRIM_400000_NS6detail17trampoline_kernelINS0_14default_configENS1_38merge_sort_block_merge_config_selectorIfNS0_10empty_typeEEEZZNS1_27merge_sort_block_merge_implIS3_N6thrust23THRUST_200600_302600_NS6detail15normal_iteratorINS9_10device_ptrIfEEEEPS5_jNS1_19radix_merge_compareILb0ELb0EfNS0_19identity_decomposerEEEEE10hipError_tT0_T1_T2_jT3_P12ihipStream_tbPNSt15iterator_traitsISK_E10value_typeEPNSQ_ISL_E10value_typeEPSM_NS1_7vsmem_tEENKUlT_SK_SL_SM_E_clIPfSE_SF_SF_EESJ_SZ_SK_SL_SM_EUlSZ_E_NS1_11comp_targetILNS1_3genE4ELNS1_11target_archE910ELNS1_3gpuE8ELNS1_3repE0EEENS1_48merge_mergepath_partition_config_static_selectorELNS0_4arch9wavefront6targetE0EEEvSL_
	.p2align	8
	.type	_ZN7rocprim17ROCPRIM_400000_NS6detail17trampoline_kernelINS0_14default_configENS1_38merge_sort_block_merge_config_selectorIfNS0_10empty_typeEEEZZNS1_27merge_sort_block_merge_implIS3_N6thrust23THRUST_200600_302600_NS6detail15normal_iteratorINS9_10device_ptrIfEEEEPS5_jNS1_19radix_merge_compareILb0ELb0EfNS0_19identity_decomposerEEEEE10hipError_tT0_T1_T2_jT3_P12ihipStream_tbPNSt15iterator_traitsISK_E10value_typeEPNSQ_ISL_E10value_typeEPSM_NS1_7vsmem_tEENKUlT_SK_SL_SM_E_clIPfSE_SF_SF_EESJ_SZ_SK_SL_SM_EUlSZ_E_NS1_11comp_targetILNS1_3genE4ELNS1_11target_archE910ELNS1_3gpuE8ELNS1_3repE0EEENS1_48merge_mergepath_partition_config_static_selectorELNS0_4arch9wavefront6targetE0EEEvSL_,@function
_ZN7rocprim17ROCPRIM_400000_NS6detail17trampoline_kernelINS0_14default_configENS1_38merge_sort_block_merge_config_selectorIfNS0_10empty_typeEEEZZNS1_27merge_sort_block_merge_implIS3_N6thrust23THRUST_200600_302600_NS6detail15normal_iteratorINS9_10device_ptrIfEEEEPS5_jNS1_19radix_merge_compareILb0ELb0EfNS0_19identity_decomposerEEEEE10hipError_tT0_T1_T2_jT3_P12ihipStream_tbPNSt15iterator_traitsISK_E10value_typeEPNSQ_ISL_E10value_typeEPSM_NS1_7vsmem_tEENKUlT_SK_SL_SM_E_clIPfSE_SF_SF_EESJ_SZ_SK_SL_SM_EUlSZ_E_NS1_11comp_targetILNS1_3genE4ELNS1_11target_archE910ELNS1_3gpuE8ELNS1_3repE0EEENS1_48merge_mergepath_partition_config_static_selectorELNS0_4arch9wavefront6targetE0EEEvSL_: ; @_ZN7rocprim17ROCPRIM_400000_NS6detail17trampoline_kernelINS0_14default_configENS1_38merge_sort_block_merge_config_selectorIfNS0_10empty_typeEEEZZNS1_27merge_sort_block_merge_implIS3_N6thrust23THRUST_200600_302600_NS6detail15normal_iteratorINS9_10device_ptrIfEEEEPS5_jNS1_19radix_merge_compareILb0ELb0EfNS0_19identity_decomposerEEEEE10hipError_tT0_T1_T2_jT3_P12ihipStream_tbPNSt15iterator_traitsISK_E10value_typeEPNSQ_ISL_E10value_typeEPSM_NS1_7vsmem_tEENKUlT_SK_SL_SM_E_clIPfSE_SF_SF_EESJ_SZ_SK_SL_SM_EUlSZ_E_NS1_11comp_targetILNS1_3genE4ELNS1_11target_archE910ELNS1_3gpuE8ELNS1_3repE0EEENS1_48merge_mergepath_partition_config_static_selectorELNS0_4arch9wavefront6targetE0EEEvSL_
; %bb.0:
	.section	.rodata,"a",@progbits
	.p2align	6, 0x0
	.amdhsa_kernel _ZN7rocprim17ROCPRIM_400000_NS6detail17trampoline_kernelINS0_14default_configENS1_38merge_sort_block_merge_config_selectorIfNS0_10empty_typeEEEZZNS1_27merge_sort_block_merge_implIS3_N6thrust23THRUST_200600_302600_NS6detail15normal_iteratorINS9_10device_ptrIfEEEEPS5_jNS1_19radix_merge_compareILb0ELb0EfNS0_19identity_decomposerEEEEE10hipError_tT0_T1_T2_jT3_P12ihipStream_tbPNSt15iterator_traitsISK_E10value_typeEPNSQ_ISL_E10value_typeEPSM_NS1_7vsmem_tEENKUlT_SK_SL_SM_E_clIPfSE_SF_SF_EESJ_SZ_SK_SL_SM_EUlSZ_E_NS1_11comp_targetILNS1_3genE4ELNS1_11target_archE910ELNS1_3gpuE8ELNS1_3repE0EEENS1_48merge_mergepath_partition_config_static_selectorELNS0_4arch9wavefront6targetE0EEEvSL_
		.amdhsa_group_segment_fixed_size 0
		.amdhsa_private_segment_fixed_size 0
		.amdhsa_kernarg_size 40
		.amdhsa_user_sgpr_count 6
		.amdhsa_user_sgpr_private_segment_buffer 1
		.amdhsa_user_sgpr_dispatch_ptr 0
		.amdhsa_user_sgpr_queue_ptr 0
		.amdhsa_user_sgpr_kernarg_segment_ptr 1
		.amdhsa_user_sgpr_dispatch_id 0
		.amdhsa_user_sgpr_flat_scratch_init 0
		.amdhsa_user_sgpr_private_segment_size 0
		.amdhsa_wavefront_size32 1
		.amdhsa_uses_dynamic_stack 0
		.amdhsa_system_sgpr_private_segment_wavefront_offset 0
		.amdhsa_system_sgpr_workgroup_id_x 1
		.amdhsa_system_sgpr_workgroup_id_y 0
		.amdhsa_system_sgpr_workgroup_id_z 0
		.amdhsa_system_sgpr_workgroup_info 0
		.amdhsa_system_vgpr_workitem_id 0
		.amdhsa_next_free_vgpr 1
		.amdhsa_next_free_sgpr 1
		.amdhsa_reserve_vcc 0
		.amdhsa_reserve_flat_scratch 0
		.amdhsa_float_round_mode_32 0
		.amdhsa_float_round_mode_16_64 0
		.amdhsa_float_denorm_mode_32 3
		.amdhsa_float_denorm_mode_16_64 3
		.amdhsa_dx10_clamp 1
		.amdhsa_ieee_mode 1
		.amdhsa_fp16_overflow 0
		.amdhsa_workgroup_processor_mode 1
		.amdhsa_memory_ordered 1
		.amdhsa_forward_progress 1
		.amdhsa_shared_vgpr_count 0
		.amdhsa_exception_fp_ieee_invalid_op 0
		.amdhsa_exception_fp_denorm_src 0
		.amdhsa_exception_fp_ieee_div_zero 0
		.amdhsa_exception_fp_ieee_overflow 0
		.amdhsa_exception_fp_ieee_underflow 0
		.amdhsa_exception_fp_ieee_inexact 0
		.amdhsa_exception_int_div_zero 0
	.end_amdhsa_kernel
	.section	.text._ZN7rocprim17ROCPRIM_400000_NS6detail17trampoline_kernelINS0_14default_configENS1_38merge_sort_block_merge_config_selectorIfNS0_10empty_typeEEEZZNS1_27merge_sort_block_merge_implIS3_N6thrust23THRUST_200600_302600_NS6detail15normal_iteratorINS9_10device_ptrIfEEEEPS5_jNS1_19radix_merge_compareILb0ELb0EfNS0_19identity_decomposerEEEEE10hipError_tT0_T1_T2_jT3_P12ihipStream_tbPNSt15iterator_traitsISK_E10value_typeEPNSQ_ISL_E10value_typeEPSM_NS1_7vsmem_tEENKUlT_SK_SL_SM_E_clIPfSE_SF_SF_EESJ_SZ_SK_SL_SM_EUlSZ_E_NS1_11comp_targetILNS1_3genE4ELNS1_11target_archE910ELNS1_3gpuE8ELNS1_3repE0EEENS1_48merge_mergepath_partition_config_static_selectorELNS0_4arch9wavefront6targetE0EEEvSL_,"axG",@progbits,_ZN7rocprim17ROCPRIM_400000_NS6detail17trampoline_kernelINS0_14default_configENS1_38merge_sort_block_merge_config_selectorIfNS0_10empty_typeEEEZZNS1_27merge_sort_block_merge_implIS3_N6thrust23THRUST_200600_302600_NS6detail15normal_iteratorINS9_10device_ptrIfEEEEPS5_jNS1_19radix_merge_compareILb0ELb0EfNS0_19identity_decomposerEEEEE10hipError_tT0_T1_T2_jT3_P12ihipStream_tbPNSt15iterator_traitsISK_E10value_typeEPNSQ_ISL_E10value_typeEPSM_NS1_7vsmem_tEENKUlT_SK_SL_SM_E_clIPfSE_SF_SF_EESJ_SZ_SK_SL_SM_EUlSZ_E_NS1_11comp_targetILNS1_3genE4ELNS1_11target_archE910ELNS1_3gpuE8ELNS1_3repE0EEENS1_48merge_mergepath_partition_config_static_selectorELNS0_4arch9wavefront6targetE0EEEvSL_,comdat
.Lfunc_end478:
	.size	_ZN7rocprim17ROCPRIM_400000_NS6detail17trampoline_kernelINS0_14default_configENS1_38merge_sort_block_merge_config_selectorIfNS0_10empty_typeEEEZZNS1_27merge_sort_block_merge_implIS3_N6thrust23THRUST_200600_302600_NS6detail15normal_iteratorINS9_10device_ptrIfEEEEPS5_jNS1_19radix_merge_compareILb0ELb0EfNS0_19identity_decomposerEEEEE10hipError_tT0_T1_T2_jT3_P12ihipStream_tbPNSt15iterator_traitsISK_E10value_typeEPNSQ_ISL_E10value_typeEPSM_NS1_7vsmem_tEENKUlT_SK_SL_SM_E_clIPfSE_SF_SF_EESJ_SZ_SK_SL_SM_EUlSZ_E_NS1_11comp_targetILNS1_3genE4ELNS1_11target_archE910ELNS1_3gpuE8ELNS1_3repE0EEENS1_48merge_mergepath_partition_config_static_selectorELNS0_4arch9wavefront6targetE0EEEvSL_, .Lfunc_end478-_ZN7rocprim17ROCPRIM_400000_NS6detail17trampoline_kernelINS0_14default_configENS1_38merge_sort_block_merge_config_selectorIfNS0_10empty_typeEEEZZNS1_27merge_sort_block_merge_implIS3_N6thrust23THRUST_200600_302600_NS6detail15normal_iteratorINS9_10device_ptrIfEEEEPS5_jNS1_19radix_merge_compareILb0ELb0EfNS0_19identity_decomposerEEEEE10hipError_tT0_T1_T2_jT3_P12ihipStream_tbPNSt15iterator_traitsISK_E10value_typeEPNSQ_ISL_E10value_typeEPSM_NS1_7vsmem_tEENKUlT_SK_SL_SM_E_clIPfSE_SF_SF_EESJ_SZ_SK_SL_SM_EUlSZ_E_NS1_11comp_targetILNS1_3genE4ELNS1_11target_archE910ELNS1_3gpuE8ELNS1_3repE0EEENS1_48merge_mergepath_partition_config_static_selectorELNS0_4arch9wavefront6targetE0EEEvSL_
                                        ; -- End function
	.set _ZN7rocprim17ROCPRIM_400000_NS6detail17trampoline_kernelINS0_14default_configENS1_38merge_sort_block_merge_config_selectorIfNS0_10empty_typeEEEZZNS1_27merge_sort_block_merge_implIS3_N6thrust23THRUST_200600_302600_NS6detail15normal_iteratorINS9_10device_ptrIfEEEEPS5_jNS1_19radix_merge_compareILb0ELb0EfNS0_19identity_decomposerEEEEE10hipError_tT0_T1_T2_jT3_P12ihipStream_tbPNSt15iterator_traitsISK_E10value_typeEPNSQ_ISL_E10value_typeEPSM_NS1_7vsmem_tEENKUlT_SK_SL_SM_E_clIPfSE_SF_SF_EESJ_SZ_SK_SL_SM_EUlSZ_E_NS1_11comp_targetILNS1_3genE4ELNS1_11target_archE910ELNS1_3gpuE8ELNS1_3repE0EEENS1_48merge_mergepath_partition_config_static_selectorELNS0_4arch9wavefront6targetE0EEEvSL_.num_vgpr, 0
	.set _ZN7rocprim17ROCPRIM_400000_NS6detail17trampoline_kernelINS0_14default_configENS1_38merge_sort_block_merge_config_selectorIfNS0_10empty_typeEEEZZNS1_27merge_sort_block_merge_implIS3_N6thrust23THRUST_200600_302600_NS6detail15normal_iteratorINS9_10device_ptrIfEEEEPS5_jNS1_19radix_merge_compareILb0ELb0EfNS0_19identity_decomposerEEEEE10hipError_tT0_T1_T2_jT3_P12ihipStream_tbPNSt15iterator_traitsISK_E10value_typeEPNSQ_ISL_E10value_typeEPSM_NS1_7vsmem_tEENKUlT_SK_SL_SM_E_clIPfSE_SF_SF_EESJ_SZ_SK_SL_SM_EUlSZ_E_NS1_11comp_targetILNS1_3genE4ELNS1_11target_archE910ELNS1_3gpuE8ELNS1_3repE0EEENS1_48merge_mergepath_partition_config_static_selectorELNS0_4arch9wavefront6targetE0EEEvSL_.num_agpr, 0
	.set _ZN7rocprim17ROCPRIM_400000_NS6detail17trampoline_kernelINS0_14default_configENS1_38merge_sort_block_merge_config_selectorIfNS0_10empty_typeEEEZZNS1_27merge_sort_block_merge_implIS3_N6thrust23THRUST_200600_302600_NS6detail15normal_iteratorINS9_10device_ptrIfEEEEPS5_jNS1_19radix_merge_compareILb0ELb0EfNS0_19identity_decomposerEEEEE10hipError_tT0_T1_T2_jT3_P12ihipStream_tbPNSt15iterator_traitsISK_E10value_typeEPNSQ_ISL_E10value_typeEPSM_NS1_7vsmem_tEENKUlT_SK_SL_SM_E_clIPfSE_SF_SF_EESJ_SZ_SK_SL_SM_EUlSZ_E_NS1_11comp_targetILNS1_3genE4ELNS1_11target_archE910ELNS1_3gpuE8ELNS1_3repE0EEENS1_48merge_mergepath_partition_config_static_selectorELNS0_4arch9wavefront6targetE0EEEvSL_.numbered_sgpr, 0
	.set _ZN7rocprim17ROCPRIM_400000_NS6detail17trampoline_kernelINS0_14default_configENS1_38merge_sort_block_merge_config_selectorIfNS0_10empty_typeEEEZZNS1_27merge_sort_block_merge_implIS3_N6thrust23THRUST_200600_302600_NS6detail15normal_iteratorINS9_10device_ptrIfEEEEPS5_jNS1_19radix_merge_compareILb0ELb0EfNS0_19identity_decomposerEEEEE10hipError_tT0_T1_T2_jT3_P12ihipStream_tbPNSt15iterator_traitsISK_E10value_typeEPNSQ_ISL_E10value_typeEPSM_NS1_7vsmem_tEENKUlT_SK_SL_SM_E_clIPfSE_SF_SF_EESJ_SZ_SK_SL_SM_EUlSZ_E_NS1_11comp_targetILNS1_3genE4ELNS1_11target_archE910ELNS1_3gpuE8ELNS1_3repE0EEENS1_48merge_mergepath_partition_config_static_selectorELNS0_4arch9wavefront6targetE0EEEvSL_.num_named_barrier, 0
	.set _ZN7rocprim17ROCPRIM_400000_NS6detail17trampoline_kernelINS0_14default_configENS1_38merge_sort_block_merge_config_selectorIfNS0_10empty_typeEEEZZNS1_27merge_sort_block_merge_implIS3_N6thrust23THRUST_200600_302600_NS6detail15normal_iteratorINS9_10device_ptrIfEEEEPS5_jNS1_19radix_merge_compareILb0ELb0EfNS0_19identity_decomposerEEEEE10hipError_tT0_T1_T2_jT3_P12ihipStream_tbPNSt15iterator_traitsISK_E10value_typeEPNSQ_ISL_E10value_typeEPSM_NS1_7vsmem_tEENKUlT_SK_SL_SM_E_clIPfSE_SF_SF_EESJ_SZ_SK_SL_SM_EUlSZ_E_NS1_11comp_targetILNS1_3genE4ELNS1_11target_archE910ELNS1_3gpuE8ELNS1_3repE0EEENS1_48merge_mergepath_partition_config_static_selectorELNS0_4arch9wavefront6targetE0EEEvSL_.private_seg_size, 0
	.set _ZN7rocprim17ROCPRIM_400000_NS6detail17trampoline_kernelINS0_14default_configENS1_38merge_sort_block_merge_config_selectorIfNS0_10empty_typeEEEZZNS1_27merge_sort_block_merge_implIS3_N6thrust23THRUST_200600_302600_NS6detail15normal_iteratorINS9_10device_ptrIfEEEEPS5_jNS1_19radix_merge_compareILb0ELb0EfNS0_19identity_decomposerEEEEE10hipError_tT0_T1_T2_jT3_P12ihipStream_tbPNSt15iterator_traitsISK_E10value_typeEPNSQ_ISL_E10value_typeEPSM_NS1_7vsmem_tEENKUlT_SK_SL_SM_E_clIPfSE_SF_SF_EESJ_SZ_SK_SL_SM_EUlSZ_E_NS1_11comp_targetILNS1_3genE4ELNS1_11target_archE910ELNS1_3gpuE8ELNS1_3repE0EEENS1_48merge_mergepath_partition_config_static_selectorELNS0_4arch9wavefront6targetE0EEEvSL_.uses_vcc, 0
	.set _ZN7rocprim17ROCPRIM_400000_NS6detail17trampoline_kernelINS0_14default_configENS1_38merge_sort_block_merge_config_selectorIfNS0_10empty_typeEEEZZNS1_27merge_sort_block_merge_implIS3_N6thrust23THRUST_200600_302600_NS6detail15normal_iteratorINS9_10device_ptrIfEEEEPS5_jNS1_19radix_merge_compareILb0ELb0EfNS0_19identity_decomposerEEEEE10hipError_tT0_T1_T2_jT3_P12ihipStream_tbPNSt15iterator_traitsISK_E10value_typeEPNSQ_ISL_E10value_typeEPSM_NS1_7vsmem_tEENKUlT_SK_SL_SM_E_clIPfSE_SF_SF_EESJ_SZ_SK_SL_SM_EUlSZ_E_NS1_11comp_targetILNS1_3genE4ELNS1_11target_archE910ELNS1_3gpuE8ELNS1_3repE0EEENS1_48merge_mergepath_partition_config_static_selectorELNS0_4arch9wavefront6targetE0EEEvSL_.uses_flat_scratch, 0
	.set _ZN7rocprim17ROCPRIM_400000_NS6detail17trampoline_kernelINS0_14default_configENS1_38merge_sort_block_merge_config_selectorIfNS0_10empty_typeEEEZZNS1_27merge_sort_block_merge_implIS3_N6thrust23THRUST_200600_302600_NS6detail15normal_iteratorINS9_10device_ptrIfEEEEPS5_jNS1_19radix_merge_compareILb0ELb0EfNS0_19identity_decomposerEEEEE10hipError_tT0_T1_T2_jT3_P12ihipStream_tbPNSt15iterator_traitsISK_E10value_typeEPNSQ_ISL_E10value_typeEPSM_NS1_7vsmem_tEENKUlT_SK_SL_SM_E_clIPfSE_SF_SF_EESJ_SZ_SK_SL_SM_EUlSZ_E_NS1_11comp_targetILNS1_3genE4ELNS1_11target_archE910ELNS1_3gpuE8ELNS1_3repE0EEENS1_48merge_mergepath_partition_config_static_selectorELNS0_4arch9wavefront6targetE0EEEvSL_.has_dyn_sized_stack, 0
	.set _ZN7rocprim17ROCPRIM_400000_NS6detail17trampoline_kernelINS0_14default_configENS1_38merge_sort_block_merge_config_selectorIfNS0_10empty_typeEEEZZNS1_27merge_sort_block_merge_implIS3_N6thrust23THRUST_200600_302600_NS6detail15normal_iteratorINS9_10device_ptrIfEEEEPS5_jNS1_19radix_merge_compareILb0ELb0EfNS0_19identity_decomposerEEEEE10hipError_tT0_T1_T2_jT3_P12ihipStream_tbPNSt15iterator_traitsISK_E10value_typeEPNSQ_ISL_E10value_typeEPSM_NS1_7vsmem_tEENKUlT_SK_SL_SM_E_clIPfSE_SF_SF_EESJ_SZ_SK_SL_SM_EUlSZ_E_NS1_11comp_targetILNS1_3genE4ELNS1_11target_archE910ELNS1_3gpuE8ELNS1_3repE0EEENS1_48merge_mergepath_partition_config_static_selectorELNS0_4arch9wavefront6targetE0EEEvSL_.has_recursion, 0
	.set _ZN7rocprim17ROCPRIM_400000_NS6detail17trampoline_kernelINS0_14default_configENS1_38merge_sort_block_merge_config_selectorIfNS0_10empty_typeEEEZZNS1_27merge_sort_block_merge_implIS3_N6thrust23THRUST_200600_302600_NS6detail15normal_iteratorINS9_10device_ptrIfEEEEPS5_jNS1_19radix_merge_compareILb0ELb0EfNS0_19identity_decomposerEEEEE10hipError_tT0_T1_T2_jT3_P12ihipStream_tbPNSt15iterator_traitsISK_E10value_typeEPNSQ_ISL_E10value_typeEPSM_NS1_7vsmem_tEENKUlT_SK_SL_SM_E_clIPfSE_SF_SF_EESJ_SZ_SK_SL_SM_EUlSZ_E_NS1_11comp_targetILNS1_3genE4ELNS1_11target_archE910ELNS1_3gpuE8ELNS1_3repE0EEENS1_48merge_mergepath_partition_config_static_selectorELNS0_4arch9wavefront6targetE0EEEvSL_.has_indirect_call, 0
	.section	.AMDGPU.csdata,"",@progbits
; Kernel info:
; codeLenInByte = 0
; TotalNumSgprs: 0
; NumVgprs: 0
; ScratchSize: 0
; MemoryBound: 0
; FloatMode: 240
; IeeeMode: 1
; LDSByteSize: 0 bytes/workgroup (compile time only)
; SGPRBlocks: 0
; VGPRBlocks: 0
; NumSGPRsForWavesPerEU: 1
; NumVGPRsForWavesPerEU: 1
; Occupancy: 16
; WaveLimiterHint : 0
; COMPUTE_PGM_RSRC2:SCRATCH_EN: 0
; COMPUTE_PGM_RSRC2:USER_SGPR: 6
; COMPUTE_PGM_RSRC2:TRAP_HANDLER: 0
; COMPUTE_PGM_RSRC2:TGID_X_EN: 1
; COMPUTE_PGM_RSRC2:TGID_Y_EN: 0
; COMPUTE_PGM_RSRC2:TGID_Z_EN: 0
; COMPUTE_PGM_RSRC2:TIDIG_COMP_CNT: 0
	.section	.text._ZN7rocprim17ROCPRIM_400000_NS6detail17trampoline_kernelINS0_14default_configENS1_38merge_sort_block_merge_config_selectorIfNS0_10empty_typeEEEZZNS1_27merge_sort_block_merge_implIS3_N6thrust23THRUST_200600_302600_NS6detail15normal_iteratorINS9_10device_ptrIfEEEEPS5_jNS1_19radix_merge_compareILb0ELb0EfNS0_19identity_decomposerEEEEE10hipError_tT0_T1_T2_jT3_P12ihipStream_tbPNSt15iterator_traitsISK_E10value_typeEPNSQ_ISL_E10value_typeEPSM_NS1_7vsmem_tEENKUlT_SK_SL_SM_E_clIPfSE_SF_SF_EESJ_SZ_SK_SL_SM_EUlSZ_E_NS1_11comp_targetILNS1_3genE3ELNS1_11target_archE908ELNS1_3gpuE7ELNS1_3repE0EEENS1_48merge_mergepath_partition_config_static_selectorELNS0_4arch9wavefront6targetE0EEEvSL_,"axG",@progbits,_ZN7rocprim17ROCPRIM_400000_NS6detail17trampoline_kernelINS0_14default_configENS1_38merge_sort_block_merge_config_selectorIfNS0_10empty_typeEEEZZNS1_27merge_sort_block_merge_implIS3_N6thrust23THRUST_200600_302600_NS6detail15normal_iteratorINS9_10device_ptrIfEEEEPS5_jNS1_19radix_merge_compareILb0ELb0EfNS0_19identity_decomposerEEEEE10hipError_tT0_T1_T2_jT3_P12ihipStream_tbPNSt15iterator_traitsISK_E10value_typeEPNSQ_ISL_E10value_typeEPSM_NS1_7vsmem_tEENKUlT_SK_SL_SM_E_clIPfSE_SF_SF_EESJ_SZ_SK_SL_SM_EUlSZ_E_NS1_11comp_targetILNS1_3genE3ELNS1_11target_archE908ELNS1_3gpuE7ELNS1_3repE0EEENS1_48merge_mergepath_partition_config_static_selectorELNS0_4arch9wavefront6targetE0EEEvSL_,comdat
	.protected	_ZN7rocprim17ROCPRIM_400000_NS6detail17trampoline_kernelINS0_14default_configENS1_38merge_sort_block_merge_config_selectorIfNS0_10empty_typeEEEZZNS1_27merge_sort_block_merge_implIS3_N6thrust23THRUST_200600_302600_NS6detail15normal_iteratorINS9_10device_ptrIfEEEEPS5_jNS1_19radix_merge_compareILb0ELb0EfNS0_19identity_decomposerEEEEE10hipError_tT0_T1_T2_jT3_P12ihipStream_tbPNSt15iterator_traitsISK_E10value_typeEPNSQ_ISL_E10value_typeEPSM_NS1_7vsmem_tEENKUlT_SK_SL_SM_E_clIPfSE_SF_SF_EESJ_SZ_SK_SL_SM_EUlSZ_E_NS1_11comp_targetILNS1_3genE3ELNS1_11target_archE908ELNS1_3gpuE7ELNS1_3repE0EEENS1_48merge_mergepath_partition_config_static_selectorELNS0_4arch9wavefront6targetE0EEEvSL_ ; -- Begin function _ZN7rocprim17ROCPRIM_400000_NS6detail17trampoline_kernelINS0_14default_configENS1_38merge_sort_block_merge_config_selectorIfNS0_10empty_typeEEEZZNS1_27merge_sort_block_merge_implIS3_N6thrust23THRUST_200600_302600_NS6detail15normal_iteratorINS9_10device_ptrIfEEEEPS5_jNS1_19radix_merge_compareILb0ELb0EfNS0_19identity_decomposerEEEEE10hipError_tT0_T1_T2_jT3_P12ihipStream_tbPNSt15iterator_traitsISK_E10value_typeEPNSQ_ISL_E10value_typeEPSM_NS1_7vsmem_tEENKUlT_SK_SL_SM_E_clIPfSE_SF_SF_EESJ_SZ_SK_SL_SM_EUlSZ_E_NS1_11comp_targetILNS1_3genE3ELNS1_11target_archE908ELNS1_3gpuE7ELNS1_3repE0EEENS1_48merge_mergepath_partition_config_static_selectorELNS0_4arch9wavefront6targetE0EEEvSL_
	.globl	_ZN7rocprim17ROCPRIM_400000_NS6detail17trampoline_kernelINS0_14default_configENS1_38merge_sort_block_merge_config_selectorIfNS0_10empty_typeEEEZZNS1_27merge_sort_block_merge_implIS3_N6thrust23THRUST_200600_302600_NS6detail15normal_iteratorINS9_10device_ptrIfEEEEPS5_jNS1_19radix_merge_compareILb0ELb0EfNS0_19identity_decomposerEEEEE10hipError_tT0_T1_T2_jT3_P12ihipStream_tbPNSt15iterator_traitsISK_E10value_typeEPNSQ_ISL_E10value_typeEPSM_NS1_7vsmem_tEENKUlT_SK_SL_SM_E_clIPfSE_SF_SF_EESJ_SZ_SK_SL_SM_EUlSZ_E_NS1_11comp_targetILNS1_3genE3ELNS1_11target_archE908ELNS1_3gpuE7ELNS1_3repE0EEENS1_48merge_mergepath_partition_config_static_selectorELNS0_4arch9wavefront6targetE0EEEvSL_
	.p2align	8
	.type	_ZN7rocprim17ROCPRIM_400000_NS6detail17trampoline_kernelINS0_14default_configENS1_38merge_sort_block_merge_config_selectorIfNS0_10empty_typeEEEZZNS1_27merge_sort_block_merge_implIS3_N6thrust23THRUST_200600_302600_NS6detail15normal_iteratorINS9_10device_ptrIfEEEEPS5_jNS1_19radix_merge_compareILb0ELb0EfNS0_19identity_decomposerEEEEE10hipError_tT0_T1_T2_jT3_P12ihipStream_tbPNSt15iterator_traitsISK_E10value_typeEPNSQ_ISL_E10value_typeEPSM_NS1_7vsmem_tEENKUlT_SK_SL_SM_E_clIPfSE_SF_SF_EESJ_SZ_SK_SL_SM_EUlSZ_E_NS1_11comp_targetILNS1_3genE3ELNS1_11target_archE908ELNS1_3gpuE7ELNS1_3repE0EEENS1_48merge_mergepath_partition_config_static_selectorELNS0_4arch9wavefront6targetE0EEEvSL_,@function
_ZN7rocprim17ROCPRIM_400000_NS6detail17trampoline_kernelINS0_14default_configENS1_38merge_sort_block_merge_config_selectorIfNS0_10empty_typeEEEZZNS1_27merge_sort_block_merge_implIS3_N6thrust23THRUST_200600_302600_NS6detail15normal_iteratorINS9_10device_ptrIfEEEEPS5_jNS1_19radix_merge_compareILb0ELb0EfNS0_19identity_decomposerEEEEE10hipError_tT0_T1_T2_jT3_P12ihipStream_tbPNSt15iterator_traitsISK_E10value_typeEPNSQ_ISL_E10value_typeEPSM_NS1_7vsmem_tEENKUlT_SK_SL_SM_E_clIPfSE_SF_SF_EESJ_SZ_SK_SL_SM_EUlSZ_E_NS1_11comp_targetILNS1_3genE3ELNS1_11target_archE908ELNS1_3gpuE7ELNS1_3repE0EEENS1_48merge_mergepath_partition_config_static_selectorELNS0_4arch9wavefront6targetE0EEEvSL_: ; @_ZN7rocprim17ROCPRIM_400000_NS6detail17trampoline_kernelINS0_14default_configENS1_38merge_sort_block_merge_config_selectorIfNS0_10empty_typeEEEZZNS1_27merge_sort_block_merge_implIS3_N6thrust23THRUST_200600_302600_NS6detail15normal_iteratorINS9_10device_ptrIfEEEEPS5_jNS1_19radix_merge_compareILb0ELb0EfNS0_19identity_decomposerEEEEE10hipError_tT0_T1_T2_jT3_P12ihipStream_tbPNSt15iterator_traitsISK_E10value_typeEPNSQ_ISL_E10value_typeEPSM_NS1_7vsmem_tEENKUlT_SK_SL_SM_E_clIPfSE_SF_SF_EESJ_SZ_SK_SL_SM_EUlSZ_E_NS1_11comp_targetILNS1_3genE3ELNS1_11target_archE908ELNS1_3gpuE7ELNS1_3repE0EEENS1_48merge_mergepath_partition_config_static_selectorELNS0_4arch9wavefront6targetE0EEEvSL_
; %bb.0:
	.section	.rodata,"a",@progbits
	.p2align	6, 0x0
	.amdhsa_kernel _ZN7rocprim17ROCPRIM_400000_NS6detail17trampoline_kernelINS0_14default_configENS1_38merge_sort_block_merge_config_selectorIfNS0_10empty_typeEEEZZNS1_27merge_sort_block_merge_implIS3_N6thrust23THRUST_200600_302600_NS6detail15normal_iteratorINS9_10device_ptrIfEEEEPS5_jNS1_19radix_merge_compareILb0ELb0EfNS0_19identity_decomposerEEEEE10hipError_tT0_T1_T2_jT3_P12ihipStream_tbPNSt15iterator_traitsISK_E10value_typeEPNSQ_ISL_E10value_typeEPSM_NS1_7vsmem_tEENKUlT_SK_SL_SM_E_clIPfSE_SF_SF_EESJ_SZ_SK_SL_SM_EUlSZ_E_NS1_11comp_targetILNS1_3genE3ELNS1_11target_archE908ELNS1_3gpuE7ELNS1_3repE0EEENS1_48merge_mergepath_partition_config_static_selectorELNS0_4arch9wavefront6targetE0EEEvSL_
		.amdhsa_group_segment_fixed_size 0
		.amdhsa_private_segment_fixed_size 0
		.amdhsa_kernarg_size 40
		.amdhsa_user_sgpr_count 6
		.amdhsa_user_sgpr_private_segment_buffer 1
		.amdhsa_user_sgpr_dispatch_ptr 0
		.amdhsa_user_sgpr_queue_ptr 0
		.amdhsa_user_sgpr_kernarg_segment_ptr 1
		.amdhsa_user_sgpr_dispatch_id 0
		.amdhsa_user_sgpr_flat_scratch_init 0
		.amdhsa_user_sgpr_private_segment_size 0
		.amdhsa_wavefront_size32 1
		.amdhsa_uses_dynamic_stack 0
		.amdhsa_system_sgpr_private_segment_wavefront_offset 0
		.amdhsa_system_sgpr_workgroup_id_x 1
		.amdhsa_system_sgpr_workgroup_id_y 0
		.amdhsa_system_sgpr_workgroup_id_z 0
		.amdhsa_system_sgpr_workgroup_info 0
		.amdhsa_system_vgpr_workitem_id 0
		.amdhsa_next_free_vgpr 1
		.amdhsa_next_free_sgpr 1
		.amdhsa_reserve_vcc 0
		.amdhsa_reserve_flat_scratch 0
		.amdhsa_float_round_mode_32 0
		.amdhsa_float_round_mode_16_64 0
		.amdhsa_float_denorm_mode_32 3
		.amdhsa_float_denorm_mode_16_64 3
		.amdhsa_dx10_clamp 1
		.amdhsa_ieee_mode 1
		.amdhsa_fp16_overflow 0
		.amdhsa_workgroup_processor_mode 1
		.amdhsa_memory_ordered 1
		.amdhsa_forward_progress 1
		.amdhsa_shared_vgpr_count 0
		.amdhsa_exception_fp_ieee_invalid_op 0
		.amdhsa_exception_fp_denorm_src 0
		.amdhsa_exception_fp_ieee_div_zero 0
		.amdhsa_exception_fp_ieee_overflow 0
		.amdhsa_exception_fp_ieee_underflow 0
		.amdhsa_exception_fp_ieee_inexact 0
		.amdhsa_exception_int_div_zero 0
	.end_amdhsa_kernel
	.section	.text._ZN7rocprim17ROCPRIM_400000_NS6detail17trampoline_kernelINS0_14default_configENS1_38merge_sort_block_merge_config_selectorIfNS0_10empty_typeEEEZZNS1_27merge_sort_block_merge_implIS3_N6thrust23THRUST_200600_302600_NS6detail15normal_iteratorINS9_10device_ptrIfEEEEPS5_jNS1_19radix_merge_compareILb0ELb0EfNS0_19identity_decomposerEEEEE10hipError_tT0_T1_T2_jT3_P12ihipStream_tbPNSt15iterator_traitsISK_E10value_typeEPNSQ_ISL_E10value_typeEPSM_NS1_7vsmem_tEENKUlT_SK_SL_SM_E_clIPfSE_SF_SF_EESJ_SZ_SK_SL_SM_EUlSZ_E_NS1_11comp_targetILNS1_3genE3ELNS1_11target_archE908ELNS1_3gpuE7ELNS1_3repE0EEENS1_48merge_mergepath_partition_config_static_selectorELNS0_4arch9wavefront6targetE0EEEvSL_,"axG",@progbits,_ZN7rocprim17ROCPRIM_400000_NS6detail17trampoline_kernelINS0_14default_configENS1_38merge_sort_block_merge_config_selectorIfNS0_10empty_typeEEEZZNS1_27merge_sort_block_merge_implIS3_N6thrust23THRUST_200600_302600_NS6detail15normal_iteratorINS9_10device_ptrIfEEEEPS5_jNS1_19radix_merge_compareILb0ELb0EfNS0_19identity_decomposerEEEEE10hipError_tT0_T1_T2_jT3_P12ihipStream_tbPNSt15iterator_traitsISK_E10value_typeEPNSQ_ISL_E10value_typeEPSM_NS1_7vsmem_tEENKUlT_SK_SL_SM_E_clIPfSE_SF_SF_EESJ_SZ_SK_SL_SM_EUlSZ_E_NS1_11comp_targetILNS1_3genE3ELNS1_11target_archE908ELNS1_3gpuE7ELNS1_3repE0EEENS1_48merge_mergepath_partition_config_static_selectorELNS0_4arch9wavefront6targetE0EEEvSL_,comdat
.Lfunc_end479:
	.size	_ZN7rocprim17ROCPRIM_400000_NS6detail17trampoline_kernelINS0_14default_configENS1_38merge_sort_block_merge_config_selectorIfNS0_10empty_typeEEEZZNS1_27merge_sort_block_merge_implIS3_N6thrust23THRUST_200600_302600_NS6detail15normal_iteratorINS9_10device_ptrIfEEEEPS5_jNS1_19radix_merge_compareILb0ELb0EfNS0_19identity_decomposerEEEEE10hipError_tT0_T1_T2_jT3_P12ihipStream_tbPNSt15iterator_traitsISK_E10value_typeEPNSQ_ISL_E10value_typeEPSM_NS1_7vsmem_tEENKUlT_SK_SL_SM_E_clIPfSE_SF_SF_EESJ_SZ_SK_SL_SM_EUlSZ_E_NS1_11comp_targetILNS1_3genE3ELNS1_11target_archE908ELNS1_3gpuE7ELNS1_3repE0EEENS1_48merge_mergepath_partition_config_static_selectorELNS0_4arch9wavefront6targetE0EEEvSL_, .Lfunc_end479-_ZN7rocprim17ROCPRIM_400000_NS6detail17trampoline_kernelINS0_14default_configENS1_38merge_sort_block_merge_config_selectorIfNS0_10empty_typeEEEZZNS1_27merge_sort_block_merge_implIS3_N6thrust23THRUST_200600_302600_NS6detail15normal_iteratorINS9_10device_ptrIfEEEEPS5_jNS1_19radix_merge_compareILb0ELb0EfNS0_19identity_decomposerEEEEE10hipError_tT0_T1_T2_jT3_P12ihipStream_tbPNSt15iterator_traitsISK_E10value_typeEPNSQ_ISL_E10value_typeEPSM_NS1_7vsmem_tEENKUlT_SK_SL_SM_E_clIPfSE_SF_SF_EESJ_SZ_SK_SL_SM_EUlSZ_E_NS1_11comp_targetILNS1_3genE3ELNS1_11target_archE908ELNS1_3gpuE7ELNS1_3repE0EEENS1_48merge_mergepath_partition_config_static_selectorELNS0_4arch9wavefront6targetE0EEEvSL_
                                        ; -- End function
	.set _ZN7rocprim17ROCPRIM_400000_NS6detail17trampoline_kernelINS0_14default_configENS1_38merge_sort_block_merge_config_selectorIfNS0_10empty_typeEEEZZNS1_27merge_sort_block_merge_implIS3_N6thrust23THRUST_200600_302600_NS6detail15normal_iteratorINS9_10device_ptrIfEEEEPS5_jNS1_19radix_merge_compareILb0ELb0EfNS0_19identity_decomposerEEEEE10hipError_tT0_T1_T2_jT3_P12ihipStream_tbPNSt15iterator_traitsISK_E10value_typeEPNSQ_ISL_E10value_typeEPSM_NS1_7vsmem_tEENKUlT_SK_SL_SM_E_clIPfSE_SF_SF_EESJ_SZ_SK_SL_SM_EUlSZ_E_NS1_11comp_targetILNS1_3genE3ELNS1_11target_archE908ELNS1_3gpuE7ELNS1_3repE0EEENS1_48merge_mergepath_partition_config_static_selectorELNS0_4arch9wavefront6targetE0EEEvSL_.num_vgpr, 0
	.set _ZN7rocprim17ROCPRIM_400000_NS6detail17trampoline_kernelINS0_14default_configENS1_38merge_sort_block_merge_config_selectorIfNS0_10empty_typeEEEZZNS1_27merge_sort_block_merge_implIS3_N6thrust23THRUST_200600_302600_NS6detail15normal_iteratorINS9_10device_ptrIfEEEEPS5_jNS1_19radix_merge_compareILb0ELb0EfNS0_19identity_decomposerEEEEE10hipError_tT0_T1_T2_jT3_P12ihipStream_tbPNSt15iterator_traitsISK_E10value_typeEPNSQ_ISL_E10value_typeEPSM_NS1_7vsmem_tEENKUlT_SK_SL_SM_E_clIPfSE_SF_SF_EESJ_SZ_SK_SL_SM_EUlSZ_E_NS1_11comp_targetILNS1_3genE3ELNS1_11target_archE908ELNS1_3gpuE7ELNS1_3repE0EEENS1_48merge_mergepath_partition_config_static_selectorELNS0_4arch9wavefront6targetE0EEEvSL_.num_agpr, 0
	.set _ZN7rocprim17ROCPRIM_400000_NS6detail17trampoline_kernelINS0_14default_configENS1_38merge_sort_block_merge_config_selectorIfNS0_10empty_typeEEEZZNS1_27merge_sort_block_merge_implIS3_N6thrust23THRUST_200600_302600_NS6detail15normal_iteratorINS9_10device_ptrIfEEEEPS5_jNS1_19radix_merge_compareILb0ELb0EfNS0_19identity_decomposerEEEEE10hipError_tT0_T1_T2_jT3_P12ihipStream_tbPNSt15iterator_traitsISK_E10value_typeEPNSQ_ISL_E10value_typeEPSM_NS1_7vsmem_tEENKUlT_SK_SL_SM_E_clIPfSE_SF_SF_EESJ_SZ_SK_SL_SM_EUlSZ_E_NS1_11comp_targetILNS1_3genE3ELNS1_11target_archE908ELNS1_3gpuE7ELNS1_3repE0EEENS1_48merge_mergepath_partition_config_static_selectorELNS0_4arch9wavefront6targetE0EEEvSL_.numbered_sgpr, 0
	.set _ZN7rocprim17ROCPRIM_400000_NS6detail17trampoline_kernelINS0_14default_configENS1_38merge_sort_block_merge_config_selectorIfNS0_10empty_typeEEEZZNS1_27merge_sort_block_merge_implIS3_N6thrust23THRUST_200600_302600_NS6detail15normal_iteratorINS9_10device_ptrIfEEEEPS5_jNS1_19radix_merge_compareILb0ELb0EfNS0_19identity_decomposerEEEEE10hipError_tT0_T1_T2_jT3_P12ihipStream_tbPNSt15iterator_traitsISK_E10value_typeEPNSQ_ISL_E10value_typeEPSM_NS1_7vsmem_tEENKUlT_SK_SL_SM_E_clIPfSE_SF_SF_EESJ_SZ_SK_SL_SM_EUlSZ_E_NS1_11comp_targetILNS1_3genE3ELNS1_11target_archE908ELNS1_3gpuE7ELNS1_3repE0EEENS1_48merge_mergepath_partition_config_static_selectorELNS0_4arch9wavefront6targetE0EEEvSL_.num_named_barrier, 0
	.set _ZN7rocprim17ROCPRIM_400000_NS6detail17trampoline_kernelINS0_14default_configENS1_38merge_sort_block_merge_config_selectorIfNS0_10empty_typeEEEZZNS1_27merge_sort_block_merge_implIS3_N6thrust23THRUST_200600_302600_NS6detail15normal_iteratorINS9_10device_ptrIfEEEEPS5_jNS1_19radix_merge_compareILb0ELb0EfNS0_19identity_decomposerEEEEE10hipError_tT0_T1_T2_jT3_P12ihipStream_tbPNSt15iterator_traitsISK_E10value_typeEPNSQ_ISL_E10value_typeEPSM_NS1_7vsmem_tEENKUlT_SK_SL_SM_E_clIPfSE_SF_SF_EESJ_SZ_SK_SL_SM_EUlSZ_E_NS1_11comp_targetILNS1_3genE3ELNS1_11target_archE908ELNS1_3gpuE7ELNS1_3repE0EEENS1_48merge_mergepath_partition_config_static_selectorELNS0_4arch9wavefront6targetE0EEEvSL_.private_seg_size, 0
	.set _ZN7rocprim17ROCPRIM_400000_NS6detail17trampoline_kernelINS0_14default_configENS1_38merge_sort_block_merge_config_selectorIfNS0_10empty_typeEEEZZNS1_27merge_sort_block_merge_implIS3_N6thrust23THRUST_200600_302600_NS6detail15normal_iteratorINS9_10device_ptrIfEEEEPS5_jNS1_19radix_merge_compareILb0ELb0EfNS0_19identity_decomposerEEEEE10hipError_tT0_T1_T2_jT3_P12ihipStream_tbPNSt15iterator_traitsISK_E10value_typeEPNSQ_ISL_E10value_typeEPSM_NS1_7vsmem_tEENKUlT_SK_SL_SM_E_clIPfSE_SF_SF_EESJ_SZ_SK_SL_SM_EUlSZ_E_NS1_11comp_targetILNS1_3genE3ELNS1_11target_archE908ELNS1_3gpuE7ELNS1_3repE0EEENS1_48merge_mergepath_partition_config_static_selectorELNS0_4arch9wavefront6targetE0EEEvSL_.uses_vcc, 0
	.set _ZN7rocprim17ROCPRIM_400000_NS6detail17trampoline_kernelINS0_14default_configENS1_38merge_sort_block_merge_config_selectorIfNS0_10empty_typeEEEZZNS1_27merge_sort_block_merge_implIS3_N6thrust23THRUST_200600_302600_NS6detail15normal_iteratorINS9_10device_ptrIfEEEEPS5_jNS1_19radix_merge_compareILb0ELb0EfNS0_19identity_decomposerEEEEE10hipError_tT0_T1_T2_jT3_P12ihipStream_tbPNSt15iterator_traitsISK_E10value_typeEPNSQ_ISL_E10value_typeEPSM_NS1_7vsmem_tEENKUlT_SK_SL_SM_E_clIPfSE_SF_SF_EESJ_SZ_SK_SL_SM_EUlSZ_E_NS1_11comp_targetILNS1_3genE3ELNS1_11target_archE908ELNS1_3gpuE7ELNS1_3repE0EEENS1_48merge_mergepath_partition_config_static_selectorELNS0_4arch9wavefront6targetE0EEEvSL_.uses_flat_scratch, 0
	.set _ZN7rocprim17ROCPRIM_400000_NS6detail17trampoline_kernelINS0_14default_configENS1_38merge_sort_block_merge_config_selectorIfNS0_10empty_typeEEEZZNS1_27merge_sort_block_merge_implIS3_N6thrust23THRUST_200600_302600_NS6detail15normal_iteratorINS9_10device_ptrIfEEEEPS5_jNS1_19radix_merge_compareILb0ELb0EfNS0_19identity_decomposerEEEEE10hipError_tT0_T1_T2_jT3_P12ihipStream_tbPNSt15iterator_traitsISK_E10value_typeEPNSQ_ISL_E10value_typeEPSM_NS1_7vsmem_tEENKUlT_SK_SL_SM_E_clIPfSE_SF_SF_EESJ_SZ_SK_SL_SM_EUlSZ_E_NS1_11comp_targetILNS1_3genE3ELNS1_11target_archE908ELNS1_3gpuE7ELNS1_3repE0EEENS1_48merge_mergepath_partition_config_static_selectorELNS0_4arch9wavefront6targetE0EEEvSL_.has_dyn_sized_stack, 0
	.set _ZN7rocprim17ROCPRIM_400000_NS6detail17trampoline_kernelINS0_14default_configENS1_38merge_sort_block_merge_config_selectorIfNS0_10empty_typeEEEZZNS1_27merge_sort_block_merge_implIS3_N6thrust23THRUST_200600_302600_NS6detail15normal_iteratorINS9_10device_ptrIfEEEEPS5_jNS1_19radix_merge_compareILb0ELb0EfNS0_19identity_decomposerEEEEE10hipError_tT0_T1_T2_jT3_P12ihipStream_tbPNSt15iterator_traitsISK_E10value_typeEPNSQ_ISL_E10value_typeEPSM_NS1_7vsmem_tEENKUlT_SK_SL_SM_E_clIPfSE_SF_SF_EESJ_SZ_SK_SL_SM_EUlSZ_E_NS1_11comp_targetILNS1_3genE3ELNS1_11target_archE908ELNS1_3gpuE7ELNS1_3repE0EEENS1_48merge_mergepath_partition_config_static_selectorELNS0_4arch9wavefront6targetE0EEEvSL_.has_recursion, 0
	.set _ZN7rocprim17ROCPRIM_400000_NS6detail17trampoline_kernelINS0_14default_configENS1_38merge_sort_block_merge_config_selectorIfNS0_10empty_typeEEEZZNS1_27merge_sort_block_merge_implIS3_N6thrust23THRUST_200600_302600_NS6detail15normal_iteratorINS9_10device_ptrIfEEEEPS5_jNS1_19radix_merge_compareILb0ELb0EfNS0_19identity_decomposerEEEEE10hipError_tT0_T1_T2_jT3_P12ihipStream_tbPNSt15iterator_traitsISK_E10value_typeEPNSQ_ISL_E10value_typeEPSM_NS1_7vsmem_tEENKUlT_SK_SL_SM_E_clIPfSE_SF_SF_EESJ_SZ_SK_SL_SM_EUlSZ_E_NS1_11comp_targetILNS1_3genE3ELNS1_11target_archE908ELNS1_3gpuE7ELNS1_3repE0EEENS1_48merge_mergepath_partition_config_static_selectorELNS0_4arch9wavefront6targetE0EEEvSL_.has_indirect_call, 0
	.section	.AMDGPU.csdata,"",@progbits
; Kernel info:
; codeLenInByte = 0
; TotalNumSgprs: 0
; NumVgprs: 0
; ScratchSize: 0
; MemoryBound: 0
; FloatMode: 240
; IeeeMode: 1
; LDSByteSize: 0 bytes/workgroup (compile time only)
; SGPRBlocks: 0
; VGPRBlocks: 0
; NumSGPRsForWavesPerEU: 1
; NumVGPRsForWavesPerEU: 1
; Occupancy: 16
; WaveLimiterHint : 0
; COMPUTE_PGM_RSRC2:SCRATCH_EN: 0
; COMPUTE_PGM_RSRC2:USER_SGPR: 6
; COMPUTE_PGM_RSRC2:TRAP_HANDLER: 0
; COMPUTE_PGM_RSRC2:TGID_X_EN: 1
; COMPUTE_PGM_RSRC2:TGID_Y_EN: 0
; COMPUTE_PGM_RSRC2:TGID_Z_EN: 0
; COMPUTE_PGM_RSRC2:TIDIG_COMP_CNT: 0
	.section	.text._ZN7rocprim17ROCPRIM_400000_NS6detail17trampoline_kernelINS0_14default_configENS1_38merge_sort_block_merge_config_selectorIfNS0_10empty_typeEEEZZNS1_27merge_sort_block_merge_implIS3_N6thrust23THRUST_200600_302600_NS6detail15normal_iteratorINS9_10device_ptrIfEEEEPS5_jNS1_19radix_merge_compareILb0ELb0EfNS0_19identity_decomposerEEEEE10hipError_tT0_T1_T2_jT3_P12ihipStream_tbPNSt15iterator_traitsISK_E10value_typeEPNSQ_ISL_E10value_typeEPSM_NS1_7vsmem_tEENKUlT_SK_SL_SM_E_clIPfSE_SF_SF_EESJ_SZ_SK_SL_SM_EUlSZ_E_NS1_11comp_targetILNS1_3genE2ELNS1_11target_archE906ELNS1_3gpuE6ELNS1_3repE0EEENS1_48merge_mergepath_partition_config_static_selectorELNS0_4arch9wavefront6targetE0EEEvSL_,"axG",@progbits,_ZN7rocprim17ROCPRIM_400000_NS6detail17trampoline_kernelINS0_14default_configENS1_38merge_sort_block_merge_config_selectorIfNS0_10empty_typeEEEZZNS1_27merge_sort_block_merge_implIS3_N6thrust23THRUST_200600_302600_NS6detail15normal_iteratorINS9_10device_ptrIfEEEEPS5_jNS1_19radix_merge_compareILb0ELb0EfNS0_19identity_decomposerEEEEE10hipError_tT0_T1_T2_jT3_P12ihipStream_tbPNSt15iterator_traitsISK_E10value_typeEPNSQ_ISL_E10value_typeEPSM_NS1_7vsmem_tEENKUlT_SK_SL_SM_E_clIPfSE_SF_SF_EESJ_SZ_SK_SL_SM_EUlSZ_E_NS1_11comp_targetILNS1_3genE2ELNS1_11target_archE906ELNS1_3gpuE6ELNS1_3repE0EEENS1_48merge_mergepath_partition_config_static_selectorELNS0_4arch9wavefront6targetE0EEEvSL_,comdat
	.protected	_ZN7rocprim17ROCPRIM_400000_NS6detail17trampoline_kernelINS0_14default_configENS1_38merge_sort_block_merge_config_selectorIfNS0_10empty_typeEEEZZNS1_27merge_sort_block_merge_implIS3_N6thrust23THRUST_200600_302600_NS6detail15normal_iteratorINS9_10device_ptrIfEEEEPS5_jNS1_19radix_merge_compareILb0ELb0EfNS0_19identity_decomposerEEEEE10hipError_tT0_T1_T2_jT3_P12ihipStream_tbPNSt15iterator_traitsISK_E10value_typeEPNSQ_ISL_E10value_typeEPSM_NS1_7vsmem_tEENKUlT_SK_SL_SM_E_clIPfSE_SF_SF_EESJ_SZ_SK_SL_SM_EUlSZ_E_NS1_11comp_targetILNS1_3genE2ELNS1_11target_archE906ELNS1_3gpuE6ELNS1_3repE0EEENS1_48merge_mergepath_partition_config_static_selectorELNS0_4arch9wavefront6targetE0EEEvSL_ ; -- Begin function _ZN7rocprim17ROCPRIM_400000_NS6detail17trampoline_kernelINS0_14default_configENS1_38merge_sort_block_merge_config_selectorIfNS0_10empty_typeEEEZZNS1_27merge_sort_block_merge_implIS3_N6thrust23THRUST_200600_302600_NS6detail15normal_iteratorINS9_10device_ptrIfEEEEPS5_jNS1_19radix_merge_compareILb0ELb0EfNS0_19identity_decomposerEEEEE10hipError_tT0_T1_T2_jT3_P12ihipStream_tbPNSt15iterator_traitsISK_E10value_typeEPNSQ_ISL_E10value_typeEPSM_NS1_7vsmem_tEENKUlT_SK_SL_SM_E_clIPfSE_SF_SF_EESJ_SZ_SK_SL_SM_EUlSZ_E_NS1_11comp_targetILNS1_3genE2ELNS1_11target_archE906ELNS1_3gpuE6ELNS1_3repE0EEENS1_48merge_mergepath_partition_config_static_selectorELNS0_4arch9wavefront6targetE0EEEvSL_
	.globl	_ZN7rocprim17ROCPRIM_400000_NS6detail17trampoline_kernelINS0_14default_configENS1_38merge_sort_block_merge_config_selectorIfNS0_10empty_typeEEEZZNS1_27merge_sort_block_merge_implIS3_N6thrust23THRUST_200600_302600_NS6detail15normal_iteratorINS9_10device_ptrIfEEEEPS5_jNS1_19radix_merge_compareILb0ELb0EfNS0_19identity_decomposerEEEEE10hipError_tT0_T1_T2_jT3_P12ihipStream_tbPNSt15iterator_traitsISK_E10value_typeEPNSQ_ISL_E10value_typeEPSM_NS1_7vsmem_tEENKUlT_SK_SL_SM_E_clIPfSE_SF_SF_EESJ_SZ_SK_SL_SM_EUlSZ_E_NS1_11comp_targetILNS1_3genE2ELNS1_11target_archE906ELNS1_3gpuE6ELNS1_3repE0EEENS1_48merge_mergepath_partition_config_static_selectorELNS0_4arch9wavefront6targetE0EEEvSL_
	.p2align	8
	.type	_ZN7rocprim17ROCPRIM_400000_NS6detail17trampoline_kernelINS0_14default_configENS1_38merge_sort_block_merge_config_selectorIfNS0_10empty_typeEEEZZNS1_27merge_sort_block_merge_implIS3_N6thrust23THRUST_200600_302600_NS6detail15normal_iteratorINS9_10device_ptrIfEEEEPS5_jNS1_19radix_merge_compareILb0ELb0EfNS0_19identity_decomposerEEEEE10hipError_tT0_T1_T2_jT3_P12ihipStream_tbPNSt15iterator_traitsISK_E10value_typeEPNSQ_ISL_E10value_typeEPSM_NS1_7vsmem_tEENKUlT_SK_SL_SM_E_clIPfSE_SF_SF_EESJ_SZ_SK_SL_SM_EUlSZ_E_NS1_11comp_targetILNS1_3genE2ELNS1_11target_archE906ELNS1_3gpuE6ELNS1_3repE0EEENS1_48merge_mergepath_partition_config_static_selectorELNS0_4arch9wavefront6targetE0EEEvSL_,@function
_ZN7rocprim17ROCPRIM_400000_NS6detail17trampoline_kernelINS0_14default_configENS1_38merge_sort_block_merge_config_selectorIfNS0_10empty_typeEEEZZNS1_27merge_sort_block_merge_implIS3_N6thrust23THRUST_200600_302600_NS6detail15normal_iteratorINS9_10device_ptrIfEEEEPS5_jNS1_19radix_merge_compareILb0ELb0EfNS0_19identity_decomposerEEEEE10hipError_tT0_T1_T2_jT3_P12ihipStream_tbPNSt15iterator_traitsISK_E10value_typeEPNSQ_ISL_E10value_typeEPSM_NS1_7vsmem_tEENKUlT_SK_SL_SM_E_clIPfSE_SF_SF_EESJ_SZ_SK_SL_SM_EUlSZ_E_NS1_11comp_targetILNS1_3genE2ELNS1_11target_archE906ELNS1_3gpuE6ELNS1_3repE0EEENS1_48merge_mergepath_partition_config_static_selectorELNS0_4arch9wavefront6targetE0EEEvSL_: ; @_ZN7rocprim17ROCPRIM_400000_NS6detail17trampoline_kernelINS0_14default_configENS1_38merge_sort_block_merge_config_selectorIfNS0_10empty_typeEEEZZNS1_27merge_sort_block_merge_implIS3_N6thrust23THRUST_200600_302600_NS6detail15normal_iteratorINS9_10device_ptrIfEEEEPS5_jNS1_19radix_merge_compareILb0ELb0EfNS0_19identity_decomposerEEEEE10hipError_tT0_T1_T2_jT3_P12ihipStream_tbPNSt15iterator_traitsISK_E10value_typeEPNSQ_ISL_E10value_typeEPSM_NS1_7vsmem_tEENKUlT_SK_SL_SM_E_clIPfSE_SF_SF_EESJ_SZ_SK_SL_SM_EUlSZ_E_NS1_11comp_targetILNS1_3genE2ELNS1_11target_archE906ELNS1_3gpuE6ELNS1_3repE0EEENS1_48merge_mergepath_partition_config_static_selectorELNS0_4arch9wavefront6targetE0EEEvSL_
; %bb.0:
	.section	.rodata,"a",@progbits
	.p2align	6, 0x0
	.amdhsa_kernel _ZN7rocprim17ROCPRIM_400000_NS6detail17trampoline_kernelINS0_14default_configENS1_38merge_sort_block_merge_config_selectorIfNS0_10empty_typeEEEZZNS1_27merge_sort_block_merge_implIS3_N6thrust23THRUST_200600_302600_NS6detail15normal_iteratorINS9_10device_ptrIfEEEEPS5_jNS1_19radix_merge_compareILb0ELb0EfNS0_19identity_decomposerEEEEE10hipError_tT0_T1_T2_jT3_P12ihipStream_tbPNSt15iterator_traitsISK_E10value_typeEPNSQ_ISL_E10value_typeEPSM_NS1_7vsmem_tEENKUlT_SK_SL_SM_E_clIPfSE_SF_SF_EESJ_SZ_SK_SL_SM_EUlSZ_E_NS1_11comp_targetILNS1_3genE2ELNS1_11target_archE906ELNS1_3gpuE6ELNS1_3repE0EEENS1_48merge_mergepath_partition_config_static_selectorELNS0_4arch9wavefront6targetE0EEEvSL_
		.amdhsa_group_segment_fixed_size 0
		.amdhsa_private_segment_fixed_size 0
		.amdhsa_kernarg_size 40
		.amdhsa_user_sgpr_count 6
		.amdhsa_user_sgpr_private_segment_buffer 1
		.amdhsa_user_sgpr_dispatch_ptr 0
		.amdhsa_user_sgpr_queue_ptr 0
		.amdhsa_user_sgpr_kernarg_segment_ptr 1
		.amdhsa_user_sgpr_dispatch_id 0
		.amdhsa_user_sgpr_flat_scratch_init 0
		.amdhsa_user_sgpr_private_segment_size 0
		.amdhsa_wavefront_size32 1
		.amdhsa_uses_dynamic_stack 0
		.amdhsa_system_sgpr_private_segment_wavefront_offset 0
		.amdhsa_system_sgpr_workgroup_id_x 1
		.amdhsa_system_sgpr_workgroup_id_y 0
		.amdhsa_system_sgpr_workgroup_id_z 0
		.amdhsa_system_sgpr_workgroup_info 0
		.amdhsa_system_vgpr_workitem_id 0
		.amdhsa_next_free_vgpr 1
		.amdhsa_next_free_sgpr 1
		.amdhsa_reserve_vcc 0
		.amdhsa_reserve_flat_scratch 0
		.amdhsa_float_round_mode_32 0
		.amdhsa_float_round_mode_16_64 0
		.amdhsa_float_denorm_mode_32 3
		.amdhsa_float_denorm_mode_16_64 3
		.amdhsa_dx10_clamp 1
		.amdhsa_ieee_mode 1
		.amdhsa_fp16_overflow 0
		.amdhsa_workgroup_processor_mode 1
		.amdhsa_memory_ordered 1
		.amdhsa_forward_progress 1
		.amdhsa_shared_vgpr_count 0
		.amdhsa_exception_fp_ieee_invalid_op 0
		.amdhsa_exception_fp_denorm_src 0
		.amdhsa_exception_fp_ieee_div_zero 0
		.amdhsa_exception_fp_ieee_overflow 0
		.amdhsa_exception_fp_ieee_underflow 0
		.amdhsa_exception_fp_ieee_inexact 0
		.amdhsa_exception_int_div_zero 0
	.end_amdhsa_kernel
	.section	.text._ZN7rocprim17ROCPRIM_400000_NS6detail17trampoline_kernelINS0_14default_configENS1_38merge_sort_block_merge_config_selectorIfNS0_10empty_typeEEEZZNS1_27merge_sort_block_merge_implIS3_N6thrust23THRUST_200600_302600_NS6detail15normal_iteratorINS9_10device_ptrIfEEEEPS5_jNS1_19radix_merge_compareILb0ELb0EfNS0_19identity_decomposerEEEEE10hipError_tT0_T1_T2_jT3_P12ihipStream_tbPNSt15iterator_traitsISK_E10value_typeEPNSQ_ISL_E10value_typeEPSM_NS1_7vsmem_tEENKUlT_SK_SL_SM_E_clIPfSE_SF_SF_EESJ_SZ_SK_SL_SM_EUlSZ_E_NS1_11comp_targetILNS1_3genE2ELNS1_11target_archE906ELNS1_3gpuE6ELNS1_3repE0EEENS1_48merge_mergepath_partition_config_static_selectorELNS0_4arch9wavefront6targetE0EEEvSL_,"axG",@progbits,_ZN7rocprim17ROCPRIM_400000_NS6detail17trampoline_kernelINS0_14default_configENS1_38merge_sort_block_merge_config_selectorIfNS0_10empty_typeEEEZZNS1_27merge_sort_block_merge_implIS3_N6thrust23THRUST_200600_302600_NS6detail15normal_iteratorINS9_10device_ptrIfEEEEPS5_jNS1_19radix_merge_compareILb0ELb0EfNS0_19identity_decomposerEEEEE10hipError_tT0_T1_T2_jT3_P12ihipStream_tbPNSt15iterator_traitsISK_E10value_typeEPNSQ_ISL_E10value_typeEPSM_NS1_7vsmem_tEENKUlT_SK_SL_SM_E_clIPfSE_SF_SF_EESJ_SZ_SK_SL_SM_EUlSZ_E_NS1_11comp_targetILNS1_3genE2ELNS1_11target_archE906ELNS1_3gpuE6ELNS1_3repE0EEENS1_48merge_mergepath_partition_config_static_selectorELNS0_4arch9wavefront6targetE0EEEvSL_,comdat
.Lfunc_end480:
	.size	_ZN7rocprim17ROCPRIM_400000_NS6detail17trampoline_kernelINS0_14default_configENS1_38merge_sort_block_merge_config_selectorIfNS0_10empty_typeEEEZZNS1_27merge_sort_block_merge_implIS3_N6thrust23THRUST_200600_302600_NS6detail15normal_iteratorINS9_10device_ptrIfEEEEPS5_jNS1_19radix_merge_compareILb0ELb0EfNS0_19identity_decomposerEEEEE10hipError_tT0_T1_T2_jT3_P12ihipStream_tbPNSt15iterator_traitsISK_E10value_typeEPNSQ_ISL_E10value_typeEPSM_NS1_7vsmem_tEENKUlT_SK_SL_SM_E_clIPfSE_SF_SF_EESJ_SZ_SK_SL_SM_EUlSZ_E_NS1_11comp_targetILNS1_3genE2ELNS1_11target_archE906ELNS1_3gpuE6ELNS1_3repE0EEENS1_48merge_mergepath_partition_config_static_selectorELNS0_4arch9wavefront6targetE0EEEvSL_, .Lfunc_end480-_ZN7rocprim17ROCPRIM_400000_NS6detail17trampoline_kernelINS0_14default_configENS1_38merge_sort_block_merge_config_selectorIfNS0_10empty_typeEEEZZNS1_27merge_sort_block_merge_implIS3_N6thrust23THRUST_200600_302600_NS6detail15normal_iteratorINS9_10device_ptrIfEEEEPS5_jNS1_19radix_merge_compareILb0ELb0EfNS0_19identity_decomposerEEEEE10hipError_tT0_T1_T2_jT3_P12ihipStream_tbPNSt15iterator_traitsISK_E10value_typeEPNSQ_ISL_E10value_typeEPSM_NS1_7vsmem_tEENKUlT_SK_SL_SM_E_clIPfSE_SF_SF_EESJ_SZ_SK_SL_SM_EUlSZ_E_NS1_11comp_targetILNS1_3genE2ELNS1_11target_archE906ELNS1_3gpuE6ELNS1_3repE0EEENS1_48merge_mergepath_partition_config_static_selectorELNS0_4arch9wavefront6targetE0EEEvSL_
                                        ; -- End function
	.set _ZN7rocprim17ROCPRIM_400000_NS6detail17trampoline_kernelINS0_14default_configENS1_38merge_sort_block_merge_config_selectorIfNS0_10empty_typeEEEZZNS1_27merge_sort_block_merge_implIS3_N6thrust23THRUST_200600_302600_NS6detail15normal_iteratorINS9_10device_ptrIfEEEEPS5_jNS1_19radix_merge_compareILb0ELb0EfNS0_19identity_decomposerEEEEE10hipError_tT0_T1_T2_jT3_P12ihipStream_tbPNSt15iterator_traitsISK_E10value_typeEPNSQ_ISL_E10value_typeEPSM_NS1_7vsmem_tEENKUlT_SK_SL_SM_E_clIPfSE_SF_SF_EESJ_SZ_SK_SL_SM_EUlSZ_E_NS1_11comp_targetILNS1_3genE2ELNS1_11target_archE906ELNS1_3gpuE6ELNS1_3repE0EEENS1_48merge_mergepath_partition_config_static_selectorELNS0_4arch9wavefront6targetE0EEEvSL_.num_vgpr, 0
	.set _ZN7rocprim17ROCPRIM_400000_NS6detail17trampoline_kernelINS0_14default_configENS1_38merge_sort_block_merge_config_selectorIfNS0_10empty_typeEEEZZNS1_27merge_sort_block_merge_implIS3_N6thrust23THRUST_200600_302600_NS6detail15normal_iteratorINS9_10device_ptrIfEEEEPS5_jNS1_19radix_merge_compareILb0ELb0EfNS0_19identity_decomposerEEEEE10hipError_tT0_T1_T2_jT3_P12ihipStream_tbPNSt15iterator_traitsISK_E10value_typeEPNSQ_ISL_E10value_typeEPSM_NS1_7vsmem_tEENKUlT_SK_SL_SM_E_clIPfSE_SF_SF_EESJ_SZ_SK_SL_SM_EUlSZ_E_NS1_11comp_targetILNS1_3genE2ELNS1_11target_archE906ELNS1_3gpuE6ELNS1_3repE0EEENS1_48merge_mergepath_partition_config_static_selectorELNS0_4arch9wavefront6targetE0EEEvSL_.num_agpr, 0
	.set _ZN7rocprim17ROCPRIM_400000_NS6detail17trampoline_kernelINS0_14default_configENS1_38merge_sort_block_merge_config_selectorIfNS0_10empty_typeEEEZZNS1_27merge_sort_block_merge_implIS3_N6thrust23THRUST_200600_302600_NS6detail15normal_iteratorINS9_10device_ptrIfEEEEPS5_jNS1_19radix_merge_compareILb0ELb0EfNS0_19identity_decomposerEEEEE10hipError_tT0_T1_T2_jT3_P12ihipStream_tbPNSt15iterator_traitsISK_E10value_typeEPNSQ_ISL_E10value_typeEPSM_NS1_7vsmem_tEENKUlT_SK_SL_SM_E_clIPfSE_SF_SF_EESJ_SZ_SK_SL_SM_EUlSZ_E_NS1_11comp_targetILNS1_3genE2ELNS1_11target_archE906ELNS1_3gpuE6ELNS1_3repE0EEENS1_48merge_mergepath_partition_config_static_selectorELNS0_4arch9wavefront6targetE0EEEvSL_.numbered_sgpr, 0
	.set _ZN7rocprim17ROCPRIM_400000_NS6detail17trampoline_kernelINS0_14default_configENS1_38merge_sort_block_merge_config_selectorIfNS0_10empty_typeEEEZZNS1_27merge_sort_block_merge_implIS3_N6thrust23THRUST_200600_302600_NS6detail15normal_iteratorINS9_10device_ptrIfEEEEPS5_jNS1_19radix_merge_compareILb0ELb0EfNS0_19identity_decomposerEEEEE10hipError_tT0_T1_T2_jT3_P12ihipStream_tbPNSt15iterator_traitsISK_E10value_typeEPNSQ_ISL_E10value_typeEPSM_NS1_7vsmem_tEENKUlT_SK_SL_SM_E_clIPfSE_SF_SF_EESJ_SZ_SK_SL_SM_EUlSZ_E_NS1_11comp_targetILNS1_3genE2ELNS1_11target_archE906ELNS1_3gpuE6ELNS1_3repE0EEENS1_48merge_mergepath_partition_config_static_selectorELNS0_4arch9wavefront6targetE0EEEvSL_.num_named_barrier, 0
	.set _ZN7rocprim17ROCPRIM_400000_NS6detail17trampoline_kernelINS0_14default_configENS1_38merge_sort_block_merge_config_selectorIfNS0_10empty_typeEEEZZNS1_27merge_sort_block_merge_implIS3_N6thrust23THRUST_200600_302600_NS6detail15normal_iteratorINS9_10device_ptrIfEEEEPS5_jNS1_19radix_merge_compareILb0ELb0EfNS0_19identity_decomposerEEEEE10hipError_tT0_T1_T2_jT3_P12ihipStream_tbPNSt15iterator_traitsISK_E10value_typeEPNSQ_ISL_E10value_typeEPSM_NS1_7vsmem_tEENKUlT_SK_SL_SM_E_clIPfSE_SF_SF_EESJ_SZ_SK_SL_SM_EUlSZ_E_NS1_11comp_targetILNS1_3genE2ELNS1_11target_archE906ELNS1_3gpuE6ELNS1_3repE0EEENS1_48merge_mergepath_partition_config_static_selectorELNS0_4arch9wavefront6targetE0EEEvSL_.private_seg_size, 0
	.set _ZN7rocprim17ROCPRIM_400000_NS6detail17trampoline_kernelINS0_14default_configENS1_38merge_sort_block_merge_config_selectorIfNS0_10empty_typeEEEZZNS1_27merge_sort_block_merge_implIS3_N6thrust23THRUST_200600_302600_NS6detail15normal_iteratorINS9_10device_ptrIfEEEEPS5_jNS1_19radix_merge_compareILb0ELb0EfNS0_19identity_decomposerEEEEE10hipError_tT0_T1_T2_jT3_P12ihipStream_tbPNSt15iterator_traitsISK_E10value_typeEPNSQ_ISL_E10value_typeEPSM_NS1_7vsmem_tEENKUlT_SK_SL_SM_E_clIPfSE_SF_SF_EESJ_SZ_SK_SL_SM_EUlSZ_E_NS1_11comp_targetILNS1_3genE2ELNS1_11target_archE906ELNS1_3gpuE6ELNS1_3repE0EEENS1_48merge_mergepath_partition_config_static_selectorELNS0_4arch9wavefront6targetE0EEEvSL_.uses_vcc, 0
	.set _ZN7rocprim17ROCPRIM_400000_NS6detail17trampoline_kernelINS0_14default_configENS1_38merge_sort_block_merge_config_selectorIfNS0_10empty_typeEEEZZNS1_27merge_sort_block_merge_implIS3_N6thrust23THRUST_200600_302600_NS6detail15normal_iteratorINS9_10device_ptrIfEEEEPS5_jNS1_19radix_merge_compareILb0ELb0EfNS0_19identity_decomposerEEEEE10hipError_tT0_T1_T2_jT3_P12ihipStream_tbPNSt15iterator_traitsISK_E10value_typeEPNSQ_ISL_E10value_typeEPSM_NS1_7vsmem_tEENKUlT_SK_SL_SM_E_clIPfSE_SF_SF_EESJ_SZ_SK_SL_SM_EUlSZ_E_NS1_11comp_targetILNS1_3genE2ELNS1_11target_archE906ELNS1_3gpuE6ELNS1_3repE0EEENS1_48merge_mergepath_partition_config_static_selectorELNS0_4arch9wavefront6targetE0EEEvSL_.uses_flat_scratch, 0
	.set _ZN7rocprim17ROCPRIM_400000_NS6detail17trampoline_kernelINS0_14default_configENS1_38merge_sort_block_merge_config_selectorIfNS0_10empty_typeEEEZZNS1_27merge_sort_block_merge_implIS3_N6thrust23THRUST_200600_302600_NS6detail15normal_iteratorINS9_10device_ptrIfEEEEPS5_jNS1_19radix_merge_compareILb0ELb0EfNS0_19identity_decomposerEEEEE10hipError_tT0_T1_T2_jT3_P12ihipStream_tbPNSt15iterator_traitsISK_E10value_typeEPNSQ_ISL_E10value_typeEPSM_NS1_7vsmem_tEENKUlT_SK_SL_SM_E_clIPfSE_SF_SF_EESJ_SZ_SK_SL_SM_EUlSZ_E_NS1_11comp_targetILNS1_3genE2ELNS1_11target_archE906ELNS1_3gpuE6ELNS1_3repE0EEENS1_48merge_mergepath_partition_config_static_selectorELNS0_4arch9wavefront6targetE0EEEvSL_.has_dyn_sized_stack, 0
	.set _ZN7rocprim17ROCPRIM_400000_NS6detail17trampoline_kernelINS0_14default_configENS1_38merge_sort_block_merge_config_selectorIfNS0_10empty_typeEEEZZNS1_27merge_sort_block_merge_implIS3_N6thrust23THRUST_200600_302600_NS6detail15normal_iteratorINS9_10device_ptrIfEEEEPS5_jNS1_19radix_merge_compareILb0ELb0EfNS0_19identity_decomposerEEEEE10hipError_tT0_T1_T2_jT3_P12ihipStream_tbPNSt15iterator_traitsISK_E10value_typeEPNSQ_ISL_E10value_typeEPSM_NS1_7vsmem_tEENKUlT_SK_SL_SM_E_clIPfSE_SF_SF_EESJ_SZ_SK_SL_SM_EUlSZ_E_NS1_11comp_targetILNS1_3genE2ELNS1_11target_archE906ELNS1_3gpuE6ELNS1_3repE0EEENS1_48merge_mergepath_partition_config_static_selectorELNS0_4arch9wavefront6targetE0EEEvSL_.has_recursion, 0
	.set _ZN7rocprim17ROCPRIM_400000_NS6detail17trampoline_kernelINS0_14default_configENS1_38merge_sort_block_merge_config_selectorIfNS0_10empty_typeEEEZZNS1_27merge_sort_block_merge_implIS3_N6thrust23THRUST_200600_302600_NS6detail15normal_iteratorINS9_10device_ptrIfEEEEPS5_jNS1_19radix_merge_compareILb0ELb0EfNS0_19identity_decomposerEEEEE10hipError_tT0_T1_T2_jT3_P12ihipStream_tbPNSt15iterator_traitsISK_E10value_typeEPNSQ_ISL_E10value_typeEPSM_NS1_7vsmem_tEENKUlT_SK_SL_SM_E_clIPfSE_SF_SF_EESJ_SZ_SK_SL_SM_EUlSZ_E_NS1_11comp_targetILNS1_3genE2ELNS1_11target_archE906ELNS1_3gpuE6ELNS1_3repE0EEENS1_48merge_mergepath_partition_config_static_selectorELNS0_4arch9wavefront6targetE0EEEvSL_.has_indirect_call, 0
	.section	.AMDGPU.csdata,"",@progbits
; Kernel info:
; codeLenInByte = 0
; TotalNumSgprs: 0
; NumVgprs: 0
; ScratchSize: 0
; MemoryBound: 0
; FloatMode: 240
; IeeeMode: 1
; LDSByteSize: 0 bytes/workgroup (compile time only)
; SGPRBlocks: 0
; VGPRBlocks: 0
; NumSGPRsForWavesPerEU: 1
; NumVGPRsForWavesPerEU: 1
; Occupancy: 16
; WaveLimiterHint : 0
; COMPUTE_PGM_RSRC2:SCRATCH_EN: 0
; COMPUTE_PGM_RSRC2:USER_SGPR: 6
; COMPUTE_PGM_RSRC2:TRAP_HANDLER: 0
; COMPUTE_PGM_RSRC2:TGID_X_EN: 1
; COMPUTE_PGM_RSRC2:TGID_Y_EN: 0
; COMPUTE_PGM_RSRC2:TGID_Z_EN: 0
; COMPUTE_PGM_RSRC2:TIDIG_COMP_CNT: 0
	.section	.text._ZN7rocprim17ROCPRIM_400000_NS6detail17trampoline_kernelINS0_14default_configENS1_38merge_sort_block_merge_config_selectorIfNS0_10empty_typeEEEZZNS1_27merge_sort_block_merge_implIS3_N6thrust23THRUST_200600_302600_NS6detail15normal_iteratorINS9_10device_ptrIfEEEEPS5_jNS1_19radix_merge_compareILb0ELb0EfNS0_19identity_decomposerEEEEE10hipError_tT0_T1_T2_jT3_P12ihipStream_tbPNSt15iterator_traitsISK_E10value_typeEPNSQ_ISL_E10value_typeEPSM_NS1_7vsmem_tEENKUlT_SK_SL_SM_E_clIPfSE_SF_SF_EESJ_SZ_SK_SL_SM_EUlSZ_E_NS1_11comp_targetILNS1_3genE9ELNS1_11target_archE1100ELNS1_3gpuE3ELNS1_3repE0EEENS1_48merge_mergepath_partition_config_static_selectorELNS0_4arch9wavefront6targetE0EEEvSL_,"axG",@progbits,_ZN7rocprim17ROCPRIM_400000_NS6detail17trampoline_kernelINS0_14default_configENS1_38merge_sort_block_merge_config_selectorIfNS0_10empty_typeEEEZZNS1_27merge_sort_block_merge_implIS3_N6thrust23THRUST_200600_302600_NS6detail15normal_iteratorINS9_10device_ptrIfEEEEPS5_jNS1_19radix_merge_compareILb0ELb0EfNS0_19identity_decomposerEEEEE10hipError_tT0_T1_T2_jT3_P12ihipStream_tbPNSt15iterator_traitsISK_E10value_typeEPNSQ_ISL_E10value_typeEPSM_NS1_7vsmem_tEENKUlT_SK_SL_SM_E_clIPfSE_SF_SF_EESJ_SZ_SK_SL_SM_EUlSZ_E_NS1_11comp_targetILNS1_3genE9ELNS1_11target_archE1100ELNS1_3gpuE3ELNS1_3repE0EEENS1_48merge_mergepath_partition_config_static_selectorELNS0_4arch9wavefront6targetE0EEEvSL_,comdat
	.protected	_ZN7rocprim17ROCPRIM_400000_NS6detail17trampoline_kernelINS0_14default_configENS1_38merge_sort_block_merge_config_selectorIfNS0_10empty_typeEEEZZNS1_27merge_sort_block_merge_implIS3_N6thrust23THRUST_200600_302600_NS6detail15normal_iteratorINS9_10device_ptrIfEEEEPS5_jNS1_19radix_merge_compareILb0ELb0EfNS0_19identity_decomposerEEEEE10hipError_tT0_T1_T2_jT3_P12ihipStream_tbPNSt15iterator_traitsISK_E10value_typeEPNSQ_ISL_E10value_typeEPSM_NS1_7vsmem_tEENKUlT_SK_SL_SM_E_clIPfSE_SF_SF_EESJ_SZ_SK_SL_SM_EUlSZ_E_NS1_11comp_targetILNS1_3genE9ELNS1_11target_archE1100ELNS1_3gpuE3ELNS1_3repE0EEENS1_48merge_mergepath_partition_config_static_selectorELNS0_4arch9wavefront6targetE0EEEvSL_ ; -- Begin function _ZN7rocprim17ROCPRIM_400000_NS6detail17trampoline_kernelINS0_14default_configENS1_38merge_sort_block_merge_config_selectorIfNS0_10empty_typeEEEZZNS1_27merge_sort_block_merge_implIS3_N6thrust23THRUST_200600_302600_NS6detail15normal_iteratorINS9_10device_ptrIfEEEEPS5_jNS1_19radix_merge_compareILb0ELb0EfNS0_19identity_decomposerEEEEE10hipError_tT0_T1_T2_jT3_P12ihipStream_tbPNSt15iterator_traitsISK_E10value_typeEPNSQ_ISL_E10value_typeEPSM_NS1_7vsmem_tEENKUlT_SK_SL_SM_E_clIPfSE_SF_SF_EESJ_SZ_SK_SL_SM_EUlSZ_E_NS1_11comp_targetILNS1_3genE9ELNS1_11target_archE1100ELNS1_3gpuE3ELNS1_3repE0EEENS1_48merge_mergepath_partition_config_static_selectorELNS0_4arch9wavefront6targetE0EEEvSL_
	.globl	_ZN7rocprim17ROCPRIM_400000_NS6detail17trampoline_kernelINS0_14default_configENS1_38merge_sort_block_merge_config_selectorIfNS0_10empty_typeEEEZZNS1_27merge_sort_block_merge_implIS3_N6thrust23THRUST_200600_302600_NS6detail15normal_iteratorINS9_10device_ptrIfEEEEPS5_jNS1_19radix_merge_compareILb0ELb0EfNS0_19identity_decomposerEEEEE10hipError_tT0_T1_T2_jT3_P12ihipStream_tbPNSt15iterator_traitsISK_E10value_typeEPNSQ_ISL_E10value_typeEPSM_NS1_7vsmem_tEENKUlT_SK_SL_SM_E_clIPfSE_SF_SF_EESJ_SZ_SK_SL_SM_EUlSZ_E_NS1_11comp_targetILNS1_3genE9ELNS1_11target_archE1100ELNS1_3gpuE3ELNS1_3repE0EEENS1_48merge_mergepath_partition_config_static_selectorELNS0_4arch9wavefront6targetE0EEEvSL_
	.p2align	8
	.type	_ZN7rocprim17ROCPRIM_400000_NS6detail17trampoline_kernelINS0_14default_configENS1_38merge_sort_block_merge_config_selectorIfNS0_10empty_typeEEEZZNS1_27merge_sort_block_merge_implIS3_N6thrust23THRUST_200600_302600_NS6detail15normal_iteratorINS9_10device_ptrIfEEEEPS5_jNS1_19radix_merge_compareILb0ELb0EfNS0_19identity_decomposerEEEEE10hipError_tT0_T1_T2_jT3_P12ihipStream_tbPNSt15iterator_traitsISK_E10value_typeEPNSQ_ISL_E10value_typeEPSM_NS1_7vsmem_tEENKUlT_SK_SL_SM_E_clIPfSE_SF_SF_EESJ_SZ_SK_SL_SM_EUlSZ_E_NS1_11comp_targetILNS1_3genE9ELNS1_11target_archE1100ELNS1_3gpuE3ELNS1_3repE0EEENS1_48merge_mergepath_partition_config_static_selectorELNS0_4arch9wavefront6targetE0EEEvSL_,@function
_ZN7rocprim17ROCPRIM_400000_NS6detail17trampoline_kernelINS0_14default_configENS1_38merge_sort_block_merge_config_selectorIfNS0_10empty_typeEEEZZNS1_27merge_sort_block_merge_implIS3_N6thrust23THRUST_200600_302600_NS6detail15normal_iteratorINS9_10device_ptrIfEEEEPS5_jNS1_19radix_merge_compareILb0ELb0EfNS0_19identity_decomposerEEEEE10hipError_tT0_T1_T2_jT3_P12ihipStream_tbPNSt15iterator_traitsISK_E10value_typeEPNSQ_ISL_E10value_typeEPSM_NS1_7vsmem_tEENKUlT_SK_SL_SM_E_clIPfSE_SF_SF_EESJ_SZ_SK_SL_SM_EUlSZ_E_NS1_11comp_targetILNS1_3genE9ELNS1_11target_archE1100ELNS1_3gpuE3ELNS1_3repE0EEENS1_48merge_mergepath_partition_config_static_selectorELNS0_4arch9wavefront6targetE0EEEvSL_: ; @_ZN7rocprim17ROCPRIM_400000_NS6detail17trampoline_kernelINS0_14default_configENS1_38merge_sort_block_merge_config_selectorIfNS0_10empty_typeEEEZZNS1_27merge_sort_block_merge_implIS3_N6thrust23THRUST_200600_302600_NS6detail15normal_iteratorINS9_10device_ptrIfEEEEPS5_jNS1_19radix_merge_compareILb0ELb0EfNS0_19identity_decomposerEEEEE10hipError_tT0_T1_T2_jT3_P12ihipStream_tbPNSt15iterator_traitsISK_E10value_typeEPNSQ_ISL_E10value_typeEPSM_NS1_7vsmem_tEENKUlT_SK_SL_SM_E_clIPfSE_SF_SF_EESJ_SZ_SK_SL_SM_EUlSZ_E_NS1_11comp_targetILNS1_3genE9ELNS1_11target_archE1100ELNS1_3gpuE3ELNS1_3repE0EEENS1_48merge_mergepath_partition_config_static_selectorELNS0_4arch9wavefront6targetE0EEEvSL_
; %bb.0:
	.section	.rodata,"a",@progbits
	.p2align	6, 0x0
	.amdhsa_kernel _ZN7rocprim17ROCPRIM_400000_NS6detail17trampoline_kernelINS0_14default_configENS1_38merge_sort_block_merge_config_selectorIfNS0_10empty_typeEEEZZNS1_27merge_sort_block_merge_implIS3_N6thrust23THRUST_200600_302600_NS6detail15normal_iteratorINS9_10device_ptrIfEEEEPS5_jNS1_19radix_merge_compareILb0ELb0EfNS0_19identity_decomposerEEEEE10hipError_tT0_T1_T2_jT3_P12ihipStream_tbPNSt15iterator_traitsISK_E10value_typeEPNSQ_ISL_E10value_typeEPSM_NS1_7vsmem_tEENKUlT_SK_SL_SM_E_clIPfSE_SF_SF_EESJ_SZ_SK_SL_SM_EUlSZ_E_NS1_11comp_targetILNS1_3genE9ELNS1_11target_archE1100ELNS1_3gpuE3ELNS1_3repE0EEENS1_48merge_mergepath_partition_config_static_selectorELNS0_4arch9wavefront6targetE0EEEvSL_
		.amdhsa_group_segment_fixed_size 0
		.amdhsa_private_segment_fixed_size 0
		.amdhsa_kernarg_size 40
		.amdhsa_user_sgpr_count 6
		.amdhsa_user_sgpr_private_segment_buffer 1
		.amdhsa_user_sgpr_dispatch_ptr 0
		.amdhsa_user_sgpr_queue_ptr 0
		.amdhsa_user_sgpr_kernarg_segment_ptr 1
		.amdhsa_user_sgpr_dispatch_id 0
		.amdhsa_user_sgpr_flat_scratch_init 0
		.amdhsa_user_sgpr_private_segment_size 0
		.amdhsa_wavefront_size32 1
		.amdhsa_uses_dynamic_stack 0
		.amdhsa_system_sgpr_private_segment_wavefront_offset 0
		.amdhsa_system_sgpr_workgroup_id_x 1
		.amdhsa_system_sgpr_workgroup_id_y 0
		.amdhsa_system_sgpr_workgroup_id_z 0
		.amdhsa_system_sgpr_workgroup_info 0
		.amdhsa_system_vgpr_workitem_id 0
		.amdhsa_next_free_vgpr 1
		.amdhsa_next_free_sgpr 1
		.amdhsa_reserve_vcc 0
		.amdhsa_reserve_flat_scratch 0
		.amdhsa_float_round_mode_32 0
		.amdhsa_float_round_mode_16_64 0
		.amdhsa_float_denorm_mode_32 3
		.amdhsa_float_denorm_mode_16_64 3
		.amdhsa_dx10_clamp 1
		.amdhsa_ieee_mode 1
		.amdhsa_fp16_overflow 0
		.amdhsa_workgroup_processor_mode 1
		.amdhsa_memory_ordered 1
		.amdhsa_forward_progress 1
		.amdhsa_shared_vgpr_count 0
		.amdhsa_exception_fp_ieee_invalid_op 0
		.amdhsa_exception_fp_denorm_src 0
		.amdhsa_exception_fp_ieee_div_zero 0
		.amdhsa_exception_fp_ieee_overflow 0
		.amdhsa_exception_fp_ieee_underflow 0
		.amdhsa_exception_fp_ieee_inexact 0
		.amdhsa_exception_int_div_zero 0
	.end_amdhsa_kernel
	.section	.text._ZN7rocprim17ROCPRIM_400000_NS6detail17trampoline_kernelINS0_14default_configENS1_38merge_sort_block_merge_config_selectorIfNS0_10empty_typeEEEZZNS1_27merge_sort_block_merge_implIS3_N6thrust23THRUST_200600_302600_NS6detail15normal_iteratorINS9_10device_ptrIfEEEEPS5_jNS1_19radix_merge_compareILb0ELb0EfNS0_19identity_decomposerEEEEE10hipError_tT0_T1_T2_jT3_P12ihipStream_tbPNSt15iterator_traitsISK_E10value_typeEPNSQ_ISL_E10value_typeEPSM_NS1_7vsmem_tEENKUlT_SK_SL_SM_E_clIPfSE_SF_SF_EESJ_SZ_SK_SL_SM_EUlSZ_E_NS1_11comp_targetILNS1_3genE9ELNS1_11target_archE1100ELNS1_3gpuE3ELNS1_3repE0EEENS1_48merge_mergepath_partition_config_static_selectorELNS0_4arch9wavefront6targetE0EEEvSL_,"axG",@progbits,_ZN7rocprim17ROCPRIM_400000_NS6detail17trampoline_kernelINS0_14default_configENS1_38merge_sort_block_merge_config_selectorIfNS0_10empty_typeEEEZZNS1_27merge_sort_block_merge_implIS3_N6thrust23THRUST_200600_302600_NS6detail15normal_iteratorINS9_10device_ptrIfEEEEPS5_jNS1_19radix_merge_compareILb0ELb0EfNS0_19identity_decomposerEEEEE10hipError_tT0_T1_T2_jT3_P12ihipStream_tbPNSt15iterator_traitsISK_E10value_typeEPNSQ_ISL_E10value_typeEPSM_NS1_7vsmem_tEENKUlT_SK_SL_SM_E_clIPfSE_SF_SF_EESJ_SZ_SK_SL_SM_EUlSZ_E_NS1_11comp_targetILNS1_3genE9ELNS1_11target_archE1100ELNS1_3gpuE3ELNS1_3repE0EEENS1_48merge_mergepath_partition_config_static_selectorELNS0_4arch9wavefront6targetE0EEEvSL_,comdat
.Lfunc_end481:
	.size	_ZN7rocprim17ROCPRIM_400000_NS6detail17trampoline_kernelINS0_14default_configENS1_38merge_sort_block_merge_config_selectorIfNS0_10empty_typeEEEZZNS1_27merge_sort_block_merge_implIS3_N6thrust23THRUST_200600_302600_NS6detail15normal_iteratorINS9_10device_ptrIfEEEEPS5_jNS1_19radix_merge_compareILb0ELb0EfNS0_19identity_decomposerEEEEE10hipError_tT0_T1_T2_jT3_P12ihipStream_tbPNSt15iterator_traitsISK_E10value_typeEPNSQ_ISL_E10value_typeEPSM_NS1_7vsmem_tEENKUlT_SK_SL_SM_E_clIPfSE_SF_SF_EESJ_SZ_SK_SL_SM_EUlSZ_E_NS1_11comp_targetILNS1_3genE9ELNS1_11target_archE1100ELNS1_3gpuE3ELNS1_3repE0EEENS1_48merge_mergepath_partition_config_static_selectorELNS0_4arch9wavefront6targetE0EEEvSL_, .Lfunc_end481-_ZN7rocprim17ROCPRIM_400000_NS6detail17trampoline_kernelINS0_14default_configENS1_38merge_sort_block_merge_config_selectorIfNS0_10empty_typeEEEZZNS1_27merge_sort_block_merge_implIS3_N6thrust23THRUST_200600_302600_NS6detail15normal_iteratorINS9_10device_ptrIfEEEEPS5_jNS1_19radix_merge_compareILb0ELb0EfNS0_19identity_decomposerEEEEE10hipError_tT0_T1_T2_jT3_P12ihipStream_tbPNSt15iterator_traitsISK_E10value_typeEPNSQ_ISL_E10value_typeEPSM_NS1_7vsmem_tEENKUlT_SK_SL_SM_E_clIPfSE_SF_SF_EESJ_SZ_SK_SL_SM_EUlSZ_E_NS1_11comp_targetILNS1_3genE9ELNS1_11target_archE1100ELNS1_3gpuE3ELNS1_3repE0EEENS1_48merge_mergepath_partition_config_static_selectorELNS0_4arch9wavefront6targetE0EEEvSL_
                                        ; -- End function
	.set _ZN7rocprim17ROCPRIM_400000_NS6detail17trampoline_kernelINS0_14default_configENS1_38merge_sort_block_merge_config_selectorIfNS0_10empty_typeEEEZZNS1_27merge_sort_block_merge_implIS3_N6thrust23THRUST_200600_302600_NS6detail15normal_iteratorINS9_10device_ptrIfEEEEPS5_jNS1_19radix_merge_compareILb0ELb0EfNS0_19identity_decomposerEEEEE10hipError_tT0_T1_T2_jT3_P12ihipStream_tbPNSt15iterator_traitsISK_E10value_typeEPNSQ_ISL_E10value_typeEPSM_NS1_7vsmem_tEENKUlT_SK_SL_SM_E_clIPfSE_SF_SF_EESJ_SZ_SK_SL_SM_EUlSZ_E_NS1_11comp_targetILNS1_3genE9ELNS1_11target_archE1100ELNS1_3gpuE3ELNS1_3repE0EEENS1_48merge_mergepath_partition_config_static_selectorELNS0_4arch9wavefront6targetE0EEEvSL_.num_vgpr, 0
	.set _ZN7rocprim17ROCPRIM_400000_NS6detail17trampoline_kernelINS0_14default_configENS1_38merge_sort_block_merge_config_selectorIfNS0_10empty_typeEEEZZNS1_27merge_sort_block_merge_implIS3_N6thrust23THRUST_200600_302600_NS6detail15normal_iteratorINS9_10device_ptrIfEEEEPS5_jNS1_19radix_merge_compareILb0ELb0EfNS0_19identity_decomposerEEEEE10hipError_tT0_T1_T2_jT3_P12ihipStream_tbPNSt15iterator_traitsISK_E10value_typeEPNSQ_ISL_E10value_typeEPSM_NS1_7vsmem_tEENKUlT_SK_SL_SM_E_clIPfSE_SF_SF_EESJ_SZ_SK_SL_SM_EUlSZ_E_NS1_11comp_targetILNS1_3genE9ELNS1_11target_archE1100ELNS1_3gpuE3ELNS1_3repE0EEENS1_48merge_mergepath_partition_config_static_selectorELNS0_4arch9wavefront6targetE0EEEvSL_.num_agpr, 0
	.set _ZN7rocprim17ROCPRIM_400000_NS6detail17trampoline_kernelINS0_14default_configENS1_38merge_sort_block_merge_config_selectorIfNS0_10empty_typeEEEZZNS1_27merge_sort_block_merge_implIS3_N6thrust23THRUST_200600_302600_NS6detail15normal_iteratorINS9_10device_ptrIfEEEEPS5_jNS1_19radix_merge_compareILb0ELb0EfNS0_19identity_decomposerEEEEE10hipError_tT0_T1_T2_jT3_P12ihipStream_tbPNSt15iterator_traitsISK_E10value_typeEPNSQ_ISL_E10value_typeEPSM_NS1_7vsmem_tEENKUlT_SK_SL_SM_E_clIPfSE_SF_SF_EESJ_SZ_SK_SL_SM_EUlSZ_E_NS1_11comp_targetILNS1_3genE9ELNS1_11target_archE1100ELNS1_3gpuE3ELNS1_3repE0EEENS1_48merge_mergepath_partition_config_static_selectorELNS0_4arch9wavefront6targetE0EEEvSL_.numbered_sgpr, 0
	.set _ZN7rocprim17ROCPRIM_400000_NS6detail17trampoline_kernelINS0_14default_configENS1_38merge_sort_block_merge_config_selectorIfNS0_10empty_typeEEEZZNS1_27merge_sort_block_merge_implIS3_N6thrust23THRUST_200600_302600_NS6detail15normal_iteratorINS9_10device_ptrIfEEEEPS5_jNS1_19radix_merge_compareILb0ELb0EfNS0_19identity_decomposerEEEEE10hipError_tT0_T1_T2_jT3_P12ihipStream_tbPNSt15iterator_traitsISK_E10value_typeEPNSQ_ISL_E10value_typeEPSM_NS1_7vsmem_tEENKUlT_SK_SL_SM_E_clIPfSE_SF_SF_EESJ_SZ_SK_SL_SM_EUlSZ_E_NS1_11comp_targetILNS1_3genE9ELNS1_11target_archE1100ELNS1_3gpuE3ELNS1_3repE0EEENS1_48merge_mergepath_partition_config_static_selectorELNS0_4arch9wavefront6targetE0EEEvSL_.num_named_barrier, 0
	.set _ZN7rocprim17ROCPRIM_400000_NS6detail17trampoline_kernelINS0_14default_configENS1_38merge_sort_block_merge_config_selectorIfNS0_10empty_typeEEEZZNS1_27merge_sort_block_merge_implIS3_N6thrust23THRUST_200600_302600_NS6detail15normal_iteratorINS9_10device_ptrIfEEEEPS5_jNS1_19radix_merge_compareILb0ELb0EfNS0_19identity_decomposerEEEEE10hipError_tT0_T1_T2_jT3_P12ihipStream_tbPNSt15iterator_traitsISK_E10value_typeEPNSQ_ISL_E10value_typeEPSM_NS1_7vsmem_tEENKUlT_SK_SL_SM_E_clIPfSE_SF_SF_EESJ_SZ_SK_SL_SM_EUlSZ_E_NS1_11comp_targetILNS1_3genE9ELNS1_11target_archE1100ELNS1_3gpuE3ELNS1_3repE0EEENS1_48merge_mergepath_partition_config_static_selectorELNS0_4arch9wavefront6targetE0EEEvSL_.private_seg_size, 0
	.set _ZN7rocprim17ROCPRIM_400000_NS6detail17trampoline_kernelINS0_14default_configENS1_38merge_sort_block_merge_config_selectorIfNS0_10empty_typeEEEZZNS1_27merge_sort_block_merge_implIS3_N6thrust23THRUST_200600_302600_NS6detail15normal_iteratorINS9_10device_ptrIfEEEEPS5_jNS1_19radix_merge_compareILb0ELb0EfNS0_19identity_decomposerEEEEE10hipError_tT0_T1_T2_jT3_P12ihipStream_tbPNSt15iterator_traitsISK_E10value_typeEPNSQ_ISL_E10value_typeEPSM_NS1_7vsmem_tEENKUlT_SK_SL_SM_E_clIPfSE_SF_SF_EESJ_SZ_SK_SL_SM_EUlSZ_E_NS1_11comp_targetILNS1_3genE9ELNS1_11target_archE1100ELNS1_3gpuE3ELNS1_3repE0EEENS1_48merge_mergepath_partition_config_static_selectorELNS0_4arch9wavefront6targetE0EEEvSL_.uses_vcc, 0
	.set _ZN7rocprim17ROCPRIM_400000_NS6detail17trampoline_kernelINS0_14default_configENS1_38merge_sort_block_merge_config_selectorIfNS0_10empty_typeEEEZZNS1_27merge_sort_block_merge_implIS3_N6thrust23THRUST_200600_302600_NS6detail15normal_iteratorINS9_10device_ptrIfEEEEPS5_jNS1_19radix_merge_compareILb0ELb0EfNS0_19identity_decomposerEEEEE10hipError_tT0_T1_T2_jT3_P12ihipStream_tbPNSt15iterator_traitsISK_E10value_typeEPNSQ_ISL_E10value_typeEPSM_NS1_7vsmem_tEENKUlT_SK_SL_SM_E_clIPfSE_SF_SF_EESJ_SZ_SK_SL_SM_EUlSZ_E_NS1_11comp_targetILNS1_3genE9ELNS1_11target_archE1100ELNS1_3gpuE3ELNS1_3repE0EEENS1_48merge_mergepath_partition_config_static_selectorELNS0_4arch9wavefront6targetE0EEEvSL_.uses_flat_scratch, 0
	.set _ZN7rocprim17ROCPRIM_400000_NS6detail17trampoline_kernelINS0_14default_configENS1_38merge_sort_block_merge_config_selectorIfNS0_10empty_typeEEEZZNS1_27merge_sort_block_merge_implIS3_N6thrust23THRUST_200600_302600_NS6detail15normal_iteratorINS9_10device_ptrIfEEEEPS5_jNS1_19radix_merge_compareILb0ELb0EfNS0_19identity_decomposerEEEEE10hipError_tT0_T1_T2_jT3_P12ihipStream_tbPNSt15iterator_traitsISK_E10value_typeEPNSQ_ISL_E10value_typeEPSM_NS1_7vsmem_tEENKUlT_SK_SL_SM_E_clIPfSE_SF_SF_EESJ_SZ_SK_SL_SM_EUlSZ_E_NS1_11comp_targetILNS1_3genE9ELNS1_11target_archE1100ELNS1_3gpuE3ELNS1_3repE0EEENS1_48merge_mergepath_partition_config_static_selectorELNS0_4arch9wavefront6targetE0EEEvSL_.has_dyn_sized_stack, 0
	.set _ZN7rocprim17ROCPRIM_400000_NS6detail17trampoline_kernelINS0_14default_configENS1_38merge_sort_block_merge_config_selectorIfNS0_10empty_typeEEEZZNS1_27merge_sort_block_merge_implIS3_N6thrust23THRUST_200600_302600_NS6detail15normal_iteratorINS9_10device_ptrIfEEEEPS5_jNS1_19radix_merge_compareILb0ELb0EfNS0_19identity_decomposerEEEEE10hipError_tT0_T1_T2_jT3_P12ihipStream_tbPNSt15iterator_traitsISK_E10value_typeEPNSQ_ISL_E10value_typeEPSM_NS1_7vsmem_tEENKUlT_SK_SL_SM_E_clIPfSE_SF_SF_EESJ_SZ_SK_SL_SM_EUlSZ_E_NS1_11comp_targetILNS1_3genE9ELNS1_11target_archE1100ELNS1_3gpuE3ELNS1_3repE0EEENS1_48merge_mergepath_partition_config_static_selectorELNS0_4arch9wavefront6targetE0EEEvSL_.has_recursion, 0
	.set _ZN7rocprim17ROCPRIM_400000_NS6detail17trampoline_kernelINS0_14default_configENS1_38merge_sort_block_merge_config_selectorIfNS0_10empty_typeEEEZZNS1_27merge_sort_block_merge_implIS3_N6thrust23THRUST_200600_302600_NS6detail15normal_iteratorINS9_10device_ptrIfEEEEPS5_jNS1_19radix_merge_compareILb0ELb0EfNS0_19identity_decomposerEEEEE10hipError_tT0_T1_T2_jT3_P12ihipStream_tbPNSt15iterator_traitsISK_E10value_typeEPNSQ_ISL_E10value_typeEPSM_NS1_7vsmem_tEENKUlT_SK_SL_SM_E_clIPfSE_SF_SF_EESJ_SZ_SK_SL_SM_EUlSZ_E_NS1_11comp_targetILNS1_3genE9ELNS1_11target_archE1100ELNS1_3gpuE3ELNS1_3repE0EEENS1_48merge_mergepath_partition_config_static_selectorELNS0_4arch9wavefront6targetE0EEEvSL_.has_indirect_call, 0
	.section	.AMDGPU.csdata,"",@progbits
; Kernel info:
; codeLenInByte = 0
; TotalNumSgprs: 0
; NumVgprs: 0
; ScratchSize: 0
; MemoryBound: 0
; FloatMode: 240
; IeeeMode: 1
; LDSByteSize: 0 bytes/workgroup (compile time only)
; SGPRBlocks: 0
; VGPRBlocks: 0
; NumSGPRsForWavesPerEU: 1
; NumVGPRsForWavesPerEU: 1
; Occupancy: 16
; WaveLimiterHint : 0
; COMPUTE_PGM_RSRC2:SCRATCH_EN: 0
; COMPUTE_PGM_RSRC2:USER_SGPR: 6
; COMPUTE_PGM_RSRC2:TRAP_HANDLER: 0
; COMPUTE_PGM_RSRC2:TGID_X_EN: 1
; COMPUTE_PGM_RSRC2:TGID_Y_EN: 0
; COMPUTE_PGM_RSRC2:TGID_Z_EN: 0
; COMPUTE_PGM_RSRC2:TIDIG_COMP_CNT: 0
	.section	.text._ZN7rocprim17ROCPRIM_400000_NS6detail17trampoline_kernelINS0_14default_configENS1_38merge_sort_block_merge_config_selectorIfNS0_10empty_typeEEEZZNS1_27merge_sort_block_merge_implIS3_N6thrust23THRUST_200600_302600_NS6detail15normal_iteratorINS9_10device_ptrIfEEEEPS5_jNS1_19radix_merge_compareILb0ELb0EfNS0_19identity_decomposerEEEEE10hipError_tT0_T1_T2_jT3_P12ihipStream_tbPNSt15iterator_traitsISK_E10value_typeEPNSQ_ISL_E10value_typeEPSM_NS1_7vsmem_tEENKUlT_SK_SL_SM_E_clIPfSE_SF_SF_EESJ_SZ_SK_SL_SM_EUlSZ_E_NS1_11comp_targetILNS1_3genE8ELNS1_11target_archE1030ELNS1_3gpuE2ELNS1_3repE0EEENS1_48merge_mergepath_partition_config_static_selectorELNS0_4arch9wavefront6targetE0EEEvSL_,"axG",@progbits,_ZN7rocprim17ROCPRIM_400000_NS6detail17trampoline_kernelINS0_14default_configENS1_38merge_sort_block_merge_config_selectorIfNS0_10empty_typeEEEZZNS1_27merge_sort_block_merge_implIS3_N6thrust23THRUST_200600_302600_NS6detail15normal_iteratorINS9_10device_ptrIfEEEEPS5_jNS1_19radix_merge_compareILb0ELb0EfNS0_19identity_decomposerEEEEE10hipError_tT0_T1_T2_jT3_P12ihipStream_tbPNSt15iterator_traitsISK_E10value_typeEPNSQ_ISL_E10value_typeEPSM_NS1_7vsmem_tEENKUlT_SK_SL_SM_E_clIPfSE_SF_SF_EESJ_SZ_SK_SL_SM_EUlSZ_E_NS1_11comp_targetILNS1_3genE8ELNS1_11target_archE1030ELNS1_3gpuE2ELNS1_3repE0EEENS1_48merge_mergepath_partition_config_static_selectorELNS0_4arch9wavefront6targetE0EEEvSL_,comdat
	.protected	_ZN7rocprim17ROCPRIM_400000_NS6detail17trampoline_kernelINS0_14default_configENS1_38merge_sort_block_merge_config_selectorIfNS0_10empty_typeEEEZZNS1_27merge_sort_block_merge_implIS3_N6thrust23THRUST_200600_302600_NS6detail15normal_iteratorINS9_10device_ptrIfEEEEPS5_jNS1_19radix_merge_compareILb0ELb0EfNS0_19identity_decomposerEEEEE10hipError_tT0_T1_T2_jT3_P12ihipStream_tbPNSt15iterator_traitsISK_E10value_typeEPNSQ_ISL_E10value_typeEPSM_NS1_7vsmem_tEENKUlT_SK_SL_SM_E_clIPfSE_SF_SF_EESJ_SZ_SK_SL_SM_EUlSZ_E_NS1_11comp_targetILNS1_3genE8ELNS1_11target_archE1030ELNS1_3gpuE2ELNS1_3repE0EEENS1_48merge_mergepath_partition_config_static_selectorELNS0_4arch9wavefront6targetE0EEEvSL_ ; -- Begin function _ZN7rocprim17ROCPRIM_400000_NS6detail17trampoline_kernelINS0_14default_configENS1_38merge_sort_block_merge_config_selectorIfNS0_10empty_typeEEEZZNS1_27merge_sort_block_merge_implIS3_N6thrust23THRUST_200600_302600_NS6detail15normal_iteratorINS9_10device_ptrIfEEEEPS5_jNS1_19radix_merge_compareILb0ELb0EfNS0_19identity_decomposerEEEEE10hipError_tT0_T1_T2_jT3_P12ihipStream_tbPNSt15iterator_traitsISK_E10value_typeEPNSQ_ISL_E10value_typeEPSM_NS1_7vsmem_tEENKUlT_SK_SL_SM_E_clIPfSE_SF_SF_EESJ_SZ_SK_SL_SM_EUlSZ_E_NS1_11comp_targetILNS1_3genE8ELNS1_11target_archE1030ELNS1_3gpuE2ELNS1_3repE0EEENS1_48merge_mergepath_partition_config_static_selectorELNS0_4arch9wavefront6targetE0EEEvSL_
	.globl	_ZN7rocprim17ROCPRIM_400000_NS6detail17trampoline_kernelINS0_14default_configENS1_38merge_sort_block_merge_config_selectorIfNS0_10empty_typeEEEZZNS1_27merge_sort_block_merge_implIS3_N6thrust23THRUST_200600_302600_NS6detail15normal_iteratorINS9_10device_ptrIfEEEEPS5_jNS1_19radix_merge_compareILb0ELb0EfNS0_19identity_decomposerEEEEE10hipError_tT0_T1_T2_jT3_P12ihipStream_tbPNSt15iterator_traitsISK_E10value_typeEPNSQ_ISL_E10value_typeEPSM_NS1_7vsmem_tEENKUlT_SK_SL_SM_E_clIPfSE_SF_SF_EESJ_SZ_SK_SL_SM_EUlSZ_E_NS1_11comp_targetILNS1_3genE8ELNS1_11target_archE1030ELNS1_3gpuE2ELNS1_3repE0EEENS1_48merge_mergepath_partition_config_static_selectorELNS0_4arch9wavefront6targetE0EEEvSL_
	.p2align	8
	.type	_ZN7rocprim17ROCPRIM_400000_NS6detail17trampoline_kernelINS0_14default_configENS1_38merge_sort_block_merge_config_selectorIfNS0_10empty_typeEEEZZNS1_27merge_sort_block_merge_implIS3_N6thrust23THRUST_200600_302600_NS6detail15normal_iteratorINS9_10device_ptrIfEEEEPS5_jNS1_19radix_merge_compareILb0ELb0EfNS0_19identity_decomposerEEEEE10hipError_tT0_T1_T2_jT3_P12ihipStream_tbPNSt15iterator_traitsISK_E10value_typeEPNSQ_ISL_E10value_typeEPSM_NS1_7vsmem_tEENKUlT_SK_SL_SM_E_clIPfSE_SF_SF_EESJ_SZ_SK_SL_SM_EUlSZ_E_NS1_11comp_targetILNS1_3genE8ELNS1_11target_archE1030ELNS1_3gpuE2ELNS1_3repE0EEENS1_48merge_mergepath_partition_config_static_selectorELNS0_4arch9wavefront6targetE0EEEvSL_,@function
_ZN7rocprim17ROCPRIM_400000_NS6detail17trampoline_kernelINS0_14default_configENS1_38merge_sort_block_merge_config_selectorIfNS0_10empty_typeEEEZZNS1_27merge_sort_block_merge_implIS3_N6thrust23THRUST_200600_302600_NS6detail15normal_iteratorINS9_10device_ptrIfEEEEPS5_jNS1_19radix_merge_compareILb0ELb0EfNS0_19identity_decomposerEEEEE10hipError_tT0_T1_T2_jT3_P12ihipStream_tbPNSt15iterator_traitsISK_E10value_typeEPNSQ_ISL_E10value_typeEPSM_NS1_7vsmem_tEENKUlT_SK_SL_SM_E_clIPfSE_SF_SF_EESJ_SZ_SK_SL_SM_EUlSZ_E_NS1_11comp_targetILNS1_3genE8ELNS1_11target_archE1030ELNS1_3gpuE2ELNS1_3repE0EEENS1_48merge_mergepath_partition_config_static_selectorELNS0_4arch9wavefront6targetE0EEEvSL_: ; @_ZN7rocprim17ROCPRIM_400000_NS6detail17trampoline_kernelINS0_14default_configENS1_38merge_sort_block_merge_config_selectorIfNS0_10empty_typeEEEZZNS1_27merge_sort_block_merge_implIS3_N6thrust23THRUST_200600_302600_NS6detail15normal_iteratorINS9_10device_ptrIfEEEEPS5_jNS1_19radix_merge_compareILb0ELb0EfNS0_19identity_decomposerEEEEE10hipError_tT0_T1_T2_jT3_P12ihipStream_tbPNSt15iterator_traitsISK_E10value_typeEPNSQ_ISL_E10value_typeEPSM_NS1_7vsmem_tEENKUlT_SK_SL_SM_E_clIPfSE_SF_SF_EESJ_SZ_SK_SL_SM_EUlSZ_E_NS1_11comp_targetILNS1_3genE8ELNS1_11target_archE1030ELNS1_3gpuE2ELNS1_3repE0EEENS1_48merge_mergepath_partition_config_static_selectorELNS0_4arch9wavefront6targetE0EEEvSL_
; %bb.0:
	s_load_dword s0, s[4:5], 0x0
	v_lshl_or_b32 v0, s6, 7, v0
	s_waitcnt lgkmcnt(0)
	v_cmp_gt_u32_e32 vcc_lo, s0, v0
	s_and_saveexec_b32 s0, vcc_lo
	s_cbranch_execz .LBB482_6
; %bb.1:
	s_load_dwordx2 s[0:1], s[4:5], 0x4
	s_waitcnt lgkmcnt(0)
	s_lshr_b32 s2, s0, 9
	s_and_b32 s2, s2, 0x7ffffe
	s_sub_i32 s3, 0, s2
	s_add_i32 s2, s2, -1
	v_and_b32_e32 v1, s3, v0
	v_and_b32_e32 v5, s2, v0
	s_mov_b32 s3, 0
	s_mov_b32 s2, exec_lo
	v_lshlrev_b32_e32 v1, 10, v1
	v_add_nc_u32_e32 v2, s0, v1
	v_min_u32_e32 v4, s1, v2
	v_min_u32_e32 v2, s1, v1
	v_add_nc_u32_e32 v3, s0, v4
	v_min_u32_e32 v1, s1, v3
	s_load_dwordx2 s[0:1], s[4:5], 0x20
	v_lshlrev_b32_e32 v3, 10, v5
	v_sub_nc_u32_e32 v5, v1, v2
	v_sub_nc_u32_e32 v6, v1, v4
	v_min_u32_e32 v1, v5, v3
	v_sub_nc_u32_e32 v3, v4, v2
	v_sub_nc_u32_e64 v6, v1, v6 clamp
	v_min_u32_e32 v7, v1, v3
	v_cmpx_lt_u32_e64 v6, v7
	s_cbranch_execz .LBB482_5
; %bb.2:
	s_load_dwordx2 s[4:5], s[4:5], 0x10
	v_mov_b32_e32 v5, 0
	v_mov_b32_e32 v3, v5
	v_lshlrev_b64 v[10:11], 2, v[4:5]
	v_lshlrev_b64 v[8:9], 2, v[2:3]
	s_waitcnt lgkmcnt(0)
	v_add_co_u32 v3, vcc_lo, s4, v8
	v_add_co_ci_u32_e64 v8, null, s5, v9, vcc_lo
	v_add_co_u32 v9, vcc_lo, s4, v10
	v_add_co_ci_u32_e64 v10, null, s5, v11, vcc_lo
	s_inst_prefetch 0x1
	.p2align	6
.LBB482_3:                              ; =>This Inner Loop Header: Depth=1
	v_add_nc_u32_e32 v4, v7, v6
	v_mov_b32_e32 v12, v5
	v_lshrrev_b32_e32 v4, 1, v4
	v_xad_u32 v11, v4, -1, v1
	v_lshlrev_b64 v[13:14], 2, v[4:5]
	v_lshlrev_b64 v[11:12], 2, v[11:12]
	v_add_co_u32 v13, vcc_lo, v3, v13
	v_add_co_ci_u32_e64 v14, null, v8, v14, vcc_lo
	v_add_co_u32 v11, vcc_lo, v9, v11
	v_add_co_ci_u32_e64 v12, null, v10, v12, vcc_lo
	s_clause 0x1
	global_load_dword v13, v[13:14], off
	global_load_dword v11, v[11:12], off
	s_waitcnt vmcnt(1)
	v_add_f32_e32 v12, 0, v13
	s_waitcnt vmcnt(0)
	v_add_f32_e32 v11, 0, v11
	v_ashrrev_i32_e32 v13, 31, v12
	v_ashrrev_i32_e32 v14, 31, v11
	v_or_b32_e32 v13, 0x80000000, v13
	v_or_b32_e32 v14, 0x80000000, v14
	v_xor_b32_e32 v12, v13, v12
	v_xor_b32_e32 v11, v14, v11
	v_add_nc_u32_e32 v13, 1, v4
	v_cmp_gt_u32_e32 vcc_lo, v12, v11
	v_cndmask_b32_e32 v7, v7, v4, vcc_lo
	v_cndmask_b32_e32 v6, v13, v6, vcc_lo
	v_cmp_ge_u32_e32 vcc_lo, v6, v7
	s_or_b32 s3, vcc_lo, s3
	s_andn2_b32 exec_lo, exec_lo, s3
	s_cbranch_execnz .LBB482_3
; %bb.4:
	s_inst_prefetch 0x2
	s_or_b32 exec_lo, exec_lo, s3
.LBB482_5:
	s_or_b32 exec_lo, exec_lo, s2
	v_mov_b32_e32 v1, 0
	v_add_nc_u32_e32 v2, v6, v2
	v_lshlrev_b64 v[0:1], 2, v[0:1]
	s_waitcnt lgkmcnt(0)
	v_add_co_u32 v0, vcc_lo, s0, v0
	v_add_co_ci_u32_e64 v1, null, s1, v1, vcc_lo
	global_store_dword v[0:1], v2, off
.LBB482_6:
	s_endpgm
	.section	.rodata,"a",@progbits
	.p2align	6, 0x0
	.amdhsa_kernel _ZN7rocprim17ROCPRIM_400000_NS6detail17trampoline_kernelINS0_14default_configENS1_38merge_sort_block_merge_config_selectorIfNS0_10empty_typeEEEZZNS1_27merge_sort_block_merge_implIS3_N6thrust23THRUST_200600_302600_NS6detail15normal_iteratorINS9_10device_ptrIfEEEEPS5_jNS1_19radix_merge_compareILb0ELb0EfNS0_19identity_decomposerEEEEE10hipError_tT0_T1_T2_jT3_P12ihipStream_tbPNSt15iterator_traitsISK_E10value_typeEPNSQ_ISL_E10value_typeEPSM_NS1_7vsmem_tEENKUlT_SK_SL_SM_E_clIPfSE_SF_SF_EESJ_SZ_SK_SL_SM_EUlSZ_E_NS1_11comp_targetILNS1_3genE8ELNS1_11target_archE1030ELNS1_3gpuE2ELNS1_3repE0EEENS1_48merge_mergepath_partition_config_static_selectorELNS0_4arch9wavefront6targetE0EEEvSL_
		.amdhsa_group_segment_fixed_size 0
		.amdhsa_private_segment_fixed_size 0
		.amdhsa_kernarg_size 40
		.amdhsa_user_sgpr_count 6
		.amdhsa_user_sgpr_private_segment_buffer 1
		.amdhsa_user_sgpr_dispatch_ptr 0
		.amdhsa_user_sgpr_queue_ptr 0
		.amdhsa_user_sgpr_kernarg_segment_ptr 1
		.amdhsa_user_sgpr_dispatch_id 0
		.amdhsa_user_sgpr_flat_scratch_init 0
		.amdhsa_user_sgpr_private_segment_size 0
		.amdhsa_wavefront_size32 1
		.amdhsa_uses_dynamic_stack 0
		.amdhsa_system_sgpr_private_segment_wavefront_offset 0
		.amdhsa_system_sgpr_workgroup_id_x 1
		.amdhsa_system_sgpr_workgroup_id_y 0
		.amdhsa_system_sgpr_workgroup_id_z 0
		.amdhsa_system_sgpr_workgroup_info 0
		.amdhsa_system_vgpr_workitem_id 0
		.amdhsa_next_free_vgpr 15
		.amdhsa_next_free_sgpr 7
		.amdhsa_reserve_vcc 1
		.amdhsa_reserve_flat_scratch 0
		.amdhsa_float_round_mode_32 0
		.amdhsa_float_round_mode_16_64 0
		.amdhsa_float_denorm_mode_32 3
		.amdhsa_float_denorm_mode_16_64 3
		.amdhsa_dx10_clamp 1
		.amdhsa_ieee_mode 1
		.amdhsa_fp16_overflow 0
		.amdhsa_workgroup_processor_mode 1
		.amdhsa_memory_ordered 1
		.amdhsa_forward_progress 1
		.amdhsa_shared_vgpr_count 0
		.amdhsa_exception_fp_ieee_invalid_op 0
		.amdhsa_exception_fp_denorm_src 0
		.amdhsa_exception_fp_ieee_div_zero 0
		.amdhsa_exception_fp_ieee_overflow 0
		.amdhsa_exception_fp_ieee_underflow 0
		.amdhsa_exception_fp_ieee_inexact 0
		.amdhsa_exception_int_div_zero 0
	.end_amdhsa_kernel
	.section	.text._ZN7rocprim17ROCPRIM_400000_NS6detail17trampoline_kernelINS0_14default_configENS1_38merge_sort_block_merge_config_selectorIfNS0_10empty_typeEEEZZNS1_27merge_sort_block_merge_implIS3_N6thrust23THRUST_200600_302600_NS6detail15normal_iteratorINS9_10device_ptrIfEEEEPS5_jNS1_19radix_merge_compareILb0ELb0EfNS0_19identity_decomposerEEEEE10hipError_tT0_T1_T2_jT3_P12ihipStream_tbPNSt15iterator_traitsISK_E10value_typeEPNSQ_ISL_E10value_typeEPSM_NS1_7vsmem_tEENKUlT_SK_SL_SM_E_clIPfSE_SF_SF_EESJ_SZ_SK_SL_SM_EUlSZ_E_NS1_11comp_targetILNS1_3genE8ELNS1_11target_archE1030ELNS1_3gpuE2ELNS1_3repE0EEENS1_48merge_mergepath_partition_config_static_selectorELNS0_4arch9wavefront6targetE0EEEvSL_,"axG",@progbits,_ZN7rocprim17ROCPRIM_400000_NS6detail17trampoline_kernelINS0_14default_configENS1_38merge_sort_block_merge_config_selectorIfNS0_10empty_typeEEEZZNS1_27merge_sort_block_merge_implIS3_N6thrust23THRUST_200600_302600_NS6detail15normal_iteratorINS9_10device_ptrIfEEEEPS5_jNS1_19radix_merge_compareILb0ELb0EfNS0_19identity_decomposerEEEEE10hipError_tT0_T1_T2_jT3_P12ihipStream_tbPNSt15iterator_traitsISK_E10value_typeEPNSQ_ISL_E10value_typeEPSM_NS1_7vsmem_tEENKUlT_SK_SL_SM_E_clIPfSE_SF_SF_EESJ_SZ_SK_SL_SM_EUlSZ_E_NS1_11comp_targetILNS1_3genE8ELNS1_11target_archE1030ELNS1_3gpuE2ELNS1_3repE0EEENS1_48merge_mergepath_partition_config_static_selectorELNS0_4arch9wavefront6targetE0EEEvSL_,comdat
.Lfunc_end482:
	.size	_ZN7rocprim17ROCPRIM_400000_NS6detail17trampoline_kernelINS0_14default_configENS1_38merge_sort_block_merge_config_selectorIfNS0_10empty_typeEEEZZNS1_27merge_sort_block_merge_implIS3_N6thrust23THRUST_200600_302600_NS6detail15normal_iteratorINS9_10device_ptrIfEEEEPS5_jNS1_19radix_merge_compareILb0ELb0EfNS0_19identity_decomposerEEEEE10hipError_tT0_T1_T2_jT3_P12ihipStream_tbPNSt15iterator_traitsISK_E10value_typeEPNSQ_ISL_E10value_typeEPSM_NS1_7vsmem_tEENKUlT_SK_SL_SM_E_clIPfSE_SF_SF_EESJ_SZ_SK_SL_SM_EUlSZ_E_NS1_11comp_targetILNS1_3genE8ELNS1_11target_archE1030ELNS1_3gpuE2ELNS1_3repE0EEENS1_48merge_mergepath_partition_config_static_selectorELNS0_4arch9wavefront6targetE0EEEvSL_, .Lfunc_end482-_ZN7rocprim17ROCPRIM_400000_NS6detail17trampoline_kernelINS0_14default_configENS1_38merge_sort_block_merge_config_selectorIfNS0_10empty_typeEEEZZNS1_27merge_sort_block_merge_implIS3_N6thrust23THRUST_200600_302600_NS6detail15normal_iteratorINS9_10device_ptrIfEEEEPS5_jNS1_19radix_merge_compareILb0ELb0EfNS0_19identity_decomposerEEEEE10hipError_tT0_T1_T2_jT3_P12ihipStream_tbPNSt15iterator_traitsISK_E10value_typeEPNSQ_ISL_E10value_typeEPSM_NS1_7vsmem_tEENKUlT_SK_SL_SM_E_clIPfSE_SF_SF_EESJ_SZ_SK_SL_SM_EUlSZ_E_NS1_11comp_targetILNS1_3genE8ELNS1_11target_archE1030ELNS1_3gpuE2ELNS1_3repE0EEENS1_48merge_mergepath_partition_config_static_selectorELNS0_4arch9wavefront6targetE0EEEvSL_
                                        ; -- End function
	.set _ZN7rocprim17ROCPRIM_400000_NS6detail17trampoline_kernelINS0_14default_configENS1_38merge_sort_block_merge_config_selectorIfNS0_10empty_typeEEEZZNS1_27merge_sort_block_merge_implIS3_N6thrust23THRUST_200600_302600_NS6detail15normal_iteratorINS9_10device_ptrIfEEEEPS5_jNS1_19radix_merge_compareILb0ELb0EfNS0_19identity_decomposerEEEEE10hipError_tT0_T1_T2_jT3_P12ihipStream_tbPNSt15iterator_traitsISK_E10value_typeEPNSQ_ISL_E10value_typeEPSM_NS1_7vsmem_tEENKUlT_SK_SL_SM_E_clIPfSE_SF_SF_EESJ_SZ_SK_SL_SM_EUlSZ_E_NS1_11comp_targetILNS1_3genE8ELNS1_11target_archE1030ELNS1_3gpuE2ELNS1_3repE0EEENS1_48merge_mergepath_partition_config_static_selectorELNS0_4arch9wavefront6targetE0EEEvSL_.num_vgpr, 15
	.set _ZN7rocprim17ROCPRIM_400000_NS6detail17trampoline_kernelINS0_14default_configENS1_38merge_sort_block_merge_config_selectorIfNS0_10empty_typeEEEZZNS1_27merge_sort_block_merge_implIS3_N6thrust23THRUST_200600_302600_NS6detail15normal_iteratorINS9_10device_ptrIfEEEEPS5_jNS1_19radix_merge_compareILb0ELb0EfNS0_19identity_decomposerEEEEE10hipError_tT0_T1_T2_jT3_P12ihipStream_tbPNSt15iterator_traitsISK_E10value_typeEPNSQ_ISL_E10value_typeEPSM_NS1_7vsmem_tEENKUlT_SK_SL_SM_E_clIPfSE_SF_SF_EESJ_SZ_SK_SL_SM_EUlSZ_E_NS1_11comp_targetILNS1_3genE8ELNS1_11target_archE1030ELNS1_3gpuE2ELNS1_3repE0EEENS1_48merge_mergepath_partition_config_static_selectorELNS0_4arch9wavefront6targetE0EEEvSL_.num_agpr, 0
	.set _ZN7rocprim17ROCPRIM_400000_NS6detail17trampoline_kernelINS0_14default_configENS1_38merge_sort_block_merge_config_selectorIfNS0_10empty_typeEEEZZNS1_27merge_sort_block_merge_implIS3_N6thrust23THRUST_200600_302600_NS6detail15normal_iteratorINS9_10device_ptrIfEEEEPS5_jNS1_19radix_merge_compareILb0ELb0EfNS0_19identity_decomposerEEEEE10hipError_tT0_T1_T2_jT3_P12ihipStream_tbPNSt15iterator_traitsISK_E10value_typeEPNSQ_ISL_E10value_typeEPSM_NS1_7vsmem_tEENKUlT_SK_SL_SM_E_clIPfSE_SF_SF_EESJ_SZ_SK_SL_SM_EUlSZ_E_NS1_11comp_targetILNS1_3genE8ELNS1_11target_archE1030ELNS1_3gpuE2ELNS1_3repE0EEENS1_48merge_mergepath_partition_config_static_selectorELNS0_4arch9wavefront6targetE0EEEvSL_.numbered_sgpr, 7
	.set _ZN7rocprim17ROCPRIM_400000_NS6detail17trampoline_kernelINS0_14default_configENS1_38merge_sort_block_merge_config_selectorIfNS0_10empty_typeEEEZZNS1_27merge_sort_block_merge_implIS3_N6thrust23THRUST_200600_302600_NS6detail15normal_iteratorINS9_10device_ptrIfEEEEPS5_jNS1_19radix_merge_compareILb0ELb0EfNS0_19identity_decomposerEEEEE10hipError_tT0_T1_T2_jT3_P12ihipStream_tbPNSt15iterator_traitsISK_E10value_typeEPNSQ_ISL_E10value_typeEPSM_NS1_7vsmem_tEENKUlT_SK_SL_SM_E_clIPfSE_SF_SF_EESJ_SZ_SK_SL_SM_EUlSZ_E_NS1_11comp_targetILNS1_3genE8ELNS1_11target_archE1030ELNS1_3gpuE2ELNS1_3repE0EEENS1_48merge_mergepath_partition_config_static_selectorELNS0_4arch9wavefront6targetE0EEEvSL_.num_named_barrier, 0
	.set _ZN7rocprim17ROCPRIM_400000_NS6detail17trampoline_kernelINS0_14default_configENS1_38merge_sort_block_merge_config_selectorIfNS0_10empty_typeEEEZZNS1_27merge_sort_block_merge_implIS3_N6thrust23THRUST_200600_302600_NS6detail15normal_iteratorINS9_10device_ptrIfEEEEPS5_jNS1_19radix_merge_compareILb0ELb0EfNS0_19identity_decomposerEEEEE10hipError_tT0_T1_T2_jT3_P12ihipStream_tbPNSt15iterator_traitsISK_E10value_typeEPNSQ_ISL_E10value_typeEPSM_NS1_7vsmem_tEENKUlT_SK_SL_SM_E_clIPfSE_SF_SF_EESJ_SZ_SK_SL_SM_EUlSZ_E_NS1_11comp_targetILNS1_3genE8ELNS1_11target_archE1030ELNS1_3gpuE2ELNS1_3repE0EEENS1_48merge_mergepath_partition_config_static_selectorELNS0_4arch9wavefront6targetE0EEEvSL_.private_seg_size, 0
	.set _ZN7rocprim17ROCPRIM_400000_NS6detail17trampoline_kernelINS0_14default_configENS1_38merge_sort_block_merge_config_selectorIfNS0_10empty_typeEEEZZNS1_27merge_sort_block_merge_implIS3_N6thrust23THRUST_200600_302600_NS6detail15normal_iteratorINS9_10device_ptrIfEEEEPS5_jNS1_19radix_merge_compareILb0ELb0EfNS0_19identity_decomposerEEEEE10hipError_tT0_T1_T2_jT3_P12ihipStream_tbPNSt15iterator_traitsISK_E10value_typeEPNSQ_ISL_E10value_typeEPSM_NS1_7vsmem_tEENKUlT_SK_SL_SM_E_clIPfSE_SF_SF_EESJ_SZ_SK_SL_SM_EUlSZ_E_NS1_11comp_targetILNS1_3genE8ELNS1_11target_archE1030ELNS1_3gpuE2ELNS1_3repE0EEENS1_48merge_mergepath_partition_config_static_selectorELNS0_4arch9wavefront6targetE0EEEvSL_.uses_vcc, 1
	.set _ZN7rocprim17ROCPRIM_400000_NS6detail17trampoline_kernelINS0_14default_configENS1_38merge_sort_block_merge_config_selectorIfNS0_10empty_typeEEEZZNS1_27merge_sort_block_merge_implIS3_N6thrust23THRUST_200600_302600_NS6detail15normal_iteratorINS9_10device_ptrIfEEEEPS5_jNS1_19radix_merge_compareILb0ELb0EfNS0_19identity_decomposerEEEEE10hipError_tT0_T1_T2_jT3_P12ihipStream_tbPNSt15iterator_traitsISK_E10value_typeEPNSQ_ISL_E10value_typeEPSM_NS1_7vsmem_tEENKUlT_SK_SL_SM_E_clIPfSE_SF_SF_EESJ_SZ_SK_SL_SM_EUlSZ_E_NS1_11comp_targetILNS1_3genE8ELNS1_11target_archE1030ELNS1_3gpuE2ELNS1_3repE0EEENS1_48merge_mergepath_partition_config_static_selectorELNS0_4arch9wavefront6targetE0EEEvSL_.uses_flat_scratch, 0
	.set _ZN7rocprim17ROCPRIM_400000_NS6detail17trampoline_kernelINS0_14default_configENS1_38merge_sort_block_merge_config_selectorIfNS0_10empty_typeEEEZZNS1_27merge_sort_block_merge_implIS3_N6thrust23THRUST_200600_302600_NS6detail15normal_iteratorINS9_10device_ptrIfEEEEPS5_jNS1_19radix_merge_compareILb0ELb0EfNS0_19identity_decomposerEEEEE10hipError_tT0_T1_T2_jT3_P12ihipStream_tbPNSt15iterator_traitsISK_E10value_typeEPNSQ_ISL_E10value_typeEPSM_NS1_7vsmem_tEENKUlT_SK_SL_SM_E_clIPfSE_SF_SF_EESJ_SZ_SK_SL_SM_EUlSZ_E_NS1_11comp_targetILNS1_3genE8ELNS1_11target_archE1030ELNS1_3gpuE2ELNS1_3repE0EEENS1_48merge_mergepath_partition_config_static_selectorELNS0_4arch9wavefront6targetE0EEEvSL_.has_dyn_sized_stack, 0
	.set _ZN7rocprim17ROCPRIM_400000_NS6detail17trampoline_kernelINS0_14default_configENS1_38merge_sort_block_merge_config_selectorIfNS0_10empty_typeEEEZZNS1_27merge_sort_block_merge_implIS3_N6thrust23THRUST_200600_302600_NS6detail15normal_iteratorINS9_10device_ptrIfEEEEPS5_jNS1_19radix_merge_compareILb0ELb0EfNS0_19identity_decomposerEEEEE10hipError_tT0_T1_T2_jT3_P12ihipStream_tbPNSt15iterator_traitsISK_E10value_typeEPNSQ_ISL_E10value_typeEPSM_NS1_7vsmem_tEENKUlT_SK_SL_SM_E_clIPfSE_SF_SF_EESJ_SZ_SK_SL_SM_EUlSZ_E_NS1_11comp_targetILNS1_3genE8ELNS1_11target_archE1030ELNS1_3gpuE2ELNS1_3repE0EEENS1_48merge_mergepath_partition_config_static_selectorELNS0_4arch9wavefront6targetE0EEEvSL_.has_recursion, 0
	.set _ZN7rocprim17ROCPRIM_400000_NS6detail17trampoline_kernelINS0_14default_configENS1_38merge_sort_block_merge_config_selectorIfNS0_10empty_typeEEEZZNS1_27merge_sort_block_merge_implIS3_N6thrust23THRUST_200600_302600_NS6detail15normal_iteratorINS9_10device_ptrIfEEEEPS5_jNS1_19radix_merge_compareILb0ELb0EfNS0_19identity_decomposerEEEEE10hipError_tT0_T1_T2_jT3_P12ihipStream_tbPNSt15iterator_traitsISK_E10value_typeEPNSQ_ISL_E10value_typeEPSM_NS1_7vsmem_tEENKUlT_SK_SL_SM_E_clIPfSE_SF_SF_EESJ_SZ_SK_SL_SM_EUlSZ_E_NS1_11comp_targetILNS1_3genE8ELNS1_11target_archE1030ELNS1_3gpuE2ELNS1_3repE0EEENS1_48merge_mergepath_partition_config_static_selectorELNS0_4arch9wavefront6targetE0EEEvSL_.has_indirect_call, 0
	.section	.AMDGPU.csdata,"",@progbits
; Kernel info:
; codeLenInByte = 484
; TotalNumSgprs: 9
; NumVgprs: 15
; ScratchSize: 0
; MemoryBound: 0
; FloatMode: 240
; IeeeMode: 1
; LDSByteSize: 0 bytes/workgroup (compile time only)
; SGPRBlocks: 0
; VGPRBlocks: 1
; NumSGPRsForWavesPerEU: 9
; NumVGPRsForWavesPerEU: 15
; Occupancy: 16
; WaveLimiterHint : 0
; COMPUTE_PGM_RSRC2:SCRATCH_EN: 0
; COMPUTE_PGM_RSRC2:USER_SGPR: 6
; COMPUTE_PGM_RSRC2:TRAP_HANDLER: 0
; COMPUTE_PGM_RSRC2:TGID_X_EN: 1
; COMPUTE_PGM_RSRC2:TGID_Y_EN: 0
; COMPUTE_PGM_RSRC2:TGID_Z_EN: 0
; COMPUTE_PGM_RSRC2:TIDIG_COMP_CNT: 0
	.section	.text._ZN7rocprim17ROCPRIM_400000_NS6detail17trampoline_kernelINS0_14default_configENS1_38merge_sort_block_merge_config_selectorIfNS0_10empty_typeEEEZZNS1_27merge_sort_block_merge_implIS3_N6thrust23THRUST_200600_302600_NS6detail15normal_iteratorINS9_10device_ptrIfEEEEPS5_jNS1_19radix_merge_compareILb0ELb0EfNS0_19identity_decomposerEEEEE10hipError_tT0_T1_T2_jT3_P12ihipStream_tbPNSt15iterator_traitsISK_E10value_typeEPNSQ_ISL_E10value_typeEPSM_NS1_7vsmem_tEENKUlT_SK_SL_SM_E_clIPfSE_SF_SF_EESJ_SZ_SK_SL_SM_EUlSZ_E0_NS1_11comp_targetILNS1_3genE0ELNS1_11target_archE4294967295ELNS1_3gpuE0ELNS1_3repE0EEENS1_38merge_mergepath_config_static_selectorELNS0_4arch9wavefront6targetE0EEEvSL_,"axG",@progbits,_ZN7rocprim17ROCPRIM_400000_NS6detail17trampoline_kernelINS0_14default_configENS1_38merge_sort_block_merge_config_selectorIfNS0_10empty_typeEEEZZNS1_27merge_sort_block_merge_implIS3_N6thrust23THRUST_200600_302600_NS6detail15normal_iteratorINS9_10device_ptrIfEEEEPS5_jNS1_19radix_merge_compareILb0ELb0EfNS0_19identity_decomposerEEEEE10hipError_tT0_T1_T2_jT3_P12ihipStream_tbPNSt15iterator_traitsISK_E10value_typeEPNSQ_ISL_E10value_typeEPSM_NS1_7vsmem_tEENKUlT_SK_SL_SM_E_clIPfSE_SF_SF_EESJ_SZ_SK_SL_SM_EUlSZ_E0_NS1_11comp_targetILNS1_3genE0ELNS1_11target_archE4294967295ELNS1_3gpuE0ELNS1_3repE0EEENS1_38merge_mergepath_config_static_selectorELNS0_4arch9wavefront6targetE0EEEvSL_,comdat
	.protected	_ZN7rocprim17ROCPRIM_400000_NS6detail17trampoline_kernelINS0_14default_configENS1_38merge_sort_block_merge_config_selectorIfNS0_10empty_typeEEEZZNS1_27merge_sort_block_merge_implIS3_N6thrust23THRUST_200600_302600_NS6detail15normal_iteratorINS9_10device_ptrIfEEEEPS5_jNS1_19radix_merge_compareILb0ELb0EfNS0_19identity_decomposerEEEEE10hipError_tT0_T1_T2_jT3_P12ihipStream_tbPNSt15iterator_traitsISK_E10value_typeEPNSQ_ISL_E10value_typeEPSM_NS1_7vsmem_tEENKUlT_SK_SL_SM_E_clIPfSE_SF_SF_EESJ_SZ_SK_SL_SM_EUlSZ_E0_NS1_11comp_targetILNS1_3genE0ELNS1_11target_archE4294967295ELNS1_3gpuE0ELNS1_3repE0EEENS1_38merge_mergepath_config_static_selectorELNS0_4arch9wavefront6targetE0EEEvSL_ ; -- Begin function _ZN7rocprim17ROCPRIM_400000_NS6detail17trampoline_kernelINS0_14default_configENS1_38merge_sort_block_merge_config_selectorIfNS0_10empty_typeEEEZZNS1_27merge_sort_block_merge_implIS3_N6thrust23THRUST_200600_302600_NS6detail15normal_iteratorINS9_10device_ptrIfEEEEPS5_jNS1_19radix_merge_compareILb0ELb0EfNS0_19identity_decomposerEEEEE10hipError_tT0_T1_T2_jT3_P12ihipStream_tbPNSt15iterator_traitsISK_E10value_typeEPNSQ_ISL_E10value_typeEPSM_NS1_7vsmem_tEENKUlT_SK_SL_SM_E_clIPfSE_SF_SF_EESJ_SZ_SK_SL_SM_EUlSZ_E0_NS1_11comp_targetILNS1_3genE0ELNS1_11target_archE4294967295ELNS1_3gpuE0ELNS1_3repE0EEENS1_38merge_mergepath_config_static_selectorELNS0_4arch9wavefront6targetE0EEEvSL_
	.globl	_ZN7rocprim17ROCPRIM_400000_NS6detail17trampoline_kernelINS0_14default_configENS1_38merge_sort_block_merge_config_selectorIfNS0_10empty_typeEEEZZNS1_27merge_sort_block_merge_implIS3_N6thrust23THRUST_200600_302600_NS6detail15normal_iteratorINS9_10device_ptrIfEEEEPS5_jNS1_19radix_merge_compareILb0ELb0EfNS0_19identity_decomposerEEEEE10hipError_tT0_T1_T2_jT3_P12ihipStream_tbPNSt15iterator_traitsISK_E10value_typeEPNSQ_ISL_E10value_typeEPSM_NS1_7vsmem_tEENKUlT_SK_SL_SM_E_clIPfSE_SF_SF_EESJ_SZ_SK_SL_SM_EUlSZ_E0_NS1_11comp_targetILNS1_3genE0ELNS1_11target_archE4294967295ELNS1_3gpuE0ELNS1_3repE0EEENS1_38merge_mergepath_config_static_selectorELNS0_4arch9wavefront6targetE0EEEvSL_
	.p2align	8
	.type	_ZN7rocprim17ROCPRIM_400000_NS6detail17trampoline_kernelINS0_14default_configENS1_38merge_sort_block_merge_config_selectorIfNS0_10empty_typeEEEZZNS1_27merge_sort_block_merge_implIS3_N6thrust23THRUST_200600_302600_NS6detail15normal_iteratorINS9_10device_ptrIfEEEEPS5_jNS1_19radix_merge_compareILb0ELb0EfNS0_19identity_decomposerEEEEE10hipError_tT0_T1_T2_jT3_P12ihipStream_tbPNSt15iterator_traitsISK_E10value_typeEPNSQ_ISL_E10value_typeEPSM_NS1_7vsmem_tEENKUlT_SK_SL_SM_E_clIPfSE_SF_SF_EESJ_SZ_SK_SL_SM_EUlSZ_E0_NS1_11comp_targetILNS1_3genE0ELNS1_11target_archE4294967295ELNS1_3gpuE0ELNS1_3repE0EEENS1_38merge_mergepath_config_static_selectorELNS0_4arch9wavefront6targetE0EEEvSL_,@function
_ZN7rocprim17ROCPRIM_400000_NS6detail17trampoline_kernelINS0_14default_configENS1_38merge_sort_block_merge_config_selectorIfNS0_10empty_typeEEEZZNS1_27merge_sort_block_merge_implIS3_N6thrust23THRUST_200600_302600_NS6detail15normal_iteratorINS9_10device_ptrIfEEEEPS5_jNS1_19radix_merge_compareILb0ELb0EfNS0_19identity_decomposerEEEEE10hipError_tT0_T1_T2_jT3_P12ihipStream_tbPNSt15iterator_traitsISK_E10value_typeEPNSQ_ISL_E10value_typeEPSM_NS1_7vsmem_tEENKUlT_SK_SL_SM_E_clIPfSE_SF_SF_EESJ_SZ_SK_SL_SM_EUlSZ_E0_NS1_11comp_targetILNS1_3genE0ELNS1_11target_archE4294967295ELNS1_3gpuE0ELNS1_3repE0EEENS1_38merge_mergepath_config_static_selectorELNS0_4arch9wavefront6targetE0EEEvSL_: ; @_ZN7rocprim17ROCPRIM_400000_NS6detail17trampoline_kernelINS0_14default_configENS1_38merge_sort_block_merge_config_selectorIfNS0_10empty_typeEEEZZNS1_27merge_sort_block_merge_implIS3_N6thrust23THRUST_200600_302600_NS6detail15normal_iteratorINS9_10device_ptrIfEEEEPS5_jNS1_19radix_merge_compareILb0ELb0EfNS0_19identity_decomposerEEEEE10hipError_tT0_T1_T2_jT3_P12ihipStream_tbPNSt15iterator_traitsISK_E10value_typeEPNSQ_ISL_E10value_typeEPSM_NS1_7vsmem_tEENKUlT_SK_SL_SM_E_clIPfSE_SF_SF_EESJ_SZ_SK_SL_SM_EUlSZ_E0_NS1_11comp_targetILNS1_3genE0ELNS1_11target_archE4294967295ELNS1_3gpuE0ELNS1_3repE0EEENS1_38merge_mergepath_config_static_selectorELNS0_4arch9wavefront6targetE0EEEvSL_
; %bb.0:
	.section	.rodata,"a",@progbits
	.p2align	6, 0x0
	.amdhsa_kernel _ZN7rocprim17ROCPRIM_400000_NS6detail17trampoline_kernelINS0_14default_configENS1_38merge_sort_block_merge_config_selectorIfNS0_10empty_typeEEEZZNS1_27merge_sort_block_merge_implIS3_N6thrust23THRUST_200600_302600_NS6detail15normal_iteratorINS9_10device_ptrIfEEEEPS5_jNS1_19radix_merge_compareILb0ELb0EfNS0_19identity_decomposerEEEEE10hipError_tT0_T1_T2_jT3_P12ihipStream_tbPNSt15iterator_traitsISK_E10value_typeEPNSQ_ISL_E10value_typeEPSM_NS1_7vsmem_tEENKUlT_SK_SL_SM_E_clIPfSE_SF_SF_EESJ_SZ_SK_SL_SM_EUlSZ_E0_NS1_11comp_targetILNS1_3genE0ELNS1_11target_archE4294967295ELNS1_3gpuE0ELNS1_3repE0EEENS1_38merge_mergepath_config_static_selectorELNS0_4arch9wavefront6targetE0EEEvSL_
		.amdhsa_group_segment_fixed_size 0
		.amdhsa_private_segment_fixed_size 0
		.amdhsa_kernarg_size 64
		.amdhsa_user_sgpr_count 6
		.amdhsa_user_sgpr_private_segment_buffer 1
		.amdhsa_user_sgpr_dispatch_ptr 0
		.amdhsa_user_sgpr_queue_ptr 0
		.amdhsa_user_sgpr_kernarg_segment_ptr 1
		.amdhsa_user_sgpr_dispatch_id 0
		.amdhsa_user_sgpr_flat_scratch_init 0
		.amdhsa_user_sgpr_private_segment_size 0
		.amdhsa_wavefront_size32 1
		.amdhsa_uses_dynamic_stack 0
		.amdhsa_system_sgpr_private_segment_wavefront_offset 0
		.amdhsa_system_sgpr_workgroup_id_x 1
		.amdhsa_system_sgpr_workgroup_id_y 0
		.amdhsa_system_sgpr_workgroup_id_z 0
		.amdhsa_system_sgpr_workgroup_info 0
		.amdhsa_system_vgpr_workitem_id 0
		.amdhsa_next_free_vgpr 1
		.amdhsa_next_free_sgpr 1
		.amdhsa_reserve_vcc 0
		.amdhsa_reserve_flat_scratch 0
		.amdhsa_float_round_mode_32 0
		.amdhsa_float_round_mode_16_64 0
		.amdhsa_float_denorm_mode_32 3
		.amdhsa_float_denorm_mode_16_64 3
		.amdhsa_dx10_clamp 1
		.amdhsa_ieee_mode 1
		.amdhsa_fp16_overflow 0
		.amdhsa_workgroup_processor_mode 1
		.amdhsa_memory_ordered 1
		.amdhsa_forward_progress 1
		.amdhsa_shared_vgpr_count 0
		.amdhsa_exception_fp_ieee_invalid_op 0
		.amdhsa_exception_fp_denorm_src 0
		.amdhsa_exception_fp_ieee_div_zero 0
		.amdhsa_exception_fp_ieee_overflow 0
		.amdhsa_exception_fp_ieee_underflow 0
		.amdhsa_exception_fp_ieee_inexact 0
		.amdhsa_exception_int_div_zero 0
	.end_amdhsa_kernel
	.section	.text._ZN7rocprim17ROCPRIM_400000_NS6detail17trampoline_kernelINS0_14default_configENS1_38merge_sort_block_merge_config_selectorIfNS0_10empty_typeEEEZZNS1_27merge_sort_block_merge_implIS3_N6thrust23THRUST_200600_302600_NS6detail15normal_iteratorINS9_10device_ptrIfEEEEPS5_jNS1_19radix_merge_compareILb0ELb0EfNS0_19identity_decomposerEEEEE10hipError_tT0_T1_T2_jT3_P12ihipStream_tbPNSt15iterator_traitsISK_E10value_typeEPNSQ_ISL_E10value_typeEPSM_NS1_7vsmem_tEENKUlT_SK_SL_SM_E_clIPfSE_SF_SF_EESJ_SZ_SK_SL_SM_EUlSZ_E0_NS1_11comp_targetILNS1_3genE0ELNS1_11target_archE4294967295ELNS1_3gpuE0ELNS1_3repE0EEENS1_38merge_mergepath_config_static_selectorELNS0_4arch9wavefront6targetE0EEEvSL_,"axG",@progbits,_ZN7rocprim17ROCPRIM_400000_NS6detail17trampoline_kernelINS0_14default_configENS1_38merge_sort_block_merge_config_selectorIfNS0_10empty_typeEEEZZNS1_27merge_sort_block_merge_implIS3_N6thrust23THRUST_200600_302600_NS6detail15normal_iteratorINS9_10device_ptrIfEEEEPS5_jNS1_19radix_merge_compareILb0ELb0EfNS0_19identity_decomposerEEEEE10hipError_tT0_T1_T2_jT3_P12ihipStream_tbPNSt15iterator_traitsISK_E10value_typeEPNSQ_ISL_E10value_typeEPSM_NS1_7vsmem_tEENKUlT_SK_SL_SM_E_clIPfSE_SF_SF_EESJ_SZ_SK_SL_SM_EUlSZ_E0_NS1_11comp_targetILNS1_3genE0ELNS1_11target_archE4294967295ELNS1_3gpuE0ELNS1_3repE0EEENS1_38merge_mergepath_config_static_selectorELNS0_4arch9wavefront6targetE0EEEvSL_,comdat
.Lfunc_end483:
	.size	_ZN7rocprim17ROCPRIM_400000_NS6detail17trampoline_kernelINS0_14default_configENS1_38merge_sort_block_merge_config_selectorIfNS0_10empty_typeEEEZZNS1_27merge_sort_block_merge_implIS3_N6thrust23THRUST_200600_302600_NS6detail15normal_iteratorINS9_10device_ptrIfEEEEPS5_jNS1_19radix_merge_compareILb0ELb0EfNS0_19identity_decomposerEEEEE10hipError_tT0_T1_T2_jT3_P12ihipStream_tbPNSt15iterator_traitsISK_E10value_typeEPNSQ_ISL_E10value_typeEPSM_NS1_7vsmem_tEENKUlT_SK_SL_SM_E_clIPfSE_SF_SF_EESJ_SZ_SK_SL_SM_EUlSZ_E0_NS1_11comp_targetILNS1_3genE0ELNS1_11target_archE4294967295ELNS1_3gpuE0ELNS1_3repE0EEENS1_38merge_mergepath_config_static_selectorELNS0_4arch9wavefront6targetE0EEEvSL_, .Lfunc_end483-_ZN7rocprim17ROCPRIM_400000_NS6detail17trampoline_kernelINS0_14default_configENS1_38merge_sort_block_merge_config_selectorIfNS0_10empty_typeEEEZZNS1_27merge_sort_block_merge_implIS3_N6thrust23THRUST_200600_302600_NS6detail15normal_iteratorINS9_10device_ptrIfEEEEPS5_jNS1_19radix_merge_compareILb0ELb0EfNS0_19identity_decomposerEEEEE10hipError_tT0_T1_T2_jT3_P12ihipStream_tbPNSt15iterator_traitsISK_E10value_typeEPNSQ_ISL_E10value_typeEPSM_NS1_7vsmem_tEENKUlT_SK_SL_SM_E_clIPfSE_SF_SF_EESJ_SZ_SK_SL_SM_EUlSZ_E0_NS1_11comp_targetILNS1_3genE0ELNS1_11target_archE4294967295ELNS1_3gpuE0ELNS1_3repE0EEENS1_38merge_mergepath_config_static_selectorELNS0_4arch9wavefront6targetE0EEEvSL_
                                        ; -- End function
	.set _ZN7rocprim17ROCPRIM_400000_NS6detail17trampoline_kernelINS0_14default_configENS1_38merge_sort_block_merge_config_selectorIfNS0_10empty_typeEEEZZNS1_27merge_sort_block_merge_implIS3_N6thrust23THRUST_200600_302600_NS6detail15normal_iteratorINS9_10device_ptrIfEEEEPS5_jNS1_19radix_merge_compareILb0ELb0EfNS0_19identity_decomposerEEEEE10hipError_tT0_T1_T2_jT3_P12ihipStream_tbPNSt15iterator_traitsISK_E10value_typeEPNSQ_ISL_E10value_typeEPSM_NS1_7vsmem_tEENKUlT_SK_SL_SM_E_clIPfSE_SF_SF_EESJ_SZ_SK_SL_SM_EUlSZ_E0_NS1_11comp_targetILNS1_3genE0ELNS1_11target_archE4294967295ELNS1_3gpuE0ELNS1_3repE0EEENS1_38merge_mergepath_config_static_selectorELNS0_4arch9wavefront6targetE0EEEvSL_.num_vgpr, 0
	.set _ZN7rocprim17ROCPRIM_400000_NS6detail17trampoline_kernelINS0_14default_configENS1_38merge_sort_block_merge_config_selectorIfNS0_10empty_typeEEEZZNS1_27merge_sort_block_merge_implIS3_N6thrust23THRUST_200600_302600_NS6detail15normal_iteratorINS9_10device_ptrIfEEEEPS5_jNS1_19radix_merge_compareILb0ELb0EfNS0_19identity_decomposerEEEEE10hipError_tT0_T1_T2_jT3_P12ihipStream_tbPNSt15iterator_traitsISK_E10value_typeEPNSQ_ISL_E10value_typeEPSM_NS1_7vsmem_tEENKUlT_SK_SL_SM_E_clIPfSE_SF_SF_EESJ_SZ_SK_SL_SM_EUlSZ_E0_NS1_11comp_targetILNS1_3genE0ELNS1_11target_archE4294967295ELNS1_3gpuE0ELNS1_3repE0EEENS1_38merge_mergepath_config_static_selectorELNS0_4arch9wavefront6targetE0EEEvSL_.num_agpr, 0
	.set _ZN7rocprim17ROCPRIM_400000_NS6detail17trampoline_kernelINS0_14default_configENS1_38merge_sort_block_merge_config_selectorIfNS0_10empty_typeEEEZZNS1_27merge_sort_block_merge_implIS3_N6thrust23THRUST_200600_302600_NS6detail15normal_iteratorINS9_10device_ptrIfEEEEPS5_jNS1_19radix_merge_compareILb0ELb0EfNS0_19identity_decomposerEEEEE10hipError_tT0_T1_T2_jT3_P12ihipStream_tbPNSt15iterator_traitsISK_E10value_typeEPNSQ_ISL_E10value_typeEPSM_NS1_7vsmem_tEENKUlT_SK_SL_SM_E_clIPfSE_SF_SF_EESJ_SZ_SK_SL_SM_EUlSZ_E0_NS1_11comp_targetILNS1_3genE0ELNS1_11target_archE4294967295ELNS1_3gpuE0ELNS1_3repE0EEENS1_38merge_mergepath_config_static_selectorELNS0_4arch9wavefront6targetE0EEEvSL_.numbered_sgpr, 0
	.set _ZN7rocprim17ROCPRIM_400000_NS6detail17trampoline_kernelINS0_14default_configENS1_38merge_sort_block_merge_config_selectorIfNS0_10empty_typeEEEZZNS1_27merge_sort_block_merge_implIS3_N6thrust23THRUST_200600_302600_NS6detail15normal_iteratorINS9_10device_ptrIfEEEEPS5_jNS1_19radix_merge_compareILb0ELb0EfNS0_19identity_decomposerEEEEE10hipError_tT0_T1_T2_jT3_P12ihipStream_tbPNSt15iterator_traitsISK_E10value_typeEPNSQ_ISL_E10value_typeEPSM_NS1_7vsmem_tEENKUlT_SK_SL_SM_E_clIPfSE_SF_SF_EESJ_SZ_SK_SL_SM_EUlSZ_E0_NS1_11comp_targetILNS1_3genE0ELNS1_11target_archE4294967295ELNS1_3gpuE0ELNS1_3repE0EEENS1_38merge_mergepath_config_static_selectorELNS0_4arch9wavefront6targetE0EEEvSL_.num_named_barrier, 0
	.set _ZN7rocprim17ROCPRIM_400000_NS6detail17trampoline_kernelINS0_14default_configENS1_38merge_sort_block_merge_config_selectorIfNS0_10empty_typeEEEZZNS1_27merge_sort_block_merge_implIS3_N6thrust23THRUST_200600_302600_NS6detail15normal_iteratorINS9_10device_ptrIfEEEEPS5_jNS1_19radix_merge_compareILb0ELb0EfNS0_19identity_decomposerEEEEE10hipError_tT0_T1_T2_jT3_P12ihipStream_tbPNSt15iterator_traitsISK_E10value_typeEPNSQ_ISL_E10value_typeEPSM_NS1_7vsmem_tEENKUlT_SK_SL_SM_E_clIPfSE_SF_SF_EESJ_SZ_SK_SL_SM_EUlSZ_E0_NS1_11comp_targetILNS1_3genE0ELNS1_11target_archE4294967295ELNS1_3gpuE0ELNS1_3repE0EEENS1_38merge_mergepath_config_static_selectorELNS0_4arch9wavefront6targetE0EEEvSL_.private_seg_size, 0
	.set _ZN7rocprim17ROCPRIM_400000_NS6detail17trampoline_kernelINS0_14default_configENS1_38merge_sort_block_merge_config_selectorIfNS0_10empty_typeEEEZZNS1_27merge_sort_block_merge_implIS3_N6thrust23THRUST_200600_302600_NS6detail15normal_iteratorINS9_10device_ptrIfEEEEPS5_jNS1_19radix_merge_compareILb0ELb0EfNS0_19identity_decomposerEEEEE10hipError_tT0_T1_T2_jT3_P12ihipStream_tbPNSt15iterator_traitsISK_E10value_typeEPNSQ_ISL_E10value_typeEPSM_NS1_7vsmem_tEENKUlT_SK_SL_SM_E_clIPfSE_SF_SF_EESJ_SZ_SK_SL_SM_EUlSZ_E0_NS1_11comp_targetILNS1_3genE0ELNS1_11target_archE4294967295ELNS1_3gpuE0ELNS1_3repE0EEENS1_38merge_mergepath_config_static_selectorELNS0_4arch9wavefront6targetE0EEEvSL_.uses_vcc, 0
	.set _ZN7rocprim17ROCPRIM_400000_NS6detail17trampoline_kernelINS0_14default_configENS1_38merge_sort_block_merge_config_selectorIfNS0_10empty_typeEEEZZNS1_27merge_sort_block_merge_implIS3_N6thrust23THRUST_200600_302600_NS6detail15normal_iteratorINS9_10device_ptrIfEEEEPS5_jNS1_19radix_merge_compareILb0ELb0EfNS0_19identity_decomposerEEEEE10hipError_tT0_T1_T2_jT3_P12ihipStream_tbPNSt15iterator_traitsISK_E10value_typeEPNSQ_ISL_E10value_typeEPSM_NS1_7vsmem_tEENKUlT_SK_SL_SM_E_clIPfSE_SF_SF_EESJ_SZ_SK_SL_SM_EUlSZ_E0_NS1_11comp_targetILNS1_3genE0ELNS1_11target_archE4294967295ELNS1_3gpuE0ELNS1_3repE0EEENS1_38merge_mergepath_config_static_selectorELNS0_4arch9wavefront6targetE0EEEvSL_.uses_flat_scratch, 0
	.set _ZN7rocprim17ROCPRIM_400000_NS6detail17trampoline_kernelINS0_14default_configENS1_38merge_sort_block_merge_config_selectorIfNS0_10empty_typeEEEZZNS1_27merge_sort_block_merge_implIS3_N6thrust23THRUST_200600_302600_NS6detail15normal_iteratorINS9_10device_ptrIfEEEEPS5_jNS1_19radix_merge_compareILb0ELb0EfNS0_19identity_decomposerEEEEE10hipError_tT0_T1_T2_jT3_P12ihipStream_tbPNSt15iterator_traitsISK_E10value_typeEPNSQ_ISL_E10value_typeEPSM_NS1_7vsmem_tEENKUlT_SK_SL_SM_E_clIPfSE_SF_SF_EESJ_SZ_SK_SL_SM_EUlSZ_E0_NS1_11comp_targetILNS1_3genE0ELNS1_11target_archE4294967295ELNS1_3gpuE0ELNS1_3repE0EEENS1_38merge_mergepath_config_static_selectorELNS0_4arch9wavefront6targetE0EEEvSL_.has_dyn_sized_stack, 0
	.set _ZN7rocprim17ROCPRIM_400000_NS6detail17trampoline_kernelINS0_14default_configENS1_38merge_sort_block_merge_config_selectorIfNS0_10empty_typeEEEZZNS1_27merge_sort_block_merge_implIS3_N6thrust23THRUST_200600_302600_NS6detail15normal_iteratorINS9_10device_ptrIfEEEEPS5_jNS1_19radix_merge_compareILb0ELb0EfNS0_19identity_decomposerEEEEE10hipError_tT0_T1_T2_jT3_P12ihipStream_tbPNSt15iterator_traitsISK_E10value_typeEPNSQ_ISL_E10value_typeEPSM_NS1_7vsmem_tEENKUlT_SK_SL_SM_E_clIPfSE_SF_SF_EESJ_SZ_SK_SL_SM_EUlSZ_E0_NS1_11comp_targetILNS1_3genE0ELNS1_11target_archE4294967295ELNS1_3gpuE0ELNS1_3repE0EEENS1_38merge_mergepath_config_static_selectorELNS0_4arch9wavefront6targetE0EEEvSL_.has_recursion, 0
	.set _ZN7rocprim17ROCPRIM_400000_NS6detail17trampoline_kernelINS0_14default_configENS1_38merge_sort_block_merge_config_selectorIfNS0_10empty_typeEEEZZNS1_27merge_sort_block_merge_implIS3_N6thrust23THRUST_200600_302600_NS6detail15normal_iteratorINS9_10device_ptrIfEEEEPS5_jNS1_19radix_merge_compareILb0ELb0EfNS0_19identity_decomposerEEEEE10hipError_tT0_T1_T2_jT3_P12ihipStream_tbPNSt15iterator_traitsISK_E10value_typeEPNSQ_ISL_E10value_typeEPSM_NS1_7vsmem_tEENKUlT_SK_SL_SM_E_clIPfSE_SF_SF_EESJ_SZ_SK_SL_SM_EUlSZ_E0_NS1_11comp_targetILNS1_3genE0ELNS1_11target_archE4294967295ELNS1_3gpuE0ELNS1_3repE0EEENS1_38merge_mergepath_config_static_selectorELNS0_4arch9wavefront6targetE0EEEvSL_.has_indirect_call, 0
	.section	.AMDGPU.csdata,"",@progbits
; Kernel info:
; codeLenInByte = 0
; TotalNumSgprs: 0
; NumVgprs: 0
; ScratchSize: 0
; MemoryBound: 0
; FloatMode: 240
; IeeeMode: 1
; LDSByteSize: 0 bytes/workgroup (compile time only)
; SGPRBlocks: 0
; VGPRBlocks: 0
; NumSGPRsForWavesPerEU: 1
; NumVGPRsForWavesPerEU: 1
; Occupancy: 16
; WaveLimiterHint : 0
; COMPUTE_PGM_RSRC2:SCRATCH_EN: 0
; COMPUTE_PGM_RSRC2:USER_SGPR: 6
; COMPUTE_PGM_RSRC2:TRAP_HANDLER: 0
; COMPUTE_PGM_RSRC2:TGID_X_EN: 1
; COMPUTE_PGM_RSRC2:TGID_Y_EN: 0
; COMPUTE_PGM_RSRC2:TGID_Z_EN: 0
; COMPUTE_PGM_RSRC2:TIDIG_COMP_CNT: 0
	.section	.text._ZN7rocprim17ROCPRIM_400000_NS6detail17trampoline_kernelINS0_14default_configENS1_38merge_sort_block_merge_config_selectorIfNS0_10empty_typeEEEZZNS1_27merge_sort_block_merge_implIS3_N6thrust23THRUST_200600_302600_NS6detail15normal_iteratorINS9_10device_ptrIfEEEEPS5_jNS1_19radix_merge_compareILb0ELb0EfNS0_19identity_decomposerEEEEE10hipError_tT0_T1_T2_jT3_P12ihipStream_tbPNSt15iterator_traitsISK_E10value_typeEPNSQ_ISL_E10value_typeEPSM_NS1_7vsmem_tEENKUlT_SK_SL_SM_E_clIPfSE_SF_SF_EESJ_SZ_SK_SL_SM_EUlSZ_E0_NS1_11comp_targetILNS1_3genE10ELNS1_11target_archE1201ELNS1_3gpuE5ELNS1_3repE0EEENS1_38merge_mergepath_config_static_selectorELNS0_4arch9wavefront6targetE0EEEvSL_,"axG",@progbits,_ZN7rocprim17ROCPRIM_400000_NS6detail17trampoline_kernelINS0_14default_configENS1_38merge_sort_block_merge_config_selectorIfNS0_10empty_typeEEEZZNS1_27merge_sort_block_merge_implIS3_N6thrust23THRUST_200600_302600_NS6detail15normal_iteratorINS9_10device_ptrIfEEEEPS5_jNS1_19radix_merge_compareILb0ELb0EfNS0_19identity_decomposerEEEEE10hipError_tT0_T1_T2_jT3_P12ihipStream_tbPNSt15iterator_traitsISK_E10value_typeEPNSQ_ISL_E10value_typeEPSM_NS1_7vsmem_tEENKUlT_SK_SL_SM_E_clIPfSE_SF_SF_EESJ_SZ_SK_SL_SM_EUlSZ_E0_NS1_11comp_targetILNS1_3genE10ELNS1_11target_archE1201ELNS1_3gpuE5ELNS1_3repE0EEENS1_38merge_mergepath_config_static_selectorELNS0_4arch9wavefront6targetE0EEEvSL_,comdat
	.protected	_ZN7rocprim17ROCPRIM_400000_NS6detail17trampoline_kernelINS0_14default_configENS1_38merge_sort_block_merge_config_selectorIfNS0_10empty_typeEEEZZNS1_27merge_sort_block_merge_implIS3_N6thrust23THRUST_200600_302600_NS6detail15normal_iteratorINS9_10device_ptrIfEEEEPS5_jNS1_19radix_merge_compareILb0ELb0EfNS0_19identity_decomposerEEEEE10hipError_tT0_T1_T2_jT3_P12ihipStream_tbPNSt15iterator_traitsISK_E10value_typeEPNSQ_ISL_E10value_typeEPSM_NS1_7vsmem_tEENKUlT_SK_SL_SM_E_clIPfSE_SF_SF_EESJ_SZ_SK_SL_SM_EUlSZ_E0_NS1_11comp_targetILNS1_3genE10ELNS1_11target_archE1201ELNS1_3gpuE5ELNS1_3repE0EEENS1_38merge_mergepath_config_static_selectorELNS0_4arch9wavefront6targetE0EEEvSL_ ; -- Begin function _ZN7rocprim17ROCPRIM_400000_NS6detail17trampoline_kernelINS0_14default_configENS1_38merge_sort_block_merge_config_selectorIfNS0_10empty_typeEEEZZNS1_27merge_sort_block_merge_implIS3_N6thrust23THRUST_200600_302600_NS6detail15normal_iteratorINS9_10device_ptrIfEEEEPS5_jNS1_19radix_merge_compareILb0ELb0EfNS0_19identity_decomposerEEEEE10hipError_tT0_T1_T2_jT3_P12ihipStream_tbPNSt15iterator_traitsISK_E10value_typeEPNSQ_ISL_E10value_typeEPSM_NS1_7vsmem_tEENKUlT_SK_SL_SM_E_clIPfSE_SF_SF_EESJ_SZ_SK_SL_SM_EUlSZ_E0_NS1_11comp_targetILNS1_3genE10ELNS1_11target_archE1201ELNS1_3gpuE5ELNS1_3repE0EEENS1_38merge_mergepath_config_static_selectorELNS0_4arch9wavefront6targetE0EEEvSL_
	.globl	_ZN7rocprim17ROCPRIM_400000_NS6detail17trampoline_kernelINS0_14default_configENS1_38merge_sort_block_merge_config_selectorIfNS0_10empty_typeEEEZZNS1_27merge_sort_block_merge_implIS3_N6thrust23THRUST_200600_302600_NS6detail15normal_iteratorINS9_10device_ptrIfEEEEPS5_jNS1_19radix_merge_compareILb0ELb0EfNS0_19identity_decomposerEEEEE10hipError_tT0_T1_T2_jT3_P12ihipStream_tbPNSt15iterator_traitsISK_E10value_typeEPNSQ_ISL_E10value_typeEPSM_NS1_7vsmem_tEENKUlT_SK_SL_SM_E_clIPfSE_SF_SF_EESJ_SZ_SK_SL_SM_EUlSZ_E0_NS1_11comp_targetILNS1_3genE10ELNS1_11target_archE1201ELNS1_3gpuE5ELNS1_3repE0EEENS1_38merge_mergepath_config_static_selectorELNS0_4arch9wavefront6targetE0EEEvSL_
	.p2align	8
	.type	_ZN7rocprim17ROCPRIM_400000_NS6detail17trampoline_kernelINS0_14default_configENS1_38merge_sort_block_merge_config_selectorIfNS0_10empty_typeEEEZZNS1_27merge_sort_block_merge_implIS3_N6thrust23THRUST_200600_302600_NS6detail15normal_iteratorINS9_10device_ptrIfEEEEPS5_jNS1_19radix_merge_compareILb0ELb0EfNS0_19identity_decomposerEEEEE10hipError_tT0_T1_T2_jT3_P12ihipStream_tbPNSt15iterator_traitsISK_E10value_typeEPNSQ_ISL_E10value_typeEPSM_NS1_7vsmem_tEENKUlT_SK_SL_SM_E_clIPfSE_SF_SF_EESJ_SZ_SK_SL_SM_EUlSZ_E0_NS1_11comp_targetILNS1_3genE10ELNS1_11target_archE1201ELNS1_3gpuE5ELNS1_3repE0EEENS1_38merge_mergepath_config_static_selectorELNS0_4arch9wavefront6targetE0EEEvSL_,@function
_ZN7rocprim17ROCPRIM_400000_NS6detail17trampoline_kernelINS0_14default_configENS1_38merge_sort_block_merge_config_selectorIfNS0_10empty_typeEEEZZNS1_27merge_sort_block_merge_implIS3_N6thrust23THRUST_200600_302600_NS6detail15normal_iteratorINS9_10device_ptrIfEEEEPS5_jNS1_19radix_merge_compareILb0ELb0EfNS0_19identity_decomposerEEEEE10hipError_tT0_T1_T2_jT3_P12ihipStream_tbPNSt15iterator_traitsISK_E10value_typeEPNSQ_ISL_E10value_typeEPSM_NS1_7vsmem_tEENKUlT_SK_SL_SM_E_clIPfSE_SF_SF_EESJ_SZ_SK_SL_SM_EUlSZ_E0_NS1_11comp_targetILNS1_3genE10ELNS1_11target_archE1201ELNS1_3gpuE5ELNS1_3repE0EEENS1_38merge_mergepath_config_static_selectorELNS0_4arch9wavefront6targetE0EEEvSL_: ; @_ZN7rocprim17ROCPRIM_400000_NS6detail17trampoline_kernelINS0_14default_configENS1_38merge_sort_block_merge_config_selectorIfNS0_10empty_typeEEEZZNS1_27merge_sort_block_merge_implIS3_N6thrust23THRUST_200600_302600_NS6detail15normal_iteratorINS9_10device_ptrIfEEEEPS5_jNS1_19radix_merge_compareILb0ELb0EfNS0_19identity_decomposerEEEEE10hipError_tT0_T1_T2_jT3_P12ihipStream_tbPNSt15iterator_traitsISK_E10value_typeEPNSQ_ISL_E10value_typeEPSM_NS1_7vsmem_tEENKUlT_SK_SL_SM_E_clIPfSE_SF_SF_EESJ_SZ_SK_SL_SM_EUlSZ_E0_NS1_11comp_targetILNS1_3genE10ELNS1_11target_archE1201ELNS1_3gpuE5ELNS1_3repE0EEENS1_38merge_mergepath_config_static_selectorELNS0_4arch9wavefront6targetE0EEEvSL_
; %bb.0:
	.section	.rodata,"a",@progbits
	.p2align	6, 0x0
	.amdhsa_kernel _ZN7rocprim17ROCPRIM_400000_NS6detail17trampoline_kernelINS0_14default_configENS1_38merge_sort_block_merge_config_selectorIfNS0_10empty_typeEEEZZNS1_27merge_sort_block_merge_implIS3_N6thrust23THRUST_200600_302600_NS6detail15normal_iteratorINS9_10device_ptrIfEEEEPS5_jNS1_19radix_merge_compareILb0ELb0EfNS0_19identity_decomposerEEEEE10hipError_tT0_T1_T2_jT3_P12ihipStream_tbPNSt15iterator_traitsISK_E10value_typeEPNSQ_ISL_E10value_typeEPSM_NS1_7vsmem_tEENKUlT_SK_SL_SM_E_clIPfSE_SF_SF_EESJ_SZ_SK_SL_SM_EUlSZ_E0_NS1_11comp_targetILNS1_3genE10ELNS1_11target_archE1201ELNS1_3gpuE5ELNS1_3repE0EEENS1_38merge_mergepath_config_static_selectorELNS0_4arch9wavefront6targetE0EEEvSL_
		.amdhsa_group_segment_fixed_size 0
		.amdhsa_private_segment_fixed_size 0
		.amdhsa_kernarg_size 64
		.amdhsa_user_sgpr_count 6
		.amdhsa_user_sgpr_private_segment_buffer 1
		.amdhsa_user_sgpr_dispatch_ptr 0
		.amdhsa_user_sgpr_queue_ptr 0
		.amdhsa_user_sgpr_kernarg_segment_ptr 1
		.amdhsa_user_sgpr_dispatch_id 0
		.amdhsa_user_sgpr_flat_scratch_init 0
		.amdhsa_user_sgpr_private_segment_size 0
		.amdhsa_wavefront_size32 1
		.amdhsa_uses_dynamic_stack 0
		.amdhsa_system_sgpr_private_segment_wavefront_offset 0
		.amdhsa_system_sgpr_workgroup_id_x 1
		.amdhsa_system_sgpr_workgroup_id_y 0
		.amdhsa_system_sgpr_workgroup_id_z 0
		.amdhsa_system_sgpr_workgroup_info 0
		.amdhsa_system_vgpr_workitem_id 0
		.amdhsa_next_free_vgpr 1
		.amdhsa_next_free_sgpr 1
		.amdhsa_reserve_vcc 0
		.amdhsa_reserve_flat_scratch 0
		.amdhsa_float_round_mode_32 0
		.amdhsa_float_round_mode_16_64 0
		.amdhsa_float_denorm_mode_32 3
		.amdhsa_float_denorm_mode_16_64 3
		.amdhsa_dx10_clamp 1
		.amdhsa_ieee_mode 1
		.amdhsa_fp16_overflow 0
		.amdhsa_workgroup_processor_mode 1
		.amdhsa_memory_ordered 1
		.amdhsa_forward_progress 1
		.amdhsa_shared_vgpr_count 0
		.amdhsa_exception_fp_ieee_invalid_op 0
		.amdhsa_exception_fp_denorm_src 0
		.amdhsa_exception_fp_ieee_div_zero 0
		.amdhsa_exception_fp_ieee_overflow 0
		.amdhsa_exception_fp_ieee_underflow 0
		.amdhsa_exception_fp_ieee_inexact 0
		.amdhsa_exception_int_div_zero 0
	.end_amdhsa_kernel
	.section	.text._ZN7rocprim17ROCPRIM_400000_NS6detail17trampoline_kernelINS0_14default_configENS1_38merge_sort_block_merge_config_selectorIfNS0_10empty_typeEEEZZNS1_27merge_sort_block_merge_implIS3_N6thrust23THRUST_200600_302600_NS6detail15normal_iteratorINS9_10device_ptrIfEEEEPS5_jNS1_19radix_merge_compareILb0ELb0EfNS0_19identity_decomposerEEEEE10hipError_tT0_T1_T2_jT3_P12ihipStream_tbPNSt15iterator_traitsISK_E10value_typeEPNSQ_ISL_E10value_typeEPSM_NS1_7vsmem_tEENKUlT_SK_SL_SM_E_clIPfSE_SF_SF_EESJ_SZ_SK_SL_SM_EUlSZ_E0_NS1_11comp_targetILNS1_3genE10ELNS1_11target_archE1201ELNS1_3gpuE5ELNS1_3repE0EEENS1_38merge_mergepath_config_static_selectorELNS0_4arch9wavefront6targetE0EEEvSL_,"axG",@progbits,_ZN7rocprim17ROCPRIM_400000_NS6detail17trampoline_kernelINS0_14default_configENS1_38merge_sort_block_merge_config_selectorIfNS0_10empty_typeEEEZZNS1_27merge_sort_block_merge_implIS3_N6thrust23THRUST_200600_302600_NS6detail15normal_iteratorINS9_10device_ptrIfEEEEPS5_jNS1_19radix_merge_compareILb0ELb0EfNS0_19identity_decomposerEEEEE10hipError_tT0_T1_T2_jT3_P12ihipStream_tbPNSt15iterator_traitsISK_E10value_typeEPNSQ_ISL_E10value_typeEPSM_NS1_7vsmem_tEENKUlT_SK_SL_SM_E_clIPfSE_SF_SF_EESJ_SZ_SK_SL_SM_EUlSZ_E0_NS1_11comp_targetILNS1_3genE10ELNS1_11target_archE1201ELNS1_3gpuE5ELNS1_3repE0EEENS1_38merge_mergepath_config_static_selectorELNS0_4arch9wavefront6targetE0EEEvSL_,comdat
.Lfunc_end484:
	.size	_ZN7rocprim17ROCPRIM_400000_NS6detail17trampoline_kernelINS0_14default_configENS1_38merge_sort_block_merge_config_selectorIfNS0_10empty_typeEEEZZNS1_27merge_sort_block_merge_implIS3_N6thrust23THRUST_200600_302600_NS6detail15normal_iteratorINS9_10device_ptrIfEEEEPS5_jNS1_19radix_merge_compareILb0ELb0EfNS0_19identity_decomposerEEEEE10hipError_tT0_T1_T2_jT3_P12ihipStream_tbPNSt15iterator_traitsISK_E10value_typeEPNSQ_ISL_E10value_typeEPSM_NS1_7vsmem_tEENKUlT_SK_SL_SM_E_clIPfSE_SF_SF_EESJ_SZ_SK_SL_SM_EUlSZ_E0_NS1_11comp_targetILNS1_3genE10ELNS1_11target_archE1201ELNS1_3gpuE5ELNS1_3repE0EEENS1_38merge_mergepath_config_static_selectorELNS0_4arch9wavefront6targetE0EEEvSL_, .Lfunc_end484-_ZN7rocprim17ROCPRIM_400000_NS6detail17trampoline_kernelINS0_14default_configENS1_38merge_sort_block_merge_config_selectorIfNS0_10empty_typeEEEZZNS1_27merge_sort_block_merge_implIS3_N6thrust23THRUST_200600_302600_NS6detail15normal_iteratorINS9_10device_ptrIfEEEEPS5_jNS1_19radix_merge_compareILb0ELb0EfNS0_19identity_decomposerEEEEE10hipError_tT0_T1_T2_jT3_P12ihipStream_tbPNSt15iterator_traitsISK_E10value_typeEPNSQ_ISL_E10value_typeEPSM_NS1_7vsmem_tEENKUlT_SK_SL_SM_E_clIPfSE_SF_SF_EESJ_SZ_SK_SL_SM_EUlSZ_E0_NS1_11comp_targetILNS1_3genE10ELNS1_11target_archE1201ELNS1_3gpuE5ELNS1_3repE0EEENS1_38merge_mergepath_config_static_selectorELNS0_4arch9wavefront6targetE0EEEvSL_
                                        ; -- End function
	.set _ZN7rocprim17ROCPRIM_400000_NS6detail17trampoline_kernelINS0_14default_configENS1_38merge_sort_block_merge_config_selectorIfNS0_10empty_typeEEEZZNS1_27merge_sort_block_merge_implIS3_N6thrust23THRUST_200600_302600_NS6detail15normal_iteratorINS9_10device_ptrIfEEEEPS5_jNS1_19radix_merge_compareILb0ELb0EfNS0_19identity_decomposerEEEEE10hipError_tT0_T1_T2_jT3_P12ihipStream_tbPNSt15iterator_traitsISK_E10value_typeEPNSQ_ISL_E10value_typeEPSM_NS1_7vsmem_tEENKUlT_SK_SL_SM_E_clIPfSE_SF_SF_EESJ_SZ_SK_SL_SM_EUlSZ_E0_NS1_11comp_targetILNS1_3genE10ELNS1_11target_archE1201ELNS1_3gpuE5ELNS1_3repE0EEENS1_38merge_mergepath_config_static_selectorELNS0_4arch9wavefront6targetE0EEEvSL_.num_vgpr, 0
	.set _ZN7rocprim17ROCPRIM_400000_NS6detail17trampoline_kernelINS0_14default_configENS1_38merge_sort_block_merge_config_selectorIfNS0_10empty_typeEEEZZNS1_27merge_sort_block_merge_implIS3_N6thrust23THRUST_200600_302600_NS6detail15normal_iteratorINS9_10device_ptrIfEEEEPS5_jNS1_19radix_merge_compareILb0ELb0EfNS0_19identity_decomposerEEEEE10hipError_tT0_T1_T2_jT3_P12ihipStream_tbPNSt15iterator_traitsISK_E10value_typeEPNSQ_ISL_E10value_typeEPSM_NS1_7vsmem_tEENKUlT_SK_SL_SM_E_clIPfSE_SF_SF_EESJ_SZ_SK_SL_SM_EUlSZ_E0_NS1_11comp_targetILNS1_3genE10ELNS1_11target_archE1201ELNS1_3gpuE5ELNS1_3repE0EEENS1_38merge_mergepath_config_static_selectorELNS0_4arch9wavefront6targetE0EEEvSL_.num_agpr, 0
	.set _ZN7rocprim17ROCPRIM_400000_NS6detail17trampoline_kernelINS0_14default_configENS1_38merge_sort_block_merge_config_selectorIfNS0_10empty_typeEEEZZNS1_27merge_sort_block_merge_implIS3_N6thrust23THRUST_200600_302600_NS6detail15normal_iteratorINS9_10device_ptrIfEEEEPS5_jNS1_19radix_merge_compareILb0ELb0EfNS0_19identity_decomposerEEEEE10hipError_tT0_T1_T2_jT3_P12ihipStream_tbPNSt15iterator_traitsISK_E10value_typeEPNSQ_ISL_E10value_typeEPSM_NS1_7vsmem_tEENKUlT_SK_SL_SM_E_clIPfSE_SF_SF_EESJ_SZ_SK_SL_SM_EUlSZ_E0_NS1_11comp_targetILNS1_3genE10ELNS1_11target_archE1201ELNS1_3gpuE5ELNS1_3repE0EEENS1_38merge_mergepath_config_static_selectorELNS0_4arch9wavefront6targetE0EEEvSL_.numbered_sgpr, 0
	.set _ZN7rocprim17ROCPRIM_400000_NS6detail17trampoline_kernelINS0_14default_configENS1_38merge_sort_block_merge_config_selectorIfNS0_10empty_typeEEEZZNS1_27merge_sort_block_merge_implIS3_N6thrust23THRUST_200600_302600_NS6detail15normal_iteratorINS9_10device_ptrIfEEEEPS5_jNS1_19radix_merge_compareILb0ELb0EfNS0_19identity_decomposerEEEEE10hipError_tT0_T1_T2_jT3_P12ihipStream_tbPNSt15iterator_traitsISK_E10value_typeEPNSQ_ISL_E10value_typeEPSM_NS1_7vsmem_tEENKUlT_SK_SL_SM_E_clIPfSE_SF_SF_EESJ_SZ_SK_SL_SM_EUlSZ_E0_NS1_11comp_targetILNS1_3genE10ELNS1_11target_archE1201ELNS1_3gpuE5ELNS1_3repE0EEENS1_38merge_mergepath_config_static_selectorELNS0_4arch9wavefront6targetE0EEEvSL_.num_named_barrier, 0
	.set _ZN7rocprim17ROCPRIM_400000_NS6detail17trampoline_kernelINS0_14default_configENS1_38merge_sort_block_merge_config_selectorIfNS0_10empty_typeEEEZZNS1_27merge_sort_block_merge_implIS3_N6thrust23THRUST_200600_302600_NS6detail15normal_iteratorINS9_10device_ptrIfEEEEPS5_jNS1_19radix_merge_compareILb0ELb0EfNS0_19identity_decomposerEEEEE10hipError_tT0_T1_T2_jT3_P12ihipStream_tbPNSt15iterator_traitsISK_E10value_typeEPNSQ_ISL_E10value_typeEPSM_NS1_7vsmem_tEENKUlT_SK_SL_SM_E_clIPfSE_SF_SF_EESJ_SZ_SK_SL_SM_EUlSZ_E0_NS1_11comp_targetILNS1_3genE10ELNS1_11target_archE1201ELNS1_3gpuE5ELNS1_3repE0EEENS1_38merge_mergepath_config_static_selectorELNS0_4arch9wavefront6targetE0EEEvSL_.private_seg_size, 0
	.set _ZN7rocprim17ROCPRIM_400000_NS6detail17trampoline_kernelINS0_14default_configENS1_38merge_sort_block_merge_config_selectorIfNS0_10empty_typeEEEZZNS1_27merge_sort_block_merge_implIS3_N6thrust23THRUST_200600_302600_NS6detail15normal_iteratorINS9_10device_ptrIfEEEEPS5_jNS1_19radix_merge_compareILb0ELb0EfNS0_19identity_decomposerEEEEE10hipError_tT0_T1_T2_jT3_P12ihipStream_tbPNSt15iterator_traitsISK_E10value_typeEPNSQ_ISL_E10value_typeEPSM_NS1_7vsmem_tEENKUlT_SK_SL_SM_E_clIPfSE_SF_SF_EESJ_SZ_SK_SL_SM_EUlSZ_E0_NS1_11comp_targetILNS1_3genE10ELNS1_11target_archE1201ELNS1_3gpuE5ELNS1_3repE0EEENS1_38merge_mergepath_config_static_selectorELNS0_4arch9wavefront6targetE0EEEvSL_.uses_vcc, 0
	.set _ZN7rocprim17ROCPRIM_400000_NS6detail17trampoline_kernelINS0_14default_configENS1_38merge_sort_block_merge_config_selectorIfNS0_10empty_typeEEEZZNS1_27merge_sort_block_merge_implIS3_N6thrust23THRUST_200600_302600_NS6detail15normal_iteratorINS9_10device_ptrIfEEEEPS5_jNS1_19radix_merge_compareILb0ELb0EfNS0_19identity_decomposerEEEEE10hipError_tT0_T1_T2_jT3_P12ihipStream_tbPNSt15iterator_traitsISK_E10value_typeEPNSQ_ISL_E10value_typeEPSM_NS1_7vsmem_tEENKUlT_SK_SL_SM_E_clIPfSE_SF_SF_EESJ_SZ_SK_SL_SM_EUlSZ_E0_NS1_11comp_targetILNS1_3genE10ELNS1_11target_archE1201ELNS1_3gpuE5ELNS1_3repE0EEENS1_38merge_mergepath_config_static_selectorELNS0_4arch9wavefront6targetE0EEEvSL_.uses_flat_scratch, 0
	.set _ZN7rocprim17ROCPRIM_400000_NS6detail17trampoline_kernelINS0_14default_configENS1_38merge_sort_block_merge_config_selectorIfNS0_10empty_typeEEEZZNS1_27merge_sort_block_merge_implIS3_N6thrust23THRUST_200600_302600_NS6detail15normal_iteratorINS9_10device_ptrIfEEEEPS5_jNS1_19radix_merge_compareILb0ELb0EfNS0_19identity_decomposerEEEEE10hipError_tT0_T1_T2_jT3_P12ihipStream_tbPNSt15iterator_traitsISK_E10value_typeEPNSQ_ISL_E10value_typeEPSM_NS1_7vsmem_tEENKUlT_SK_SL_SM_E_clIPfSE_SF_SF_EESJ_SZ_SK_SL_SM_EUlSZ_E0_NS1_11comp_targetILNS1_3genE10ELNS1_11target_archE1201ELNS1_3gpuE5ELNS1_3repE0EEENS1_38merge_mergepath_config_static_selectorELNS0_4arch9wavefront6targetE0EEEvSL_.has_dyn_sized_stack, 0
	.set _ZN7rocprim17ROCPRIM_400000_NS6detail17trampoline_kernelINS0_14default_configENS1_38merge_sort_block_merge_config_selectorIfNS0_10empty_typeEEEZZNS1_27merge_sort_block_merge_implIS3_N6thrust23THRUST_200600_302600_NS6detail15normal_iteratorINS9_10device_ptrIfEEEEPS5_jNS1_19radix_merge_compareILb0ELb0EfNS0_19identity_decomposerEEEEE10hipError_tT0_T1_T2_jT3_P12ihipStream_tbPNSt15iterator_traitsISK_E10value_typeEPNSQ_ISL_E10value_typeEPSM_NS1_7vsmem_tEENKUlT_SK_SL_SM_E_clIPfSE_SF_SF_EESJ_SZ_SK_SL_SM_EUlSZ_E0_NS1_11comp_targetILNS1_3genE10ELNS1_11target_archE1201ELNS1_3gpuE5ELNS1_3repE0EEENS1_38merge_mergepath_config_static_selectorELNS0_4arch9wavefront6targetE0EEEvSL_.has_recursion, 0
	.set _ZN7rocprim17ROCPRIM_400000_NS6detail17trampoline_kernelINS0_14default_configENS1_38merge_sort_block_merge_config_selectorIfNS0_10empty_typeEEEZZNS1_27merge_sort_block_merge_implIS3_N6thrust23THRUST_200600_302600_NS6detail15normal_iteratorINS9_10device_ptrIfEEEEPS5_jNS1_19radix_merge_compareILb0ELb0EfNS0_19identity_decomposerEEEEE10hipError_tT0_T1_T2_jT3_P12ihipStream_tbPNSt15iterator_traitsISK_E10value_typeEPNSQ_ISL_E10value_typeEPSM_NS1_7vsmem_tEENKUlT_SK_SL_SM_E_clIPfSE_SF_SF_EESJ_SZ_SK_SL_SM_EUlSZ_E0_NS1_11comp_targetILNS1_3genE10ELNS1_11target_archE1201ELNS1_3gpuE5ELNS1_3repE0EEENS1_38merge_mergepath_config_static_selectorELNS0_4arch9wavefront6targetE0EEEvSL_.has_indirect_call, 0
	.section	.AMDGPU.csdata,"",@progbits
; Kernel info:
; codeLenInByte = 0
; TotalNumSgprs: 0
; NumVgprs: 0
; ScratchSize: 0
; MemoryBound: 0
; FloatMode: 240
; IeeeMode: 1
; LDSByteSize: 0 bytes/workgroup (compile time only)
; SGPRBlocks: 0
; VGPRBlocks: 0
; NumSGPRsForWavesPerEU: 1
; NumVGPRsForWavesPerEU: 1
; Occupancy: 16
; WaveLimiterHint : 0
; COMPUTE_PGM_RSRC2:SCRATCH_EN: 0
; COMPUTE_PGM_RSRC2:USER_SGPR: 6
; COMPUTE_PGM_RSRC2:TRAP_HANDLER: 0
; COMPUTE_PGM_RSRC2:TGID_X_EN: 1
; COMPUTE_PGM_RSRC2:TGID_Y_EN: 0
; COMPUTE_PGM_RSRC2:TGID_Z_EN: 0
; COMPUTE_PGM_RSRC2:TIDIG_COMP_CNT: 0
	.section	.text._ZN7rocprim17ROCPRIM_400000_NS6detail17trampoline_kernelINS0_14default_configENS1_38merge_sort_block_merge_config_selectorIfNS0_10empty_typeEEEZZNS1_27merge_sort_block_merge_implIS3_N6thrust23THRUST_200600_302600_NS6detail15normal_iteratorINS9_10device_ptrIfEEEEPS5_jNS1_19radix_merge_compareILb0ELb0EfNS0_19identity_decomposerEEEEE10hipError_tT0_T1_T2_jT3_P12ihipStream_tbPNSt15iterator_traitsISK_E10value_typeEPNSQ_ISL_E10value_typeEPSM_NS1_7vsmem_tEENKUlT_SK_SL_SM_E_clIPfSE_SF_SF_EESJ_SZ_SK_SL_SM_EUlSZ_E0_NS1_11comp_targetILNS1_3genE5ELNS1_11target_archE942ELNS1_3gpuE9ELNS1_3repE0EEENS1_38merge_mergepath_config_static_selectorELNS0_4arch9wavefront6targetE0EEEvSL_,"axG",@progbits,_ZN7rocprim17ROCPRIM_400000_NS6detail17trampoline_kernelINS0_14default_configENS1_38merge_sort_block_merge_config_selectorIfNS0_10empty_typeEEEZZNS1_27merge_sort_block_merge_implIS3_N6thrust23THRUST_200600_302600_NS6detail15normal_iteratorINS9_10device_ptrIfEEEEPS5_jNS1_19radix_merge_compareILb0ELb0EfNS0_19identity_decomposerEEEEE10hipError_tT0_T1_T2_jT3_P12ihipStream_tbPNSt15iterator_traitsISK_E10value_typeEPNSQ_ISL_E10value_typeEPSM_NS1_7vsmem_tEENKUlT_SK_SL_SM_E_clIPfSE_SF_SF_EESJ_SZ_SK_SL_SM_EUlSZ_E0_NS1_11comp_targetILNS1_3genE5ELNS1_11target_archE942ELNS1_3gpuE9ELNS1_3repE0EEENS1_38merge_mergepath_config_static_selectorELNS0_4arch9wavefront6targetE0EEEvSL_,comdat
	.protected	_ZN7rocprim17ROCPRIM_400000_NS6detail17trampoline_kernelINS0_14default_configENS1_38merge_sort_block_merge_config_selectorIfNS0_10empty_typeEEEZZNS1_27merge_sort_block_merge_implIS3_N6thrust23THRUST_200600_302600_NS6detail15normal_iteratorINS9_10device_ptrIfEEEEPS5_jNS1_19radix_merge_compareILb0ELb0EfNS0_19identity_decomposerEEEEE10hipError_tT0_T1_T2_jT3_P12ihipStream_tbPNSt15iterator_traitsISK_E10value_typeEPNSQ_ISL_E10value_typeEPSM_NS1_7vsmem_tEENKUlT_SK_SL_SM_E_clIPfSE_SF_SF_EESJ_SZ_SK_SL_SM_EUlSZ_E0_NS1_11comp_targetILNS1_3genE5ELNS1_11target_archE942ELNS1_3gpuE9ELNS1_3repE0EEENS1_38merge_mergepath_config_static_selectorELNS0_4arch9wavefront6targetE0EEEvSL_ ; -- Begin function _ZN7rocprim17ROCPRIM_400000_NS6detail17trampoline_kernelINS0_14default_configENS1_38merge_sort_block_merge_config_selectorIfNS0_10empty_typeEEEZZNS1_27merge_sort_block_merge_implIS3_N6thrust23THRUST_200600_302600_NS6detail15normal_iteratorINS9_10device_ptrIfEEEEPS5_jNS1_19radix_merge_compareILb0ELb0EfNS0_19identity_decomposerEEEEE10hipError_tT0_T1_T2_jT3_P12ihipStream_tbPNSt15iterator_traitsISK_E10value_typeEPNSQ_ISL_E10value_typeEPSM_NS1_7vsmem_tEENKUlT_SK_SL_SM_E_clIPfSE_SF_SF_EESJ_SZ_SK_SL_SM_EUlSZ_E0_NS1_11comp_targetILNS1_3genE5ELNS1_11target_archE942ELNS1_3gpuE9ELNS1_3repE0EEENS1_38merge_mergepath_config_static_selectorELNS0_4arch9wavefront6targetE0EEEvSL_
	.globl	_ZN7rocprim17ROCPRIM_400000_NS6detail17trampoline_kernelINS0_14default_configENS1_38merge_sort_block_merge_config_selectorIfNS0_10empty_typeEEEZZNS1_27merge_sort_block_merge_implIS3_N6thrust23THRUST_200600_302600_NS6detail15normal_iteratorINS9_10device_ptrIfEEEEPS5_jNS1_19radix_merge_compareILb0ELb0EfNS0_19identity_decomposerEEEEE10hipError_tT0_T1_T2_jT3_P12ihipStream_tbPNSt15iterator_traitsISK_E10value_typeEPNSQ_ISL_E10value_typeEPSM_NS1_7vsmem_tEENKUlT_SK_SL_SM_E_clIPfSE_SF_SF_EESJ_SZ_SK_SL_SM_EUlSZ_E0_NS1_11comp_targetILNS1_3genE5ELNS1_11target_archE942ELNS1_3gpuE9ELNS1_3repE0EEENS1_38merge_mergepath_config_static_selectorELNS0_4arch9wavefront6targetE0EEEvSL_
	.p2align	8
	.type	_ZN7rocprim17ROCPRIM_400000_NS6detail17trampoline_kernelINS0_14default_configENS1_38merge_sort_block_merge_config_selectorIfNS0_10empty_typeEEEZZNS1_27merge_sort_block_merge_implIS3_N6thrust23THRUST_200600_302600_NS6detail15normal_iteratorINS9_10device_ptrIfEEEEPS5_jNS1_19radix_merge_compareILb0ELb0EfNS0_19identity_decomposerEEEEE10hipError_tT0_T1_T2_jT3_P12ihipStream_tbPNSt15iterator_traitsISK_E10value_typeEPNSQ_ISL_E10value_typeEPSM_NS1_7vsmem_tEENKUlT_SK_SL_SM_E_clIPfSE_SF_SF_EESJ_SZ_SK_SL_SM_EUlSZ_E0_NS1_11comp_targetILNS1_3genE5ELNS1_11target_archE942ELNS1_3gpuE9ELNS1_3repE0EEENS1_38merge_mergepath_config_static_selectorELNS0_4arch9wavefront6targetE0EEEvSL_,@function
_ZN7rocprim17ROCPRIM_400000_NS6detail17trampoline_kernelINS0_14default_configENS1_38merge_sort_block_merge_config_selectorIfNS0_10empty_typeEEEZZNS1_27merge_sort_block_merge_implIS3_N6thrust23THRUST_200600_302600_NS6detail15normal_iteratorINS9_10device_ptrIfEEEEPS5_jNS1_19radix_merge_compareILb0ELb0EfNS0_19identity_decomposerEEEEE10hipError_tT0_T1_T2_jT3_P12ihipStream_tbPNSt15iterator_traitsISK_E10value_typeEPNSQ_ISL_E10value_typeEPSM_NS1_7vsmem_tEENKUlT_SK_SL_SM_E_clIPfSE_SF_SF_EESJ_SZ_SK_SL_SM_EUlSZ_E0_NS1_11comp_targetILNS1_3genE5ELNS1_11target_archE942ELNS1_3gpuE9ELNS1_3repE0EEENS1_38merge_mergepath_config_static_selectorELNS0_4arch9wavefront6targetE0EEEvSL_: ; @_ZN7rocprim17ROCPRIM_400000_NS6detail17trampoline_kernelINS0_14default_configENS1_38merge_sort_block_merge_config_selectorIfNS0_10empty_typeEEEZZNS1_27merge_sort_block_merge_implIS3_N6thrust23THRUST_200600_302600_NS6detail15normal_iteratorINS9_10device_ptrIfEEEEPS5_jNS1_19radix_merge_compareILb0ELb0EfNS0_19identity_decomposerEEEEE10hipError_tT0_T1_T2_jT3_P12ihipStream_tbPNSt15iterator_traitsISK_E10value_typeEPNSQ_ISL_E10value_typeEPSM_NS1_7vsmem_tEENKUlT_SK_SL_SM_E_clIPfSE_SF_SF_EESJ_SZ_SK_SL_SM_EUlSZ_E0_NS1_11comp_targetILNS1_3genE5ELNS1_11target_archE942ELNS1_3gpuE9ELNS1_3repE0EEENS1_38merge_mergepath_config_static_selectorELNS0_4arch9wavefront6targetE0EEEvSL_
; %bb.0:
	.section	.rodata,"a",@progbits
	.p2align	6, 0x0
	.amdhsa_kernel _ZN7rocprim17ROCPRIM_400000_NS6detail17trampoline_kernelINS0_14default_configENS1_38merge_sort_block_merge_config_selectorIfNS0_10empty_typeEEEZZNS1_27merge_sort_block_merge_implIS3_N6thrust23THRUST_200600_302600_NS6detail15normal_iteratorINS9_10device_ptrIfEEEEPS5_jNS1_19radix_merge_compareILb0ELb0EfNS0_19identity_decomposerEEEEE10hipError_tT0_T1_T2_jT3_P12ihipStream_tbPNSt15iterator_traitsISK_E10value_typeEPNSQ_ISL_E10value_typeEPSM_NS1_7vsmem_tEENKUlT_SK_SL_SM_E_clIPfSE_SF_SF_EESJ_SZ_SK_SL_SM_EUlSZ_E0_NS1_11comp_targetILNS1_3genE5ELNS1_11target_archE942ELNS1_3gpuE9ELNS1_3repE0EEENS1_38merge_mergepath_config_static_selectorELNS0_4arch9wavefront6targetE0EEEvSL_
		.amdhsa_group_segment_fixed_size 0
		.amdhsa_private_segment_fixed_size 0
		.amdhsa_kernarg_size 64
		.amdhsa_user_sgpr_count 6
		.amdhsa_user_sgpr_private_segment_buffer 1
		.amdhsa_user_sgpr_dispatch_ptr 0
		.amdhsa_user_sgpr_queue_ptr 0
		.amdhsa_user_sgpr_kernarg_segment_ptr 1
		.amdhsa_user_sgpr_dispatch_id 0
		.amdhsa_user_sgpr_flat_scratch_init 0
		.amdhsa_user_sgpr_private_segment_size 0
		.amdhsa_wavefront_size32 1
		.amdhsa_uses_dynamic_stack 0
		.amdhsa_system_sgpr_private_segment_wavefront_offset 0
		.amdhsa_system_sgpr_workgroup_id_x 1
		.amdhsa_system_sgpr_workgroup_id_y 0
		.amdhsa_system_sgpr_workgroup_id_z 0
		.amdhsa_system_sgpr_workgroup_info 0
		.amdhsa_system_vgpr_workitem_id 0
		.amdhsa_next_free_vgpr 1
		.amdhsa_next_free_sgpr 1
		.amdhsa_reserve_vcc 0
		.amdhsa_reserve_flat_scratch 0
		.amdhsa_float_round_mode_32 0
		.amdhsa_float_round_mode_16_64 0
		.amdhsa_float_denorm_mode_32 3
		.amdhsa_float_denorm_mode_16_64 3
		.amdhsa_dx10_clamp 1
		.amdhsa_ieee_mode 1
		.amdhsa_fp16_overflow 0
		.amdhsa_workgroup_processor_mode 1
		.amdhsa_memory_ordered 1
		.amdhsa_forward_progress 1
		.amdhsa_shared_vgpr_count 0
		.amdhsa_exception_fp_ieee_invalid_op 0
		.amdhsa_exception_fp_denorm_src 0
		.amdhsa_exception_fp_ieee_div_zero 0
		.amdhsa_exception_fp_ieee_overflow 0
		.amdhsa_exception_fp_ieee_underflow 0
		.amdhsa_exception_fp_ieee_inexact 0
		.amdhsa_exception_int_div_zero 0
	.end_amdhsa_kernel
	.section	.text._ZN7rocprim17ROCPRIM_400000_NS6detail17trampoline_kernelINS0_14default_configENS1_38merge_sort_block_merge_config_selectorIfNS0_10empty_typeEEEZZNS1_27merge_sort_block_merge_implIS3_N6thrust23THRUST_200600_302600_NS6detail15normal_iteratorINS9_10device_ptrIfEEEEPS5_jNS1_19radix_merge_compareILb0ELb0EfNS0_19identity_decomposerEEEEE10hipError_tT0_T1_T2_jT3_P12ihipStream_tbPNSt15iterator_traitsISK_E10value_typeEPNSQ_ISL_E10value_typeEPSM_NS1_7vsmem_tEENKUlT_SK_SL_SM_E_clIPfSE_SF_SF_EESJ_SZ_SK_SL_SM_EUlSZ_E0_NS1_11comp_targetILNS1_3genE5ELNS1_11target_archE942ELNS1_3gpuE9ELNS1_3repE0EEENS1_38merge_mergepath_config_static_selectorELNS0_4arch9wavefront6targetE0EEEvSL_,"axG",@progbits,_ZN7rocprim17ROCPRIM_400000_NS6detail17trampoline_kernelINS0_14default_configENS1_38merge_sort_block_merge_config_selectorIfNS0_10empty_typeEEEZZNS1_27merge_sort_block_merge_implIS3_N6thrust23THRUST_200600_302600_NS6detail15normal_iteratorINS9_10device_ptrIfEEEEPS5_jNS1_19radix_merge_compareILb0ELb0EfNS0_19identity_decomposerEEEEE10hipError_tT0_T1_T2_jT3_P12ihipStream_tbPNSt15iterator_traitsISK_E10value_typeEPNSQ_ISL_E10value_typeEPSM_NS1_7vsmem_tEENKUlT_SK_SL_SM_E_clIPfSE_SF_SF_EESJ_SZ_SK_SL_SM_EUlSZ_E0_NS1_11comp_targetILNS1_3genE5ELNS1_11target_archE942ELNS1_3gpuE9ELNS1_3repE0EEENS1_38merge_mergepath_config_static_selectorELNS0_4arch9wavefront6targetE0EEEvSL_,comdat
.Lfunc_end485:
	.size	_ZN7rocprim17ROCPRIM_400000_NS6detail17trampoline_kernelINS0_14default_configENS1_38merge_sort_block_merge_config_selectorIfNS0_10empty_typeEEEZZNS1_27merge_sort_block_merge_implIS3_N6thrust23THRUST_200600_302600_NS6detail15normal_iteratorINS9_10device_ptrIfEEEEPS5_jNS1_19radix_merge_compareILb0ELb0EfNS0_19identity_decomposerEEEEE10hipError_tT0_T1_T2_jT3_P12ihipStream_tbPNSt15iterator_traitsISK_E10value_typeEPNSQ_ISL_E10value_typeEPSM_NS1_7vsmem_tEENKUlT_SK_SL_SM_E_clIPfSE_SF_SF_EESJ_SZ_SK_SL_SM_EUlSZ_E0_NS1_11comp_targetILNS1_3genE5ELNS1_11target_archE942ELNS1_3gpuE9ELNS1_3repE0EEENS1_38merge_mergepath_config_static_selectorELNS0_4arch9wavefront6targetE0EEEvSL_, .Lfunc_end485-_ZN7rocprim17ROCPRIM_400000_NS6detail17trampoline_kernelINS0_14default_configENS1_38merge_sort_block_merge_config_selectorIfNS0_10empty_typeEEEZZNS1_27merge_sort_block_merge_implIS3_N6thrust23THRUST_200600_302600_NS6detail15normal_iteratorINS9_10device_ptrIfEEEEPS5_jNS1_19radix_merge_compareILb0ELb0EfNS0_19identity_decomposerEEEEE10hipError_tT0_T1_T2_jT3_P12ihipStream_tbPNSt15iterator_traitsISK_E10value_typeEPNSQ_ISL_E10value_typeEPSM_NS1_7vsmem_tEENKUlT_SK_SL_SM_E_clIPfSE_SF_SF_EESJ_SZ_SK_SL_SM_EUlSZ_E0_NS1_11comp_targetILNS1_3genE5ELNS1_11target_archE942ELNS1_3gpuE9ELNS1_3repE0EEENS1_38merge_mergepath_config_static_selectorELNS0_4arch9wavefront6targetE0EEEvSL_
                                        ; -- End function
	.set _ZN7rocprim17ROCPRIM_400000_NS6detail17trampoline_kernelINS0_14default_configENS1_38merge_sort_block_merge_config_selectorIfNS0_10empty_typeEEEZZNS1_27merge_sort_block_merge_implIS3_N6thrust23THRUST_200600_302600_NS6detail15normal_iteratorINS9_10device_ptrIfEEEEPS5_jNS1_19radix_merge_compareILb0ELb0EfNS0_19identity_decomposerEEEEE10hipError_tT0_T1_T2_jT3_P12ihipStream_tbPNSt15iterator_traitsISK_E10value_typeEPNSQ_ISL_E10value_typeEPSM_NS1_7vsmem_tEENKUlT_SK_SL_SM_E_clIPfSE_SF_SF_EESJ_SZ_SK_SL_SM_EUlSZ_E0_NS1_11comp_targetILNS1_3genE5ELNS1_11target_archE942ELNS1_3gpuE9ELNS1_3repE0EEENS1_38merge_mergepath_config_static_selectorELNS0_4arch9wavefront6targetE0EEEvSL_.num_vgpr, 0
	.set _ZN7rocprim17ROCPRIM_400000_NS6detail17trampoline_kernelINS0_14default_configENS1_38merge_sort_block_merge_config_selectorIfNS0_10empty_typeEEEZZNS1_27merge_sort_block_merge_implIS3_N6thrust23THRUST_200600_302600_NS6detail15normal_iteratorINS9_10device_ptrIfEEEEPS5_jNS1_19radix_merge_compareILb0ELb0EfNS0_19identity_decomposerEEEEE10hipError_tT0_T1_T2_jT3_P12ihipStream_tbPNSt15iterator_traitsISK_E10value_typeEPNSQ_ISL_E10value_typeEPSM_NS1_7vsmem_tEENKUlT_SK_SL_SM_E_clIPfSE_SF_SF_EESJ_SZ_SK_SL_SM_EUlSZ_E0_NS1_11comp_targetILNS1_3genE5ELNS1_11target_archE942ELNS1_3gpuE9ELNS1_3repE0EEENS1_38merge_mergepath_config_static_selectorELNS0_4arch9wavefront6targetE0EEEvSL_.num_agpr, 0
	.set _ZN7rocprim17ROCPRIM_400000_NS6detail17trampoline_kernelINS0_14default_configENS1_38merge_sort_block_merge_config_selectorIfNS0_10empty_typeEEEZZNS1_27merge_sort_block_merge_implIS3_N6thrust23THRUST_200600_302600_NS6detail15normal_iteratorINS9_10device_ptrIfEEEEPS5_jNS1_19radix_merge_compareILb0ELb0EfNS0_19identity_decomposerEEEEE10hipError_tT0_T1_T2_jT3_P12ihipStream_tbPNSt15iterator_traitsISK_E10value_typeEPNSQ_ISL_E10value_typeEPSM_NS1_7vsmem_tEENKUlT_SK_SL_SM_E_clIPfSE_SF_SF_EESJ_SZ_SK_SL_SM_EUlSZ_E0_NS1_11comp_targetILNS1_3genE5ELNS1_11target_archE942ELNS1_3gpuE9ELNS1_3repE0EEENS1_38merge_mergepath_config_static_selectorELNS0_4arch9wavefront6targetE0EEEvSL_.numbered_sgpr, 0
	.set _ZN7rocprim17ROCPRIM_400000_NS6detail17trampoline_kernelINS0_14default_configENS1_38merge_sort_block_merge_config_selectorIfNS0_10empty_typeEEEZZNS1_27merge_sort_block_merge_implIS3_N6thrust23THRUST_200600_302600_NS6detail15normal_iteratorINS9_10device_ptrIfEEEEPS5_jNS1_19radix_merge_compareILb0ELb0EfNS0_19identity_decomposerEEEEE10hipError_tT0_T1_T2_jT3_P12ihipStream_tbPNSt15iterator_traitsISK_E10value_typeEPNSQ_ISL_E10value_typeEPSM_NS1_7vsmem_tEENKUlT_SK_SL_SM_E_clIPfSE_SF_SF_EESJ_SZ_SK_SL_SM_EUlSZ_E0_NS1_11comp_targetILNS1_3genE5ELNS1_11target_archE942ELNS1_3gpuE9ELNS1_3repE0EEENS1_38merge_mergepath_config_static_selectorELNS0_4arch9wavefront6targetE0EEEvSL_.num_named_barrier, 0
	.set _ZN7rocprim17ROCPRIM_400000_NS6detail17trampoline_kernelINS0_14default_configENS1_38merge_sort_block_merge_config_selectorIfNS0_10empty_typeEEEZZNS1_27merge_sort_block_merge_implIS3_N6thrust23THRUST_200600_302600_NS6detail15normal_iteratorINS9_10device_ptrIfEEEEPS5_jNS1_19radix_merge_compareILb0ELb0EfNS0_19identity_decomposerEEEEE10hipError_tT0_T1_T2_jT3_P12ihipStream_tbPNSt15iterator_traitsISK_E10value_typeEPNSQ_ISL_E10value_typeEPSM_NS1_7vsmem_tEENKUlT_SK_SL_SM_E_clIPfSE_SF_SF_EESJ_SZ_SK_SL_SM_EUlSZ_E0_NS1_11comp_targetILNS1_3genE5ELNS1_11target_archE942ELNS1_3gpuE9ELNS1_3repE0EEENS1_38merge_mergepath_config_static_selectorELNS0_4arch9wavefront6targetE0EEEvSL_.private_seg_size, 0
	.set _ZN7rocprim17ROCPRIM_400000_NS6detail17trampoline_kernelINS0_14default_configENS1_38merge_sort_block_merge_config_selectorIfNS0_10empty_typeEEEZZNS1_27merge_sort_block_merge_implIS3_N6thrust23THRUST_200600_302600_NS6detail15normal_iteratorINS9_10device_ptrIfEEEEPS5_jNS1_19radix_merge_compareILb0ELb0EfNS0_19identity_decomposerEEEEE10hipError_tT0_T1_T2_jT3_P12ihipStream_tbPNSt15iterator_traitsISK_E10value_typeEPNSQ_ISL_E10value_typeEPSM_NS1_7vsmem_tEENKUlT_SK_SL_SM_E_clIPfSE_SF_SF_EESJ_SZ_SK_SL_SM_EUlSZ_E0_NS1_11comp_targetILNS1_3genE5ELNS1_11target_archE942ELNS1_3gpuE9ELNS1_3repE0EEENS1_38merge_mergepath_config_static_selectorELNS0_4arch9wavefront6targetE0EEEvSL_.uses_vcc, 0
	.set _ZN7rocprim17ROCPRIM_400000_NS6detail17trampoline_kernelINS0_14default_configENS1_38merge_sort_block_merge_config_selectorIfNS0_10empty_typeEEEZZNS1_27merge_sort_block_merge_implIS3_N6thrust23THRUST_200600_302600_NS6detail15normal_iteratorINS9_10device_ptrIfEEEEPS5_jNS1_19radix_merge_compareILb0ELb0EfNS0_19identity_decomposerEEEEE10hipError_tT0_T1_T2_jT3_P12ihipStream_tbPNSt15iterator_traitsISK_E10value_typeEPNSQ_ISL_E10value_typeEPSM_NS1_7vsmem_tEENKUlT_SK_SL_SM_E_clIPfSE_SF_SF_EESJ_SZ_SK_SL_SM_EUlSZ_E0_NS1_11comp_targetILNS1_3genE5ELNS1_11target_archE942ELNS1_3gpuE9ELNS1_3repE0EEENS1_38merge_mergepath_config_static_selectorELNS0_4arch9wavefront6targetE0EEEvSL_.uses_flat_scratch, 0
	.set _ZN7rocprim17ROCPRIM_400000_NS6detail17trampoline_kernelINS0_14default_configENS1_38merge_sort_block_merge_config_selectorIfNS0_10empty_typeEEEZZNS1_27merge_sort_block_merge_implIS3_N6thrust23THRUST_200600_302600_NS6detail15normal_iteratorINS9_10device_ptrIfEEEEPS5_jNS1_19radix_merge_compareILb0ELb0EfNS0_19identity_decomposerEEEEE10hipError_tT0_T1_T2_jT3_P12ihipStream_tbPNSt15iterator_traitsISK_E10value_typeEPNSQ_ISL_E10value_typeEPSM_NS1_7vsmem_tEENKUlT_SK_SL_SM_E_clIPfSE_SF_SF_EESJ_SZ_SK_SL_SM_EUlSZ_E0_NS1_11comp_targetILNS1_3genE5ELNS1_11target_archE942ELNS1_3gpuE9ELNS1_3repE0EEENS1_38merge_mergepath_config_static_selectorELNS0_4arch9wavefront6targetE0EEEvSL_.has_dyn_sized_stack, 0
	.set _ZN7rocprim17ROCPRIM_400000_NS6detail17trampoline_kernelINS0_14default_configENS1_38merge_sort_block_merge_config_selectorIfNS0_10empty_typeEEEZZNS1_27merge_sort_block_merge_implIS3_N6thrust23THRUST_200600_302600_NS6detail15normal_iteratorINS9_10device_ptrIfEEEEPS5_jNS1_19radix_merge_compareILb0ELb0EfNS0_19identity_decomposerEEEEE10hipError_tT0_T1_T2_jT3_P12ihipStream_tbPNSt15iterator_traitsISK_E10value_typeEPNSQ_ISL_E10value_typeEPSM_NS1_7vsmem_tEENKUlT_SK_SL_SM_E_clIPfSE_SF_SF_EESJ_SZ_SK_SL_SM_EUlSZ_E0_NS1_11comp_targetILNS1_3genE5ELNS1_11target_archE942ELNS1_3gpuE9ELNS1_3repE0EEENS1_38merge_mergepath_config_static_selectorELNS0_4arch9wavefront6targetE0EEEvSL_.has_recursion, 0
	.set _ZN7rocprim17ROCPRIM_400000_NS6detail17trampoline_kernelINS0_14default_configENS1_38merge_sort_block_merge_config_selectorIfNS0_10empty_typeEEEZZNS1_27merge_sort_block_merge_implIS3_N6thrust23THRUST_200600_302600_NS6detail15normal_iteratorINS9_10device_ptrIfEEEEPS5_jNS1_19radix_merge_compareILb0ELb0EfNS0_19identity_decomposerEEEEE10hipError_tT0_T1_T2_jT3_P12ihipStream_tbPNSt15iterator_traitsISK_E10value_typeEPNSQ_ISL_E10value_typeEPSM_NS1_7vsmem_tEENKUlT_SK_SL_SM_E_clIPfSE_SF_SF_EESJ_SZ_SK_SL_SM_EUlSZ_E0_NS1_11comp_targetILNS1_3genE5ELNS1_11target_archE942ELNS1_3gpuE9ELNS1_3repE0EEENS1_38merge_mergepath_config_static_selectorELNS0_4arch9wavefront6targetE0EEEvSL_.has_indirect_call, 0
	.section	.AMDGPU.csdata,"",@progbits
; Kernel info:
; codeLenInByte = 0
; TotalNumSgprs: 0
; NumVgprs: 0
; ScratchSize: 0
; MemoryBound: 0
; FloatMode: 240
; IeeeMode: 1
; LDSByteSize: 0 bytes/workgroup (compile time only)
; SGPRBlocks: 0
; VGPRBlocks: 0
; NumSGPRsForWavesPerEU: 1
; NumVGPRsForWavesPerEU: 1
; Occupancy: 16
; WaveLimiterHint : 0
; COMPUTE_PGM_RSRC2:SCRATCH_EN: 0
; COMPUTE_PGM_RSRC2:USER_SGPR: 6
; COMPUTE_PGM_RSRC2:TRAP_HANDLER: 0
; COMPUTE_PGM_RSRC2:TGID_X_EN: 1
; COMPUTE_PGM_RSRC2:TGID_Y_EN: 0
; COMPUTE_PGM_RSRC2:TGID_Z_EN: 0
; COMPUTE_PGM_RSRC2:TIDIG_COMP_CNT: 0
	.section	.text._ZN7rocprim17ROCPRIM_400000_NS6detail17trampoline_kernelINS0_14default_configENS1_38merge_sort_block_merge_config_selectorIfNS0_10empty_typeEEEZZNS1_27merge_sort_block_merge_implIS3_N6thrust23THRUST_200600_302600_NS6detail15normal_iteratorINS9_10device_ptrIfEEEEPS5_jNS1_19radix_merge_compareILb0ELb0EfNS0_19identity_decomposerEEEEE10hipError_tT0_T1_T2_jT3_P12ihipStream_tbPNSt15iterator_traitsISK_E10value_typeEPNSQ_ISL_E10value_typeEPSM_NS1_7vsmem_tEENKUlT_SK_SL_SM_E_clIPfSE_SF_SF_EESJ_SZ_SK_SL_SM_EUlSZ_E0_NS1_11comp_targetILNS1_3genE4ELNS1_11target_archE910ELNS1_3gpuE8ELNS1_3repE0EEENS1_38merge_mergepath_config_static_selectorELNS0_4arch9wavefront6targetE0EEEvSL_,"axG",@progbits,_ZN7rocprim17ROCPRIM_400000_NS6detail17trampoline_kernelINS0_14default_configENS1_38merge_sort_block_merge_config_selectorIfNS0_10empty_typeEEEZZNS1_27merge_sort_block_merge_implIS3_N6thrust23THRUST_200600_302600_NS6detail15normal_iteratorINS9_10device_ptrIfEEEEPS5_jNS1_19radix_merge_compareILb0ELb0EfNS0_19identity_decomposerEEEEE10hipError_tT0_T1_T2_jT3_P12ihipStream_tbPNSt15iterator_traitsISK_E10value_typeEPNSQ_ISL_E10value_typeEPSM_NS1_7vsmem_tEENKUlT_SK_SL_SM_E_clIPfSE_SF_SF_EESJ_SZ_SK_SL_SM_EUlSZ_E0_NS1_11comp_targetILNS1_3genE4ELNS1_11target_archE910ELNS1_3gpuE8ELNS1_3repE0EEENS1_38merge_mergepath_config_static_selectorELNS0_4arch9wavefront6targetE0EEEvSL_,comdat
	.protected	_ZN7rocprim17ROCPRIM_400000_NS6detail17trampoline_kernelINS0_14default_configENS1_38merge_sort_block_merge_config_selectorIfNS0_10empty_typeEEEZZNS1_27merge_sort_block_merge_implIS3_N6thrust23THRUST_200600_302600_NS6detail15normal_iteratorINS9_10device_ptrIfEEEEPS5_jNS1_19radix_merge_compareILb0ELb0EfNS0_19identity_decomposerEEEEE10hipError_tT0_T1_T2_jT3_P12ihipStream_tbPNSt15iterator_traitsISK_E10value_typeEPNSQ_ISL_E10value_typeEPSM_NS1_7vsmem_tEENKUlT_SK_SL_SM_E_clIPfSE_SF_SF_EESJ_SZ_SK_SL_SM_EUlSZ_E0_NS1_11comp_targetILNS1_3genE4ELNS1_11target_archE910ELNS1_3gpuE8ELNS1_3repE0EEENS1_38merge_mergepath_config_static_selectorELNS0_4arch9wavefront6targetE0EEEvSL_ ; -- Begin function _ZN7rocprim17ROCPRIM_400000_NS6detail17trampoline_kernelINS0_14default_configENS1_38merge_sort_block_merge_config_selectorIfNS0_10empty_typeEEEZZNS1_27merge_sort_block_merge_implIS3_N6thrust23THRUST_200600_302600_NS6detail15normal_iteratorINS9_10device_ptrIfEEEEPS5_jNS1_19radix_merge_compareILb0ELb0EfNS0_19identity_decomposerEEEEE10hipError_tT0_T1_T2_jT3_P12ihipStream_tbPNSt15iterator_traitsISK_E10value_typeEPNSQ_ISL_E10value_typeEPSM_NS1_7vsmem_tEENKUlT_SK_SL_SM_E_clIPfSE_SF_SF_EESJ_SZ_SK_SL_SM_EUlSZ_E0_NS1_11comp_targetILNS1_3genE4ELNS1_11target_archE910ELNS1_3gpuE8ELNS1_3repE0EEENS1_38merge_mergepath_config_static_selectorELNS0_4arch9wavefront6targetE0EEEvSL_
	.globl	_ZN7rocprim17ROCPRIM_400000_NS6detail17trampoline_kernelINS0_14default_configENS1_38merge_sort_block_merge_config_selectorIfNS0_10empty_typeEEEZZNS1_27merge_sort_block_merge_implIS3_N6thrust23THRUST_200600_302600_NS6detail15normal_iteratorINS9_10device_ptrIfEEEEPS5_jNS1_19radix_merge_compareILb0ELb0EfNS0_19identity_decomposerEEEEE10hipError_tT0_T1_T2_jT3_P12ihipStream_tbPNSt15iterator_traitsISK_E10value_typeEPNSQ_ISL_E10value_typeEPSM_NS1_7vsmem_tEENKUlT_SK_SL_SM_E_clIPfSE_SF_SF_EESJ_SZ_SK_SL_SM_EUlSZ_E0_NS1_11comp_targetILNS1_3genE4ELNS1_11target_archE910ELNS1_3gpuE8ELNS1_3repE0EEENS1_38merge_mergepath_config_static_selectorELNS0_4arch9wavefront6targetE0EEEvSL_
	.p2align	8
	.type	_ZN7rocprim17ROCPRIM_400000_NS6detail17trampoline_kernelINS0_14default_configENS1_38merge_sort_block_merge_config_selectorIfNS0_10empty_typeEEEZZNS1_27merge_sort_block_merge_implIS3_N6thrust23THRUST_200600_302600_NS6detail15normal_iteratorINS9_10device_ptrIfEEEEPS5_jNS1_19radix_merge_compareILb0ELb0EfNS0_19identity_decomposerEEEEE10hipError_tT0_T1_T2_jT3_P12ihipStream_tbPNSt15iterator_traitsISK_E10value_typeEPNSQ_ISL_E10value_typeEPSM_NS1_7vsmem_tEENKUlT_SK_SL_SM_E_clIPfSE_SF_SF_EESJ_SZ_SK_SL_SM_EUlSZ_E0_NS1_11comp_targetILNS1_3genE4ELNS1_11target_archE910ELNS1_3gpuE8ELNS1_3repE0EEENS1_38merge_mergepath_config_static_selectorELNS0_4arch9wavefront6targetE0EEEvSL_,@function
_ZN7rocprim17ROCPRIM_400000_NS6detail17trampoline_kernelINS0_14default_configENS1_38merge_sort_block_merge_config_selectorIfNS0_10empty_typeEEEZZNS1_27merge_sort_block_merge_implIS3_N6thrust23THRUST_200600_302600_NS6detail15normal_iteratorINS9_10device_ptrIfEEEEPS5_jNS1_19radix_merge_compareILb0ELb0EfNS0_19identity_decomposerEEEEE10hipError_tT0_T1_T2_jT3_P12ihipStream_tbPNSt15iterator_traitsISK_E10value_typeEPNSQ_ISL_E10value_typeEPSM_NS1_7vsmem_tEENKUlT_SK_SL_SM_E_clIPfSE_SF_SF_EESJ_SZ_SK_SL_SM_EUlSZ_E0_NS1_11comp_targetILNS1_3genE4ELNS1_11target_archE910ELNS1_3gpuE8ELNS1_3repE0EEENS1_38merge_mergepath_config_static_selectorELNS0_4arch9wavefront6targetE0EEEvSL_: ; @_ZN7rocprim17ROCPRIM_400000_NS6detail17trampoline_kernelINS0_14default_configENS1_38merge_sort_block_merge_config_selectorIfNS0_10empty_typeEEEZZNS1_27merge_sort_block_merge_implIS3_N6thrust23THRUST_200600_302600_NS6detail15normal_iteratorINS9_10device_ptrIfEEEEPS5_jNS1_19radix_merge_compareILb0ELb0EfNS0_19identity_decomposerEEEEE10hipError_tT0_T1_T2_jT3_P12ihipStream_tbPNSt15iterator_traitsISK_E10value_typeEPNSQ_ISL_E10value_typeEPSM_NS1_7vsmem_tEENKUlT_SK_SL_SM_E_clIPfSE_SF_SF_EESJ_SZ_SK_SL_SM_EUlSZ_E0_NS1_11comp_targetILNS1_3genE4ELNS1_11target_archE910ELNS1_3gpuE8ELNS1_3repE0EEENS1_38merge_mergepath_config_static_selectorELNS0_4arch9wavefront6targetE0EEEvSL_
; %bb.0:
	.section	.rodata,"a",@progbits
	.p2align	6, 0x0
	.amdhsa_kernel _ZN7rocprim17ROCPRIM_400000_NS6detail17trampoline_kernelINS0_14default_configENS1_38merge_sort_block_merge_config_selectorIfNS0_10empty_typeEEEZZNS1_27merge_sort_block_merge_implIS3_N6thrust23THRUST_200600_302600_NS6detail15normal_iteratorINS9_10device_ptrIfEEEEPS5_jNS1_19radix_merge_compareILb0ELb0EfNS0_19identity_decomposerEEEEE10hipError_tT0_T1_T2_jT3_P12ihipStream_tbPNSt15iterator_traitsISK_E10value_typeEPNSQ_ISL_E10value_typeEPSM_NS1_7vsmem_tEENKUlT_SK_SL_SM_E_clIPfSE_SF_SF_EESJ_SZ_SK_SL_SM_EUlSZ_E0_NS1_11comp_targetILNS1_3genE4ELNS1_11target_archE910ELNS1_3gpuE8ELNS1_3repE0EEENS1_38merge_mergepath_config_static_selectorELNS0_4arch9wavefront6targetE0EEEvSL_
		.amdhsa_group_segment_fixed_size 0
		.amdhsa_private_segment_fixed_size 0
		.amdhsa_kernarg_size 64
		.amdhsa_user_sgpr_count 6
		.amdhsa_user_sgpr_private_segment_buffer 1
		.amdhsa_user_sgpr_dispatch_ptr 0
		.amdhsa_user_sgpr_queue_ptr 0
		.amdhsa_user_sgpr_kernarg_segment_ptr 1
		.amdhsa_user_sgpr_dispatch_id 0
		.amdhsa_user_sgpr_flat_scratch_init 0
		.amdhsa_user_sgpr_private_segment_size 0
		.amdhsa_wavefront_size32 1
		.amdhsa_uses_dynamic_stack 0
		.amdhsa_system_sgpr_private_segment_wavefront_offset 0
		.amdhsa_system_sgpr_workgroup_id_x 1
		.amdhsa_system_sgpr_workgroup_id_y 0
		.amdhsa_system_sgpr_workgroup_id_z 0
		.amdhsa_system_sgpr_workgroup_info 0
		.amdhsa_system_vgpr_workitem_id 0
		.amdhsa_next_free_vgpr 1
		.amdhsa_next_free_sgpr 1
		.amdhsa_reserve_vcc 0
		.amdhsa_reserve_flat_scratch 0
		.amdhsa_float_round_mode_32 0
		.amdhsa_float_round_mode_16_64 0
		.amdhsa_float_denorm_mode_32 3
		.amdhsa_float_denorm_mode_16_64 3
		.amdhsa_dx10_clamp 1
		.amdhsa_ieee_mode 1
		.amdhsa_fp16_overflow 0
		.amdhsa_workgroup_processor_mode 1
		.amdhsa_memory_ordered 1
		.amdhsa_forward_progress 1
		.amdhsa_shared_vgpr_count 0
		.amdhsa_exception_fp_ieee_invalid_op 0
		.amdhsa_exception_fp_denorm_src 0
		.amdhsa_exception_fp_ieee_div_zero 0
		.amdhsa_exception_fp_ieee_overflow 0
		.amdhsa_exception_fp_ieee_underflow 0
		.amdhsa_exception_fp_ieee_inexact 0
		.amdhsa_exception_int_div_zero 0
	.end_amdhsa_kernel
	.section	.text._ZN7rocprim17ROCPRIM_400000_NS6detail17trampoline_kernelINS0_14default_configENS1_38merge_sort_block_merge_config_selectorIfNS0_10empty_typeEEEZZNS1_27merge_sort_block_merge_implIS3_N6thrust23THRUST_200600_302600_NS6detail15normal_iteratorINS9_10device_ptrIfEEEEPS5_jNS1_19radix_merge_compareILb0ELb0EfNS0_19identity_decomposerEEEEE10hipError_tT0_T1_T2_jT3_P12ihipStream_tbPNSt15iterator_traitsISK_E10value_typeEPNSQ_ISL_E10value_typeEPSM_NS1_7vsmem_tEENKUlT_SK_SL_SM_E_clIPfSE_SF_SF_EESJ_SZ_SK_SL_SM_EUlSZ_E0_NS1_11comp_targetILNS1_3genE4ELNS1_11target_archE910ELNS1_3gpuE8ELNS1_3repE0EEENS1_38merge_mergepath_config_static_selectorELNS0_4arch9wavefront6targetE0EEEvSL_,"axG",@progbits,_ZN7rocprim17ROCPRIM_400000_NS6detail17trampoline_kernelINS0_14default_configENS1_38merge_sort_block_merge_config_selectorIfNS0_10empty_typeEEEZZNS1_27merge_sort_block_merge_implIS3_N6thrust23THRUST_200600_302600_NS6detail15normal_iteratorINS9_10device_ptrIfEEEEPS5_jNS1_19radix_merge_compareILb0ELb0EfNS0_19identity_decomposerEEEEE10hipError_tT0_T1_T2_jT3_P12ihipStream_tbPNSt15iterator_traitsISK_E10value_typeEPNSQ_ISL_E10value_typeEPSM_NS1_7vsmem_tEENKUlT_SK_SL_SM_E_clIPfSE_SF_SF_EESJ_SZ_SK_SL_SM_EUlSZ_E0_NS1_11comp_targetILNS1_3genE4ELNS1_11target_archE910ELNS1_3gpuE8ELNS1_3repE0EEENS1_38merge_mergepath_config_static_selectorELNS0_4arch9wavefront6targetE0EEEvSL_,comdat
.Lfunc_end486:
	.size	_ZN7rocprim17ROCPRIM_400000_NS6detail17trampoline_kernelINS0_14default_configENS1_38merge_sort_block_merge_config_selectorIfNS0_10empty_typeEEEZZNS1_27merge_sort_block_merge_implIS3_N6thrust23THRUST_200600_302600_NS6detail15normal_iteratorINS9_10device_ptrIfEEEEPS5_jNS1_19radix_merge_compareILb0ELb0EfNS0_19identity_decomposerEEEEE10hipError_tT0_T1_T2_jT3_P12ihipStream_tbPNSt15iterator_traitsISK_E10value_typeEPNSQ_ISL_E10value_typeEPSM_NS1_7vsmem_tEENKUlT_SK_SL_SM_E_clIPfSE_SF_SF_EESJ_SZ_SK_SL_SM_EUlSZ_E0_NS1_11comp_targetILNS1_3genE4ELNS1_11target_archE910ELNS1_3gpuE8ELNS1_3repE0EEENS1_38merge_mergepath_config_static_selectorELNS0_4arch9wavefront6targetE0EEEvSL_, .Lfunc_end486-_ZN7rocprim17ROCPRIM_400000_NS6detail17trampoline_kernelINS0_14default_configENS1_38merge_sort_block_merge_config_selectorIfNS0_10empty_typeEEEZZNS1_27merge_sort_block_merge_implIS3_N6thrust23THRUST_200600_302600_NS6detail15normal_iteratorINS9_10device_ptrIfEEEEPS5_jNS1_19radix_merge_compareILb0ELb0EfNS0_19identity_decomposerEEEEE10hipError_tT0_T1_T2_jT3_P12ihipStream_tbPNSt15iterator_traitsISK_E10value_typeEPNSQ_ISL_E10value_typeEPSM_NS1_7vsmem_tEENKUlT_SK_SL_SM_E_clIPfSE_SF_SF_EESJ_SZ_SK_SL_SM_EUlSZ_E0_NS1_11comp_targetILNS1_3genE4ELNS1_11target_archE910ELNS1_3gpuE8ELNS1_3repE0EEENS1_38merge_mergepath_config_static_selectorELNS0_4arch9wavefront6targetE0EEEvSL_
                                        ; -- End function
	.set _ZN7rocprim17ROCPRIM_400000_NS6detail17trampoline_kernelINS0_14default_configENS1_38merge_sort_block_merge_config_selectorIfNS0_10empty_typeEEEZZNS1_27merge_sort_block_merge_implIS3_N6thrust23THRUST_200600_302600_NS6detail15normal_iteratorINS9_10device_ptrIfEEEEPS5_jNS1_19radix_merge_compareILb0ELb0EfNS0_19identity_decomposerEEEEE10hipError_tT0_T1_T2_jT3_P12ihipStream_tbPNSt15iterator_traitsISK_E10value_typeEPNSQ_ISL_E10value_typeEPSM_NS1_7vsmem_tEENKUlT_SK_SL_SM_E_clIPfSE_SF_SF_EESJ_SZ_SK_SL_SM_EUlSZ_E0_NS1_11comp_targetILNS1_3genE4ELNS1_11target_archE910ELNS1_3gpuE8ELNS1_3repE0EEENS1_38merge_mergepath_config_static_selectorELNS0_4arch9wavefront6targetE0EEEvSL_.num_vgpr, 0
	.set _ZN7rocprim17ROCPRIM_400000_NS6detail17trampoline_kernelINS0_14default_configENS1_38merge_sort_block_merge_config_selectorIfNS0_10empty_typeEEEZZNS1_27merge_sort_block_merge_implIS3_N6thrust23THRUST_200600_302600_NS6detail15normal_iteratorINS9_10device_ptrIfEEEEPS5_jNS1_19radix_merge_compareILb0ELb0EfNS0_19identity_decomposerEEEEE10hipError_tT0_T1_T2_jT3_P12ihipStream_tbPNSt15iterator_traitsISK_E10value_typeEPNSQ_ISL_E10value_typeEPSM_NS1_7vsmem_tEENKUlT_SK_SL_SM_E_clIPfSE_SF_SF_EESJ_SZ_SK_SL_SM_EUlSZ_E0_NS1_11comp_targetILNS1_3genE4ELNS1_11target_archE910ELNS1_3gpuE8ELNS1_3repE0EEENS1_38merge_mergepath_config_static_selectorELNS0_4arch9wavefront6targetE0EEEvSL_.num_agpr, 0
	.set _ZN7rocprim17ROCPRIM_400000_NS6detail17trampoline_kernelINS0_14default_configENS1_38merge_sort_block_merge_config_selectorIfNS0_10empty_typeEEEZZNS1_27merge_sort_block_merge_implIS3_N6thrust23THRUST_200600_302600_NS6detail15normal_iteratorINS9_10device_ptrIfEEEEPS5_jNS1_19radix_merge_compareILb0ELb0EfNS0_19identity_decomposerEEEEE10hipError_tT0_T1_T2_jT3_P12ihipStream_tbPNSt15iterator_traitsISK_E10value_typeEPNSQ_ISL_E10value_typeEPSM_NS1_7vsmem_tEENKUlT_SK_SL_SM_E_clIPfSE_SF_SF_EESJ_SZ_SK_SL_SM_EUlSZ_E0_NS1_11comp_targetILNS1_3genE4ELNS1_11target_archE910ELNS1_3gpuE8ELNS1_3repE0EEENS1_38merge_mergepath_config_static_selectorELNS0_4arch9wavefront6targetE0EEEvSL_.numbered_sgpr, 0
	.set _ZN7rocprim17ROCPRIM_400000_NS6detail17trampoline_kernelINS0_14default_configENS1_38merge_sort_block_merge_config_selectorIfNS0_10empty_typeEEEZZNS1_27merge_sort_block_merge_implIS3_N6thrust23THRUST_200600_302600_NS6detail15normal_iteratorINS9_10device_ptrIfEEEEPS5_jNS1_19radix_merge_compareILb0ELb0EfNS0_19identity_decomposerEEEEE10hipError_tT0_T1_T2_jT3_P12ihipStream_tbPNSt15iterator_traitsISK_E10value_typeEPNSQ_ISL_E10value_typeEPSM_NS1_7vsmem_tEENKUlT_SK_SL_SM_E_clIPfSE_SF_SF_EESJ_SZ_SK_SL_SM_EUlSZ_E0_NS1_11comp_targetILNS1_3genE4ELNS1_11target_archE910ELNS1_3gpuE8ELNS1_3repE0EEENS1_38merge_mergepath_config_static_selectorELNS0_4arch9wavefront6targetE0EEEvSL_.num_named_barrier, 0
	.set _ZN7rocprim17ROCPRIM_400000_NS6detail17trampoline_kernelINS0_14default_configENS1_38merge_sort_block_merge_config_selectorIfNS0_10empty_typeEEEZZNS1_27merge_sort_block_merge_implIS3_N6thrust23THRUST_200600_302600_NS6detail15normal_iteratorINS9_10device_ptrIfEEEEPS5_jNS1_19radix_merge_compareILb0ELb0EfNS0_19identity_decomposerEEEEE10hipError_tT0_T1_T2_jT3_P12ihipStream_tbPNSt15iterator_traitsISK_E10value_typeEPNSQ_ISL_E10value_typeEPSM_NS1_7vsmem_tEENKUlT_SK_SL_SM_E_clIPfSE_SF_SF_EESJ_SZ_SK_SL_SM_EUlSZ_E0_NS1_11comp_targetILNS1_3genE4ELNS1_11target_archE910ELNS1_3gpuE8ELNS1_3repE0EEENS1_38merge_mergepath_config_static_selectorELNS0_4arch9wavefront6targetE0EEEvSL_.private_seg_size, 0
	.set _ZN7rocprim17ROCPRIM_400000_NS6detail17trampoline_kernelINS0_14default_configENS1_38merge_sort_block_merge_config_selectorIfNS0_10empty_typeEEEZZNS1_27merge_sort_block_merge_implIS3_N6thrust23THRUST_200600_302600_NS6detail15normal_iteratorINS9_10device_ptrIfEEEEPS5_jNS1_19radix_merge_compareILb0ELb0EfNS0_19identity_decomposerEEEEE10hipError_tT0_T1_T2_jT3_P12ihipStream_tbPNSt15iterator_traitsISK_E10value_typeEPNSQ_ISL_E10value_typeEPSM_NS1_7vsmem_tEENKUlT_SK_SL_SM_E_clIPfSE_SF_SF_EESJ_SZ_SK_SL_SM_EUlSZ_E0_NS1_11comp_targetILNS1_3genE4ELNS1_11target_archE910ELNS1_3gpuE8ELNS1_3repE0EEENS1_38merge_mergepath_config_static_selectorELNS0_4arch9wavefront6targetE0EEEvSL_.uses_vcc, 0
	.set _ZN7rocprim17ROCPRIM_400000_NS6detail17trampoline_kernelINS0_14default_configENS1_38merge_sort_block_merge_config_selectorIfNS0_10empty_typeEEEZZNS1_27merge_sort_block_merge_implIS3_N6thrust23THRUST_200600_302600_NS6detail15normal_iteratorINS9_10device_ptrIfEEEEPS5_jNS1_19radix_merge_compareILb0ELb0EfNS0_19identity_decomposerEEEEE10hipError_tT0_T1_T2_jT3_P12ihipStream_tbPNSt15iterator_traitsISK_E10value_typeEPNSQ_ISL_E10value_typeEPSM_NS1_7vsmem_tEENKUlT_SK_SL_SM_E_clIPfSE_SF_SF_EESJ_SZ_SK_SL_SM_EUlSZ_E0_NS1_11comp_targetILNS1_3genE4ELNS1_11target_archE910ELNS1_3gpuE8ELNS1_3repE0EEENS1_38merge_mergepath_config_static_selectorELNS0_4arch9wavefront6targetE0EEEvSL_.uses_flat_scratch, 0
	.set _ZN7rocprim17ROCPRIM_400000_NS6detail17trampoline_kernelINS0_14default_configENS1_38merge_sort_block_merge_config_selectorIfNS0_10empty_typeEEEZZNS1_27merge_sort_block_merge_implIS3_N6thrust23THRUST_200600_302600_NS6detail15normal_iteratorINS9_10device_ptrIfEEEEPS5_jNS1_19radix_merge_compareILb0ELb0EfNS0_19identity_decomposerEEEEE10hipError_tT0_T1_T2_jT3_P12ihipStream_tbPNSt15iterator_traitsISK_E10value_typeEPNSQ_ISL_E10value_typeEPSM_NS1_7vsmem_tEENKUlT_SK_SL_SM_E_clIPfSE_SF_SF_EESJ_SZ_SK_SL_SM_EUlSZ_E0_NS1_11comp_targetILNS1_3genE4ELNS1_11target_archE910ELNS1_3gpuE8ELNS1_3repE0EEENS1_38merge_mergepath_config_static_selectorELNS0_4arch9wavefront6targetE0EEEvSL_.has_dyn_sized_stack, 0
	.set _ZN7rocprim17ROCPRIM_400000_NS6detail17trampoline_kernelINS0_14default_configENS1_38merge_sort_block_merge_config_selectorIfNS0_10empty_typeEEEZZNS1_27merge_sort_block_merge_implIS3_N6thrust23THRUST_200600_302600_NS6detail15normal_iteratorINS9_10device_ptrIfEEEEPS5_jNS1_19radix_merge_compareILb0ELb0EfNS0_19identity_decomposerEEEEE10hipError_tT0_T1_T2_jT3_P12ihipStream_tbPNSt15iterator_traitsISK_E10value_typeEPNSQ_ISL_E10value_typeEPSM_NS1_7vsmem_tEENKUlT_SK_SL_SM_E_clIPfSE_SF_SF_EESJ_SZ_SK_SL_SM_EUlSZ_E0_NS1_11comp_targetILNS1_3genE4ELNS1_11target_archE910ELNS1_3gpuE8ELNS1_3repE0EEENS1_38merge_mergepath_config_static_selectorELNS0_4arch9wavefront6targetE0EEEvSL_.has_recursion, 0
	.set _ZN7rocprim17ROCPRIM_400000_NS6detail17trampoline_kernelINS0_14default_configENS1_38merge_sort_block_merge_config_selectorIfNS0_10empty_typeEEEZZNS1_27merge_sort_block_merge_implIS3_N6thrust23THRUST_200600_302600_NS6detail15normal_iteratorINS9_10device_ptrIfEEEEPS5_jNS1_19radix_merge_compareILb0ELb0EfNS0_19identity_decomposerEEEEE10hipError_tT0_T1_T2_jT3_P12ihipStream_tbPNSt15iterator_traitsISK_E10value_typeEPNSQ_ISL_E10value_typeEPSM_NS1_7vsmem_tEENKUlT_SK_SL_SM_E_clIPfSE_SF_SF_EESJ_SZ_SK_SL_SM_EUlSZ_E0_NS1_11comp_targetILNS1_3genE4ELNS1_11target_archE910ELNS1_3gpuE8ELNS1_3repE0EEENS1_38merge_mergepath_config_static_selectorELNS0_4arch9wavefront6targetE0EEEvSL_.has_indirect_call, 0
	.section	.AMDGPU.csdata,"",@progbits
; Kernel info:
; codeLenInByte = 0
; TotalNumSgprs: 0
; NumVgprs: 0
; ScratchSize: 0
; MemoryBound: 0
; FloatMode: 240
; IeeeMode: 1
; LDSByteSize: 0 bytes/workgroup (compile time only)
; SGPRBlocks: 0
; VGPRBlocks: 0
; NumSGPRsForWavesPerEU: 1
; NumVGPRsForWavesPerEU: 1
; Occupancy: 16
; WaveLimiterHint : 0
; COMPUTE_PGM_RSRC2:SCRATCH_EN: 0
; COMPUTE_PGM_RSRC2:USER_SGPR: 6
; COMPUTE_PGM_RSRC2:TRAP_HANDLER: 0
; COMPUTE_PGM_RSRC2:TGID_X_EN: 1
; COMPUTE_PGM_RSRC2:TGID_Y_EN: 0
; COMPUTE_PGM_RSRC2:TGID_Z_EN: 0
; COMPUTE_PGM_RSRC2:TIDIG_COMP_CNT: 0
	.section	.text._ZN7rocprim17ROCPRIM_400000_NS6detail17trampoline_kernelINS0_14default_configENS1_38merge_sort_block_merge_config_selectorIfNS0_10empty_typeEEEZZNS1_27merge_sort_block_merge_implIS3_N6thrust23THRUST_200600_302600_NS6detail15normal_iteratorINS9_10device_ptrIfEEEEPS5_jNS1_19radix_merge_compareILb0ELb0EfNS0_19identity_decomposerEEEEE10hipError_tT0_T1_T2_jT3_P12ihipStream_tbPNSt15iterator_traitsISK_E10value_typeEPNSQ_ISL_E10value_typeEPSM_NS1_7vsmem_tEENKUlT_SK_SL_SM_E_clIPfSE_SF_SF_EESJ_SZ_SK_SL_SM_EUlSZ_E0_NS1_11comp_targetILNS1_3genE3ELNS1_11target_archE908ELNS1_3gpuE7ELNS1_3repE0EEENS1_38merge_mergepath_config_static_selectorELNS0_4arch9wavefront6targetE0EEEvSL_,"axG",@progbits,_ZN7rocprim17ROCPRIM_400000_NS6detail17trampoline_kernelINS0_14default_configENS1_38merge_sort_block_merge_config_selectorIfNS0_10empty_typeEEEZZNS1_27merge_sort_block_merge_implIS3_N6thrust23THRUST_200600_302600_NS6detail15normal_iteratorINS9_10device_ptrIfEEEEPS5_jNS1_19radix_merge_compareILb0ELb0EfNS0_19identity_decomposerEEEEE10hipError_tT0_T1_T2_jT3_P12ihipStream_tbPNSt15iterator_traitsISK_E10value_typeEPNSQ_ISL_E10value_typeEPSM_NS1_7vsmem_tEENKUlT_SK_SL_SM_E_clIPfSE_SF_SF_EESJ_SZ_SK_SL_SM_EUlSZ_E0_NS1_11comp_targetILNS1_3genE3ELNS1_11target_archE908ELNS1_3gpuE7ELNS1_3repE0EEENS1_38merge_mergepath_config_static_selectorELNS0_4arch9wavefront6targetE0EEEvSL_,comdat
	.protected	_ZN7rocprim17ROCPRIM_400000_NS6detail17trampoline_kernelINS0_14default_configENS1_38merge_sort_block_merge_config_selectorIfNS0_10empty_typeEEEZZNS1_27merge_sort_block_merge_implIS3_N6thrust23THRUST_200600_302600_NS6detail15normal_iteratorINS9_10device_ptrIfEEEEPS5_jNS1_19radix_merge_compareILb0ELb0EfNS0_19identity_decomposerEEEEE10hipError_tT0_T1_T2_jT3_P12ihipStream_tbPNSt15iterator_traitsISK_E10value_typeEPNSQ_ISL_E10value_typeEPSM_NS1_7vsmem_tEENKUlT_SK_SL_SM_E_clIPfSE_SF_SF_EESJ_SZ_SK_SL_SM_EUlSZ_E0_NS1_11comp_targetILNS1_3genE3ELNS1_11target_archE908ELNS1_3gpuE7ELNS1_3repE0EEENS1_38merge_mergepath_config_static_selectorELNS0_4arch9wavefront6targetE0EEEvSL_ ; -- Begin function _ZN7rocprim17ROCPRIM_400000_NS6detail17trampoline_kernelINS0_14default_configENS1_38merge_sort_block_merge_config_selectorIfNS0_10empty_typeEEEZZNS1_27merge_sort_block_merge_implIS3_N6thrust23THRUST_200600_302600_NS6detail15normal_iteratorINS9_10device_ptrIfEEEEPS5_jNS1_19radix_merge_compareILb0ELb0EfNS0_19identity_decomposerEEEEE10hipError_tT0_T1_T2_jT3_P12ihipStream_tbPNSt15iterator_traitsISK_E10value_typeEPNSQ_ISL_E10value_typeEPSM_NS1_7vsmem_tEENKUlT_SK_SL_SM_E_clIPfSE_SF_SF_EESJ_SZ_SK_SL_SM_EUlSZ_E0_NS1_11comp_targetILNS1_3genE3ELNS1_11target_archE908ELNS1_3gpuE7ELNS1_3repE0EEENS1_38merge_mergepath_config_static_selectorELNS0_4arch9wavefront6targetE0EEEvSL_
	.globl	_ZN7rocprim17ROCPRIM_400000_NS6detail17trampoline_kernelINS0_14default_configENS1_38merge_sort_block_merge_config_selectorIfNS0_10empty_typeEEEZZNS1_27merge_sort_block_merge_implIS3_N6thrust23THRUST_200600_302600_NS6detail15normal_iteratorINS9_10device_ptrIfEEEEPS5_jNS1_19radix_merge_compareILb0ELb0EfNS0_19identity_decomposerEEEEE10hipError_tT0_T1_T2_jT3_P12ihipStream_tbPNSt15iterator_traitsISK_E10value_typeEPNSQ_ISL_E10value_typeEPSM_NS1_7vsmem_tEENKUlT_SK_SL_SM_E_clIPfSE_SF_SF_EESJ_SZ_SK_SL_SM_EUlSZ_E0_NS1_11comp_targetILNS1_3genE3ELNS1_11target_archE908ELNS1_3gpuE7ELNS1_3repE0EEENS1_38merge_mergepath_config_static_selectorELNS0_4arch9wavefront6targetE0EEEvSL_
	.p2align	8
	.type	_ZN7rocprim17ROCPRIM_400000_NS6detail17trampoline_kernelINS0_14default_configENS1_38merge_sort_block_merge_config_selectorIfNS0_10empty_typeEEEZZNS1_27merge_sort_block_merge_implIS3_N6thrust23THRUST_200600_302600_NS6detail15normal_iteratorINS9_10device_ptrIfEEEEPS5_jNS1_19radix_merge_compareILb0ELb0EfNS0_19identity_decomposerEEEEE10hipError_tT0_T1_T2_jT3_P12ihipStream_tbPNSt15iterator_traitsISK_E10value_typeEPNSQ_ISL_E10value_typeEPSM_NS1_7vsmem_tEENKUlT_SK_SL_SM_E_clIPfSE_SF_SF_EESJ_SZ_SK_SL_SM_EUlSZ_E0_NS1_11comp_targetILNS1_3genE3ELNS1_11target_archE908ELNS1_3gpuE7ELNS1_3repE0EEENS1_38merge_mergepath_config_static_selectorELNS0_4arch9wavefront6targetE0EEEvSL_,@function
_ZN7rocprim17ROCPRIM_400000_NS6detail17trampoline_kernelINS0_14default_configENS1_38merge_sort_block_merge_config_selectorIfNS0_10empty_typeEEEZZNS1_27merge_sort_block_merge_implIS3_N6thrust23THRUST_200600_302600_NS6detail15normal_iteratorINS9_10device_ptrIfEEEEPS5_jNS1_19radix_merge_compareILb0ELb0EfNS0_19identity_decomposerEEEEE10hipError_tT0_T1_T2_jT3_P12ihipStream_tbPNSt15iterator_traitsISK_E10value_typeEPNSQ_ISL_E10value_typeEPSM_NS1_7vsmem_tEENKUlT_SK_SL_SM_E_clIPfSE_SF_SF_EESJ_SZ_SK_SL_SM_EUlSZ_E0_NS1_11comp_targetILNS1_3genE3ELNS1_11target_archE908ELNS1_3gpuE7ELNS1_3repE0EEENS1_38merge_mergepath_config_static_selectorELNS0_4arch9wavefront6targetE0EEEvSL_: ; @_ZN7rocprim17ROCPRIM_400000_NS6detail17trampoline_kernelINS0_14default_configENS1_38merge_sort_block_merge_config_selectorIfNS0_10empty_typeEEEZZNS1_27merge_sort_block_merge_implIS3_N6thrust23THRUST_200600_302600_NS6detail15normal_iteratorINS9_10device_ptrIfEEEEPS5_jNS1_19radix_merge_compareILb0ELb0EfNS0_19identity_decomposerEEEEE10hipError_tT0_T1_T2_jT3_P12ihipStream_tbPNSt15iterator_traitsISK_E10value_typeEPNSQ_ISL_E10value_typeEPSM_NS1_7vsmem_tEENKUlT_SK_SL_SM_E_clIPfSE_SF_SF_EESJ_SZ_SK_SL_SM_EUlSZ_E0_NS1_11comp_targetILNS1_3genE3ELNS1_11target_archE908ELNS1_3gpuE7ELNS1_3repE0EEENS1_38merge_mergepath_config_static_selectorELNS0_4arch9wavefront6targetE0EEEvSL_
; %bb.0:
	.section	.rodata,"a",@progbits
	.p2align	6, 0x0
	.amdhsa_kernel _ZN7rocprim17ROCPRIM_400000_NS6detail17trampoline_kernelINS0_14default_configENS1_38merge_sort_block_merge_config_selectorIfNS0_10empty_typeEEEZZNS1_27merge_sort_block_merge_implIS3_N6thrust23THRUST_200600_302600_NS6detail15normal_iteratorINS9_10device_ptrIfEEEEPS5_jNS1_19radix_merge_compareILb0ELb0EfNS0_19identity_decomposerEEEEE10hipError_tT0_T1_T2_jT3_P12ihipStream_tbPNSt15iterator_traitsISK_E10value_typeEPNSQ_ISL_E10value_typeEPSM_NS1_7vsmem_tEENKUlT_SK_SL_SM_E_clIPfSE_SF_SF_EESJ_SZ_SK_SL_SM_EUlSZ_E0_NS1_11comp_targetILNS1_3genE3ELNS1_11target_archE908ELNS1_3gpuE7ELNS1_3repE0EEENS1_38merge_mergepath_config_static_selectorELNS0_4arch9wavefront6targetE0EEEvSL_
		.amdhsa_group_segment_fixed_size 0
		.amdhsa_private_segment_fixed_size 0
		.amdhsa_kernarg_size 64
		.amdhsa_user_sgpr_count 6
		.amdhsa_user_sgpr_private_segment_buffer 1
		.amdhsa_user_sgpr_dispatch_ptr 0
		.amdhsa_user_sgpr_queue_ptr 0
		.amdhsa_user_sgpr_kernarg_segment_ptr 1
		.amdhsa_user_sgpr_dispatch_id 0
		.amdhsa_user_sgpr_flat_scratch_init 0
		.amdhsa_user_sgpr_private_segment_size 0
		.amdhsa_wavefront_size32 1
		.amdhsa_uses_dynamic_stack 0
		.amdhsa_system_sgpr_private_segment_wavefront_offset 0
		.amdhsa_system_sgpr_workgroup_id_x 1
		.amdhsa_system_sgpr_workgroup_id_y 0
		.amdhsa_system_sgpr_workgroup_id_z 0
		.amdhsa_system_sgpr_workgroup_info 0
		.amdhsa_system_vgpr_workitem_id 0
		.amdhsa_next_free_vgpr 1
		.amdhsa_next_free_sgpr 1
		.amdhsa_reserve_vcc 0
		.amdhsa_reserve_flat_scratch 0
		.amdhsa_float_round_mode_32 0
		.amdhsa_float_round_mode_16_64 0
		.amdhsa_float_denorm_mode_32 3
		.amdhsa_float_denorm_mode_16_64 3
		.amdhsa_dx10_clamp 1
		.amdhsa_ieee_mode 1
		.amdhsa_fp16_overflow 0
		.amdhsa_workgroup_processor_mode 1
		.amdhsa_memory_ordered 1
		.amdhsa_forward_progress 1
		.amdhsa_shared_vgpr_count 0
		.amdhsa_exception_fp_ieee_invalid_op 0
		.amdhsa_exception_fp_denorm_src 0
		.amdhsa_exception_fp_ieee_div_zero 0
		.amdhsa_exception_fp_ieee_overflow 0
		.amdhsa_exception_fp_ieee_underflow 0
		.amdhsa_exception_fp_ieee_inexact 0
		.amdhsa_exception_int_div_zero 0
	.end_amdhsa_kernel
	.section	.text._ZN7rocprim17ROCPRIM_400000_NS6detail17trampoline_kernelINS0_14default_configENS1_38merge_sort_block_merge_config_selectorIfNS0_10empty_typeEEEZZNS1_27merge_sort_block_merge_implIS3_N6thrust23THRUST_200600_302600_NS6detail15normal_iteratorINS9_10device_ptrIfEEEEPS5_jNS1_19radix_merge_compareILb0ELb0EfNS0_19identity_decomposerEEEEE10hipError_tT0_T1_T2_jT3_P12ihipStream_tbPNSt15iterator_traitsISK_E10value_typeEPNSQ_ISL_E10value_typeEPSM_NS1_7vsmem_tEENKUlT_SK_SL_SM_E_clIPfSE_SF_SF_EESJ_SZ_SK_SL_SM_EUlSZ_E0_NS1_11comp_targetILNS1_3genE3ELNS1_11target_archE908ELNS1_3gpuE7ELNS1_3repE0EEENS1_38merge_mergepath_config_static_selectorELNS0_4arch9wavefront6targetE0EEEvSL_,"axG",@progbits,_ZN7rocprim17ROCPRIM_400000_NS6detail17trampoline_kernelINS0_14default_configENS1_38merge_sort_block_merge_config_selectorIfNS0_10empty_typeEEEZZNS1_27merge_sort_block_merge_implIS3_N6thrust23THRUST_200600_302600_NS6detail15normal_iteratorINS9_10device_ptrIfEEEEPS5_jNS1_19radix_merge_compareILb0ELb0EfNS0_19identity_decomposerEEEEE10hipError_tT0_T1_T2_jT3_P12ihipStream_tbPNSt15iterator_traitsISK_E10value_typeEPNSQ_ISL_E10value_typeEPSM_NS1_7vsmem_tEENKUlT_SK_SL_SM_E_clIPfSE_SF_SF_EESJ_SZ_SK_SL_SM_EUlSZ_E0_NS1_11comp_targetILNS1_3genE3ELNS1_11target_archE908ELNS1_3gpuE7ELNS1_3repE0EEENS1_38merge_mergepath_config_static_selectorELNS0_4arch9wavefront6targetE0EEEvSL_,comdat
.Lfunc_end487:
	.size	_ZN7rocprim17ROCPRIM_400000_NS6detail17trampoline_kernelINS0_14default_configENS1_38merge_sort_block_merge_config_selectorIfNS0_10empty_typeEEEZZNS1_27merge_sort_block_merge_implIS3_N6thrust23THRUST_200600_302600_NS6detail15normal_iteratorINS9_10device_ptrIfEEEEPS5_jNS1_19radix_merge_compareILb0ELb0EfNS0_19identity_decomposerEEEEE10hipError_tT0_T1_T2_jT3_P12ihipStream_tbPNSt15iterator_traitsISK_E10value_typeEPNSQ_ISL_E10value_typeEPSM_NS1_7vsmem_tEENKUlT_SK_SL_SM_E_clIPfSE_SF_SF_EESJ_SZ_SK_SL_SM_EUlSZ_E0_NS1_11comp_targetILNS1_3genE3ELNS1_11target_archE908ELNS1_3gpuE7ELNS1_3repE0EEENS1_38merge_mergepath_config_static_selectorELNS0_4arch9wavefront6targetE0EEEvSL_, .Lfunc_end487-_ZN7rocprim17ROCPRIM_400000_NS6detail17trampoline_kernelINS0_14default_configENS1_38merge_sort_block_merge_config_selectorIfNS0_10empty_typeEEEZZNS1_27merge_sort_block_merge_implIS3_N6thrust23THRUST_200600_302600_NS6detail15normal_iteratorINS9_10device_ptrIfEEEEPS5_jNS1_19radix_merge_compareILb0ELb0EfNS0_19identity_decomposerEEEEE10hipError_tT0_T1_T2_jT3_P12ihipStream_tbPNSt15iterator_traitsISK_E10value_typeEPNSQ_ISL_E10value_typeEPSM_NS1_7vsmem_tEENKUlT_SK_SL_SM_E_clIPfSE_SF_SF_EESJ_SZ_SK_SL_SM_EUlSZ_E0_NS1_11comp_targetILNS1_3genE3ELNS1_11target_archE908ELNS1_3gpuE7ELNS1_3repE0EEENS1_38merge_mergepath_config_static_selectorELNS0_4arch9wavefront6targetE0EEEvSL_
                                        ; -- End function
	.set _ZN7rocprim17ROCPRIM_400000_NS6detail17trampoline_kernelINS0_14default_configENS1_38merge_sort_block_merge_config_selectorIfNS0_10empty_typeEEEZZNS1_27merge_sort_block_merge_implIS3_N6thrust23THRUST_200600_302600_NS6detail15normal_iteratorINS9_10device_ptrIfEEEEPS5_jNS1_19radix_merge_compareILb0ELb0EfNS0_19identity_decomposerEEEEE10hipError_tT0_T1_T2_jT3_P12ihipStream_tbPNSt15iterator_traitsISK_E10value_typeEPNSQ_ISL_E10value_typeEPSM_NS1_7vsmem_tEENKUlT_SK_SL_SM_E_clIPfSE_SF_SF_EESJ_SZ_SK_SL_SM_EUlSZ_E0_NS1_11comp_targetILNS1_3genE3ELNS1_11target_archE908ELNS1_3gpuE7ELNS1_3repE0EEENS1_38merge_mergepath_config_static_selectorELNS0_4arch9wavefront6targetE0EEEvSL_.num_vgpr, 0
	.set _ZN7rocprim17ROCPRIM_400000_NS6detail17trampoline_kernelINS0_14default_configENS1_38merge_sort_block_merge_config_selectorIfNS0_10empty_typeEEEZZNS1_27merge_sort_block_merge_implIS3_N6thrust23THRUST_200600_302600_NS6detail15normal_iteratorINS9_10device_ptrIfEEEEPS5_jNS1_19radix_merge_compareILb0ELb0EfNS0_19identity_decomposerEEEEE10hipError_tT0_T1_T2_jT3_P12ihipStream_tbPNSt15iterator_traitsISK_E10value_typeEPNSQ_ISL_E10value_typeEPSM_NS1_7vsmem_tEENKUlT_SK_SL_SM_E_clIPfSE_SF_SF_EESJ_SZ_SK_SL_SM_EUlSZ_E0_NS1_11comp_targetILNS1_3genE3ELNS1_11target_archE908ELNS1_3gpuE7ELNS1_3repE0EEENS1_38merge_mergepath_config_static_selectorELNS0_4arch9wavefront6targetE0EEEvSL_.num_agpr, 0
	.set _ZN7rocprim17ROCPRIM_400000_NS6detail17trampoline_kernelINS0_14default_configENS1_38merge_sort_block_merge_config_selectorIfNS0_10empty_typeEEEZZNS1_27merge_sort_block_merge_implIS3_N6thrust23THRUST_200600_302600_NS6detail15normal_iteratorINS9_10device_ptrIfEEEEPS5_jNS1_19radix_merge_compareILb0ELb0EfNS0_19identity_decomposerEEEEE10hipError_tT0_T1_T2_jT3_P12ihipStream_tbPNSt15iterator_traitsISK_E10value_typeEPNSQ_ISL_E10value_typeEPSM_NS1_7vsmem_tEENKUlT_SK_SL_SM_E_clIPfSE_SF_SF_EESJ_SZ_SK_SL_SM_EUlSZ_E0_NS1_11comp_targetILNS1_3genE3ELNS1_11target_archE908ELNS1_3gpuE7ELNS1_3repE0EEENS1_38merge_mergepath_config_static_selectorELNS0_4arch9wavefront6targetE0EEEvSL_.numbered_sgpr, 0
	.set _ZN7rocprim17ROCPRIM_400000_NS6detail17trampoline_kernelINS0_14default_configENS1_38merge_sort_block_merge_config_selectorIfNS0_10empty_typeEEEZZNS1_27merge_sort_block_merge_implIS3_N6thrust23THRUST_200600_302600_NS6detail15normal_iteratorINS9_10device_ptrIfEEEEPS5_jNS1_19radix_merge_compareILb0ELb0EfNS0_19identity_decomposerEEEEE10hipError_tT0_T1_T2_jT3_P12ihipStream_tbPNSt15iterator_traitsISK_E10value_typeEPNSQ_ISL_E10value_typeEPSM_NS1_7vsmem_tEENKUlT_SK_SL_SM_E_clIPfSE_SF_SF_EESJ_SZ_SK_SL_SM_EUlSZ_E0_NS1_11comp_targetILNS1_3genE3ELNS1_11target_archE908ELNS1_3gpuE7ELNS1_3repE0EEENS1_38merge_mergepath_config_static_selectorELNS0_4arch9wavefront6targetE0EEEvSL_.num_named_barrier, 0
	.set _ZN7rocprim17ROCPRIM_400000_NS6detail17trampoline_kernelINS0_14default_configENS1_38merge_sort_block_merge_config_selectorIfNS0_10empty_typeEEEZZNS1_27merge_sort_block_merge_implIS3_N6thrust23THRUST_200600_302600_NS6detail15normal_iteratorINS9_10device_ptrIfEEEEPS5_jNS1_19radix_merge_compareILb0ELb0EfNS0_19identity_decomposerEEEEE10hipError_tT0_T1_T2_jT3_P12ihipStream_tbPNSt15iterator_traitsISK_E10value_typeEPNSQ_ISL_E10value_typeEPSM_NS1_7vsmem_tEENKUlT_SK_SL_SM_E_clIPfSE_SF_SF_EESJ_SZ_SK_SL_SM_EUlSZ_E0_NS1_11comp_targetILNS1_3genE3ELNS1_11target_archE908ELNS1_3gpuE7ELNS1_3repE0EEENS1_38merge_mergepath_config_static_selectorELNS0_4arch9wavefront6targetE0EEEvSL_.private_seg_size, 0
	.set _ZN7rocprim17ROCPRIM_400000_NS6detail17trampoline_kernelINS0_14default_configENS1_38merge_sort_block_merge_config_selectorIfNS0_10empty_typeEEEZZNS1_27merge_sort_block_merge_implIS3_N6thrust23THRUST_200600_302600_NS6detail15normal_iteratorINS9_10device_ptrIfEEEEPS5_jNS1_19radix_merge_compareILb0ELb0EfNS0_19identity_decomposerEEEEE10hipError_tT0_T1_T2_jT3_P12ihipStream_tbPNSt15iterator_traitsISK_E10value_typeEPNSQ_ISL_E10value_typeEPSM_NS1_7vsmem_tEENKUlT_SK_SL_SM_E_clIPfSE_SF_SF_EESJ_SZ_SK_SL_SM_EUlSZ_E0_NS1_11comp_targetILNS1_3genE3ELNS1_11target_archE908ELNS1_3gpuE7ELNS1_3repE0EEENS1_38merge_mergepath_config_static_selectorELNS0_4arch9wavefront6targetE0EEEvSL_.uses_vcc, 0
	.set _ZN7rocprim17ROCPRIM_400000_NS6detail17trampoline_kernelINS0_14default_configENS1_38merge_sort_block_merge_config_selectorIfNS0_10empty_typeEEEZZNS1_27merge_sort_block_merge_implIS3_N6thrust23THRUST_200600_302600_NS6detail15normal_iteratorINS9_10device_ptrIfEEEEPS5_jNS1_19radix_merge_compareILb0ELb0EfNS0_19identity_decomposerEEEEE10hipError_tT0_T1_T2_jT3_P12ihipStream_tbPNSt15iterator_traitsISK_E10value_typeEPNSQ_ISL_E10value_typeEPSM_NS1_7vsmem_tEENKUlT_SK_SL_SM_E_clIPfSE_SF_SF_EESJ_SZ_SK_SL_SM_EUlSZ_E0_NS1_11comp_targetILNS1_3genE3ELNS1_11target_archE908ELNS1_3gpuE7ELNS1_3repE0EEENS1_38merge_mergepath_config_static_selectorELNS0_4arch9wavefront6targetE0EEEvSL_.uses_flat_scratch, 0
	.set _ZN7rocprim17ROCPRIM_400000_NS6detail17trampoline_kernelINS0_14default_configENS1_38merge_sort_block_merge_config_selectorIfNS0_10empty_typeEEEZZNS1_27merge_sort_block_merge_implIS3_N6thrust23THRUST_200600_302600_NS6detail15normal_iteratorINS9_10device_ptrIfEEEEPS5_jNS1_19radix_merge_compareILb0ELb0EfNS0_19identity_decomposerEEEEE10hipError_tT0_T1_T2_jT3_P12ihipStream_tbPNSt15iterator_traitsISK_E10value_typeEPNSQ_ISL_E10value_typeEPSM_NS1_7vsmem_tEENKUlT_SK_SL_SM_E_clIPfSE_SF_SF_EESJ_SZ_SK_SL_SM_EUlSZ_E0_NS1_11comp_targetILNS1_3genE3ELNS1_11target_archE908ELNS1_3gpuE7ELNS1_3repE0EEENS1_38merge_mergepath_config_static_selectorELNS0_4arch9wavefront6targetE0EEEvSL_.has_dyn_sized_stack, 0
	.set _ZN7rocprim17ROCPRIM_400000_NS6detail17trampoline_kernelINS0_14default_configENS1_38merge_sort_block_merge_config_selectorIfNS0_10empty_typeEEEZZNS1_27merge_sort_block_merge_implIS3_N6thrust23THRUST_200600_302600_NS6detail15normal_iteratorINS9_10device_ptrIfEEEEPS5_jNS1_19radix_merge_compareILb0ELb0EfNS0_19identity_decomposerEEEEE10hipError_tT0_T1_T2_jT3_P12ihipStream_tbPNSt15iterator_traitsISK_E10value_typeEPNSQ_ISL_E10value_typeEPSM_NS1_7vsmem_tEENKUlT_SK_SL_SM_E_clIPfSE_SF_SF_EESJ_SZ_SK_SL_SM_EUlSZ_E0_NS1_11comp_targetILNS1_3genE3ELNS1_11target_archE908ELNS1_3gpuE7ELNS1_3repE0EEENS1_38merge_mergepath_config_static_selectorELNS0_4arch9wavefront6targetE0EEEvSL_.has_recursion, 0
	.set _ZN7rocprim17ROCPRIM_400000_NS6detail17trampoline_kernelINS0_14default_configENS1_38merge_sort_block_merge_config_selectorIfNS0_10empty_typeEEEZZNS1_27merge_sort_block_merge_implIS3_N6thrust23THRUST_200600_302600_NS6detail15normal_iteratorINS9_10device_ptrIfEEEEPS5_jNS1_19radix_merge_compareILb0ELb0EfNS0_19identity_decomposerEEEEE10hipError_tT0_T1_T2_jT3_P12ihipStream_tbPNSt15iterator_traitsISK_E10value_typeEPNSQ_ISL_E10value_typeEPSM_NS1_7vsmem_tEENKUlT_SK_SL_SM_E_clIPfSE_SF_SF_EESJ_SZ_SK_SL_SM_EUlSZ_E0_NS1_11comp_targetILNS1_3genE3ELNS1_11target_archE908ELNS1_3gpuE7ELNS1_3repE0EEENS1_38merge_mergepath_config_static_selectorELNS0_4arch9wavefront6targetE0EEEvSL_.has_indirect_call, 0
	.section	.AMDGPU.csdata,"",@progbits
; Kernel info:
; codeLenInByte = 0
; TotalNumSgprs: 0
; NumVgprs: 0
; ScratchSize: 0
; MemoryBound: 0
; FloatMode: 240
; IeeeMode: 1
; LDSByteSize: 0 bytes/workgroup (compile time only)
; SGPRBlocks: 0
; VGPRBlocks: 0
; NumSGPRsForWavesPerEU: 1
; NumVGPRsForWavesPerEU: 1
; Occupancy: 16
; WaveLimiterHint : 0
; COMPUTE_PGM_RSRC2:SCRATCH_EN: 0
; COMPUTE_PGM_RSRC2:USER_SGPR: 6
; COMPUTE_PGM_RSRC2:TRAP_HANDLER: 0
; COMPUTE_PGM_RSRC2:TGID_X_EN: 1
; COMPUTE_PGM_RSRC2:TGID_Y_EN: 0
; COMPUTE_PGM_RSRC2:TGID_Z_EN: 0
; COMPUTE_PGM_RSRC2:TIDIG_COMP_CNT: 0
	.section	.text._ZN7rocprim17ROCPRIM_400000_NS6detail17trampoline_kernelINS0_14default_configENS1_38merge_sort_block_merge_config_selectorIfNS0_10empty_typeEEEZZNS1_27merge_sort_block_merge_implIS3_N6thrust23THRUST_200600_302600_NS6detail15normal_iteratorINS9_10device_ptrIfEEEEPS5_jNS1_19radix_merge_compareILb0ELb0EfNS0_19identity_decomposerEEEEE10hipError_tT0_T1_T2_jT3_P12ihipStream_tbPNSt15iterator_traitsISK_E10value_typeEPNSQ_ISL_E10value_typeEPSM_NS1_7vsmem_tEENKUlT_SK_SL_SM_E_clIPfSE_SF_SF_EESJ_SZ_SK_SL_SM_EUlSZ_E0_NS1_11comp_targetILNS1_3genE2ELNS1_11target_archE906ELNS1_3gpuE6ELNS1_3repE0EEENS1_38merge_mergepath_config_static_selectorELNS0_4arch9wavefront6targetE0EEEvSL_,"axG",@progbits,_ZN7rocprim17ROCPRIM_400000_NS6detail17trampoline_kernelINS0_14default_configENS1_38merge_sort_block_merge_config_selectorIfNS0_10empty_typeEEEZZNS1_27merge_sort_block_merge_implIS3_N6thrust23THRUST_200600_302600_NS6detail15normal_iteratorINS9_10device_ptrIfEEEEPS5_jNS1_19radix_merge_compareILb0ELb0EfNS0_19identity_decomposerEEEEE10hipError_tT0_T1_T2_jT3_P12ihipStream_tbPNSt15iterator_traitsISK_E10value_typeEPNSQ_ISL_E10value_typeEPSM_NS1_7vsmem_tEENKUlT_SK_SL_SM_E_clIPfSE_SF_SF_EESJ_SZ_SK_SL_SM_EUlSZ_E0_NS1_11comp_targetILNS1_3genE2ELNS1_11target_archE906ELNS1_3gpuE6ELNS1_3repE0EEENS1_38merge_mergepath_config_static_selectorELNS0_4arch9wavefront6targetE0EEEvSL_,comdat
	.protected	_ZN7rocprim17ROCPRIM_400000_NS6detail17trampoline_kernelINS0_14default_configENS1_38merge_sort_block_merge_config_selectorIfNS0_10empty_typeEEEZZNS1_27merge_sort_block_merge_implIS3_N6thrust23THRUST_200600_302600_NS6detail15normal_iteratorINS9_10device_ptrIfEEEEPS5_jNS1_19radix_merge_compareILb0ELb0EfNS0_19identity_decomposerEEEEE10hipError_tT0_T1_T2_jT3_P12ihipStream_tbPNSt15iterator_traitsISK_E10value_typeEPNSQ_ISL_E10value_typeEPSM_NS1_7vsmem_tEENKUlT_SK_SL_SM_E_clIPfSE_SF_SF_EESJ_SZ_SK_SL_SM_EUlSZ_E0_NS1_11comp_targetILNS1_3genE2ELNS1_11target_archE906ELNS1_3gpuE6ELNS1_3repE0EEENS1_38merge_mergepath_config_static_selectorELNS0_4arch9wavefront6targetE0EEEvSL_ ; -- Begin function _ZN7rocprim17ROCPRIM_400000_NS6detail17trampoline_kernelINS0_14default_configENS1_38merge_sort_block_merge_config_selectorIfNS0_10empty_typeEEEZZNS1_27merge_sort_block_merge_implIS3_N6thrust23THRUST_200600_302600_NS6detail15normal_iteratorINS9_10device_ptrIfEEEEPS5_jNS1_19radix_merge_compareILb0ELb0EfNS0_19identity_decomposerEEEEE10hipError_tT0_T1_T2_jT3_P12ihipStream_tbPNSt15iterator_traitsISK_E10value_typeEPNSQ_ISL_E10value_typeEPSM_NS1_7vsmem_tEENKUlT_SK_SL_SM_E_clIPfSE_SF_SF_EESJ_SZ_SK_SL_SM_EUlSZ_E0_NS1_11comp_targetILNS1_3genE2ELNS1_11target_archE906ELNS1_3gpuE6ELNS1_3repE0EEENS1_38merge_mergepath_config_static_selectorELNS0_4arch9wavefront6targetE0EEEvSL_
	.globl	_ZN7rocprim17ROCPRIM_400000_NS6detail17trampoline_kernelINS0_14default_configENS1_38merge_sort_block_merge_config_selectorIfNS0_10empty_typeEEEZZNS1_27merge_sort_block_merge_implIS3_N6thrust23THRUST_200600_302600_NS6detail15normal_iteratorINS9_10device_ptrIfEEEEPS5_jNS1_19radix_merge_compareILb0ELb0EfNS0_19identity_decomposerEEEEE10hipError_tT0_T1_T2_jT3_P12ihipStream_tbPNSt15iterator_traitsISK_E10value_typeEPNSQ_ISL_E10value_typeEPSM_NS1_7vsmem_tEENKUlT_SK_SL_SM_E_clIPfSE_SF_SF_EESJ_SZ_SK_SL_SM_EUlSZ_E0_NS1_11comp_targetILNS1_3genE2ELNS1_11target_archE906ELNS1_3gpuE6ELNS1_3repE0EEENS1_38merge_mergepath_config_static_selectorELNS0_4arch9wavefront6targetE0EEEvSL_
	.p2align	8
	.type	_ZN7rocprim17ROCPRIM_400000_NS6detail17trampoline_kernelINS0_14default_configENS1_38merge_sort_block_merge_config_selectorIfNS0_10empty_typeEEEZZNS1_27merge_sort_block_merge_implIS3_N6thrust23THRUST_200600_302600_NS6detail15normal_iteratorINS9_10device_ptrIfEEEEPS5_jNS1_19radix_merge_compareILb0ELb0EfNS0_19identity_decomposerEEEEE10hipError_tT0_T1_T2_jT3_P12ihipStream_tbPNSt15iterator_traitsISK_E10value_typeEPNSQ_ISL_E10value_typeEPSM_NS1_7vsmem_tEENKUlT_SK_SL_SM_E_clIPfSE_SF_SF_EESJ_SZ_SK_SL_SM_EUlSZ_E0_NS1_11comp_targetILNS1_3genE2ELNS1_11target_archE906ELNS1_3gpuE6ELNS1_3repE0EEENS1_38merge_mergepath_config_static_selectorELNS0_4arch9wavefront6targetE0EEEvSL_,@function
_ZN7rocprim17ROCPRIM_400000_NS6detail17trampoline_kernelINS0_14default_configENS1_38merge_sort_block_merge_config_selectorIfNS0_10empty_typeEEEZZNS1_27merge_sort_block_merge_implIS3_N6thrust23THRUST_200600_302600_NS6detail15normal_iteratorINS9_10device_ptrIfEEEEPS5_jNS1_19radix_merge_compareILb0ELb0EfNS0_19identity_decomposerEEEEE10hipError_tT0_T1_T2_jT3_P12ihipStream_tbPNSt15iterator_traitsISK_E10value_typeEPNSQ_ISL_E10value_typeEPSM_NS1_7vsmem_tEENKUlT_SK_SL_SM_E_clIPfSE_SF_SF_EESJ_SZ_SK_SL_SM_EUlSZ_E0_NS1_11comp_targetILNS1_3genE2ELNS1_11target_archE906ELNS1_3gpuE6ELNS1_3repE0EEENS1_38merge_mergepath_config_static_selectorELNS0_4arch9wavefront6targetE0EEEvSL_: ; @_ZN7rocprim17ROCPRIM_400000_NS6detail17trampoline_kernelINS0_14default_configENS1_38merge_sort_block_merge_config_selectorIfNS0_10empty_typeEEEZZNS1_27merge_sort_block_merge_implIS3_N6thrust23THRUST_200600_302600_NS6detail15normal_iteratorINS9_10device_ptrIfEEEEPS5_jNS1_19radix_merge_compareILb0ELb0EfNS0_19identity_decomposerEEEEE10hipError_tT0_T1_T2_jT3_P12ihipStream_tbPNSt15iterator_traitsISK_E10value_typeEPNSQ_ISL_E10value_typeEPSM_NS1_7vsmem_tEENKUlT_SK_SL_SM_E_clIPfSE_SF_SF_EESJ_SZ_SK_SL_SM_EUlSZ_E0_NS1_11comp_targetILNS1_3genE2ELNS1_11target_archE906ELNS1_3gpuE6ELNS1_3repE0EEENS1_38merge_mergepath_config_static_selectorELNS0_4arch9wavefront6targetE0EEEvSL_
; %bb.0:
	.section	.rodata,"a",@progbits
	.p2align	6, 0x0
	.amdhsa_kernel _ZN7rocprim17ROCPRIM_400000_NS6detail17trampoline_kernelINS0_14default_configENS1_38merge_sort_block_merge_config_selectorIfNS0_10empty_typeEEEZZNS1_27merge_sort_block_merge_implIS3_N6thrust23THRUST_200600_302600_NS6detail15normal_iteratorINS9_10device_ptrIfEEEEPS5_jNS1_19radix_merge_compareILb0ELb0EfNS0_19identity_decomposerEEEEE10hipError_tT0_T1_T2_jT3_P12ihipStream_tbPNSt15iterator_traitsISK_E10value_typeEPNSQ_ISL_E10value_typeEPSM_NS1_7vsmem_tEENKUlT_SK_SL_SM_E_clIPfSE_SF_SF_EESJ_SZ_SK_SL_SM_EUlSZ_E0_NS1_11comp_targetILNS1_3genE2ELNS1_11target_archE906ELNS1_3gpuE6ELNS1_3repE0EEENS1_38merge_mergepath_config_static_selectorELNS0_4arch9wavefront6targetE0EEEvSL_
		.amdhsa_group_segment_fixed_size 0
		.amdhsa_private_segment_fixed_size 0
		.amdhsa_kernarg_size 64
		.amdhsa_user_sgpr_count 6
		.amdhsa_user_sgpr_private_segment_buffer 1
		.amdhsa_user_sgpr_dispatch_ptr 0
		.amdhsa_user_sgpr_queue_ptr 0
		.amdhsa_user_sgpr_kernarg_segment_ptr 1
		.amdhsa_user_sgpr_dispatch_id 0
		.amdhsa_user_sgpr_flat_scratch_init 0
		.amdhsa_user_sgpr_private_segment_size 0
		.amdhsa_wavefront_size32 1
		.amdhsa_uses_dynamic_stack 0
		.amdhsa_system_sgpr_private_segment_wavefront_offset 0
		.amdhsa_system_sgpr_workgroup_id_x 1
		.amdhsa_system_sgpr_workgroup_id_y 0
		.amdhsa_system_sgpr_workgroup_id_z 0
		.amdhsa_system_sgpr_workgroup_info 0
		.amdhsa_system_vgpr_workitem_id 0
		.amdhsa_next_free_vgpr 1
		.amdhsa_next_free_sgpr 1
		.amdhsa_reserve_vcc 0
		.amdhsa_reserve_flat_scratch 0
		.amdhsa_float_round_mode_32 0
		.amdhsa_float_round_mode_16_64 0
		.amdhsa_float_denorm_mode_32 3
		.amdhsa_float_denorm_mode_16_64 3
		.amdhsa_dx10_clamp 1
		.amdhsa_ieee_mode 1
		.amdhsa_fp16_overflow 0
		.amdhsa_workgroup_processor_mode 1
		.amdhsa_memory_ordered 1
		.amdhsa_forward_progress 1
		.amdhsa_shared_vgpr_count 0
		.amdhsa_exception_fp_ieee_invalid_op 0
		.amdhsa_exception_fp_denorm_src 0
		.amdhsa_exception_fp_ieee_div_zero 0
		.amdhsa_exception_fp_ieee_overflow 0
		.amdhsa_exception_fp_ieee_underflow 0
		.amdhsa_exception_fp_ieee_inexact 0
		.amdhsa_exception_int_div_zero 0
	.end_amdhsa_kernel
	.section	.text._ZN7rocprim17ROCPRIM_400000_NS6detail17trampoline_kernelINS0_14default_configENS1_38merge_sort_block_merge_config_selectorIfNS0_10empty_typeEEEZZNS1_27merge_sort_block_merge_implIS3_N6thrust23THRUST_200600_302600_NS6detail15normal_iteratorINS9_10device_ptrIfEEEEPS5_jNS1_19radix_merge_compareILb0ELb0EfNS0_19identity_decomposerEEEEE10hipError_tT0_T1_T2_jT3_P12ihipStream_tbPNSt15iterator_traitsISK_E10value_typeEPNSQ_ISL_E10value_typeEPSM_NS1_7vsmem_tEENKUlT_SK_SL_SM_E_clIPfSE_SF_SF_EESJ_SZ_SK_SL_SM_EUlSZ_E0_NS1_11comp_targetILNS1_3genE2ELNS1_11target_archE906ELNS1_3gpuE6ELNS1_3repE0EEENS1_38merge_mergepath_config_static_selectorELNS0_4arch9wavefront6targetE0EEEvSL_,"axG",@progbits,_ZN7rocprim17ROCPRIM_400000_NS6detail17trampoline_kernelINS0_14default_configENS1_38merge_sort_block_merge_config_selectorIfNS0_10empty_typeEEEZZNS1_27merge_sort_block_merge_implIS3_N6thrust23THRUST_200600_302600_NS6detail15normal_iteratorINS9_10device_ptrIfEEEEPS5_jNS1_19radix_merge_compareILb0ELb0EfNS0_19identity_decomposerEEEEE10hipError_tT0_T1_T2_jT3_P12ihipStream_tbPNSt15iterator_traitsISK_E10value_typeEPNSQ_ISL_E10value_typeEPSM_NS1_7vsmem_tEENKUlT_SK_SL_SM_E_clIPfSE_SF_SF_EESJ_SZ_SK_SL_SM_EUlSZ_E0_NS1_11comp_targetILNS1_3genE2ELNS1_11target_archE906ELNS1_3gpuE6ELNS1_3repE0EEENS1_38merge_mergepath_config_static_selectorELNS0_4arch9wavefront6targetE0EEEvSL_,comdat
.Lfunc_end488:
	.size	_ZN7rocprim17ROCPRIM_400000_NS6detail17trampoline_kernelINS0_14default_configENS1_38merge_sort_block_merge_config_selectorIfNS0_10empty_typeEEEZZNS1_27merge_sort_block_merge_implIS3_N6thrust23THRUST_200600_302600_NS6detail15normal_iteratorINS9_10device_ptrIfEEEEPS5_jNS1_19radix_merge_compareILb0ELb0EfNS0_19identity_decomposerEEEEE10hipError_tT0_T1_T2_jT3_P12ihipStream_tbPNSt15iterator_traitsISK_E10value_typeEPNSQ_ISL_E10value_typeEPSM_NS1_7vsmem_tEENKUlT_SK_SL_SM_E_clIPfSE_SF_SF_EESJ_SZ_SK_SL_SM_EUlSZ_E0_NS1_11comp_targetILNS1_3genE2ELNS1_11target_archE906ELNS1_3gpuE6ELNS1_3repE0EEENS1_38merge_mergepath_config_static_selectorELNS0_4arch9wavefront6targetE0EEEvSL_, .Lfunc_end488-_ZN7rocprim17ROCPRIM_400000_NS6detail17trampoline_kernelINS0_14default_configENS1_38merge_sort_block_merge_config_selectorIfNS0_10empty_typeEEEZZNS1_27merge_sort_block_merge_implIS3_N6thrust23THRUST_200600_302600_NS6detail15normal_iteratorINS9_10device_ptrIfEEEEPS5_jNS1_19radix_merge_compareILb0ELb0EfNS0_19identity_decomposerEEEEE10hipError_tT0_T1_T2_jT3_P12ihipStream_tbPNSt15iterator_traitsISK_E10value_typeEPNSQ_ISL_E10value_typeEPSM_NS1_7vsmem_tEENKUlT_SK_SL_SM_E_clIPfSE_SF_SF_EESJ_SZ_SK_SL_SM_EUlSZ_E0_NS1_11comp_targetILNS1_3genE2ELNS1_11target_archE906ELNS1_3gpuE6ELNS1_3repE0EEENS1_38merge_mergepath_config_static_selectorELNS0_4arch9wavefront6targetE0EEEvSL_
                                        ; -- End function
	.set _ZN7rocprim17ROCPRIM_400000_NS6detail17trampoline_kernelINS0_14default_configENS1_38merge_sort_block_merge_config_selectorIfNS0_10empty_typeEEEZZNS1_27merge_sort_block_merge_implIS3_N6thrust23THRUST_200600_302600_NS6detail15normal_iteratorINS9_10device_ptrIfEEEEPS5_jNS1_19radix_merge_compareILb0ELb0EfNS0_19identity_decomposerEEEEE10hipError_tT0_T1_T2_jT3_P12ihipStream_tbPNSt15iterator_traitsISK_E10value_typeEPNSQ_ISL_E10value_typeEPSM_NS1_7vsmem_tEENKUlT_SK_SL_SM_E_clIPfSE_SF_SF_EESJ_SZ_SK_SL_SM_EUlSZ_E0_NS1_11comp_targetILNS1_3genE2ELNS1_11target_archE906ELNS1_3gpuE6ELNS1_3repE0EEENS1_38merge_mergepath_config_static_selectorELNS0_4arch9wavefront6targetE0EEEvSL_.num_vgpr, 0
	.set _ZN7rocprim17ROCPRIM_400000_NS6detail17trampoline_kernelINS0_14default_configENS1_38merge_sort_block_merge_config_selectorIfNS0_10empty_typeEEEZZNS1_27merge_sort_block_merge_implIS3_N6thrust23THRUST_200600_302600_NS6detail15normal_iteratorINS9_10device_ptrIfEEEEPS5_jNS1_19radix_merge_compareILb0ELb0EfNS0_19identity_decomposerEEEEE10hipError_tT0_T1_T2_jT3_P12ihipStream_tbPNSt15iterator_traitsISK_E10value_typeEPNSQ_ISL_E10value_typeEPSM_NS1_7vsmem_tEENKUlT_SK_SL_SM_E_clIPfSE_SF_SF_EESJ_SZ_SK_SL_SM_EUlSZ_E0_NS1_11comp_targetILNS1_3genE2ELNS1_11target_archE906ELNS1_3gpuE6ELNS1_3repE0EEENS1_38merge_mergepath_config_static_selectorELNS0_4arch9wavefront6targetE0EEEvSL_.num_agpr, 0
	.set _ZN7rocprim17ROCPRIM_400000_NS6detail17trampoline_kernelINS0_14default_configENS1_38merge_sort_block_merge_config_selectorIfNS0_10empty_typeEEEZZNS1_27merge_sort_block_merge_implIS3_N6thrust23THRUST_200600_302600_NS6detail15normal_iteratorINS9_10device_ptrIfEEEEPS5_jNS1_19radix_merge_compareILb0ELb0EfNS0_19identity_decomposerEEEEE10hipError_tT0_T1_T2_jT3_P12ihipStream_tbPNSt15iterator_traitsISK_E10value_typeEPNSQ_ISL_E10value_typeEPSM_NS1_7vsmem_tEENKUlT_SK_SL_SM_E_clIPfSE_SF_SF_EESJ_SZ_SK_SL_SM_EUlSZ_E0_NS1_11comp_targetILNS1_3genE2ELNS1_11target_archE906ELNS1_3gpuE6ELNS1_3repE0EEENS1_38merge_mergepath_config_static_selectorELNS0_4arch9wavefront6targetE0EEEvSL_.numbered_sgpr, 0
	.set _ZN7rocprim17ROCPRIM_400000_NS6detail17trampoline_kernelINS0_14default_configENS1_38merge_sort_block_merge_config_selectorIfNS0_10empty_typeEEEZZNS1_27merge_sort_block_merge_implIS3_N6thrust23THRUST_200600_302600_NS6detail15normal_iteratorINS9_10device_ptrIfEEEEPS5_jNS1_19radix_merge_compareILb0ELb0EfNS0_19identity_decomposerEEEEE10hipError_tT0_T1_T2_jT3_P12ihipStream_tbPNSt15iterator_traitsISK_E10value_typeEPNSQ_ISL_E10value_typeEPSM_NS1_7vsmem_tEENKUlT_SK_SL_SM_E_clIPfSE_SF_SF_EESJ_SZ_SK_SL_SM_EUlSZ_E0_NS1_11comp_targetILNS1_3genE2ELNS1_11target_archE906ELNS1_3gpuE6ELNS1_3repE0EEENS1_38merge_mergepath_config_static_selectorELNS0_4arch9wavefront6targetE0EEEvSL_.num_named_barrier, 0
	.set _ZN7rocprim17ROCPRIM_400000_NS6detail17trampoline_kernelINS0_14default_configENS1_38merge_sort_block_merge_config_selectorIfNS0_10empty_typeEEEZZNS1_27merge_sort_block_merge_implIS3_N6thrust23THRUST_200600_302600_NS6detail15normal_iteratorINS9_10device_ptrIfEEEEPS5_jNS1_19radix_merge_compareILb0ELb0EfNS0_19identity_decomposerEEEEE10hipError_tT0_T1_T2_jT3_P12ihipStream_tbPNSt15iterator_traitsISK_E10value_typeEPNSQ_ISL_E10value_typeEPSM_NS1_7vsmem_tEENKUlT_SK_SL_SM_E_clIPfSE_SF_SF_EESJ_SZ_SK_SL_SM_EUlSZ_E0_NS1_11comp_targetILNS1_3genE2ELNS1_11target_archE906ELNS1_3gpuE6ELNS1_3repE0EEENS1_38merge_mergepath_config_static_selectorELNS0_4arch9wavefront6targetE0EEEvSL_.private_seg_size, 0
	.set _ZN7rocprim17ROCPRIM_400000_NS6detail17trampoline_kernelINS0_14default_configENS1_38merge_sort_block_merge_config_selectorIfNS0_10empty_typeEEEZZNS1_27merge_sort_block_merge_implIS3_N6thrust23THRUST_200600_302600_NS6detail15normal_iteratorINS9_10device_ptrIfEEEEPS5_jNS1_19radix_merge_compareILb0ELb0EfNS0_19identity_decomposerEEEEE10hipError_tT0_T1_T2_jT3_P12ihipStream_tbPNSt15iterator_traitsISK_E10value_typeEPNSQ_ISL_E10value_typeEPSM_NS1_7vsmem_tEENKUlT_SK_SL_SM_E_clIPfSE_SF_SF_EESJ_SZ_SK_SL_SM_EUlSZ_E0_NS1_11comp_targetILNS1_3genE2ELNS1_11target_archE906ELNS1_3gpuE6ELNS1_3repE0EEENS1_38merge_mergepath_config_static_selectorELNS0_4arch9wavefront6targetE0EEEvSL_.uses_vcc, 0
	.set _ZN7rocprim17ROCPRIM_400000_NS6detail17trampoline_kernelINS0_14default_configENS1_38merge_sort_block_merge_config_selectorIfNS0_10empty_typeEEEZZNS1_27merge_sort_block_merge_implIS3_N6thrust23THRUST_200600_302600_NS6detail15normal_iteratorINS9_10device_ptrIfEEEEPS5_jNS1_19radix_merge_compareILb0ELb0EfNS0_19identity_decomposerEEEEE10hipError_tT0_T1_T2_jT3_P12ihipStream_tbPNSt15iterator_traitsISK_E10value_typeEPNSQ_ISL_E10value_typeEPSM_NS1_7vsmem_tEENKUlT_SK_SL_SM_E_clIPfSE_SF_SF_EESJ_SZ_SK_SL_SM_EUlSZ_E0_NS1_11comp_targetILNS1_3genE2ELNS1_11target_archE906ELNS1_3gpuE6ELNS1_3repE0EEENS1_38merge_mergepath_config_static_selectorELNS0_4arch9wavefront6targetE0EEEvSL_.uses_flat_scratch, 0
	.set _ZN7rocprim17ROCPRIM_400000_NS6detail17trampoline_kernelINS0_14default_configENS1_38merge_sort_block_merge_config_selectorIfNS0_10empty_typeEEEZZNS1_27merge_sort_block_merge_implIS3_N6thrust23THRUST_200600_302600_NS6detail15normal_iteratorINS9_10device_ptrIfEEEEPS5_jNS1_19radix_merge_compareILb0ELb0EfNS0_19identity_decomposerEEEEE10hipError_tT0_T1_T2_jT3_P12ihipStream_tbPNSt15iterator_traitsISK_E10value_typeEPNSQ_ISL_E10value_typeEPSM_NS1_7vsmem_tEENKUlT_SK_SL_SM_E_clIPfSE_SF_SF_EESJ_SZ_SK_SL_SM_EUlSZ_E0_NS1_11comp_targetILNS1_3genE2ELNS1_11target_archE906ELNS1_3gpuE6ELNS1_3repE0EEENS1_38merge_mergepath_config_static_selectorELNS0_4arch9wavefront6targetE0EEEvSL_.has_dyn_sized_stack, 0
	.set _ZN7rocprim17ROCPRIM_400000_NS6detail17trampoline_kernelINS0_14default_configENS1_38merge_sort_block_merge_config_selectorIfNS0_10empty_typeEEEZZNS1_27merge_sort_block_merge_implIS3_N6thrust23THRUST_200600_302600_NS6detail15normal_iteratorINS9_10device_ptrIfEEEEPS5_jNS1_19radix_merge_compareILb0ELb0EfNS0_19identity_decomposerEEEEE10hipError_tT0_T1_T2_jT3_P12ihipStream_tbPNSt15iterator_traitsISK_E10value_typeEPNSQ_ISL_E10value_typeEPSM_NS1_7vsmem_tEENKUlT_SK_SL_SM_E_clIPfSE_SF_SF_EESJ_SZ_SK_SL_SM_EUlSZ_E0_NS1_11comp_targetILNS1_3genE2ELNS1_11target_archE906ELNS1_3gpuE6ELNS1_3repE0EEENS1_38merge_mergepath_config_static_selectorELNS0_4arch9wavefront6targetE0EEEvSL_.has_recursion, 0
	.set _ZN7rocprim17ROCPRIM_400000_NS6detail17trampoline_kernelINS0_14default_configENS1_38merge_sort_block_merge_config_selectorIfNS0_10empty_typeEEEZZNS1_27merge_sort_block_merge_implIS3_N6thrust23THRUST_200600_302600_NS6detail15normal_iteratorINS9_10device_ptrIfEEEEPS5_jNS1_19radix_merge_compareILb0ELb0EfNS0_19identity_decomposerEEEEE10hipError_tT0_T1_T2_jT3_P12ihipStream_tbPNSt15iterator_traitsISK_E10value_typeEPNSQ_ISL_E10value_typeEPSM_NS1_7vsmem_tEENKUlT_SK_SL_SM_E_clIPfSE_SF_SF_EESJ_SZ_SK_SL_SM_EUlSZ_E0_NS1_11comp_targetILNS1_3genE2ELNS1_11target_archE906ELNS1_3gpuE6ELNS1_3repE0EEENS1_38merge_mergepath_config_static_selectorELNS0_4arch9wavefront6targetE0EEEvSL_.has_indirect_call, 0
	.section	.AMDGPU.csdata,"",@progbits
; Kernel info:
; codeLenInByte = 0
; TotalNumSgprs: 0
; NumVgprs: 0
; ScratchSize: 0
; MemoryBound: 0
; FloatMode: 240
; IeeeMode: 1
; LDSByteSize: 0 bytes/workgroup (compile time only)
; SGPRBlocks: 0
; VGPRBlocks: 0
; NumSGPRsForWavesPerEU: 1
; NumVGPRsForWavesPerEU: 1
; Occupancy: 16
; WaveLimiterHint : 0
; COMPUTE_PGM_RSRC2:SCRATCH_EN: 0
; COMPUTE_PGM_RSRC2:USER_SGPR: 6
; COMPUTE_PGM_RSRC2:TRAP_HANDLER: 0
; COMPUTE_PGM_RSRC2:TGID_X_EN: 1
; COMPUTE_PGM_RSRC2:TGID_Y_EN: 0
; COMPUTE_PGM_RSRC2:TGID_Z_EN: 0
; COMPUTE_PGM_RSRC2:TIDIG_COMP_CNT: 0
	.section	.text._ZN7rocprim17ROCPRIM_400000_NS6detail17trampoline_kernelINS0_14default_configENS1_38merge_sort_block_merge_config_selectorIfNS0_10empty_typeEEEZZNS1_27merge_sort_block_merge_implIS3_N6thrust23THRUST_200600_302600_NS6detail15normal_iteratorINS9_10device_ptrIfEEEEPS5_jNS1_19radix_merge_compareILb0ELb0EfNS0_19identity_decomposerEEEEE10hipError_tT0_T1_T2_jT3_P12ihipStream_tbPNSt15iterator_traitsISK_E10value_typeEPNSQ_ISL_E10value_typeEPSM_NS1_7vsmem_tEENKUlT_SK_SL_SM_E_clIPfSE_SF_SF_EESJ_SZ_SK_SL_SM_EUlSZ_E0_NS1_11comp_targetILNS1_3genE9ELNS1_11target_archE1100ELNS1_3gpuE3ELNS1_3repE0EEENS1_38merge_mergepath_config_static_selectorELNS0_4arch9wavefront6targetE0EEEvSL_,"axG",@progbits,_ZN7rocprim17ROCPRIM_400000_NS6detail17trampoline_kernelINS0_14default_configENS1_38merge_sort_block_merge_config_selectorIfNS0_10empty_typeEEEZZNS1_27merge_sort_block_merge_implIS3_N6thrust23THRUST_200600_302600_NS6detail15normal_iteratorINS9_10device_ptrIfEEEEPS5_jNS1_19radix_merge_compareILb0ELb0EfNS0_19identity_decomposerEEEEE10hipError_tT0_T1_T2_jT3_P12ihipStream_tbPNSt15iterator_traitsISK_E10value_typeEPNSQ_ISL_E10value_typeEPSM_NS1_7vsmem_tEENKUlT_SK_SL_SM_E_clIPfSE_SF_SF_EESJ_SZ_SK_SL_SM_EUlSZ_E0_NS1_11comp_targetILNS1_3genE9ELNS1_11target_archE1100ELNS1_3gpuE3ELNS1_3repE0EEENS1_38merge_mergepath_config_static_selectorELNS0_4arch9wavefront6targetE0EEEvSL_,comdat
	.protected	_ZN7rocprim17ROCPRIM_400000_NS6detail17trampoline_kernelINS0_14default_configENS1_38merge_sort_block_merge_config_selectorIfNS0_10empty_typeEEEZZNS1_27merge_sort_block_merge_implIS3_N6thrust23THRUST_200600_302600_NS6detail15normal_iteratorINS9_10device_ptrIfEEEEPS5_jNS1_19radix_merge_compareILb0ELb0EfNS0_19identity_decomposerEEEEE10hipError_tT0_T1_T2_jT3_P12ihipStream_tbPNSt15iterator_traitsISK_E10value_typeEPNSQ_ISL_E10value_typeEPSM_NS1_7vsmem_tEENKUlT_SK_SL_SM_E_clIPfSE_SF_SF_EESJ_SZ_SK_SL_SM_EUlSZ_E0_NS1_11comp_targetILNS1_3genE9ELNS1_11target_archE1100ELNS1_3gpuE3ELNS1_3repE0EEENS1_38merge_mergepath_config_static_selectorELNS0_4arch9wavefront6targetE0EEEvSL_ ; -- Begin function _ZN7rocprim17ROCPRIM_400000_NS6detail17trampoline_kernelINS0_14default_configENS1_38merge_sort_block_merge_config_selectorIfNS0_10empty_typeEEEZZNS1_27merge_sort_block_merge_implIS3_N6thrust23THRUST_200600_302600_NS6detail15normal_iteratorINS9_10device_ptrIfEEEEPS5_jNS1_19radix_merge_compareILb0ELb0EfNS0_19identity_decomposerEEEEE10hipError_tT0_T1_T2_jT3_P12ihipStream_tbPNSt15iterator_traitsISK_E10value_typeEPNSQ_ISL_E10value_typeEPSM_NS1_7vsmem_tEENKUlT_SK_SL_SM_E_clIPfSE_SF_SF_EESJ_SZ_SK_SL_SM_EUlSZ_E0_NS1_11comp_targetILNS1_3genE9ELNS1_11target_archE1100ELNS1_3gpuE3ELNS1_3repE0EEENS1_38merge_mergepath_config_static_selectorELNS0_4arch9wavefront6targetE0EEEvSL_
	.globl	_ZN7rocprim17ROCPRIM_400000_NS6detail17trampoline_kernelINS0_14default_configENS1_38merge_sort_block_merge_config_selectorIfNS0_10empty_typeEEEZZNS1_27merge_sort_block_merge_implIS3_N6thrust23THRUST_200600_302600_NS6detail15normal_iteratorINS9_10device_ptrIfEEEEPS5_jNS1_19radix_merge_compareILb0ELb0EfNS0_19identity_decomposerEEEEE10hipError_tT0_T1_T2_jT3_P12ihipStream_tbPNSt15iterator_traitsISK_E10value_typeEPNSQ_ISL_E10value_typeEPSM_NS1_7vsmem_tEENKUlT_SK_SL_SM_E_clIPfSE_SF_SF_EESJ_SZ_SK_SL_SM_EUlSZ_E0_NS1_11comp_targetILNS1_3genE9ELNS1_11target_archE1100ELNS1_3gpuE3ELNS1_3repE0EEENS1_38merge_mergepath_config_static_selectorELNS0_4arch9wavefront6targetE0EEEvSL_
	.p2align	8
	.type	_ZN7rocprim17ROCPRIM_400000_NS6detail17trampoline_kernelINS0_14default_configENS1_38merge_sort_block_merge_config_selectorIfNS0_10empty_typeEEEZZNS1_27merge_sort_block_merge_implIS3_N6thrust23THRUST_200600_302600_NS6detail15normal_iteratorINS9_10device_ptrIfEEEEPS5_jNS1_19radix_merge_compareILb0ELb0EfNS0_19identity_decomposerEEEEE10hipError_tT0_T1_T2_jT3_P12ihipStream_tbPNSt15iterator_traitsISK_E10value_typeEPNSQ_ISL_E10value_typeEPSM_NS1_7vsmem_tEENKUlT_SK_SL_SM_E_clIPfSE_SF_SF_EESJ_SZ_SK_SL_SM_EUlSZ_E0_NS1_11comp_targetILNS1_3genE9ELNS1_11target_archE1100ELNS1_3gpuE3ELNS1_3repE0EEENS1_38merge_mergepath_config_static_selectorELNS0_4arch9wavefront6targetE0EEEvSL_,@function
_ZN7rocprim17ROCPRIM_400000_NS6detail17trampoline_kernelINS0_14default_configENS1_38merge_sort_block_merge_config_selectorIfNS0_10empty_typeEEEZZNS1_27merge_sort_block_merge_implIS3_N6thrust23THRUST_200600_302600_NS6detail15normal_iteratorINS9_10device_ptrIfEEEEPS5_jNS1_19radix_merge_compareILb0ELb0EfNS0_19identity_decomposerEEEEE10hipError_tT0_T1_T2_jT3_P12ihipStream_tbPNSt15iterator_traitsISK_E10value_typeEPNSQ_ISL_E10value_typeEPSM_NS1_7vsmem_tEENKUlT_SK_SL_SM_E_clIPfSE_SF_SF_EESJ_SZ_SK_SL_SM_EUlSZ_E0_NS1_11comp_targetILNS1_3genE9ELNS1_11target_archE1100ELNS1_3gpuE3ELNS1_3repE0EEENS1_38merge_mergepath_config_static_selectorELNS0_4arch9wavefront6targetE0EEEvSL_: ; @_ZN7rocprim17ROCPRIM_400000_NS6detail17trampoline_kernelINS0_14default_configENS1_38merge_sort_block_merge_config_selectorIfNS0_10empty_typeEEEZZNS1_27merge_sort_block_merge_implIS3_N6thrust23THRUST_200600_302600_NS6detail15normal_iteratorINS9_10device_ptrIfEEEEPS5_jNS1_19radix_merge_compareILb0ELb0EfNS0_19identity_decomposerEEEEE10hipError_tT0_T1_T2_jT3_P12ihipStream_tbPNSt15iterator_traitsISK_E10value_typeEPNSQ_ISL_E10value_typeEPSM_NS1_7vsmem_tEENKUlT_SK_SL_SM_E_clIPfSE_SF_SF_EESJ_SZ_SK_SL_SM_EUlSZ_E0_NS1_11comp_targetILNS1_3genE9ELNS1_11target_archE1100ELNS1_3gpuE3ELNS1_3repE0EEENS1_38merge_mergepath_config_static_selectorELNS0_4arch9wavefront6targetE0EEEvSL_
; %bb.0:
	.section	.rodata,"a",@progbits
	.p2align	6, 0x0
	.amdhsa_kernel _ZN7rocprim17ROCPRIM_400000_NS6detail17trampoline_kernelINS0_14default_configENS1_38merge_sort_block_merge_config_selectorIfNS0_10empty_typeEEEZZNS1_27merge_sort_block_merge_implIS3_N6thrust23THRUST_200600_302600_NS6detail15normal_iteratorINS9_10device_ptrIfEEEEPS5_jNS1_19radix_merge_compareILb0ELb0EfNS0_19identity_decomposerEEEEE10hipError_tT0_T1_T2_jT3_P12ihipStream_tbPNSt15iterator_traitsISK_E10value_typeEPNSQ_ISL_E10value_typeEPSM_NS1_7vsmem_tEENKUlT_SK_SL_SM_E_clIPfSE_SF_SF_EESJ_SZ_SK_SL_SM_EUlSZ_E0_NS1_11comp_targetILNS1_3genE9ELNS1_11target_archE1100ELNS1_3gpuE3ELNS1_3repE0EEENS1_38merge_mergepath_config_static_selectorELNS0_4arch9wavefront6targetE0EEEvSL_
		.amdhsa_group_segment_fixed_size 0
		.amdhsa_private_segment_fixed_size 0
		.amdhsa_kernarg_size 64
		.amdhsa_user_sgpr_count 6
		.amdhsa_user_sgpr_private_segment_buffer 1
		.amdhsa_user_sgpr_dispatch_ptr 0
		.amdhsa_user_sgpr_queue_ptr 0
		.amdhsa_user_sgpr_kernarg_segment_ptr 1
		.amdhsa_user_sgpr_dispatch_id 0
		.amdhsa_user_sgpr_flat_scratch_init 0
		.amdhsa_user_sgpr_private_segment_size 0
		.amdhsa_wavefront_size32 1
		.amdhsa_uses_dynamic_stack 0
		.amdhsa_system_sgpr_private_segment_wavefront_offset 0
		.amdhsa_system_sgpr_workgroup_id_x 1
		.amdhsa_system_sgpr_workgroup_id_y 0
		.amdhsa_system_sgpr_workgroup_id_z 0
		.amdhsa_system_sgpr_workgroup_info 0
		.amdhsa_system_vgpr_workitem_id 0
		.amdhsa_next_free_vgpr 1
		.amdhsa_next_free_sgpr 1
		.amdhsa_reserve_vcc 0
		.amdhsa_reserve_flat_scratch 0
		.amdhsa_float_round_mode_32 0
		.amdhsa_float_round_mode_16_64 0
		.amdhsa_float_denorm_mode_32 3
		.amdhsa_float_denorm_mode_16_64 3
		.amdhsa_dx10_clamp 1
		.amdhsa_ieee_mode 1
		.amdhsa_fp16_overflow 0
		.amdhsa_workgroup_processor_mode 1
		.amdhsa_memory_ordered 1
		.amdhsa_forward_progress 1
		.amdhsa_shared_vgpr_count 0
		.amdhsa_exception_fp_ieee_invalid_op 0
		.amdhsa_exception_fp_denorm_src 0
		.amdhsa_exception_fp_ieee_div_zero 0
		.amdhsa_exception_fp_ieee_overflow 0
		.amdhsa_exception_fp_ieee_underflow 0
		.amdhsa_exception_fp_ieee_inexact 0
		.amdhsa_exception_int_div_zero 0
	.end_amdhsa_kernel
	.section	.text._ZN7rocprim17ROCPRIM_400000_NS6detail17trampoline_kernelINS0_14default_configENS1_38merge_sort_block_merge_config_selectorIfNS0_10empty_typeEEEZZNS1_27merge_sort_block_merge_implIS3_N6thrust23THRUST_200600_302600_NS6detail15normal_iteratorINS9_10device_ptrIfEEEEPS5_jNS1_19radix_merge_compareILb0ELb0EfNS0_19identity_decomposerEEEEE10hipError_tT0_T1_T2_jT3_P12ihipStream_tbPNSt15iterator_traitsISK_E10value_typeEPNSQ_ISL_E10value_typeEPSM_NS1_7vsmem_tEENKUlT_SK_SL_SM_E_clIPfSE_SF_SF_EESJ_SZ_SK_SL_SM_EUlSZ_E0_NS1_11comp_targetILNS1_3genE9ELNS1_11target_archE1100ELNS1_3gpuE3ELNS1_3repE0EEENS1_38merge_mergepath_config_static_selectorELNS0_4arch9wavefront6targetE0EEEvSL_,"axG",@progbits,_ZN7rocprim17ROCPRIM_400000_NS6detail17trampoline_kernelINS0_14default_configENS1_38merge_sort_block_merge_config_selectorIfNS0_10empty_typeEEEZZNS1_27merge_sort_block_merge_implIS3_N6thrust23THRUST_200600_302600_NS6detail15normal_iteratorINS9_10device_ptrIfEEEEPS5_jNS1_19radix_merge_compareILb0ELb0EfNS0_19identity_decomposerEEEEE10hipError_tT0_T1_T2_jT3_P12ihipStream_tbPNSt15iterator_traitsISK_E10value_typeEPNSQ_ISL_E10value_typeEPSM_NS1_7vsmem_tEENKUlT_SK_SL_SM_E_clIPfSE_SF_SF_EESJ_SZ_SK_SL_SM_EUlSZ_E0_NS1_11comp_targetILNS1_3genE9ELNS1_11target_archE1100ELNS1_3gpuE3ELNS1_3repE0EEENS1_38merge_mergepath_config_static_selectorELNS0_4arch9wavefront6targetE0EEEvSL_,comdat
.Lfunc_end489:
	.size	_ZN7rocprim17ROCPRIM_400000_NS6detail17trampoline_kernelINS0_14default_configENS1_38merge_sort_block_merge_config_selectorIfNS0_10empty_typeEEEZZNS1_27merge_sort_block_merge_implIS3_N6thrust23THRUST_200600_302600_NS6detail15normal_iteratorINS9_10device_ptrIfEEEEPS5_jNS1_19radix_merge_compareILb0ELb0EfNS0_19identity_decomposerEEEEE10hipError_tT0_T1_T2_jT3_P12ihipStream_tbPNSt15iterator_traitsISK_E10value_typeEPNSQ_ISL_E10value_typeEPSM_NS1_7vsmem_tEENKUlT_SK_SL_SM_E_clIPfSE_SF_SF_EESJ_SZ_SK_SL_SM_EUlSZ_E0_NS1_11comp_targetILNS1_3genE9ELNS1_11target_archE1100ELNS1_3gpuE3ELNS1_3repE0EEENS1_38merge_mergepath_config_static_selectorELNS0_4arch9wavefront6targetE0EEEvSL_, .Lfunc_end489-_ZN7rocprim17ROCPRIM_400000_NS6detail17trampoline_kernelINS0_14default_configENS1_38merge_sort_block_merge_config_selectorIfNS0_10empty_typeEEEZZNS1_27merge_sort_block_merge_implIS3_N6thrust23THRUST_200600_302600_NS6detail15normal_iteratorINS9_10device_ptrIfEEEEPS5_jNS1_19radix_merge_compareILb0ELb0EfNS0_19identity_decomposerEEEEE10hipError_tT0_T1_T2_jT3_P12ihipStream_tbPNSt15iterator_traitsISK_E10value_typeEPNSQ_ISL_E10value_typeEPSM_NS1_7vsmem_tEENKUlT_SK_SL_SM_E_clIPfSE_SF_SF_EESJ_SZ_SK_SL_SM_EUlSZ_E0_NS1_11comp_targetILNS1_3genE9ELNS1_11target_archE1100ELNS1_3gpuE3ELNS1_3repE0EEENS1_38merge_mergepath_config_static_selectorELNS0_4arch9wavefront6targetE0EEEvSL_
                                        ; -- End function
	.set _ZN7rocprim17ROCPRIM_400000_NS6detail17trampoline_kernelINS0_14default_configENS1_38merge_sort_block_merge_config_selectorIfNS0_10empty_typeEEEZZNS1_27merge_sort_block_merge_implIS3_N6thrust23THRUST_200600_302600_NS6detail15normal_iteratorINS9_10device_ptrIfEEEEPS5_jNS1_19radix_merge_compareILb0ELb0EfNS0_19identity_decomposerEEEEE10hipError_tT0_T1_T2_jT3_P12ihipStream_tbPNSt15iterator_traitsISK_E10value_typeEPNSQ_ISL_E10value_typeEPSM_NS1_7vsmem_tEENKUlT_SK_SL_SM_E_clIPfSE_SF_SF_EESJ_SZ_SK_SL_SM_EUlSZ_E0_NS1_11comp_targetILNS1_3genE9ELNS1_11target_archE1100ELNS1_3gpuE3ELNS1_3repE0EEENS1_38merge_mergepath_config_static_selectorELNS0_4arch9wavefront6targetE0EEEvSL_.num_vgpr, 0
	.set _ZN7rocprim17ROCPRIM_400000_NS6detail17trampoline_kernelINS0_14default_configENS1_38merge_sort_block_merge_config_selectorIfNS0_10empty_typeEEEZZNS1_27merge_sort_block_merge_implIS3_N6thrust23THRUST_200600_302600_NS6detail15normal_iteratorINS9_10device_ptrIfEEEEPS5_jNS1_19radix_merge_compareILb0ELb0EfNS0_19identity_decomposerEEEEE10hipError_tT0_T1_T2_jT3_P12ihipStream_tbPNSt15iterator_traitsISK_E10value_typeEPNSQ_ISL_E10value_typeEPSM_NS1_7vsmem_tEENKUlT_SK_SL_SM_E_clIPfSE_SF_SF_EESJ_SZ_SK_SL_SM_EUlSZ_E0_NS1_11comp_targetILNS1_3genE9ELNS1_11target_archE1100ELNS1_3gpuE3ELNS1_3repE0EEENS1_38merge_mergepath_config_static_selectorELNS0_4arch9wavefront6targetE0EEEvSL_.num_agpr, 0
	.set _ZN7rocprim17ROCPRIM_400000_NS6detail17trampoline_kernelINS0_14default_configENS1_38merge_sort_block_merge_config_selectorIfNS0_10empty_typeEEEZZNS1_27merge_sort_block_merge_implIS3_N6thrust23THRUST_200600_302600_NS6detail15normal_iteratorINS9_10device_ptrIfEEEEPS5_jNS1_19radix_merge_compareILb0ELb0EfNS0_19identity_decomposerEEEEE10hipError_tT0_T1_T2_jT3_P12ihipStream_tbPNSt15iterator_traitsISK_E10value_typeEPNSQ_ISL_E10value_typeEPSM_NS1_7vsmem_tEENKUlT_SK_SL_SM_E_clIPfSE_SF_SF_EESJ_SZ_SK_SL_SM_EUlSZ_E0_NS1_11comp_targetILNS1_3genE9ELNS1_11target_archE1100ELNS1_3gpuE3ELNS1_3repE0EEENS1_38merge_mergepath_config_static_selectorELNS0_4arch9wavefront6targetE0EEEvSL_.numbered_sgpr, 0
	.set _ZN7rocprim17ROCPRIM_400000_NS6detail17trampoline_kernelINS0_14default_configENS1_38merge_sort_block_merge_config_selectorIfNS0_10empty_typeEEEZZNS1_27merge_sort_block_merge_implIS3_N6thrust23THRUST_200600_302600_NS6detail15normal_iteratorINS9_10device_ptrIfEEEEPS5_jNS1_19radix_merge_compareILb0ELb0EfNS0_19identity_decomposerEEEEE10hipError_tT0_T1_T2_jT3_P12ihipStream_tbPNSt15iterator_traitsISK_E10value_typeEPNSQ_ISL_E10value_typeEPSM_NS1_7vsmem_tEENKUlT_SK_SL_SM_E_clIPfSE_SF_SF_EESJ_SZ_SK_SL_SM_EUlSZ_E0_NS1_11comp_targetILNS1_3genE9ELNS1_11target_archE1100ELNS1_3gpuE3ELNS1_3repE0EEENS1_38merge_mergepath_config_static_selectorELNS0_4arch9wavefront6targetE0EEEvSL_.num_named_barrier, 0
	.set _ZN7rocprim17ROCPRIM_400000_NS6detail17trampoline_kernelINS0_14default_configENS1_38merge_sort_block_merge_config_selectorIfNS0_10empty_typeEEEZZNS1_27merge_sort_block_merge_implIS3_N6thrust23THRUST_200600_302600_NS6detail15normal_iteratorINS9_10device_ptrIfEEEEPS5_jNS1_19radix_merge_compareILb0ELb0EfNS0_19identity_decomposerEEEEE10hipError_tT0_T1_T2_jT3_P12ihipStream_tbPNSt15iterator_traitsISK_E10value_typeEPNSQ_ISL_E10value_typeEPSM_NS1_7vsmem_tEENKUlT_SK_SL_SM_E_clIPfSE_SF_SF_EESJ_SZ_SK_SL_SM_EUlSZ_E0_NS1_11comp_targetILNS1_3genE9ELNS1_11target_archE1100ELNS1_3gpuE3ELNS1_3repE0EEENS1_38merge_mergepath_config_static_selectorELNS0_4arch9wavefront6targetE0EEEvSL_.private_seg_size, 0
	.set _ZN7rocprim17ROCPRIM_400000_NS6detail17trampoline_kernelINS0_14default_configENS1_38merge_sort_block_merge_config_selectorIfNS0_10empty_typeEEEZZNS1_27merge_sort_block_merge_implIS3_N6thrust23THRUST_200600_302600_NS6detail15normal_iteratorINS9_10device_ptrIfEEEEPS5_jNS1_19radix_merge_compareILb0ELb0EfNS0_19identity_decomposerEEEEE10hipError_tT0_T1_T2_jT3_P12ihipStream_tbPNSt15iterator_traitsISK_E10value_typeEPNSQ_ISL_E10value_typeEPSM_NS1_7vsmem_tEENKUlT_SK_SL_SM_E_clIPfSE_SF_SF_EESJ_SZ_SK_SL_SM_EUlSZ_E0_NS1_11comp_targetILNS1_3genE9ELNS1_11target_archE1100ELNS1_3gpuE3ELNS1_3repE0EEENS1_38merge_mergepath_config_static_selectorELNS0_4arch9wavefront6targetE0EEEvSL_.uses_vcc, 0
	.set _ZN7rocprim17ROCPRIM_400000_NS6detail17trampoline_kernelINS0_14default_configENS1_38merge_sort_block_merge_config_selectorIfNS0_10empty_typeEEEZZNS1_27merge_sort_block_merge_implIS3_N6thrust23THRUST_200600_302600_NS6detail15normal_iteratorINS9_10device_ptrIfEEEEPS5_jNS1_19radix_merge_compareILb0ELb0EfNS0_19identity_decomposerEEEEE10hipError_tT0_T1_T2_jT3_P12ihipStream_tbPNSt15iterator_traitsISK_E10value_typeEPNSQ_ISL_E10value_typeEPSM_NS1_7vsmem_tEENKUlT_SK_SL_SM_E_clIPfSE_SF_SF_EESJ_SZ_SK_SL_SM_EUlSZ_E0_NS1_11comp_targetILNS1_3genE9ELNS1_11target_archE1100ELNS1_3gpuE3ELNS1_3repE0EEENS1_38merge_mergepath_config_static_selectorELNS0_4arch9wavefront6targetE0EEEvSL_.uses_flat_scratch, 0
	.set _ZN7rocprim17ROCPRIM_400000_NS6detail17trampoline_kernelINS0_14default_configENS1_38merge_sort_block_merge_config_selectorIfNS0_10empty_typeEEEZZNS1_27merge_sort_block_merge_implIS3_N6thrust23THRUST_200600_302600_NS6detail15normal_iteratorINS9_10device_ptrIfEEEEPS5_jNS1_19radix_merge_compareILb0ELb0EfNS0_19identity_decomposerEEEEE10hipError_tT0_T1_T2_jT3_P12ihipStream_tbPNSt15iterator_traitsISK_E10value_typeEPNSQ_ISL_E10value_typeEPSM_NS1_7vsmem_tEENKUlT_SK_SL_SM_E_clIPfSE_SF_SF_EESJ_SZ_SK_SL_SM_EUlSZ_E0_NS1_11comp_targetILNS1_3genE9ELNS1_11target_archE1100ELNS1_3gpuE3ELNS1_3repE0EEENS1_38merge_mergepath_config_static_selectorELNS0_4arch9wavefront6targetE0EEEvSL_.has_dyn_sized_stack, 0
	.set _ZN7rocprim17ROCPRIM_400000_NS6detail17trampoline_kernelINS0_14default_configENS1_38merge_sort_block_merge_config_selectorIfNS0_10empty_typeEEEZZNS1_27merge_sort_block_merge_implIS3_N6thrust23THRUST_200600_302600_NS6detail15normal_iteratorINS9_10device_ptrIfEEEEPS5_jNS1_19radix_merge_compareILb0ELb0EfNS0_19identity_decomposerEEEEE10hipError_tT0_T1_T2_jT3_P12ihipStream_tbPNSt15iterator_traitsISK_E10value_typeEPNSQ_ISL_E10value_typeEPSM_NS1_7vsmem_tEENKUlT_SK_SL_SM_E_clIPfSE_SF_SF_EESJ_SZ_SK_SL_SM_EUlSZ_E0_NS1_11comp_targetILNS1_3genE9ELNS1_11target_archE1100ELNS1_3gpuE3ELNS1_3repE0EEENS1_38merge_mergepath_config_static_selectorELNS0_4arch9wavefront6targetE0EEEvSL_.has_recursion, 0
	.set _ZN7rocprim17ROCPRIM_400000_NS6detail17trampoline_kernelINS0_14default_configENS1_38merge_sort_block_merge_config_selectorIfNS0_10empty_typeEEEZZNS1_27merge_sort_block_merge_implIS3_N6thrust23THRUST_200600_302600_NS6detail15normal_iteratorINS9_10device_ptrIfEEEEPS5_jNS1_19radix_merge_compareILb0ELb0EfNS0_19identity_decomposerEEEEE10hipError_tT0_T1_T2_jT3_P12ihipStream_tbPNSt15iterator_traitsISK_E10value_typeEPNSQ_ISL_E10value_typeEPSM_NS1_7vsmem_tEENKUlT_SK_SL_SM_E_clIPfSE_SF_SF_EESJ_SZ_SK_SL_SM_EUlSZ_E0_NS1_11comp_targetILNS1_3genE9ELNS1_11target_archE1100ELNS1_3gpuE3ELNS1_3repE0EEENS1_38merge_mergepath_config_static_selectorELNS0_4arch9wavefront6targetE0EEEvSL_.has_indirect_call, 0
	.section	.AMDGPU.csdata,"",@progbits
; Kernel info:
; codeLenInByte = 0
; TotalNumSgprs: 0
; NumVgprs: 0
; ScratchSize: 0
; MemoryBound: 0
; FloatMode: 240
; IeeeMode: 1
; LDSByteSize: 0 bytes/workgroup (compile time only)
; SGPRBlocks: 0
; VGPRBlocks: 0
; NumSGPRsForWavesPerEU: 1
; NumVGPRsForWavesPerEU: 1
; Occupancy: 16
; WaveLimiterHint : 0
; COMPUTE_PGM_RSRC2:SCRATCH_EN: 0
; COMPUTE_PGM_RSRC2:USER_SGPR: 6
; COMPUTE_PGM_RSRC2:TRAP_HANDLER: 0
; COMPUTE_PGM_RSRC2:TGID_X_EN: 1
; COMPUTE_PGM_RSRC2:TGID_Y_EN: 0
; COMPUTE_PGM_RSRC2:TGID_Z_EN: 0
; COMPUTE_PGM_RSRC2:TIDIG_COMP_CNT: 0
	.section	.text._ZN7rocprim17ROCPRIM_400000_NS6detail17trampoline_kernelINS0_14default_configENS1_38merge_sort_block_merge_config_selectorIfNS0_10empty_typeEEEZZNS1_27merge_sort_block_merge_implIS3_N6thrust23THRUST_200600_302600_NS6detail15normal_iteratorINS9_10device_ptrIfEEEEPS5_jNS1_19radix_merge_compareILb0ELb0EfNS0_19identity_decomposerEEEEE10hipError_tT0_T1_T2_jT3_P12ihipStream_tbPNSt15iterator_traitsISK_E10value_typeEPNSQ_ISL_E10value_typeEPSM_NS1_7vsmem_tEENKUlT_SK_SL_SM_E_clIPfSE_SF_SF_EESJ_SZ_SK_SL_SM_EUlSZ_E0_NS1_11comp_targetILNS1_3genE8ELNS1_11target_archE1030ELNS1_3gpuE2ELNS1_3repE0EEENS1_38merge_mergepath_config_static_selectorELNS0_4arch9wavefront6targetE0EEEvSL_,"axG",@progbits,_ZN7rocprim17ROCPRIM_400000_NS6detail17trampoline_kernelINS0_14default_configENS1_38merge_sort_block_merge_config_selectorIfNS0_10empty_typeEEEZZNS1_27merge_sort_block_merge_implIS3_N6thrust23THRUST_200600_302600_NS6detail15normal_iteratorINS9_10device_ptrIfEEEEPS5_jNS1_19radix_merge_compareILb0ELb0EfNS0_19identity_decomposerEEEEE10hipError_tT0_T1_T2_jT3_P12ihipStream_tbPNSt15iterator_traitsISK_E10value_typeEPNSQ_ISL_E10value_typeEPSM_NS1_7vsmem_tEENKUlT_SK_SL_SM_E_clIPfSE_SF_SF_EESJ_SZ_SK_SL_SM_EUlSZ_E0_NS1_11comp_targetILNS1_3genE8ELNS1_11target_archE1030ELNS1_3gpuE2ELNS1_3repE0EEENS1_38merge_mergepath_config_static_selectorELNS0_4arch9wavefront6targetE0EEEvSL_,comdat
	.protected	_ZN7rocprim17ROCPRIM_400000_NS6detail17trampoline_kernelINS0_14default_configENS1_38merge_sort_block_merge_config_selectorIfNS0_10empty_typeEEEZZNS1_27merge_sort_block_merge_implIS3_N6thrust23THRUST_200600_302600_NS6detail15normal_iteratorINS9_10device_ptrIfEEEEPS5_jNS1_19radix_merge_compareILb0ELb0EfNS0_19identity_decomposerEEEEE10hipError_tT0_T1_T2_jT3_P12ihipStream_tbPNSt15iterator_traitsISK_E10value_typeEPNSQ_ISL_E10value_typeEPSM_NS1_7vsmem_tEENKUlT_SK_SL_SM_E_clIPfSE_SF_SF_EESJ_SZ_SK_SL_SM_EUlSZ_E0_NS1_11comp_targetILNS1_3genE8ELNS1_11target_archE1030ELNS1_3gpuE2ELNS1_3repE0EEENS1_38merge_mergepath_config_static_selectorELNS0_4arch9wavefront6targetE0EEEvSL_ ; -- Begin function _ZN7rocprim17ROCPRIM_400000_NS6detail17trampoline_kernelINS0_14default_configENS1_38merge_sort_block_merge_config_selectorIfNS0_10empty_typeEEEZZNS1_27merge_sort_block_merge_implIS3_N6thrust23THRUST_200600_302600_NS6detail15normal_iteratorINS9_10device_ptrIfEEEEPS5_jNS1_19radix_merge_compareILb0ELb0EfNS0_19identity_decomposerEEEEE10hipError_tT0_T1_T2_jT3_P12ihipStream_tbPNSt15iterator_traitsISK_E10value_typeEPNSQ_ISL_E10value_typeEPSM_NS1_7vsmem_tEENKUlT_SK_SL_SM_E_clIPfSE_SF_SF_EESJ_SZ_SK_SL_SM_EUlSZ_E0_NS1_11comp_targetILNS1_3genE8ELNS1_11target_archE1030ELNS1_3gpuE2ELNS1_3repE0EEENS1_38merge_mergepath_config_static_selectorELNS0_4arch9wavefront6targetE0EEEvSL_
	.globl	_ZN7rocprim17ROCPRIM_400000_NS6detail17trampoline_kernelINS0_14default_configENS1_38merge_sort_block_merge_config_selectorIfNS0_10empty_typeEEEZZNS1_27merge_sort_block_merge_implIS3_N6thrust23THRUST_200600_302600_NS6detail15normal_iteratorINS9_10device_ptrIfEEEEPS5_jNS1_19radix_merge_compareILb0ELb0EfNS0_19identity_decomposerEEEEE10hipError_tT0_T1_T2_jT3_P12ihipStream_tbPNSt15iterator_traitsISK_E10value_typeEPNSQ_ISL_E10value_typeEPSM_NS1_7vsmem_tEENKUlT_SK_SL_SM_E_clIPfSE_SF_SF_EESJ_SZ_SK_SL_SM_EUlSZ_E0_NS1_11comp_targetILNS1_3genE8ELNS1_11target_archE1030ELNS1_3gpuE2ELNS1_3repE0EEENS1_38merge_mergepath_config_static_selectorELNS0_4arch9wavefront6targetE0EEEvSL_
	.p2align	8
	.type	_ZN7rocprim17ROCPRIM_400000_NS6detail17trampoline_kernelINS0_14default_configENS1_38merge_sort_block_merge_config_selectorIfNS0_10empty_typeEEEZZNS1_27merge_sort_block_merge_implIS3_N6thrust23THRUST_200600_302600_NS6detail15normal_iteratorINS9_10device_ptrIfEEEEPS5_jNS1_19radix_merge_compareILb0ELb0EfNS0_19identity_decomposerEEEEE10hipError_tT0_T1_T2_jT3_P12ihipStream_tbPNSt15iterator_traitsISK_E10value_typeEPNSQ_ISL_E10value_typeEPSM_NS1_7vsmem_tEENKUlT_SK_SL_SM_E_clIPfSE_SF_SF_EESJ_SZ_SK_SL_SM_EUlSZ_E0_NS1_11comp_targetILNS1_3genE8ELNS1_11target_archE1030ELNS1_3gpuE2ELNS1_3repE0EEENS1_38merge_mergepath_config_static_selectorELNS0_4arch9wavefront6targetE0EEEvSL_,@function
_ZN7rocprim17ROCPRIM_400000_NS6detail17trampoline_kernelINS0_14default_configENS1_38merge_sort_block_merge_config_selectorIfNS0_10empty_typeEEEZZNS1_27merge_sort_block_merge_implIS3_N6thrust23THRUST_200600_302600_NS6detail15normal_iteratorINS9_10device_ptrIfEEEEPS5_jNS1_19radix_merge_compareILb0ELb0EfNS0_19identity_decomposerEEEEE10hipError_tT0_T1_T2_jT3_P12ihipStream_tbPNSt15iterator_traitsISK_E10value_typeEPNSQ_ISL_E10value_typeEPSM_NS1_7vsmem_tEENKUlT_SK_SL_SM_E_clIPfSE_SF_SF_EESJ_SZ_SK_SL_SM_EUlSZ_E0_NS1_11comp_targetILNS1_3genE8ELNS1_11target_archE1030ELNS1_3gpuE2ELNS1_3repE0EEENS1_38merge_mergepath_config_static_selectorELNS0_4arch9wavefront6targetE0EEEvSL_: ; @_ZN7rocprim17ROCPRIM_400000_NS6detail17trampoline_kernelINS0_14default_configENS1_38merge_sort_block_merge_config_selectorIfNS0_10empty_typeEEEZZNS1_27merge_sort_block_merge_implIS3_N6thrust23THRUST_200600_302600_NS6detail15normal_iteratorINS9_10device_ptrIfEEEEPS5_jNS1_19radix_merge_compareILb0ELb0EfNS0_19identity_decomposerEEEEE10hipError_tT0_T1_T2_jT3_P12ihipStream_tbPNSt15iterator_traitsISK_E10value_typeEPNSQ_ISL_E10value_typeEPSM_NS1_7vsmem_tEENKUlT_SK_SL_SM_E_clIPfSE_SF_SF_EESJ_SZ_SK_SL_SM_EUlSZ_E0_NS1_11comp_targetILNS1_3genE8ELNS1_11target_archE1030ELNS1_3gpuE2ELNS1_3repE0EEENS1_38merge_mergepath_config_static_selectorELNS0_4arch9wavefront6targetE0EEEvSL_
; %bb.0:
	s_clause 0x1
	s_load_dwordx2 s[12:13], s[4:5], 0x40
	s_load_dword s1, s[4:5], 0x30
	s_add_u32 s10, s4, 64
	s_addc_u32 s11, s5, 0
	s_waitcnt lgkmcnt(0)
	s_mul_i32 s0, s13, s8
	s_add_i32 s0, s0, s7
	s_mul_i32 s0, s0, s12
	s_add_i32 s0, s0, s6
	s_cmp_ge_u32 s0, s1
	s_cbranch_scc1 .LBB490_33
; %bb.1:
	s_clause 0x2
	s_load_dwordx2 s[2:3], s[4:5], 0x28
	s_load_dwordx2 s[8:9], s[4:5], 0x38
	;; [unrolled: 1-line block ×3, first 2 shown]
	s_mov_b32 s1, 0
	v_mov_b32_e32 v4, 0
	s_mov_b32 s21, s1
	v_lshlrev_b32_e32 v5, 2, v0
	global_load_dword v1, v4, s[10:11] offset:14
	s_waitcnt lgkmcnt(0)
	s_lshr_b32 s22, s2, 10
	s_cmp_lg_u32 s0, s22
	s_cselect_b32 s7, -1, 0
	s_lshl_b64 s[14:15], s[0:1], 2
	s_add_u32 s8, s8, s14
	s_addc_u32 s9, s9, s15
	s_load_dwordx2 s[14:15], s[8:9], 0x0
	s_lshr_b32 s8, s3, 9
	s_and_b32 s8, s8, 0x7ffffe
	s_sub_i32 s9, 0, s8
	s_lshl_b32 s8, s0, 10
	s_and_b32 s13, s0, s9
	s_or_b32 s9, s0, s9
	s_lshl_b32 s16, s13, 11
	s_lshl_b32 s13, s13, 10
	s_add_i32 s16, s16, s3
	s_sub_i32 s17, s8, s13
	s_sub_i32 s13, s16, s13
	s_add_i32 s16, s16, s17
	s_min_u32 s17, s2, s13
	s_add_i32 s13, s13, s3
	s_waitcnt lgkmcnt(0)
	s_sub_i32 s3, s16, s14
	s_sub_i32 s16, s16, s15
	s_min_u32 s20, s2, s3
	s_addk_i32 s16, 0x400
	s_cmp_eq_u32 s9, -1
	s_cselect_b32 s3, s13, s16
	s_cselect_b32 s9, s17, s15
	s_mov_b32 s15, s1
	s_min_u32 s1, s3, s2
	s_lshl_b64 s[16:17], s[14:15], 2
	s_sub_i32 s3, s9, s14
	s_sub_i32 s9, s1, s20
	s_add_u32 s15, s18, s16
	s_addc_u32 s16, s19, s17
	s_lshl_b64 s[20:21], s[20:21], 2
	s_add_u32 s13, s18, s20
	s_addc_u32 s14, s19, s21
	s_cmp_lt_u32 s6, s12
	s_cselect_b32 s1, 12, 18
	s_add_u32 s10, s10, s1
	s_addc_u32 s11, s11, 0
	s_cmp_eq_u32 s0, s22
	global_load_ushort v2, v4, s[10:11]
	s_mov_b32 s0, -1
	s_waitcnt vmcnt(1)
	v_lshrrev_b32_e32 v3, 16, v1
	v_and_b32_e32 v1, 0xffff, v1
	v_mul_lo_u32 v1, v1, v3
	s_waitcnt vmcnt(0)
	v_mul_lo_u32 v1, v1, v2
	v_add_nc_u32_e32 v1, v1, v0
	s_cbranch_scc1 .LBB490_3
; %bb.2:
	v_mov_b32_e32 v2, v4
	v_sub_co_u32 v3, vcc_lo, v0, s3
	v_add_co_u32 v10, s0, s15, v5
	v_lshlrev_b64 v[6:7], 2, v[1:2]
	v_add_co_ci_u32_e64 v11, null, s16, 0, s0
	v_lshlrev_b64 v[8:9], 2, v[3:4]
	v_add_co_u32 v6, s0, s15, v6
	v_add_co_ci_u32_e64 v7, null, s16, v7, s0
	v_sub_co_u32 v3, s0, v1, s3
	v_lshlrev_b64 v[2:3], 2, v[3:4]
	v_add_co_u32 v4, s1, s13, v8
	v_add_co_ci_u32_e64 v8, null, s14, v9, s1
	v_add_co_u32 v9, s1, s13, v2
	v_add_co_ci_u32_e64 v12, null, s14, v3, s1
	v_cndmask_b32_e32 v3, v8, v11, vcc_lo
	v_cndmask_b32_e32 v2, v4, v10, vcc_lo
	v_cndmask_b32_e64 v6, v9, v6, s0
	v_cndmask_b32_e64 v7, v12, v7, s0
	s_add_i32 s1, s9, s3
	global_load_dword v3, v[2:3], off
	global_load_dword v2, v[6:7], off
	s_load_dwordx2 s[4:5], s[4:5], 0x10
	s_cbranch_execz .LBB490_4
	s_branch .LBB490_9
.LBB490_3:
                                        ; implicit-def: $vgpr2
                                        ; implicit-def: $vgpr3
                                        ; implicit-def: $sgpr1
	s_load_dwordx2 s[4:5], s[4:5], 0x10
	s_andn2_b32 vcc_lo, exec_lo, s0
	s_cbranch_vccnz .LBB490_9
.LBB490_4:
	s_waitcnt vmcnt(0)
	v_mov_b32_e32 v2, 0
	v_mov_b32_e32 v3, 0
	s_add_i32 s1, s9, s3
	s_mov_b32 s6, exec_lo
	v_cmpx_gt_u32_e64 s1, v0
	s_cbranch_execz .LBB490_6
; %bb.5:
	v_sub_co_u32 v3, vcc_lo, v0, s3
	v_mov_b32_e32 v4, 0
	v_add_co_u32 v6, s0, s15, v5
	v_add_co_ci_u32_e64 v7, null, s16, 0, s0
	v_lshlrev_b64 v[3:4], 2, v[3:4]
	v_add_co_u32 v3, s0, s13, v3
	v_add_co_ci_u32_e64 v4, null, s14, v4, s0
	v_cndmask_b32_e32 v3, v3, v6, vcc_lo
	v_cndmask_b32_e32 v4, v4, v7, vcc_lo
	global_load_dword v3, v[3:4], off
.LBB490_6:
	s_or_b32 exec_lo, exec_lo, s6
	s_mov_b32 s6, exec_lo
	v_cmpx_gt_u32_e64 s1, v1
	s_cbranch_execz .LBB490_8
; %bb.7:
	v_mov_b32_e32 v2, 0
	v_lshlrev_b64 v[6:7], 2, v[1:2]
	v_add_co_u32 v4, vcc_lo, s15, v6
	v_add_co_ci_u32_e64 v6, null, s16, v7, vcc_lo
	v_sub_co_u32 v1, vcc_lo, v1, s3
	v_lshlrev_b64 v[1:2], 2, v[1:2]
	v_add_co_u32 v1, s0, s13, v1
	v_add_co_ci_u32_e64 v2, null, s14, v2, s0
	v_cndmask_b32_e32 v1, v1, v4, vcc_lo
	v_cndmask_b32_e32 v2, v2, v6, vcc_lo
	global_load_dword v2, v[1:2], off
.LBB490_8:
	s_or_b32 exec_lo, exec_lo, s6
.LBB490_9:
	v_lshlrev_b32_e32 v1, 1, v0
	s_mov_b32 s0, exec_lo
	s_waitcnt vmcnt(0)
	ds_write2st64_b32 v5, v3, v2 offset1:8
	s_waitcnt lgkmcnt(0)
	s_barrier
	v_min_u32_e32 v6, s1, v1
	buffer_gl0_inv
	v_sub_nc_u32_e64 v4, v6, s9 clamp
	v_min_u32_e32 v7, s3, v6
	v_cmpx_lt_u32_e64 v4, v7
	s_cbranch_execz .LBB490_13
; %bb.10:
	v_lshlrev_b32_e32 v8, 2, v6
	s_mov_b32 s6, 0
	v_lshl_add_u32 v8, s3, 2, v8
	.p2align	6
.LBB490_11:                             ; =>This Inner Loop Header: Depth=1
	v_add_nc_u32_e32 v9, v7, v4
	v_lshrrev_b32_e32 v9, 1, v9
	v_not_b32_e32 v10, v9
	v_lshlrev_b32_e32 v11, 2, v9
	v_lshl_add_u32 v10, v10, 2, v8
	ds_read_b32 v11, v11
	ds_read_b32 v10, v10
	s_waitcnt lgkmcnt(1)
	v_add_f32_e32 v11, 0, v11
	s_waitcnt lgkmcnt(0)
	v_add_f32_e32 v10, 0, v10
	v_ashrrev_i32_e32 v12, 31, v11
	v_ashrrev_i32_e32 v13, 31, v10
	v_or_b32_e32 v12, 0x80000000, v12
	v_or_b32_e32 v13, 0x80000000, v13
	v_xor_b32_e32 v11, v12, v11
	v_xor_b32_e32 v10, v13, v10
	v_add_nc_u32_e32 v12, 1, v9
	v_cmp_gt_u32_e32 vcc_lo, v11, v10
	v_cndmask_b32_e32 v7, v7, v9, vcc_lo
	v_cndmask_b32_e32 v4, v12, v4, vcc_lo
	v_cmp_ge_u32_e32 vcc_lo, v4, v7
	s_or_b32 s6, vcc_lo, s6
	s_andn2_b32 exec_lo, exec_lo, s6
	s_cbranch_execnz .LBB490_11
; %bb.12:
	s_or_b32 exec_lo, exec_lo, s6
.LBB490_13:
	s_or_b32 exec_lo, exec_lo, s0
	v_sub_nc_u32_e32 v6, v6, v4
	v_cmp_ge_u32_e32 vcc_lo, s3, v4
	v_add_nc_u32_e32 v7, s3, v6
	v_cmp_ge_u32_e64 s0, s1, v7
	s_or_b32 s0, vcc_lo, s0
	s_and_saveexec_b32 s6, s0
	s_cbranch_execz .LBB490_25
; %bb.14:
	s_mov_b32 s9, exec_lo
	v_cmp_le_u32_e32 vcc_lo, s3, v4
                                        ; implicit-def: $vgpr3
	v_cmpx_gt_u32_e64 s3, v4
; %bb.15:
	v_lshlrev_b32_e32 v2, 2, v4
	ds_read_b32 v3, v2
; %bb.16:
	s_or_b32 exec_lo, exec_lo, s9
	v_cmp_le_u32_e64 s9, s1, v7
	s_mov_b32 s10, exec_lo
                                        ; implicit-def: $vgpr6
	v_cmpx_gt_u32_e64 s1, v7
; %bb.17:
	v_lshlrev_b32_e32 v2, 2, v7
	ds_read_b32 v6, v2
; %bb.18:
	s_or_b32 exec_lo, exec_lo, s10
	s_nor_b32 s10, vcc_lo, s9
	s_and_saveexec_b32 s0, s10
	s_cbranch_execz .LBB490_20
; %bb.19:
	s_waitcnt lgkmcnt(0)
	v_add_f32_e32 v2, 0, v3
	v_add_f32_e32 v8, 0, v6
	s_andn2_b32 s9, s9, exec_lo
	v_ashrrev_i32_e32 v9, 31, v2
	v_ashrrev_i32_e32 v10, 31, v8
	v_or_b32_e32 v9, 0x80000000, v9
	v_or_b32_e32 v10, 0x80000000, v10
	v_xor_b32_e32 v2, v9, v2
	v_xor_b32_e32 v8, v10, v8
	v_cmp_le_u32_e32 vcc_lo, v2, v8
	s_and_b32 s10, vcc_lo, exec_lo
	s_or_b32 s9, s9, s10
.LBB490_20:
	s_or_b32 exec_lo, exec_lo, s0
	v_mov_b32_e32 v2, s3
	v_cndmask_b32_e64 v8, v7, v4, s9
	s_mov_b32 s0, exec_lo
	v_cndmask_b32_e64 v2, s1, v2, s9
	v_add_nc_u32_e32 v8, 1, v8
	v_add_nc_u32_e32 v2, -1, v2
	v_cndmask_b32_e64 v7, v8, v7, s9
	v_min_u32_e32 v2, v8, v2
	v_lshlrev_b32_e32 v2, 2, v2
	ds_read_b32 v9, v2
	s_waitcnt lgkmcnt(0)
	v_cndmask_b32_e64 v2, v3, v9, s9
	v_cmpx_gt_u32_e64 s1, v7
	s_cbranch_execz .LBB490_24
; %bb.21:
	v_cndmask_b32_e64 v7, v4, v8, s9
	v_cndmask_b32_e64 v4, v9, v6, s9
	s_mov_b32 s1, exec_lo
	v_cmpx_gt_u32_e64 s3, v7
	s_cbranch_execz .LBB490_23
; %bb.22:
	v_add_f32_e32 v7, 0, v2
	v_add_f32_e32 v8, 0, v4
	v_ashrrev_i32_e32 v9, 31, v7
	v_ashrrev_i32_e32 v10, 31, v8
	v_or_b32_e32 v9, 0x80000000, v9
	v_or_b32_e32 v10, 0x80000000, v10
	v_xor_b32_e32 v7, v9, v7
	v_xor_b32_e32 v8, v10, v8
	v_cmp_gt_u32_e32 vcc_lo, v7, v8
	v_cndmask_b32_e32 v4, v2, v4, vcc_lo
.LBB490_23:
	s_or_b32 exec_lo, exec_lo, s1
	v_mov_b32_e32 v2, v4
.LBB490_24:
	s_or_b32 exec_lo, exec_lo, s0
	v_cndmask_b32_e64 v3, v6, v3, s9
.LBB490_25:
	s_or_b32 exec_lo, exec_lo, s6
	v_lshrrev_b32_e32 v6, 2, v0
	v_or_b32_e32 v4, 0x200, v0
	v_lshrrev_b32_e32 v7, 3, v0
	s_mov_b32 s9, 0
	v_and_b32_e32 v6, 0x7c, v6
	v_lshrrev_b32_e32 v8, 3, v4
	s_lshl_b64 s[0:1], s[8:9], 2
	s_barrier
	s_add_u32 s0, s4, s0
	v_lshl_add_u32 v1, v1, 2, v6
	v_and_b32_e32 v6, 60, v7
	v_and_b32_e32 v7, 0x7c, v8
	buffer_gl0_inv
	s_barrier
	buffer_gl0_inv
	s_addc_u32 s1, s5, s1
	ds_write2_b32 v1, v3, v2 offset1:1
	v_add_co_u32 v1, s0, s0, v5
	v_add_nc_u32_e32 v6, v6, v5
	v_add_nc_u32_e32 v7, v7, v5
	v_add_co_ci_u32_e64 v2, null, s1, 0, s0
	s_and_b32 vcc_lo, exec_lo, s7
	s_waitcnt lgkmcnt(0)
	s_cbranch_vccz .LBB490_27
; %bb.26:
	s_barrier
	buffer_gl0_inv
	ds_read_b32 v5, v6
	ds_read_b32 v3, v7 offset:2048
	s_mov_b32 s9, -1
	s_waitcnt lgkmcnt(1)
	global_store_dword v[1:2], v5, off
	s_cbranch_execz .LBB490_28
	s_branch .LBB490_31
.LBB490_27:
                                        ; implicit-def: $vgpr3
.LBB490_28:
	s_barrier
	s_waitcnt lgkmcnt(0)
	s_waitcnt_vscnt null, 0x0
	buffer_gl0_inv
	ds_read_b32 v3, v7 offset:2048
	s_sub_i32 s0, s2, s8
	s_mov_b32 s1, exec_lo
	v_cmpx_gt_u32_e64 s0, v0
	s_cbranch_execz .LBB490_30
; %bb.29:
	ds_read_b32 v0, v6
	s_waitcnt lgkmcnt(0)
	global_store_dword v[1:2], v0, off
.LBB490_30:
	s_or_b32 exec_lo, exec_lo, s1
	v_cmp_gt_u32_e64 s9, s0, v4
.LBB490_31:
	s_and_saveexec_b32 s0, s9
	s_cbranch_execz .LBB490_33
; %bb.32:
	v_add_co_u32 v0, vcc_lo, 0x800, v1
	v_add_co_ci_u32_e64 v1, null, 0, v2, vcc_lo
	s_waitcnt lgkmcnt(0)
	global_store_dword v[0:1], v3, off
.LBB490_33:
	s_endpgm
	.section	.rodata,"a",@progbits
	.p2align	6, 0x0
	.amdhsa_kernel _ZN7rocprim17ROCPRIM_400000_NS6detail17trampoline_kernelINS0_14default_configENS1_38merge_sort_block_merge_config_selectorIfNS0_10empty_typeEEEZZNS1_27merge_sort_block_merge_implIS3_N6thrust23THRUST_200600_302600_NS6detail15normal_iteratorINS9_10device_ptrIfEEEEPS5_jNS1_19radix_merge_compareILb0ELb0EfNS0_19identity_decomposerEEEEE10hipError_tT0_T1_T2_jT3_P12ihipStream_tbPNSt15iterator_traitsISK_E10value_typeEPNSQ_ISL_E10value_typeEPSM_NS1_7vsmem_tEENKUlT_SK_SL_SM_E_clIPfSE_SF_SF_EESJ_SZ_SK_SL_SM_EUlSZ_E0_NS1_11comp_targetILNS1_3genE8ELNS1_11target_archE1030ELNS1_3gpuE2ELNS1_3repE0EEENS1_38merge_mergepath_config_static_selectorELNS0_4arch9wavefront6targetE0EEEvSL_
		.amdhsa_group_segment_fixed_size 4224
		.amdhsa_private_segment_fixed_size 0
		.amdhsa_kernarg_size 320
		.amdhsa_user_sgpr_count 6
		.amdhsa_user_sgpr_private_segment_buffer 1
		.amdhsa_user_sgpr_dispatch_ptr 0
		.amdhsa_user_sgpr_queue_ptr 0
		.amdhsa_user_sgpr_kernarg_segment_ptr 1
		.amdhsa_user_sgpr_dispatch_id 0
		.amdhsa_user_sgpr_flat_scratch_init 0
		.amdhsa_user_sgpr_private_segment_size 0
		.amdhsa_wavefront_size32 1
		.amdhsa_uses_dynamic_stack 0
		.amdhsa_system_sgpr_private_segment_wavefront_offset 0
		.amdhsa_system_sgpr_workgroup_id_x 1
		.amdhsa_system_sgpr_workgroup_id_y 1
		.amdhsa_system_sgpr_workgroup_id_z 1
		.amdhsa_system_sgpr_workgroup_info 0
		.amdhsa_system_vgpr_workitem_id 0
		.amdhsa_next_free_vgpr 14
		.amdhsa_next_free_sgpr 23
		.amdhsa_reserve_vcc 1
		.amdhsa_reserve_flat_scratch 0
		.amdhsa_float_round_mode_32 0
		.amdhsa_float_round_mode_16_64 0
		.amdhsa_float_denorm_mode_32 3
		.amdhsa_float_denorm_mode_16_64 3
		.amdhsa_dx10_clamp 1
		.amdhsa_ieee_mode 1
		.amdhsa_fp16_overflow 0
		.amdhsa_workgroup_processor_mode 1
		.amdhsa_memory_ordered 1
		.amdhsa_forward_progress 1
		.amdhsa_shared_vgpr_count 0
		.amdhsa_exception_fp_ieee_invalid_op 0
		.amdhsa_exception_fp_denorm_src 0
		.amdhsa_exception_fp_ieee_div_zero 0
		.amdhsa_exception_fp_ieee_overflow 0
		.amdhsa_exception_fp_ieee_underflow 0
		.amdhsa_exception_fp_ieee_inexact 0
		.amdhsa_exception_int_div_zero 0
	.end_amdhsa_kernel
	.section	.text._ZN7rocprim17ROCPRIM_400000_NS6detail17trampoline_kernelINS0_14default_configENS1_38merge_sort_block_merge_config_selectorIfNS0_10empty_typeEEEZZNS1_27merge_sort_block_merge_implIS3_N6thrust23THRUST_200600_302600_NS6detail15normal_iteratorINS9_10device_ptrIfEEEEPS5_jNS1_19radix_merge_compareILb0ELb0EfNS0_19identity_decomposerEEEEE10hipError_tT0_T1_T2_jT3_P12ihipStream_tbPNSt15iterator_traitsISK_E10value_typeEPNSQ_ISL_E10value_typeEPSM_NS1_7vsmem_tEENKUlT_SK_SL_SM_E_clIPfSE_SF_SF_EESJ_SZ_SK_SL_SM_EUlSZ_E0_NS1_11comp_targetILNS1_3genE8ELNS1_11target_archE1030ELNS1_3gpuE2ELNS1_3repE0EEENS1_38merge_mergepath_config_static_selectorELNS0_4arch9wavefront6targetE0EEEvSL_,"axG",@progbits,_ZN7rocprim17ROCPRIM_400000_NS6detail17trampoline_kernelINS0_14default_configENS1_38merge_sort_block_merge_config_selectorIfNS0_10empty_typeEEEZZNS1_27merge_sort_block_merge_implIS3_N6thrust23THRUST_200600_302600_NS6detail15normal_iteratorINS9_10device_ptrIfEEEEPS5_jNS1_19radix_merge_compareILb0ELb0EfNS0_19identity_decomposerEEEEE10hipError_tT0_T1_T2_jT3_P12ihipStream_tbPNSt15iterator_traitsISK_E10value_typeEPNSQ_ISL_E10value_typeEPSM_NS1_7vsmem_tEENKUlT_SK_SL_SM_E_clIPfSE_SF_SF_EESJ_SZ_SK_SL_SM_EUlSZ_E0_NS1_11comp_targetILNS1_3genE8ELNS1_11target_archE1030ELNS1_3gpuE2ELNS1_3repE0EEENS1_38merge_mergepath_config_static_selectorELNS0_4arch9wavefront6targetE0EEEvSL_,comdat
.Lfunc_end490:
	.size	_ZN7rocprim17ROCPRIM_400000_NS6detail17trampoline_kernelINS0_14default_configENS1_38merge_sort_block_merge_config_selectorIfNS0_10empty_typeEEEZZNS1_27merge_sort_block_merge_implIS3_N6thrust23THRUST_200600_302600_NS6detail15normal_iteratorINS9_10device_ptrIfEEEEPS5_jNS1_19radix_merge_compareILb0ELb0EfNS0_19identity_decomposerEEEEE10hipError_tT0_T1_T2_jT3_P12ihipStream_tbPNSt15iterator_traitsISK_E10value_typeEPNSQ_ISL_E10value_typeEPSM_NS1_7vsmem_tEENKUlT_SK_SL_SM_E_clIPfSE_SF_SF_EESJ_SZ_SK_SL_SM_EUlSZ_E0_NS1_11comp_targetILNS1_3genE8ELNS1_11target_archE1030ELNS1_3gpuE2ELNS1_3repE0EEENS1_38merge_mergepath_config_static_selectorELNS0_4arch9wavefront6targetE0EEEvSL_, .Lfunc_end490-_ZN7rocprim17ROCPRIM_400000_NS6detail17trampoline_kernelINS0_14default_configENS1_38merge_sort_block_merge_config_selectorIfNS0_10empty_typeEEEZZNS1_27merge_sort_block_merge_implIS3_N6thrust23THRUST_200600_302600_NS6detail15normal_iteratorINS9_10device_ptrIfEEEEPS5_jNS1_19radix_merge_compareILb0ELb0EfNS0_19identity_decomposerEEEEE10hipError_tT0_T1_T2_jT3_P12ihipStream_tbPNSt15iterator_traitsISK_E10value_typeEPNSQ_ISL_E10value_typeEPSM_NS1_7vsmem_tEENKUlT_SK_SL_SM_E_clIPfSE_SF_SF_EESJ_SZ_SK_SL_SM_EUlSZ_E0_NS1_11comp_targetILNS1_3genE8ELNS1_11target_archE1030ELNS1_3gpuE2ELNS1_3repE0EEENS1_38merge_mergepath_config_static_selectorELNS0_4arch9wavefront6targetE0EEEvSL_
                                        ; -- End function
	.set _ZN7rocprim17ROCPRIM_400000_NS6detail17trampoline_kernelINS0_14default_configENS1_38merge_sort_block_merge_config_selectorIfNS0_10empty_typeEEEZZNS1_27merge_sort_block_merge_implIS3_N6thrust23THRUST_200600_302600_NS6detail15normal_iteratorINS9_10device_ptrIfEEEEPS5_jNS1_19radix_merge_compareILb0ELb0EfNS0_19identity_decomposerEEEEE10hipError_tT0_T1_T2_jT3_P12ihipStream_tbPNSt15iterator_traitsISK_E10value_typeEPNSQ_ISL_E10value_typeEPSM_NS1_7vsmem_tEENKUlT_SK_SL_SM_E_clIPfSE_SF_SF_EESJ_SZ_SK_SL_SM_EUlSZ_E0_NS1_11comp_targetILNS1_3genE8ELNS1_11target_archE1030ELNS1_3gpuE2ELNS1_3repE0EEENS1_38merge_mergepath_config_static_selectorELNS0_4arch9wavefront6targetE0EEEvSL_.num_vgpr, 14
	.set _ZN7rocprim17ROCPRIM_400000_NS6detail17trampoline_kernelINS0_14default_configENS1_38merge_sort_block_merge_config_selectorIfNS0_10empty_typeEEEZZNS1_27merge_sort_block_merge_implIS3_N6thrust23THRUST_200600_302600_NS6detail15normal_iteratorINS9_10device_ptrIfEEEEPS5_jNS1_19radix_merge_compareILb0ELb0EfNS0_19identity_decomposerEEEEE10hipError_tT0_T1_T2_jT3_P12ihipStream_tbPNSt15iterator_traitsISK_E10value_typeEPNSQ_ISL_E10value_typeEPSM_NS1_7vsmem_tEENKUlT_SK_SL_SM_E_clIPfSE_SF_SF_EESJ_SZ_SK_SL_SM_EUlSZ_E0_NS1_11comp_targetILNS1_3genE8ELNS1_11target_archE1030ELNS1_3gpuE2ELNS1_3repE0EEENS1_38merge_mergepath_config_static_selectorELNS0_4arch9wavefront6targetE0EEEvSL_.num_agpr, 0
	.set _ZN7rocprim17ROCPRIM_400000_NS6detail17trampoline_kernelINS0_14default_configENS1_38merge_sort_block_merge_config_selectorIfNS0_10empty_typeEEEZZNS1_27merge_sort_block_merge_implIS3_N6thrust23THRUST_200600_302600_NS6detail15normal_iteratorINS9_10device_ptrIfEEEEPS5_jNS1_19radix_merge_compareILb0ELb0EfNS0_19identity_decomposerEEEEE10hipError_tT0_T1_T2_jT3_P12ihipStream_tbPNSt15iterator_traitsISK_E10value_typeEPNSQ_ISL_E10value_typeEPSM_NS1_7vsmem_tEENKUlT_SK_SL_SM_E_clIPfSE_SF_SF_EESJ_SZ_SK_SL_SM_EUlSZ_E0_NS1_11comp_targetILNS1_3genE8ELNS1_11target_archE1030ELNS1_3gpuE2ELNS1_3repE0EEENS1_38merge_mergepath_config_static_selectorELNS0_4arch9wavefront6targetE0EEEvSL_.numbered_sgpr, 23
	.set _ZN7rocprim17ROCPRIM_400000_NS6detail17trampoline_kernelINS0_14default_configENS1_38merge_sort_block_merge_config_selectorIfNS0_10empty_typeEEEZZNS1_27merge_sort_block_merge_implIS3_N6thrust23THRUST_200600_302600_NS6detail15normal_iteratorINS9_10device_ptrIfEEEEPS5_jNS1_19radix_merge_compareILb0ELb0EfNS0_19identity_decomposerEEEEE10hipError_tT0_T1_T2_jT3_P12ihipStream_tbPNSt15iterator_traitsISK_E10value_typeEPNSQ_ISL_E10value_typeEPSM_NS1_7vsmem_tEENKUlT_SK_SL_SM_E_clIPfSE_SF_SF_EESJ_SZ_SK_SL_SM_EUlSZ_E0_NS1_11comp_targetILNS1_3genE8ELNS1_11target_archE1030ELNS1_3gpuE2ELNS1_3repE0EEENS1_38merge_mergepath_config_static_selectorELNS0_4arch9wavefront6targetE0EEEvSL_.num_named_barrier, 0
	.set _ZN7rocprim17ROCPRIM_400000_NS6detail17trampoline_kernelINS0_14default_configENS1_38merge_sort_block_merge_config_selectorIfNS0_10empty_typeEEEZZNS1_27merge_sort_block_merge_implIS3_N6thrust23THRUST_200600_302600_NS6detail15normal_iteratorINS9_10device_ptrIfEEEEPS5_jNS1_19radix_merge_compareILb0ELb0EfNS0_19identity_decomposerEEEEE10hipError_tT0_T1_T2_jT3_P12ihipStream_tbPNSt15iterator_traitsISK_E10value_typeEPNSQ_ISL_E10value_typeEPSM_NS1_7vsmem_tEENKUlT_SK_SL_SM_E_clIPfSE_SF_SF_EESJ_SZ_SK_SL_SM_EUlSZ_E0_NS1_11comp_targetILNS1_3genE8ELNS1_11target_archE1030ELNS1_3gpuE2ELNS1_3repE0EEENS1_38merge_mergepath_config_static_selectorELNS0_4arch9wavefront6targetE0EEEvSL_.private_seg_size, 0
	.set _ZN7rocprim17ROCPRIM_400000_NS6detail17trampoline_kernelINS0_14default_configENS1_38merge_sort_block_merge_config_selectorIfNS0_10empty_typeEEEZZNS1_27merge_sort_block_merge_implIS3_N6thrust23THRUST_200600_302600_NS6detail15normal_iteratorINS9_10device_ptrIfEEEEPS5_jNS1_19radix_merge_compareILb0ELb0EfNS0_19identity_decomposerEEEEE10hipError_tT0_T1_T2_jT3_P12ihipStream_tbPNSt15iterator_traitsISK_E10value_typeEPNSQ_ISL_E10value_typeEPSM_NS1_7vsmem_tEENKUlT_SK_SL_SM_E_clIPfSE_SF_SF_EESJ_SZ_SK_SL_SM_EUlSZ_E0_NS1_11comp_targetILNS1_3genE8ELNS1_11target_archE1030ELNS1_3gpuE2ELNS1_3repE0EEENS1_38merge_mergepath_config_static_selectorELNS0_4arch9wavefront6targetE0EEEvSL_.uses_vcc, 1
	.set _ZN7rocprim17ROCPRIM_400000_NS6detail17trampoline_kernelINS0_14default_configENS1_38merge_sort_block_merge_config_selectorIfNS0_10empty_typeEEEZZNS1_27merge_sort_block_merge_implIS3_N6thrust23THRUST_200600_302600_NS6detail15normal_iteratorINS9_10device_ptrIfEEEEPS5_jNS1_19radix_merge_compareILb0ELb0EfNS0_19identity_decomposerEEEEE10hipError_tT0_T1_T2_jT3_P12ihipStream_tbPNSt15iterator_traitsISK_E10value_typeEPNSQ_ISL_E10value_typeEPSM_NS1_7vsmem_tEENKUlT_SK_SL_SM_E_clIPfSE_SF_SF_EESJ_SZ_SK_SL_SM_EUlSZ_E0_NS1_11comp_targetILNS1_3genE8ELNS1_11target_archE1030ELNS1_3gpuE2ELNS1_3repE0EEENS1_38merge_mergepath_config_static_selectorELNS0_4arch9wavefront6targetE0EEEvSL_.uses_flat_scratch, 0
	.set _ZN7rocprim17ROCPRIM_400000_NS6detail17trampoline_kernelINS0_14default_configENS1_38merge_sort_block_merge_config_selectorIfNS0_10empty_typeEEEZZNS1_27merge_sort_block_merge_implIS3_N6thrust23THRUST_200600_302600_NS6detail15normal_iteratorINS9_10device_ptrIfEEEEPS5_jNS1_19radix_merge_compareILb0ELb0EfNS0_19identity_decomposerEEEEE10hipError_tT0_T1_T2_jT3_P12ihipStream_tbPNSt15iterator_traitsISK_E10value_typeEPNSQ_ISL_E10value_typeEPSM_NS1_7vsmem_tEENKUlT_SK_SL_SM_E_clIPfSE_SF_SF_EESJ_SZ_SK_SL_SM_EUlSZ_E0_NS1_11comp_targetILNS1_3genE8ELNS1_11target_archE1030ELNS1_3gpuE2ELNS1_3repE0EEENS1_38merge_mergepath_config_static_selectorELNS0_4arch9wavefront6targetE0EEEvSL_.has_dyn_sized_stack, 0
	.set _ZN7rocprim17ROCPRIM_400000_NS6detail17trampoline_kernelINS0_14default_configENS1_38merge_sort_block_merge_config_selectorIfNS0_10empty_typeEEEZZNS1_27merge_sort_block_merge_implIS3_N6thrust23THRUST_200600_302600_NS6detail15normal_iteratorINS9_10device_ptrIfEEEEPS5_jNS1_19radix_merge_compareILb0ELb0EfNS0_19identity_decomposerEEEEE10hipError_tT0_T1_T2_jT3_P12ihipStream_tbPNSt15iterator_traitsISK_E10value_typeEPNSQ_ISL_E10value_typeEPSM_NS1_7vsmem_tEENKUlT_SK_SL_SM_E_clIPfSE_SF_SF_EESJ_SZ_SK_SL_SM_EUlSZ_E0_NS1_11comp_targetILNS1_3genE8ELNS1_11target_archE1030ELNS1_3gpuE2ELNS1_3repE0EEENS1_38merge_mergepath_config_static_selectorELNS0_4arch9wavefront6targetE0EEEvSL_.has_recursion, 0
	.set _ZN7rocprim17ROCPRIM_400000_NS6detail17trampoline_kernelINS0_14default_configENS1_38merge_sort_block_merge_config_selectorIfNS0_10empty_typeEEEZZNS1_27merge_sort_block_merge_implIS3_N6thrust23THRUST_200600_302600_NS6detail15normal_iteratorINS9_10device_ptrIfEEEEPS5_jNS1_19radix_merge_compareILb0ELb0EfNS0_19identity_decomposerEEEEE10hipError_tT0_T1_T2_jT3_P12ihipStream_tbPNSt15iterator_traitsISK_E10value_typeEPNSQ_ISL_E10value_typeEPSM_NS1_7vsmem_tEENKUlT_SK_SL_SM_E_clIPfSE_SF_SF_EESJ_SZ_SK_SL_SM_EUlSZ_E0_NS1_11comp_targetILNS1_3genE8ELNS1_11target_archE1030ELNS1_3gpuE2ELNS1_3repE0EEENS1_38merge_mergepath_config_static_selectorELNS0_4arch9wavefront6targetE0EEEvSL_.has_indirect_call, 0
	.section	.AMDGPU.csdata,"",@progbits
; Kernel info:
; codeLenInByte = 1628
; TotalNumSgprs: 25
; NumVgprs: 14
; ScratchSize: 0
; MemoryBound: 0
; FloatMode: 240
; IeeeMode: 1
; LDSByteSize: 4224 bytes/workgroup (compile time only)
; SGPRBlocks: 0
; VGPRBlocks: 1
; NumSGPRsForWavesPerEU: 25
; NumVGPRsForWavesPerEU: 14
; Occupancy: 16
; WaveLimiterHint : 1
; COMPUTE_PGM_RSRC2:SCRATCH_EN: 0
; COMPUTE_PGM_RSRC2:USER_SGPR: 6
; COMPUTE_PGM_RSRC2:TRAP_HANDLER: 0
; COMPUTE_PGM_RSRC2:TGID_X_EN: 1
; COMPUTE_PGM_RSRC2:TGID_Y_EN: 1
; COMPUTE_PGM_RSRC2:TGID_Z_EN: 1
; COMPUTE_PGM_RSRC2:TIDIG_COMP_CNT: 0
	.section	.text._ZN7rocprim17ROCPRIM_400000_NS6detail17trampoline_kernelINS0_14default_configENS1_38merge_sort_block_merge_config_selectorIfNS0_10empty_typeEEEZZNS1_27merge_sort_block_merge_implIS3_N6thrust23THRUST_200600_302600_NS6detail15normal_iteratorINS9_10device_ptrIfEEEEPS5_jNS1_19radix_merge_compareILb0ELb0EfNS0_19identity_decomposerEEEEE10hipError_tT0_T1_T2_jT3_P12ihipStream_tbPNSt15iterator_traitsISK_E10value_typeEPNSQ_ISL_E10value_typeEPSM_NS1_7vsmem_tEENKUlT_SK_SL_SM_E_clIPfSE_SF_SF_EESJ_SZ_SK_SL_SM_EUlSZ_E1_NS1_11comp_targetILNS1_3genE0ELNS1_11target_archE4294967295ELNS1_3gpuE0ELNS1_3repE0EEENS1_36merge_oddeven_config_static_selectorELNS0_4arch9wavefront6targetE0EEEvSL_,"axG",@progbits,_ZN7rocprim17ROCPRIM_400000_NS6detail17trampoline_kernelINS0_14default_configENS1_38merge_sort_block_merge_config_selectorIfNS0_10empty_typeEEEZZNS1_27merge_sort_block_merge_implIS3_N6thrust23THRUST_200600_302600_NS6detail15normal_iteratorINS9_10device_ptrIfEEEEPS5_jNS1_19radix_merge_compareILb0ELb0EfNS0_19identity_decomposerEEEEE10hipError_tT0_T1_T2_jT3_P12ihipStream_tbPNSt15iterator_traitsISK_E10value_typeEPNSQ_ISL_E10value_typeEPSM_NS1_7vsmem_tEENKUlT_SK_SL_SM_E_clIPfSE_SF_SF_EESJ_SZ_SK_SL_SM_EUlSZ_E1_NS1_11comp_targetILNS1_3genE0ELNS1_11target_archE4294967295ELNS1_3gpuE0ELNS1_3repE0EEENS1_36merge_oddeven_config_static_selectorELNS0_4arch9wavefront6targetE0EEEvSL_,comdat
	.protected	_ZN7rocprim17ROCPRIM_400000_NS6detail17trampoline_kernelINS0_14default_configENS1_38merge_sort_block_merge_config_selectorIfNS0_10empty_typeEEEZZNS1_27merge_sort_block_merge_implIS3_N6thrust23THRUST_200600_302600_NS6detail15normal_iteratorINS9_10device_ptrIfEEEEPS5_jNS1_19radix_merge_compareILb0ELb0EfNS0_19identity_decomposerEEEEE10hipError_tT0_T1_T2_jT3_P12ihipStream_tbPNSt15iterator_traitsISK_E10value_typeEPNSQ_ISL_E10value_typeEPSM_NS1_7vsmem_tEENKUlT_SK_SL_SM_E_clIPfSE_SF_SF_EESJ_SZ_SK_SL_SM_EUlSZ_E1_NS1_11comp_targetILNS1_3genE0ELNS1_11target_archE4294967295ELNS1_3gpuE0ELNS1_3repE0EEENS1_36merge_oddeven_config_static_selectorELNS0_4arch9wavefront6targetE0EEEvSL_ ; -- Begin function _ZN7rocprim17ROCPRIM_400000_NS6detail17trampoline_kernelINS0_14default_configENS1_38merge_sort_block_merge_config_selectorIfNS0_10empty_typeEEEZZNS1_27merge_sort_block_merge_implIS3_N6thrust23THRUST_200600_302600_NS6detail15normal_iteratorINS9_10device_ptrIfEEEEPS5_jNS1_19radix_merge_compareILb0ELb0EfNS0_19identity_decomposerEEEEE10hipError_tT0_T1_T2_jT3_P12ihipStream_tbPNSt15iterator_traitsISK_E10value_typeEPNSQ_ISL_E10value_typeEPSM_NS1_7vsmem_tEENKUlT_SK_SL_SM_E_clIPfSE_SF_SF_EESJ_SZ_SK_SL_SM_EUlSZ_E1_NS1_11comp_targetILNS1_3genE0ELNS1_11target_archE4294967295ELNS1_3gpuE0ELNS1_3repE0EEENS1_36merge_oddeven_config_static_selectorELNS0_4arch9wavefront6targetE0EEEvSL_
	.globl	_ZN7rocprim17ROCPRIM_400000_NS6detail17trampoline_kernelINS0_14default_configENS1_38merge_sort_block_merge_config_selectorIfNS0_10empty_typeEEEZZNS1_27merge_sort_block_merge_implIS3_N6thrust23THRUST_200600_302600_NS6detail15normal_iteratorINS9_10device_ptrIfEEEEPS5_jNS1_19radix_merge_compareILb0ELb0EfNS0_19identity_decomposerEEEEE10hipError_tT0_T1_T2_jT3_P12ihipStream_tbPNSt15iterator_traitsISK_E10value_typeEPNSQ_ISL_E10value_typeEPSM_NS1_7vsmem_tEENKUlT_SK_SL_SM_E_clIPfSE_SF_SF_EESJ_SZ_SK_SL_SM_EUlSZ_E1_NS1_11comp_targetILNS1_3genE0ELNS1_11target_archE4294967295ELNS1_3gpuE0ELNS1_3repE0EEENS1_36merge_oddeven_config_static_selectorELNS0_4arch9wavefront6targetE0EEEvSL_
	.p2align	8
	.type	_ZN7rocprim17ROCPRIM_400000_NS6detail17trampoline_kernelINS0_14default_configENS1_38merge_sort_block_merge_config_selectorIfNS0_10empty_typeEEEZZNS1_27merge_sort_block_merge_implIS3_N6thrust23THRUST_200600_302600_NS6detail15normal_iteratorINS9_10device_ptrIfEEEEPS5_jNS1_19radix_merge_compareILb0ELb0EfNS0_19identity_decomposerEEEEE10hipError_tT0_T1_T2_jT3_P12ihipStream_tbPNSt15iterator_traitsISK_E10value_typeEPNSQ_ISL_E10value_typeEPSM_NS1_7vsmem_tEENKUlT_SK_SL_SM_E_clIPfSE_SF_SF_EESJ_SZ_SK_SL_SM_EUlSZ_E1_NS1_11comp_targetILNS1_3genE0ELNS1_11target_archE4294967295ELNS1_3gpuE0ELNS1_3repE0EEENS1_36merge_oddeven_config_static_selectorELNS0_4arch9wavefront6targetE0EEEvSL_,@function
_ZN7rocprim17ROCPRIM_400000_NS6detail17trampoline_kernelINS0_14default_configENS1_38merge_sort_block_merge_config_selectorIfNS0_10empty_typeEEEZZNS1_27merge_sort_block_merge_implIS3_N6thrust23THRUST_200600_302600_NS6detail15normal_iteratorINS9_10device_ptrIfEEEEPS5_jNS1_19radix_merge_compareILb0ELb0EfNS0_19identity_decomposerEEEEE10hipError_tT0_T1_T2_jT3_P12ihipStream_tbPNSt15iterator_traitsISK_E10value_typeEPNSQ_ISL_E10value_typeEPSM_NS1_7vsmem_tEENKUlT_SK_SL_SM_E_clIPfSE_SF_SF_EESJ_SZ_SK_SL_SM_EUlSZ_E1_NS1_11comp_targetILNS1_3genE0ELNS1_11target_archE4294967295ELNS1_3gpuE0ELNS1_3repE0EEENS1_36merge_oddeven_config_static_selectorELNS0_4arch9wavefront6targetE0EEEvSL_: ; @_ZN7rocprim17ROCPRIM_400000_NS6detail17trampoline_kernelINS0_14default_configENS1_38merge_sort_block_merge_config_selectorIfNS0_10empty_typeEEEZZNS1_27merge_sort_block_merge_implIS3_N6thrust23THRUST_200600_302600_NS6detail15normal_iteratorINS9_10device_ptrIfEEEEPS5_jNS1_19radix_merge_compareILb0ELb0EfNS0_19identity_decomposerEEEEE10hipError_tT0_T1_T2_jT3_P12ihipStream_tbPNSt15iterator_traitsISK_E10value_typeEPNSQ_ISL_E10value_typeEPSM_NS1_7vsmem_tEENKUlT_SK_SL_SM_E_clIPfSE_SF_SF_EESJ_SZ_SK_SL_SM_EUlSZ_E1_NS1_11comp_targetILNS1_3genE0ELNS1_11target_archE4294967295ELNS1_3gpuE0ELNS1_3repE0EEENS1_36merge_oddeven_config_static_selectorELNS0_4arch9wavefront6targetE0EEEvSL_
; %bb.0:
	.section	.rodata,"a",@progbits
	.p2align	6, 0x0
	.amdhsa_kernel _ZN7rocprim17ROCPRIM_400000_NS6detail17trampoline_kernelINS0_14default_configENS1_38merge_sort_block_merge_config_selectorIfNS0_10empty_typeEEEZZNS1_27merge_sort_block_merge_implIS3_N6thrust23THRUST_200600_302600_NS6detail15normal_iteratorINS9_10device_ptrIfEEEEPS5_jNS1_19radix_merge_compareILb0ELb0EfNS0_19identity_decomposerEEEEE10hipError_tT0_T1_T2_jT3_P12ihipStream_tbPNSt15iterator_traitsISK_E10value_typeEPNSQ_ISL_E10value_typeEPSM_NS1_7vsmem_tEENKUlT_SK_SL_SM_E_clIPfSE_SF_SF_EESJ_SZ_SK_SL_SM_EUlSZ_E1_NS1_11comp_targetILNS1_3genE0ELNS1_11target_archE4294967295ELNS1_3gpuE0ELNS1_3repE0EEENS1_36merge_oddeven_config_static_selectorELNS0_4arch9wavefront6targetE0EEEvSL_
		.amdhsa_group_segment_fixed_size 0
		.amdhsa_private_segment_fixed_size 0
		.amdhsa_kernarg_size 48
		.amdhsa_user_sgpr_count 6
		.amdhsa_user_sgpr_private_segment_buffer 1
		.amdhsa_user_sgpr_dispatch_ptr 0
		.amdhsa_user_sgpr_queue_ptr 0
		.amdhsa_user_sgpr_kernarg_segment_ptr 1
		.amdhsa_user_sgpr_dispatch_id 0
		.amdhsa_user_sgpr_flat_scratch_init 0
		.amdhsa_user_sgpr_private_segment_size 0
		.amdhsa_wavefront_size32 1
		.amdhsa_uses_dynamic_stack 0
		.amdhsa_system_sgpr_private_segment_wavefront_offset 0
		.amdhsa_system_sgpr_workgroup_id_x 1
		.amdhsa_system_sgpr_workgroup_id_y 0
		.amdhsa_system_sgpr_workgroup_id_z 0
		.amdhsa_system_sgpr_workgroup_info 0
		.amdhsa_system_vgpr_workitem_id 0
		.amdhsa_next_free_vgpr 1
		.amdhsa_next_free_sgpr 1
		.amdhsa_reserve_vcc 0
		.amdhsa_reserve_flat_scratch 0
		.amdhsa_float_round_mode_32 0
		.amdhsa_float_round_mode_16_64 0
		.amdhsa_float_denorm_mode_32 3
		.amdhsa_float_denorm_mode_16_64 3
		.amdhsa_dx10_clamp 1
		.amdhsa_ieee_mode 1
		.amdhsa_fp16_overflow 0
		.amdhsa_workgroup_processor_mode 1
		.amdhsa_memory_ordered 1
		.amdhsa_forward_progress 1
		.amdhsa_shared_vgpr_count 0
		.amdhsa_exception_fp_ieee_invalid_op 0
		.amdhsa_exception_fp_denorm_src 0
		.amdhsa_exception_fp_ieee_div_zero 0
		.amdhsa_exception_fp_ieee_overflow 0
		.amdhsa_exception_fp_ieee_underflow 0
		.amdhsa_exception_fp_ieee_inexact 0
		.amdhsa_exception_int_div_zero 0
	.end_amdhsa_kernel
	.section	.text._ZN7rocprim17ROCPRIM_400000_NS6detail17trampoline_kernelINS0_14default_configENS1_38merge_sort_block_merge_config_selectorIfNS0_10empty_typeEEEZZNS1_27merge_sort_block_merge_implIS3_N6thrust23THRUST_200600_302600_NS6detail15normal_iteratorINS9_10device_ptrIfEEEEPS5_jNS1_19radix_merge_compareILb0ELb0EfNS0_19identity_decomposerEEEEE10hipError_tT0_T1_T2_jT3_P12ihipStream_tbPNSt15iterator_traitsISK_E10value_typeEPNSQ_ISL_E10value_typeEPSM_NS1_7vsmem_tEENKUlT_SK_SL_SM_E_clIPfSE_SF_SF_EESJ_SZ_SK_SL_SM_EUlSZ_E1_NS1_11comp_targetILNS1_3genE0ELNS1_11target_archE4294967295ELNS1_3gpuE0ELNS1_3repE0EEENS1_36merge_oddeven_config_static_selectorELNS0_4arch9wavefront6targetE0EEEvSL_,"axG",@progbits,_ZN7rocprim17ROCPRIM_400000_NS6detail17trampoline_kernelINS0_14default_configENS1_38merge_sort_block_merge_config_selectorIfNS0_10empty_typeEEEZZNS1_27merge_sort_block_merge_implIS3_N6thrust23THRUST_200600_302600_NS6detail15normal_iteratorINS9_10device_ptrIfEEEEPS5_jNS1_19radix_merge_compareILb0ELb0EfNS0_19identity_decomposerEEEEE10hipError_tT0_T1_T2_jT3_P12ihipStream_tbPNSt15iterator_traitsISK_E10value_typeEPNSQ_ISL_E10value_typeEPSM_NS1_7vsmem_tEENKUlT_SK_SL_SM_E_clIPfSE_SF_SF_EESJ_SZ_SK_SL_SM_EUlSZ_E1_NS1_11comp_targetILNS1_3genE0ELNS1_11target_archE4294967295ELNS1_3gpuE0ELNS1_3repE0EEENS1_36merge_oddeven_config_static_selectorELNS0_4arch9wavefront6targetE0EEEvSL_,comdat
.Lfunc_end491:
	.size	_ZN7rocprim17ROCPRIM_400000_NS6detail17trampoline_kernelINS0_14default_configENS1_38merge_sort_block_merge_config_selectorIfNS0_10empty_typeEEEZZNS1_27merge_sort_block_merge_implIS3_N6thrust23THRUST_200600_302600_NS6detail15normal_iteratorINS9_10device_ptrIfEEEEPS5_jNS1_19radix_merge_compareILb0ELb0EfNS0_19identity_decomposerEEEEE10hipError_tT0_T1_T2_jT3_P12ihipStream_tbPNSt15iterator_traitsISK_E10value_typeEPNSQ_ISL_E10value_typeEPSM_NS1_7vsmem_tEENKUlT_SK_SL_SM_E_clIPfSE_SF_SF_EESJ_SZ_SK_SL_SM_EUlSZ_E1_NS1_11comp_targetILNS1_3genE0ELNS1_11target_archE4294967295ELNS1_3gpuE0ELNS1_3repE0EEENS1_36merge_oddeven_config_static_selectorELNS0_4arch9wavefront6targetE0EEEvSL_, .Lfunc_end491-_ZN7rocprim17ROCPRIM_400000_NS6detail17trampoline_kernelINS0_14default_configENS1_38merge_sort_block_merge_config_selectorIfNS0_10empty_typeEEEZZNS1_27merge_sort_block_merge_implIS3_N6thrust23THRUST_200600_302600_NS6detail15normal_iteratorINS9_10device_ptrIfEEEEPS5_jNS1_19radix_merge_compareILb0ELb0EfNS0_19identity_decomposerEEEEE10hipError_tT0_T1_T2_jT3_P12ihipStream_tbPNSt15iterator_traitsISK_E10value_typeEPNSQ_ISL_E10value_typeEPSM_NS1_7vsmem_tEENKUlT_SK_SL_SM_E_clIPfSE_SF_SF_EESJ_SZ_SK_SL_SM_EUlSZ_E1_NS1_11comp_targetILNS1_3genE0ELNS1_11target_archE4294967295ELNS1_3gpuE0ELNS1_3repE0EEENS1_36merge_oddeven_config_static_selectorELNS0_4arch9wavefront6targetE0EEEvSL_
                                        ; -- End function
	.set _ZN7rocprim17ROCPRIM_400000_NS6detail17trampoline_kernelINS0_14default_configENS1_38merge_sort_block_merge_config_selectorIfNS0_10empty_typeEEEZZNS1_27merge_sort_block_merge_implIS3_N6thrust23THRUST_200600_302600_NS6detail15normal_iteratorINS9_10device_ptrIfEEEEPS5_jNS1_19radix_merge_compareILb0ELb0EfNS0_19identity_decomposerEEEEE10hipError_tT0_T1_T2_jT3_P12ihipStream_tbPNSt15iterator_traitsISK_E10value_typeEPNSQ_ISL_E10value_typeEPSM_NS1_7vsmem_tEENKUlT_SK_SL_SM_E_clIPfSE_SF_SF_EESJ_SZ_SK_SL_SM_EUlSZ_E1_NS1_11comp_targetILNS1_3genE0ELNS1_11target_archE4294967295ELNS1_3gpuE0ELNS1_3repE0EEENS1_36merge_oddeven_config_static_selectorELNS0_4arch9wavefront6targetE0EEEvSL_.num_vgpr, 0
	.set _ZN7rocprim17ROCPRIM_400000_NS6detail17trampoline_kernelINS0_14default_configENS1_38merge_sort_block_merge_config_selectorIfNS0_10empty_typeEEEZZNS1_27merge_sort_block_merge_implIS3_N6thrust23THRUST_200600_302600_NS6detail15normal_iteratorINS9_10device_ptrIfEEEEPS5_jNS1_19radix_merge_compareILb0ELb0EfNS0_19identity_decomposerEEEEE10hipError_tT0_T1_T2_jT3_P12ihipStream_tbPNSt15iterator_traitsISK_E10value_typeEPNSQ_ISL_E10value_typeEPSM_NS1_7vsmem_tEENKUlT_SK_SL_SM_E_clIPfSE_SF_SF_EESJ_SZ_SK_SL_SM_EUlSZ_E1_NS1_11comp_targetILNS1_3genE0ELNS1_11target_archE4294967295ELNS1_3gpuE0ELNS1_3repE0EEENS1_36merge_oddeven_config_static_selectorELNS0_4arch9wavefront6targetE0EEEvSL_.num_agpr, 0
	.set _ZN7rocprim17ROCPRIM_400000_NS6detail17trampoline_kernelINS0_14default_configENS1_38merge_sort_block_merge_config_selectorIfNS0_10empty_typeEEEZZNS1_27merge_sort_block_merge_implIS3_N6thrust23THRUST_200600_302600_NS6detail15normal_iteratorINS9_10device_ptrIfEEEEPS5_jNS1_19radix_merge_compareILb0ELb0EfNS0_19identity_decomposerEEEEE10hipError_tT0_T1_T2_jT3_P12ihipStream_tbPNSt15iterator_traitsISK_E10value_typeEPNSQ_ISL_E10value_typeEPSM_NS1_7vsmem_tEENKUlT_SK_SL_SM_E_clIPfSE_SF_SF_EESJ_SZ_SK_SL_SM_EUlSZ_E1_NS1_11comp_targetILNS1_3genE0ELNS1_11target_archE4294967295ELNS1_3gpuE0ELNS1_3repE0EEENS1_36merge_oddeven_config_static_selectorELNS0_4arch9wavefront6targetE0EEEvSL_.numbered_sgpr, 0
	.set _ZN7rocprim17ROCPRIM_400000_NS6detail17trampoline_kernelINS0_14default_configENS1_38merge_sort_block_merge_config_selectorIfNS0_10empty_typeEEEZZNS1_27merge_sort_block_merge_implIS3_N6thrust23THRUST_200600_302600_NS6detail15normal_iteratorINS9_10device_ptrIfEEEEPS5_jNS1_19radix_merge_compareILb0ELb0EfNS0_19identity_decomposerEEEEE10hipError_tT0_T1_T2_jT3_P12ihipStream_tbPNSt15iterator_traitsISK_E10value_typeEPNSQ_ISL_E10value_typeEPSM_NS1_7vsmem_tEENKUlT_SK_SL_SM_E_clIPfSE_SF_SF_EESJ_SZ_SK_SL_SM_EUlSZ_E1_NS1_11comp_targetILNS1_3genE0ELNS1_11target_archE4294967295ELNS1_3gpuE0ELNS1_3repE0EEENS1_36merge_oddeven_config_static_selectorELNS0_4arch9wavefront6targetE0EEEvSL_.num_named_barrier, 0
	.set _ZN7rocprim17ROCPRIM_400000_NS6detail17trampoline_kernelINS0_14default_configENS1_38merge_sort_block_merge_config_selectorIfNS0_10empty_typeEEEZZNS1_27merge_sort_block_merge_implIS3_N6thrust23THRUST_200600_302600_NS6detail15normal_iteratorINS9_10device_ptrIfEEEEPS5_jNS1_19radix_merge_compareILb0ELb0EfNS0_19identity_decomposerEEEEE10hipError_tT0_T1_T2_jT3_P12ihipStream_tbPNSt15iterator_traitsISK_E10value_typeEPNSQ_ISL_E10value_typeEPSM_NS1_7vsmem_tEENKUlT_SK_SL_SM_E_clIPfSE_SF_SF_EESJ_SZ_SK_SL_SM_EUlSZ_E1_NS1_11comp_targetILNS1_3genE0ELNS1_11target_archE4294967295ELNS1_3gpuE0ELNS1_3repE0EEENS1_36merge_oddeven_config_static_selectorELNS0_4arch9wavefront6targetE0EEEvSL_.private_seg_size, 0
	.set _ZN7rocprim17ROCPRIM_400000_NS6detail17trampoline_kernelINS0_14default_configENS1_38merge_sort_block_merge_config_selectorIfNS0_10empty_typeEEEZZNS1_27merge_sort_block_merge_implIS3_N6thrust23THRUST_200600_302600_NS6detail15normal_iteratorINS9_10device_ptrIfEEEEPS5_jNS1_19radix_merge_compareILb0ELb0EfNS0_19identity_decomposerEEEEE10hipError_tT0_T1_T2_jT3_P12ihipStream_tbPNSt15iterator_traitsISK_E10value_typeEPNSQ_ISL_E10value_typeEPSM_NS1_7vsmem_tEENKUlT_SK_SL_SM_E_clIPfSE_SF_SF_EESJ_SZ_SK_SL_SM_EUlSZ_E1_NS1_11comp_targetILNS1_3genE0ELNS1_11target_archE4294967295ELNS1_3gpuE0ELNS1_3repE0EEENS1_36merge_oddeven_config_static_selectorELNS0_4arch9wavefront6targetE0EEEvSL_.uses_vcc, 0
	.set _ZN7rocprim17ROCPRIM_400000_NS6detail17trampoline_kernelINS0_14default_configENS1_38merge_sort_block_merge_config_selectorIfNS0_10empty_typeEEEZZNS1_27merge_sort_block_merge_implIS3_N6thrust23THRUST_200600_302600_NS6detail15normal_iteratorINS9_10device_ptrIfEEEEPS5_jNS1_19radix_merge_compareILb0ELb0EfNS0_19identity_decomposerEEEEE10hipError_tT0_T1_T2_jT3_P12ihipStream_tbPNSt15iterator_traitsISK_E10value_typeEPNSQ_ISL_E10value_typeEPSM_NS1_7vsmem_tEENKUlT_SK_SL_SM_E_clIPfSE_SF_SF_EESJ_SZ_SK_SL_SM_EUlSZ_E1_NS1_11comp_targetILNS1_3genE0ELNS1_11target_archE4294967295ELNS1_3gpuE0ELNS1_3repE0EEENS1_36merge_oddeven_config_static_selectorELNS0_4arch9wavefront6targetE0EEEvSL_.uses_flat_scratch, 0
	.set _ZN7rocprim17ROCPRIM_400000_NS6detail17trampoline_kernelINS0_14default_configENS1_38merge_sort_block_merge_config_selectorIfNS0_10empty_typeEEEZZNS1_27merge_sort_block_merge_implIS3_N6thrust23THRUST_200600_302600_NS6detail15normal_iteratorINS9_10device_ptrIfEEEEPS5_jNS1_19radix_merge_compareILb0ELb0EfNS0_19identity_decomposerEEEEE10hipError_tT0_T1_T2_jT3_P12ihipStream_tbPNSt15iterator_traitsISK_E10value_typeEPNSQ_ISL_E10value_typeEPSM_NS1_7vsmem_tEENKUlT_SK_SL_SM_E_clIPfSE_SF_SF_EESJ_SZ_SK_SL_SM_EUlSZ_E1_NS1_11comp_targetILNS1_3genE0ELNS1_11target_archE4294967295ELNS1_3gpuE0ELNS1_3repE0EEENS1_36merge_oddeven_config_static_selectorELNS0_4arch9wavefront6targetE0EEEvSL_.has_dyn_sized_stack, 0
	.set _ZN7rocprim17ROCPRIM_400000_NS6detail17trampoline_kernelINS0_14default_configENS1_38merge_sort_block_merge_config_selectorIfNS0_10empty_typeEEEZZNS1_27merge_sort_block_merge_implIS3_N6thrust23THRUST_200600_302600_NS6detail15normal_iteratorINS9_10device_ptrIfEEEEPS5_jNS1_19radix_merge_compareILb0ELb0EfNS0_19identity_decomposerEEEEE10hipError_tT0_T1_T2_jT3_P12ihipStream_tbPNSt15iterator_traitsISK_E10value_typeEPNSQ_ISL_E10value_typeEPSM_NS1_7vsmem_tEENKUlT_SK_SL_SM_E_clIPfSE_SF_SF_EESJ_SZ_SK_SL_SM_EUlSZ_E1_NS1_11comp_targetILNS1_3genE0ELNS1_11target_archE4294967295ELNS1_3gpuE0ELNS1_3repE0EEENS1_36merge_oddeven_config_static_selectorELNS0_4arch9wavefront6targetE0EEEvSL_.has_recursion, 0
	.set _ZN7rocprim17ROCPRIM_400000_NS6detail17trampoline_kernelINS0_14default_configENS1_38merge_sort_block_merge_config_selectorIfNS0_10empty_typeEEEZZNS1_27merge_sort_block_merge_implIS3_N6thrust23THRUST_200600_302600_NS6detail15normal_iteratorINS9_10device_ptrIfEEEEPS5_jNS1_19radix_merge_compareILb0ELb0EfNS0_19identity_decomposerEEEEE10hipError_tT0_T1_T2_jT3_P12ihipStream_tbPNSt15iterator_traitsISK_E10value_typeEPNSQ_ISL_E10value_typeEPSM_NS1_7vsmem_tEENKUlT_SK_SL_SM_E_clIPfSE_SF_SF_EESJ_SZ_SK_SL_SM_EUlSZ_E1_NS1_11comp_targetILNS1_3genE0ELNS1_11target_archE4294967295ELNS1_3gpuE0ELNS1_3repE0EEENS1_36merge_oddeven_config_static_selectorELNS0_4arch9wavefront6targetE0EEEvSL_.has_indirect_call, 0
	.section	.AMDGPU.csdata,"",@progbits
; Kernel info:
; codeLenInByte = 0
; TotalNumSgprs: 0
; NumVgprs: 0
; ScratchSize: 0
; MemoryBound: 0
; FloatMode: 240
; IeeeMode: 1
; LDSByteSize: 0 bytes/workgroup (compile time only)
; SGPRBlocks: 0
; VGPRBlocks: 0
; NumSGPRsForWavesPerEU: 1
; NumVGPRsForWavesPerEU: 1
; Occupancy: 16
; WaveLimiterHint : 0
; COMPUTE_PGM_RSRC2:SCRATCH_EN: 0
; COMPUTE_PGM_RSRC2:USER_SGPR: 6
; COMPUTE_PGM_RSRC2:TRAP_HANDLER: 0
; COMPUTE_PGM_RSRC2:TGID_X_EN: 1
; COMPUTE_PGM_RSRC2:TGID_Y_EN: 0
; COMPUTE_PGM_RSRC2:TGID_Z_EN: 0
; COMPUTE_PGM_RSRC2:TIDIG_COMP_CNT: 0
	.section	.text._ZN7rocprim17ROCPRIM_400000_NS6detail17trampoline_kernelINS0_14default_configENS1_38merge_sort_block_merge_config_selectorIfNS0_10empty_typeEEEZZNS1_27merge_sort_block_merge_implIS3_N6thrust23THRUST_200600_302600_NS6detail15normal_iteratorINS9_10device_ptrIfEEEEPS5_jNS1_19radix_merge_compareILb0ELb0EfNS0_19identity_decomposerEEEEE10hipError_tT0_T1_T2_jT3_P12ihipStream_tbPNSt15iterator_traitsISK_E10value_typeEPNSQ_ISL_E10value_typeEPSM_NS1_7vsmem_tEENKUlT_SK_SL_SM_E_clIPfSE_SF_SF_EESJ_SZ_SK_SL_SM_EUlSZ_E1_NS1_11comp_targetILNS1_3genE10ELNS1_11target_archE1201ELNS1_3gpuE5ELNS1_3repE0EEENS1_36merge_oddeven_config_static_selectorELNS0_4arch9wavefront6targetE0EEEvSL_,"axG",@progbits,_ZN7rocprim17ROCPRIM_400000_NS6detail17trampoline_kernelINS0_14default_configENS1_38merge_sort_block_merge_config_selectorIfNS0_10empty_typeEEEZZNS1_27merge_sort_block_merge_implIS3_N6thrust23THRUST_200600_302600_NS6detail15normal_iteratorINS9_10device_ptrIfEEEEPS5_jNS1_19radix_merge_compareILb0ELb0EfNS0_19identity_decomposerEEEEE10hipError_tT0_T1_T2_jT3_P12ihipStream_tbPNSt15iterator_traitsISK_E10value_typeEPNSQ_ISL_E10value_typeEPSM_NS1_7vsmem_tEENKUlT_SK_SL_SM_E_clIPfSE_SF_SF_EESJ_SZ_SK_SL_SM_EUlSZ_E1_NS1_11comp_targetILNS1_3genE10ELNS1_11target_archE1201ELNS1_3gpuE5ELNS1_3repE0EEENS1_36merge_oddeven_config_static_selectorELNS0_4arch9wavefront6targetE0EEEvSL_,comdat
	.protected	_ZN7rocprim17ROCPRIM_400000_NS6detail17trampoline_kernelINS0_14default_configENS1_38merge_sort_block_merge_config_selectorIfNS0_10empty_typeEEEZZNS1_27merge_sort_block_merge_implIS3_N6thrust23THRUST_200600_302600_NS6detail15normal_iteratorINS9_10device_ptrIfEEEEPS5_jNS1_19radix_merge_compareILb0ELb0EfNS0_19identity_decomposerEEEEE10hipError_tT0_T1_T2_jT3_P12ihipStream_tbPNSt15iterator_traitsISK_E10value_typeEPNSQ_ISL_E10value_typeEPSM_NS1_7vsmem_tEENKUlT_SK_SL_SM_E_clIPfSE_SF_SF_EESJ_SZ_SK_SL_SM_EUlSZ_E1_NS1_11comp_targetILNS1_3genE10ELNS1_11target_archE1201ELNS1_3gpuE5ELNS1_3repE0EEENS1_36merge_oddeven_config_static_selectorELNS0_4arch9wavefront6targetE0EEEvSL_ ; -- Begin function _ZN7rocprim17ROCPRIM_400000_NS6detail17trampoline_kernelINS0_14default_configENS1_38merge_sort_block_merge_config_selectorIfNS0_10empty_typeEEEZZNS1_27merge_sort_block_merge_implIS3_N6thrust23THRUST_200600_302600_NS6detail15normal_iteratorINS9_10device_ptrIfEEEEPS5_jNS1_19radix_merge_compareILb0ELb0EfNS0_19identity_decomposerEEEEE10hipError_tT0_T1_T2_jT3_P12ihipStream_tbPNSt15iterator_traitsISK_E10value_typeEPNSQ_ISL_E10value_typeEPSM_NS1_7vsmem_tEENKUlT_SK_SL_SM_E_clIPfSE_SF_SF_EESJ_SZ_SK_SL_SM_EUlSZ_E1_NS1_11comp_targetILNS1_3genE10ELNS1_11target_archE1201ELNS1_3gpuE5ELNS1_3repE0EEENS1_36merge_oddeven_config_static_selectorELNS0_4arch9wavefront6targetE0EEEvSL_
	.globl	_ZN7rocprim17ROCPRIM_400000_NS6detail17trampoline_kernelINS0_14default_configENS1_38merge_sort_block_merge_config_selectorIfNS0_10empty_typeEEEZZNS1_27merge_sort_block_merge_implIS3_N6thrust23THRUST_200600_302600_NS6detail15normal_iteratorINS9_10device_ptrIfEEEEPS5_jNS1_19radix_merge_compareILb0ELb0EfNS0_19identity_decomposerEEEEE10hipError_tT0_T1_T2_jT3_P12ihipStream_tbPNSt15iterator_traitsISK_E10value_typeEPNSQ_ISL_E10value_typeEPSM_NS1_7vsmem_tEENKUlT_SK_SL_SM_E_clIPfSE_SF_SF_EESJ_SZ_SK_SL_SM_EUlSZ_E1_NS1_11comp_targetILNS1_3genE10ELNS1_11target_archE1201ELNS1_3gpuE5ELNS1_3repE0EEENS1_36merge_oddeven_config_static_selectorELNS0_4arch9wavefront6targetE0EEEvSL_
	.p2align	8
	.type	_ZN7rocprim17ROCPRIM_400000_NS6detail17trampoline_kernelINS0_14default_configENS1_38merge_sort_block_merge_config_selectorIfNS0_10empty_typeEEEZZNS1_27merge_sort_block_merge_implIS3_N6thrust23THRUST_200600_302600_NS6detail15normal_iteratorINS9_10device_ptrIfEEEEPS5_jNS1_19radix_merge_compareILb0ELb0EfNS0_19identity_decomposerEEEEE10hipError_tT0_T1_T2_jT3_P12ihipStream_tbPNSt15iterator_traitsISK_E10value_typeEPNSQ_ISL_E10value_typeEPSM_NS1_7vsmem_tEENKUlT_SK_SL_SM_E_clIPfSE_SF_SF_EESJ_SZ_SK_SL_SM_EUlSZ_E1_NS1_11comp_targetILNS1_3genE10ELNS1_11target_archE1201ELNS1_3gpuE5ELNS1_3repE0EEENS1_36merge_oddeven_config_static_selectorELNS0_4arch9wavefront6targetE0EEEvSL_,@function
_ZN7rocprim17ROCPRIM_400000_NS6detail17trampoline_kernelINS0_14default_configENS1_38merge_sort_block_merge_config_selectorIfNS0_10empty_typeEEEZZNS1_27merge_sort_block_merge_implIS3_N6thrust23THRUST_200600_302600_NS6detail15normal_iteratorINS9_10device_ptrIfEEEEPS5_jNS1_19radix_merge_compareILb0ELb0EfNS0_19identity_decomposerEEEEE10hipError_tT0_T1_T2_jT3_P12ihipStream_tbPNSt15iterator_traitsISK_E10value_typeEPNSQ_ISL_E10value_typeEPSM_NS1_7vsmem_tEENKUlT_SK_SL_SM_E_clIPfSE_SF_SF_EESJ_SZ_SK_SL_SM_EUlSZ_E1_NS1_11comp_targetILNS1_3genE10ELNS1_11target_archE1201ELNS1_3gpuE5ELNS1_3repE0EEENS1_36merge_oddeven_config_static_selectorELNS0_4arch9wavefront6targetE0EEEvSL_: ; @_ZN7rocprim17ROCPRIM_400000_NS6detail17trampoline_kernelINS0_14default_configENS1_38merge_sort_block_merge_config_selectorIfNS0_10empty_typeEEEZZNS1_27merge_sort_block_merge_implIS3_N6thrust23THRUST_200600_302600_NS6detail15normal_iteratorINS9_10device_ptrIfEEEEPS5_jNS1_19radix_merge_compareILb0ELb0EfNS0_19identity_decomposerEEEEE10hipError_tT0_T1_T2_jT3_P12ihipStream_tbPNSt15iterator_traitsISK_E10value_typeEPNSQ_ISL_E10value_typeEPSM_NS1_7vsmem_tEENKUlT_SK_SL_SM_E_clIPfSE_SF_SF_EESJ_SZ_SK_SL_SM_EUlSZ_E1_NS1_11comp_targetILNS1_3genE10ELNS1_11target_archE1201ELNS1_3gpuE5ELNS1_3repE0EEENS1_36merge_oddeven_config_static_selectorELNS0_4arch9wavefront6targetE0EEEvSL_
; %bb.0:
	.section	.rodata,"a",@progbits
	.p2align	6, 0x0
	.amdhsa_kernel _ZN7rocprim17ROCPRIM_400000_NS6detail17trampoline_kernelINS0_14default_configENS1_38merge_sort_block_merge_config_selectorIfNS0_10empty_typeEEEZZNS1_27merge_sort_block_merge_implIS3_N6thrust23THRUST_200600_302600_NS6detail15normal_iteratorINS9_10device_ptrIfEEEEPS5_jNS1_19radix_merge_compareILb0ELb0EfNS0_19identity_decomposerEEEEE10hipError_tT0_T1_T2_jT3_P12ihipStream_tbPNSt15iterator_traitsISK_E10value_typeEPNSQ_ISL_E10value_typeEPSM_NS1_7vsmem_tEENKUlT_SK_SL_SM_E_clIPfSE_SF_SF_EESJ_SZ_SK_SL_SM_EUlSZ_E1_NS1_11comp_targetILNS1_3genE10ELNS1_11target_archE1201ELNS1_3gpuE5ELNS1_3repE0EEENS1_36merge_oddeven_config_static_selectorELNS0_4arch9wavefront6targetE0EEEvSL_
		.amdhsa_group_segment_fixed_size 0
		.amdhsa_private_segment_fixed_size 0
		.amdhsa_kernarg_size 48
		.amdhsa_user_sgpr_count 6
		.amdhsa_user_sgpr_private_segment_buffer 1
		.amdhsa_user_sgpr_dispatch_ptr 0
		.amdhsa_user_sgpr_queue_ptr 0
		.amdhsa_user_sgpr_kernarg_segment_ptr 1
		.amdhsa_user_sgpr_dispatch_id 0
		.amdhsa_user_sgpr_flat_scratch_init 0
		.amdhsa_user_sgpr_private_segment_size 0
		.amdhsa_wavefront_size32 1
		.amdhsa_uses_dynamic_stack 0
		.amdhsa_system_sgpr_private_segment_wavefront_offset 0
		.amdhsa_system_sgpr_workgroup_id_x 1
		.amdhsa_system_sgpr_workgroup_id_y 0
		.amdhsa_system_sgpr_workgroup_id_z 0
		.amdhsa_system_sgpr_workgroup_info 0
		.amdhsa_system_vgpr_workitem_id 0
		.amdhsa_next_free_vgpr 1
		.amdhsa_next_free_sgpr 1
		.amdhsa_reserve_vcc 0
		.amdhsa_reserve_flat_scratch 0
		.amdhsa_float_round_mode_32 0
		.amdhsa_float_round_mode_16_64 0
		.amdhsa_float_denorm_mode_32 3
		.amdhsa_float_denorm_mode_16_64 3
		.amdhsa_dx10_clamp 1
		.amdhsa_ieee_mode 1
		.amdhsa_fp16_overflow 0
		.amdhsa_workgroup_processor_mode 1
		.amdhsa_memory_ordered 1
		.amdhsa_forward_progress 1
		.amdhsa_shared_vgpr_count 0
		.amdhsa_exception_fp_ieee_invalid_op 0
		.amdhsa_exception_fp_denorm_src 0
		.amdhsa_exception_fp_ieee_div_zero 0
		.amdhsa_exception_fp_ieee_overflow 0
		.amdhsa_exception_fp_ieee_underflow 0
		.amdhsa_exception_fp_ieee_inexact 0
		.amdhsa_exception_int_div_zero 0
	.end_amdhsa_kernel
	.section	.text._ZN7rocprim17ROCPRIM_400000_NS6detail17trampoline_kernelINS0_14default_configENS1_38merge_sort_block_merge_config_selectorIfNS0_10empty_typeEEEZZNS1_27merge_sort_block_merge_implIS3_N6thrust23THRUST_200600_302600_NS6detail15normal_iteratorINS9_10device_ptrIfEEEEPS5_jNS1_19radix_merge_compareILb0ELb0EfNS0_19identity_decomposerEEEEE10hipError_tT0_T1_T2_jT3_P12ihipStream_tbPNSt15iterator_traitsISK_E10value_typeEPNSQ_ISL_E10value_typeEPSM_NS1_7vsmem_tEENKUlT_SK_SL_SM_E_clIPfSE_SF_SF_EESJ_SZ_SK_SL_SM_EUlSZ_E1_NS1_11comp_targetILNS1_3genE10ELNS1_11target_archE1201ELNS1_3gpuE5ELNS1_3repE0EEENS1_36merge_oddeven_config_static_selectorELNS0_4arch9wavefront6targetE0EEEvSL_,"axG",@progbits,_ZN7rocprim17ROCPRIM_400000_NS6detail17trampoline_kernelINS0_14default_configENS1_38merge_sort_block_merge_config_selectorIfNS0_10empty_typeEEEZZNS1_27merge_sort_block_merge_implIS3_N6thrust23THRUST_200600_302600_NS6detail15normal_iteratorINS9_10device_ptrIfEEEEPS5_jNS1_19radix_merge_compareILb0ELb0EfNS0_19identity_decomposerEEEEE10hipError_tT0_T1_T2_jT3_P12ihipStream_tbPNSt15iterator_traitsISK_E10value_typeEPNSQ_ISL_E10value_typeEPSM_NS1_7vsmem_tEENKUlT_SK_SL_SM_E_clIPfSE_SF_SF_EESJ_SZ_SK_SL_SM_EUlSZ_E1_NS1_11comp_targetILNS1_3genE10ELNS1_11target_archE1201ELNS1_3gpuE5ELNS1_3repE0EEENS1_36merge_oddeven_config_static_selectorELNS0_4arch9wavefront6targetE0EEEvSL_,comdat
.Lfunc_end492:
	.size	_ZN7rocprim17ROCPRIM_400000_NS6detail17trampoline_kernelINS0_14default_configENS1_38merge_sort_block_merge_config_selectorIfNS0_10empty_typeEEEZZNS1_27merge_sort_block_merge_implIS3_N6thrust23THRUST_200600_302600_NS6detail15normal_iteratorINS9_10device_ptrIfEEEEPS5_jNS1_19radix_merge_compareILb0ELb0EfNS0_19identity_decomposerEEEEE10hipError_tT0_T1_T2_jT3_P12ihipStream_tbPNSt15iterator_traitsISK_E10value_typeEPNSQ_ISL_E10value_typeEPSM_NS1_7vsmem_tEENKUlT_SK_SL_SM_E_clIPfSE_SF_SF_EESJ_SZ_SK_SL_SM_EUlSZ_E1_NS1_11comp_targetILNS1_3genE10ELNS1_11target_archE1201ELNS1_3gpuE5ELNS1_3repE0EEENS1_36merge_oddeven_config_static_selectorELNS0_4arch9wavefront6targetE0EEEvSL_, .Lfunc_end492-_ZN7rocprim17ROCPRIM_400000_NS6detail17trampoline_kernelINS0_14default_configENS1_38merge_sort_block_merge_config_selectorIfNS0_10empty_typeEEEZZNS1_27merge_sort_block_merge_implIS3_N6thrust23THRUST_200600_302600_NS6detail15normal_iteratorINS9_10device_ptrIfEEEEPS5_jNS1_19radix_merge_compareILb0ELb0EfNS0_19identity_decomposerEEEEE10hipError_tT0_T1_T2_jT3_P12ihipStream_tbPNSt15iterator_traitsISK_E10value_typeEPNSQ_ISL_E10value_typeEPSM_NS1_7vsmem_tEENKUlT_SK_SL_SM_E_clIPfSE_SF_SF_EESJ_SZ_SK_SL_SM_EUlSZ_E1_NS1_11comp_targetILNS1_3genE10ELNS1_11target_archE1201ELNS1_3gpuE5ELNS1_3repE0EEENS1_36merge_oddeven_config_static_selectorELNS0_4arch9wavefront6targetE0EEEvSL_
                                        ; -- End function
	.set _ZN7rocprim17ROCPRIM_400000_NS6detail17trampoline_kernelINS0_14default_configENS1_38merge_sort_block_merge_config_selectorIfNS0_10empty_typeEEEZZNS1_27merge_sort_block_merge_implIS3_N6thrust23THRUST_200600_302600_NS6detail15normal_iteratorINS9_10device_ptrIfEEEEPS5_jNS1_19radix_merge_compareILb0ELb0EfNS0_19identity_decomposerEEEEE10hipError_tT0_T1_T2_jT3_P12ihipStream_tbPNSt15iterator_traitsISK_E10value_typeEPNSQ_ISL_E10value_typeEPSM_NS1_7vsmem_tEENKUlT_SK_SL_SM_E_clIPfSE_SF_SF_EESJ_SZ_SK_SL_SM_EUlSZ_E1_NS1_11comp_targetILNS1_3genE10ELNS1_11target_archE1201ELNS1_3gpuE5ELNS1_3repE0EEENS1_36merge_oddeven_config_static_selectorELNS0_4arch9wavefront6targetE0EEEvSL_.num_vgpr, 0
	.set _ZN7rocprim17ROCPRIM_400000_NS6detail17trampoline_kernelINS0_14default_configENS1_38merge_sort_block_merge_config_selectorIfNS0_10empty_typeEEEZZNS1_27merge_sort_block_merge_implIS3_N6thrust23THRUST_200600_302600_NS6detail15normal_iteratorINS9_10device_ptrIfEEEEPS5_jNS1_19radix_merge_compareILb0ELb0EfNS0_19identity_decomposerEEEEE10hipError_tT0_T1_T2_jT3_P12ihipStream_tbPNSt15iterator_traitsISK_E10value_typeEPNSQ_ISL_E10value_typeEPSM_NS1_7vsmem_tEENKUlT_SK_SL_SM_E_clIPfSE_SF_SF_EESJ_SZ_SK_SL_SM_EUlSZ_E1_NS1_11comp_targetILNS1_3genE10ELNS1_11target_archE1201ELNS1_3gpuE5ELNS1_3repE0EEENS1_36merge_oddeven_config_static_selectorELNS0_4arch9wavefront6targetE0EEEvSL_.num_agpr, 0
	.set _ZN7rocprim17ROCPRIM_400000_NS6detail17trampoline_kernelINS0_14default_configENS1_38merge_sort_block_merge_config_selectorIfNS0_10empty_typeEEEZZNS1_27merge_sort_block_merge_implIS3_N6thrust23THRUST_200600_302600_NS6detail15normal_iteratorINS9_10device_ptrIfEEEEPS5_jNS1_19radix_merge_compareILb0ELb0EfNS0_19identity_decomposerEEEEE10hipError_tT0_T1_T2_jT3_P12ihipStream_tbPNSt15iterator_traitsISK_E10value_typeEPNSQ_ISL_E10value_typeEPSM_NS1_7vsmem_tEENKUlT_SK_SL_SM_E_clIPfSE_SF_SF_EESJ_SZ_SK_SL_SM_EUlSZ_E1_NS1_11comp_targetILNS1_3genE10ELNS1_11target_archE1201ELNS1_3gpuE5ELNS1_3repE0EEENS1_36merge_oddeven_config_static_selectorELNS0_4arch9wavefront6targetE0EEEvSL_.numbered_sgpr, 0
	.set _ZN7rocprim17ROCPRIM_400000_NS6detail17trampoline_kernelINS0_14default_configENS1_38merge_sort_block_merge_config_selectorIfNS0_10empty_typeEEEZZNS1_27merge_sort_block_merge_implIS3_N6thrust23THRUST_200600_302600_NS6detail15normal_iteratorINS9_10device_ptrIfEEEEPS5_jNS1_19radix_merge_compareILb0ELb0EfNS0_19identity_decomposerEEEEE10hipError_tT0_T1_T2_jT3_P12ihipStream_tbPNSt15iterator_traitsISK_E10value_typeEPNSQ_ISL_E10value_typeEPSM_NS1_7vsmem_tEENKUlT_SK_SL_SM_E_clIPfSE_SF_SF_EESJ_SZ_SK_SL_SM_EUlSZ_E1_NS1_11comp_targetILNS1_3genE10ELNS1_11target_archE1201ELNS1_3gpuE5ELNS1_3repE0EEENS1_36merge_oddeven_config_static_selectorELNS0_4arch9wavefront6targetE0EEEvSL_.num_named_barrier, 0
	.set _ZN7rocprim17ROCPRIM_400000_NS6detail17trampoline_kernelINS0_14default_configENS1_38merge_sort_block_merge_config_selectorIfNS0_10empty_typeEEEZZNS1_27merge_sort_block_merge_implIS3_N6thrust23THRUST_200600_302600_NS6detail15normal_iteratorINS9_10device_ptrIfEEEEPS5_jNS1_19radix_merge_compareILb0ELb0EfNS0_19identity_decomposerEEEEE10hipError_tT0_T1_T2_jT3_P12ihipStream_tbPNSt15iterator_traitsISK_E10value_typeEPNSQ_ISL_E10value_typeEPSM_NS1_7vsmem_tEENKUlT_SK_SL_SM_E_clIPfSE_SF_SF_EESJ_SZ_SK_SL_SM_EUlSZ_E1_NS1_11comp_targetILNS1_3genE10ELNS1_11target_archE1201ELNS1_3gpuE5ELNS1_3repE0EEENS1_36merge_oddeven_config_static_selectorELNS0_4arch9wavefront6targetE0EEEvSL_.private_seg_size, 0
	.set _ZN7rocprim17ROCPRIM_400000_NS6detail17trampoline_kernelINS0_14default_configENS1_38merge_sort_block_merge_config_selectorIfNS0_10empty_typeEEEZZNS1_27merge_sort_block_merge_implIS3_N6thrust23THRUST_200600_302600_NS6detail15normal_iteratorINS9_10device_ptrIfEEEEPS5_jNS1_19radix_merge_compareILb0ELb0EfNS0_19identity_decomposerEEEEE10hipError_tT0_T1_T2_jT3_P12ihipStream_tbPNSt15iterator_traitsISK_E10value_typeEPNSQ_ISL_E10value_typeEPSM_NS1_7vsmem_tEENKUlT_SK_SL_SM_E_clIPfSE_SF_SF_EESJ_SZ_SK_SL_SM_EUlSZ_E1_NS1_11comp_targetILNS1_3genE10ELNS1_11target_archE1201ELNS1_3gpuE5ELNS1_3repE0EEENS1_36merge_oddeven_config_static_selectorELNS0_4arch9wavefront6targetE0EEEvSL_.uses_vcc, 0
	.set _ZN7rocprim17ROCPRIM_400000_NS6detail17trampoline_kernelINS0_14default_configENS1_38merge_sort_block_merge_config_selectorIfNS0_10empty_typeEEEZZNS1_27merge_sort_block_merge_implIS3_N6thrust23THRUST_200600_302600_NS6detail15normal_iteratorINS9_10device_ptrIfEEEEPS5_jNS1_19radix_merge_compareILb0ELb0EfNS0_19identity_decomposerEEEEE10hipError_tT0_T1_T2_jT3_P12ihipStream_tbPNSt15iterator_traitsISK_E10value_typeEPNSQ_ISL_E10value_typeEPSM_NS1_7vsmem_tEENKUlT_SK_SL_SM_E_clIPfSE_SF_SF_EESJ_SZ_SK_SL_SM_EUlSZ_E1_NS1_11comp_targetILNS1_3genE10ELNS1_11target_archE1201ELNS1_3gpuE5ELNS1_3repE0EEENS1_36merge_oddeven_config_static_selectorELNS0_4arch9wavefront6targetE0EEEvSL_.uses_flat_scratch, 0
	.set _ZN7rocprim17ROCPRIM_400000_NS6detail17trampoline_kernelINS0_14default_configENS1_38merge_sort_block_merge_config_selectorIfNS0_10empty_typeEEEZZNS1_27merge_sort_block_merge_implIS3_N6thrust23THRUST_200600_302600_NS6detail15normal_iteratorINS9_10device_ptrIfEEEEPS5_jNS1_19radix_merge_compareILb0ELb0EfNS0_19identity_decomposerEEEEE10hipError_tT0_T1_T2_jT3_P12ihipStream_tbPNSt15iterator_traitsISK_E10value_typeEPNSQ_ISL_E10value_typeEPSM_NS1_7vsmem_tEENKUlT_SK_SL_SM_E_clIPfSE_SF_SF_EESJ_SZ_SK_SL_SM_EUlSZ_E1_NS1_11comp_targetILNS1_3genE10ELNS1_11target_archE1201ELNS1_3gpuE5ELNS1_3repE0EEENS1_36merge_oddeven_config_static_selectorELNS0_4arch9wavefront6targetE0EEEvSL_.has_dyn_sized_stack, 0
	.set _ZN7rocprim17ROCPRIM_400000_NS6detail17trampoline_kernelINS0_14default_configENS1_38merge_sort_block_merge_config_selectorIfNS0_10empty_typeEEEZZNS1_27merge_sort_block_merge_implIS3_N6thrust23THRUST_200600_302600_NS6detail15normal_iteratorINS9_10device_ptrIfEEEEPS5_jNS1_19radix_merge_compareILb0ELb0EfNS0_19identity_decomposerEEEEE10hipError_tT0_T1_T2_jT3_P12ihipStream_tbPNSt15iterator_traitsISK_E10value_typeEPNSQ_ISL_E10value_typeEPSM_NS1_7vsmem_tEENKUlT_SK_SL_SM_E_clIPfSE_SF_SF_EESJ_SZ_SK_SL_SM_EUlSZ_E1_NS1_11comp_targetILNS1_3genE10ELNS1_11target_archE1201ELNS1_3gpuE5ELNS1_3repE0EEENS1_36merge_oddeven_config_static_selectorELNS0_4arch9wavefront6targetE0EEEvSL_.has_recursion, 0
	.set _ZN7rocprim17ROCPRIM_400000_NS6detail17trampoline_kernelINS0_14default_configENS1_38merge_sort_block_merge_config_selectorIfNS0_10empty_typeEEEZZNS1_27merge_sort_block_merge_implIS3_N6thrust23THRUST_200600_302600_NS6detail15normal_iteratorINS9_10device_ptrIfEEEEPS5_jNS1_19radix_merge_compareILb0ELb0EfNS0_19identity_decomposerEEEEE10hipError_tT0_T1_T2_jT3_P12ihipStream_tbPNSt15iterator_traitsISK_E10value_typeEPNSQ_ISL_E10value_typeEPSM_NS1_7vsmem_tEENKUlT_SK_SL_SM_E_clIPfSE_SF_SF_EESJ_SZ_SK_SL_SM_EUlSZ_E1_NS1_11comp_targetILNS1_3genE10ELNS1_11target_archE1201ELNS1_3gpuE5ELNS1_3repE0EEENS1_36merge_oddeven_config_static_selectorELNS0_4arch9wavefront6targetE0EEEvSL_.has_indirect_call, 0
	.section	.AMDGPU.csdata,"",@progbits
; Kernel info:
; codeLenInByte = 0
; TotalNumSgprs: 0
; NumVgprs: 0
; ScratchSize: 0
; MemoryBound: 0
; FloatMode: 240
; IeeeMode: 1
; LDSByteSize: 0 bytes/workgroup (compile time only)
; SGPRBlocks: 0
; VGPRBlocks: 0
; NumSGPRsForWavesPerEU: 1
; NumVGPRsForWavesPerEU: 1
; Occupancy: 16
; WaveLimiterHint : 0
; COMPUTE_PGM_RSRC2:SCRATCH_EN: 0
; COMPUTE_PGM_RSRC2:USER_SGPR: 6
; COMPUTE_PGM_RSRC2:TRAP_HANDLER: 0
; COMPUTE_PGM_RSRC2:TGID_X_EN: 1
; COMPUTE_PGM_RSRC2:TGID_Y_EN: 0
; COMPUTE_PGM_RSRC2:TGID_Z_EN: 0
; COMPUTE_PGM_RSRC2:TIDIG_COMP_CNT: 0
	.section	.text._ZN7rocprim17ROCPRIM_400000_NS6detail17trampoline_kernelINS0_14default_configENS1_38merge_sort_block_merge_config_selectorIfNS0_10empty_typeEEEZZNS1_27merge_sort_block_merge_implIS3_N6thrust23THRUST_200600_302600_NS6detail15normal_iteratorINS9_10device_ptrIfEEEEPS5_jNS1_19radix_merge_compareILb0ELb0EfNS0_19identity_decomposerEEEEE10hipError_tT0_T1_T2_jT3_P12ihipStream_tbPNSt15iterator_traitsISK_E10value_typeEPNSQ_ISL_E10value_typeEPSM_NS1_7vsmem_tEENKUlT_SK_SL_SM_E_clIPfSE_SF_SF_EESJ_SZ_SK_SL_SM_EUlSZ_E1_NS1_11comp_targetILNS1_3genE5ELNS1_11target_archE942ELNS1_3gpuE9ELNS1_3repE0EEENS1_36merge_oddeven_config_static_selectorELNS0_4arch9wavefront6targetE0EEEvSL_,"axG",@progbits,_ZN7rocprim17ROCPRIM_400000_NS6detail17trampoline_kernelINS0_14default_configENS1_38merge_sort_block_merge_config_selectorIfNS0_10empty_typeEEEZZNS1_27merge_sort_block_merge_implIS3_N6thrust23THRUST_200600_302600_NS6detail15normal_iteratorINS9_10device_ptrIfEEEEPS5_jNS1_19radix_merge_compareILb0ELb0EfNS0_19identity_decomposerEEEEE10hipError_tT0_T1_T2_jT3_P12ihipStream_tbPNSt15iterator_traitsISK_E10value_typeEPNSQ_ISL_E10value_typeEPSM_NS1_7vsmem_tEENKUlT_SK_SL_SM_E_clIPfSE_SF_SF_EESJ_SZ_SK_SL_SM_EUlSZ_E1_NS1_11comp_targetILNS1_3genE5ELNS1_11target_archE942ELNS1_3gpuE9ELNS1_3repE0EEENS1_36merge_oddeven_config_static_selectorELNS0_4arch9wavefront6targetE0EEEvSL_,comdat
	.protected	_ZN7rocprim17ROCPRIM_400000_NS6detail17trampoline_kernelINS0_14default_configENS1_38merge_sort_block_merge_config_selectorIfNS0_10empty_typeEEEZZNS1_27merge_sort_block_merge_implIS3_N6thrust23THRUST_200600_302600_NS6detail15normal_iteratorINS9_10device_ptrIfEEEEPS5_jNS1_19radix_merge_compareILb0ELb0EfNS0_19identity_decomposerEEEEE10hipError_tT0_T1_T2_jT3_P12ihipStream_tbPNSt15iterator_traitsISK_E10value_typeEPNSQ_ISL_E10value_typeEPSM_NS1_7vsmem_tEENKUlT_SK_SL_SM_E_clIPfSE_SF_SF_EESJ_SZ_SK_SL_SM_EUlSZ_E1_NS1_11comp_targetILNS1_3genE5ELNS1_11target_archE942ELNS1_3gpuE9ELNS1_3repE0EEENS1_36merge_oddeven_config_static_selectorELNS0_4arch9wavefront6targetE0EEEvSL_ ; -- Begin function _ZN7rocprim17ROCPRIM_400000_NS6detail17trampoline_kernelINS0_14default_configENS1_38merge_sort_block_merge_config_selectorIfNS0_10empty_typeEEEZZNS1_27merge_sort_block_merge_implIS3_N6thrust23THRUST_200600_302600_NS6detail15normal_iteratorINS9_10device_ptrIfEEEEPS5_jNS1_19radix_merge_compareILb0ELb0EfNS0_19identity_decomposerEEEEE10hipError_tT0_T1_T2_jT3_P12ihipStream_tbPNSt15iterator_traitsISK_E10value_typeEPNSQ_ISL_E10value_typeEPSM_NS1_7vsmem_tEENKUlT_SK_SL_SM_E_clIPfSE_SF_SF_EESJ_SZ_SK_SL_SM_EUlSZ_E1_NS1_11comp_targetILNS1_3genE5ELNS1_11target_archE942ELNS1_3gpuE9ELNS1_3repE0EEENS1_36merge_oddeven_config_static_selectorELNS0_4arch9wavefront6targetE0EEEvSL_
	.globl	_ZN7rocprim17ROCPRIM_400000_NS6detail17trampoline_kernelINS0_14default_configENS1_38merge_sort_block_merge_config_selectorIfNS0_10empty_typeEEEZZNS1_27merge_sort_block_merge_implIS3_N6thrust23THRUST_200600_302600_NS6detail15normal_iteratorINS9_10device_ptrIfEEEEPS5_jNS1_19radix_merge_compareILb0ELb0EfNS0_19identity_decomposerEEEEE10hipError_tT0_T1_T2_jT3_P12ihipStream_tbPNSt15iterator_traitsISK_E10value_typeEPNSQ_ISL_E10value_typeEPSM_NS1_7vsmem_tEENKUlT_SK_SL_SM_E_clIPfSE_SF_SF_EESJ_SZ_SK_SL_SM_EUlSZ_E1_NS1_11comp_targetILNS1_3genE5ELNS1_11target_archE942ELNS1_3gpuE9ELNS1_3repE0EEENS1_36merge_oddeven_config_static_selectorELNS0_4arch9wavefront6targetE0EEEvSL_
	.p2align	8
	.type	_ZN7rocprim17ROCPRIM_400000_NS6detail17trampoline_kernelINS0_14default_configENS1_38merge_sort_block_merge_config_selectorIfNS0_10empty_typeEEEZZNS1_27merge_sort_block_merge_implIS3_N6thrust23THRUST_200600_302600_NS6detail15normal_iteratorINS9_10device_ptrIfEEEEPS5_jNS1_19radix_merge_compareILb0ELb0EfNS0_19identity_decomposerEEEEE10hipError_tT0_T1_T2_jT3_P12ihipStream_tbPNSt15iterator_traitsISK_E10value_typeEPNSQ_ISL_E10value_typeEPSM_NS1_7vsmem_tEENKUlT_SK_SL_SM_E_clIPfSE_SF_SF_EESJ_SZ_SK_SL_SM_EUlSZ_E1_NS1_11comp_targetILNS1_3genE5ELNS1_11target_archE942ELNS1_3gpuE9ELNS1_3repE0EEENS1_36merge_oddeven_config_static_selectorELNS0_4arch9wavefront6targetE0EEEvSL_,@function
_ZN7rocprim17ROCPRIM_400000_NS6detail17trampoline_kernelINS0_14default_configENS1_38merge_sort_block_merge_config_selectorIfNS0_10empty_typeEEEZZNS1_27merge_sort_block_merge_implIS3_N6thrust23THRUST_200600_302600_NS6detail15normal_iteratorINS9_10device_ptrIfEEEEPS5_jNS1_19radix_merge_compareILb0ELb0EfNS0_19identity_decomposerEEEEE10hipError_tT0_T1_T2_jT3_P12ihipStream_tbPNSt15iterator_traitsISK_E10value_typeEPNSQ_ISL_E10value_typeEPSM_NS1_7vsmem_tEENKUlT_SK_SL_SM_E_clIPfSE_SF_SF_EESJ_SZ_SK_SL_SM_EUlSZ_E1_NS1_11comp_targetILNS1_3genE5ELNS1_11target_archE942ELNS1_3gpuE9ELNS1_3repE0EEENS1_36merge_oddeven_config_static_selectorELNS0_4arch9wavefront6targetE0EEEvSL_: ; @_ZN7rocprim17ROCPRIM_400000_NS6detail17trampoline_kernelINS0_14default_configENS1_38merge_sort_block_merge_config_selectorIfNS0_10empty_typeEEEZZNS1_27merge_sort_block_merge_implIS3_N6thrust23THRUST_200600_302600_NS6detail15normal_iteratorINS9_10device_ptrIfEEEEPS5_jNS1_19radix_merge_compareILb0ELb0EfNS0_19identity_decomposerEEEEE10hipError_tT0_T1_T2_jT3_P12ihipStream_tbPNSt15iterator_traitsISK_E10value_typeEPNSQ_ISL_E10value_typeEPSM_NS1_7vsmem_tEENKUlT_SK_SL_SM_E_clIPfSE_SF_SF_EESJ_SZ_SK_SL_SM_EUlSZ_E1_NS1_11comp_targetILNS1_3genE5ELNS1_11target_archE942ELNS1_3gpuE9ELNS1_3repE0EEENS1_36merge_oddeven_config_static_selectorELNS0_4arch9wavefront6targetE0EEEvSL_
; %bb.0:
	.section	.rodata,"a",@progbits
	.p2align	6, 0x0
	.amdhsa_kernel _ZN7rocprim17ROCPRIM_400000_NS6detail17trampoline_kernelINS0_14default_configENS1_38merge_sort_block_merge_config_selectorIfNS0_10empty_typeEEEZZNS1_27merge_sort_block_merge_implIS3_N6thrust23THRUST_200600_302600_NS6detail15normal_iteratorINS9_10device_ptrIfEEEEPS5_jNS1_19radix_merge_compareILb0ELb0EfNS0_19identity_decomposerEEEEE10hipError_tT0_T1_T2_jT3_P12ihipStream_tbPNSt15iterator_traitsISK_E10value_typeEPNSQ_ISL_E10value_typeEPSM_NS1_7vsmem_tEENKUlT_SK_SL_SM_E_clIPfSE_SF_SF_EESJ_SZ_SK_SL_SM_EUlSZ_E1_NS1_11comp_targetILNS1_3genE5ELNS1_11target_archE942ELNS1_3gpuE9ELNS1_3repE0EEENS1_36merge_oddeven_config_static_selectorELNS0_4arch9wavefront6targetE0EEEvSL_
		.amdhsa_group_segment_fixed_size 0
		.amdhsa_private_segment_fixed_size 0
		.amdhsa_kernarg_size 48
		.amdhsa_user_sgpr_count 6
		.amdhsa_user_sgpr_private_segment_buffer 1
		.amdhsa_user_sgpr_dispatch_ptr 0
		.amdhsa_user_sgpr_queue_ptr 0
		.amdhsa_user_sgpr_kernarg_segment_ptr 1
		.amdhsa_user_sgpr_dispatch_id 0
		.amdhsa_user_sgpr_flat_scratch_init 0
		.amdhsa_user_sgpr_private_segment_size 0
		.amdhsa_wavefront_size32 1
		.amdhsa_uses_dynamic_stack 0
		.amdhsa_system_sgpr_private_segment_wavefront_offset 0
		.amdhsa_system_sgpr_workgroup_id_x 1
		.amdhsa_system_sgpr_workgroup_id_y 0
		.amdhsa_system_sgpr_workgroup_id_z 0
		.amdhsa_system_sgpr_workgroup_info 0
		.amdhsa_system_vgpr_workitem_id 0
		.amdhsa_next_free_vgpr 1
		.amdhsa_next_free_sgpr 1
		.amdhsa_reserve_vcc 0
		.amdhsa_reserve_flat_scratch 0
		.amdhsa_float_round_mode_32 0
		.amdhsa_float_round_mode_16_64 0
		.amdhsa_float_denorm_mode_32 3
		.amdhsa_float_denorm_mode_16_64 3
		.amdhsa_dx10_clamp 1
		.amdhsa_ieee_mode 1
		.amdhsa_fp16_overflow 0
		.amdhsa_workgroup_processor_mode 1
		.amdhsa_memory_ordered 1
		.amdhsa_forward_progress 1
		.amdhsa_shared_vgpr_count 0
		.amdhsa_exception_fp_ieee_invalid_op 0
		.amdhsa_exception_fp_denorm_src 0
		.amdhsa_exception_fp_ieee_div_zero 0
		.amdhsa_exception_fp_ieee_overflow 0
		.amdhsa_exception_fp_ieee_underflow 0
		.amdhsa_exception_fp_ieee_inexact 0
		.amdhsa_exception_int_div_zero 0
	.end_amdhsa_kernel
	.section	.text._ZN7rocprim17ROCPRIM_400000_NS6detail17trampoline_kernelINS0_14default_configENS1_38merge_sort_block_merge_config_selectorIfNS0_10empty_typeEEEZZNS1_27merge_sort_block_merge_implIS3_N6thrust23THRUST_200600_302600_NS6detail15normal_iteratorINS9_10device_ptrIfEEEEPS5_jNS1_19radix_merge_compareILb0ELb0EfNS0_19identity_decomposerEEEEE10hipError_tT0_T1_T2_jT3_P12ihipStream_tbPNSt15iterator_traitsISK_E10value_typeEPNSQ_ISL_E10value_typeEPSM_NS1_7vsmem_tEENKUlT_SK_SL_SM_E_clIPfSE_SF_SF_EESJ_SZ_SK_SL_SM_EUlSZ_E1_NS1_11comp_targetILNS1_3genE5ELNS1_11target_archE942ELNS1_3gpuE9ELNS1_3repE0EEENS1_36merge_oddeven_config_static_selectorELNS0_4arch9wavefront6targetE0EEEvSL_,"axG",@progbits,_ZN7rocprim17ROCPRIM_400000_NS6detail17trampoline_kernelINS0_14default_configENS1_38merge_sort_block_merge_config_selectorIfNS0_10empty_typeEEEZZNS1_27merge_sort_block_merge_implIS3_N6thrust23THRUST_200600_302600_NS6detail15normal_iteratorINS9_10device_ptrIfEEEEPS5_jNS1_19radix_merge_compareILb0ELb0EfNS0_19identity_decomposerEEEEE10hipError_tT0_T1_T2_jT3_P12ihipStream_tbPNSt15iterator_traitsISK_E10value_typeEPNSQ_ISL_E10value_typeEPSM_NS1_7vsmem_tEENKUlT_SK_SL_SM_E_clIPfSE_SF_SF_EESJ_SZ_SK_SL_SM_EUlSZ_E1_NS1_11comp_targetILNS1_3genE5ELNS1_11target_archE942ELNS1_3gpuE9ELNS1_3repE0EEENS1_36merge_oddeven_config_static_selectorELNS0_4arch9wavefront6targetE0EEEvSL_,comdat
.Lfunc_end493:
	.size	_ZN7rocprim17ROCPRIM_400000_NS6detail17trampoline_kernelINS0_14default_configENS1_38merge_sort_block_merge_config_selectorIfNS0_10empty_typeEEEZZNS1_27merge_sort_block_merge_implIS3_N6thrust23THRUST_200600_302600_NS6detail15normal_iteratorINS9_10device_ptrIfEEEEPS5_jNS1_19radix_merge_compareILb0ELb0EfNS0_19identity_decomposerEEEEE10hipError_tT0_T1_T2_jT3_P12ihipStream_tbPNSt15iterator_traitsISK_E10value_typeEPNSQ_ISL_E10value_typeEPSM_NS1_7vsmem_tEENKUlT_SK_SL_SM_E_clIPfSE_SF_SF_EESJ_SZ_SK_SL_SM_EUlSZ_E1_NS1_11comp_targetILNS1_3genE5ELNS1_11target_archE942ELNS1_3gpuE9ELNS1_3repE0EEENS1_36merge_oddeven_config_static_selectorELNS0_4arch9wavefront6targetE0EEEvSL_, .Lfunc_end493-_ZN7rocprim17ROCPRIM_400000_NS6detail17trampoline_kernelINS0_14default_configENS1_38merge_sort_block_merge_config_selectorIfNS0_10empty_typeEEEZZNS1_27merge_sort_block_merge_implIS3_N6thrust23THRUST_200600_302600_NS6detail15normal_iteratorINS9_10device_ptrIfEEEEPS5_jNS1_19radix_merge_compareILb0ELb0EfNS0_19identity_decomposerEEEEE10hipError_tT0_T1_T2_jT3_P12ihipStream_tbPNSt15iterator_traitsISK_E10value_typeEPNSQ_ISL_E10value_typeEPSM_NS1_7vsmem_tEENKUlT_SK_SL_SM_E_clIPfSE_SF_SF_EESJ_SZ_SK_SL_SM_EUlSZ_E1_NS1_11comp_targetILNS1_3genE5ELNS1_11target_archE942ELNS1_3gpuE9ELNS1_3repE0EEENS1_36merge_oddeven_config_static_selectorELNS0_4arch9wavefront6targetE0EEEvSL_
                                        ; -- End function
	.set _ZN7rocprim17ROCPRIM_400000_NS6detail17trampoline_kernelINS0_14default_configENS1_38merge_sort_block_merge_config_selectorIfNS0_10empty_typeEEEZZNS1_27merge_sort_block_merge_implIS3_N6thrust23THRUST_200600_302600_NS6detail15normal_iteratorINS9_10device_ptrIfEEEEPS5_jNS1_19radix_merge_compareILb0ELb0EfNS0_19identity_decomposerEEEEE10hipError_tT0_T1_T2_jT3_P12ihipStream_tbPNSt15iterator_traitsISK_E10value_typeEPNSQ_ISL_E10value_typeEPSM_NS1_7vsmem_tEENKUlT_SK_SL_SM_E_clIPfSE_SF_SF_EESJ_SZ_SK_SL_SM_EUlSZ_E1_NS1_11comp_targetILNS1_3genE5ELNS1_11target_archE942ELNS1_3gpuE9ELNS1_3repE0EEENS1_36merge_oddeven_config_static_selectorELNS0_4arch9wavefront6targetE0EEEvSL_.num_vgpr, 0
	.set _ZN7rocprim17ROCPRIM_400000_NS6detail17trampoline_kernelINS0_14default_configENS1_38merge_sort_block_merge_config_selectorIfNS0_10empty_typeEEEZZNS1_27merge_sort_block_merge_implIS3_N6thrust23THRUST_200600_302600_NS6detail15normal_iteratorINS9_10device_ptrIfEEEEPS5_jNS1_19radix_merge_compareILb0ELb0EfNS0_19identity_decomposerEEEEE10hipError_tT0_T1_T2_jT3_P12ihipStream_tbPNSt15iterator_traitsISK_E10value_typeEPNSQ_ISL_E10value_typeEPSM_NS1_7vsmem_tEENKUlT_SK_SL_SM_E_clIPfSE_SF_SF_EESJ_SZ_SK_SL_SM_EUlSZ_E1_NS1_11comp_targetILNS1_3genE5ELNS1_11target_archE942ELNS1_3gpuE9ELNS1_3repE0EEENS1_36merge_oddeven_config_static_selectorELNS0_4arch9wavefront6targetE0EEEvSL_.num_agpr, 0
	.set _ZN7rocprim17ROCPRIM_400000_NS6detail17trampoline_kernelINS0_14default_configENS1_38merge_sort_block_merge_config_selectorIfNS0_10empty_typeEEEZZNS1_27merge_sort_block_merge_implIS3_N6thrust23THRUST_200600_302600_NS6detail15normal_iteratorINS9_10device_ptrIfEEEEPS5_jNS1_19radix_merge_compareILb0ELb0EfNS0_19identity_decomposerEEEEE10hipError_tT0_T1_T2_jT3_P12ihipStream_tbPNSt15iterator_traitsISK_E10value_typeEPNSQ_ISL_E10value_typeEPSM_NS1_7vsmem_tEENKUlT_SK_SL_SM_E_clIPfSE_SF_SF_EESJ_SZ_SK_SL_SM_EUlSZ_E1_NS1_11comp_targetILNS1_3genE5ELNS1_11target_archE942ELNS1_3gpuE9ELNS1_3repE0EEENS1_36merge_oddeven_config_static_selectorELNS0_4arch9wavefront6targetE0EEEvSL_.numbered_sgpr, 0
	.set _ZN7rocprim17ROCPRIM_400000_NS6detail17trampoline_kernelINS0_14default_configENS1_38merge_sort_block_merge_config_selectorIfNS0_10empty_typeEEEZZNS1_27merge_sort_block_merge_implIS3_N6thrust23THRUST_200600_302600_NS6detail15normal_iteratorINS9_10device_ptrIfEEEEPS5_jNS1_19radix_merge_compareILb0ELb0EfNS0_19identity_decomposerEEEEE10hipError_tT0_T1_T2_jT3_P12ihipStream_tbPNSt15iterator_traitsISK_E10value_typeEPNSQ_ISL_E10value_typeEPSM_NS1_7vsmem_tEENKUlT_SK_SL_SM_E_clIPfSE_SF_SF_EESJ_SZ_SK_SL_SM_EUlSZ_E1_NS1_11comp_targetILNS1_3genE5ELNS1_11target_archE942ELNS1_3gpuE9ELNS1_3repE0EEENS1_36merge_oddeven_config_static_selectorELNS0_4arch9wavefront6targetE0EEEvSL_.num_named_barrier, 0
	.set _ZN7rocprim17ROCPRIM_400000_NS6detail17trampoline_kernelINS0_14default_configENS1_38merge_sort_block_merge_config_selectorIfNS0_10empty_typeEEEZZNS1_27merge_sort_block_merge_implIS3_N6thrust23THRUST_200600_302600_NS6detail15normal_iteratorINS9_10device_ptrIfEEEEPS5_jNS1_19radix_merge_compareILb0ELb0EfNS0_19identity_decomposerEEEEE10hipError_tT0_T1_T2_jT3_P12ihipStream_tbPNSt15iterator_traitsISK_E10value_typeEPNSQ_ISL_E10value_typeEPSM_NS1_7vsmem_tEENKUlT_SK_SL_SM_E_clIPfSE_SF_SF_EESJ_SZ_SK_SL_SM_EUlSZ_E1_NS1_11comp_targetILNS1_3genE5ELNS1_11target_archE942ELNS1_3gpuE9ELNS1_3repE0EEENS1_36merge_oddeven_config_static_selectorELNS0_4arch9wavefront6targetE0EEEvSL_.private_seg_size, 0
	.set _ZN7rocprim17ROCPRIM_400000_NS6detail17trampoline_kernelINS0_14default_configENS1_38merge_sort_block_merge_config_selectorIfNS0_10empty_typeEEEZZNS1_27merge_sort_block_merge_implIS3_N6thrust23THRUST_200600_302600_NS6detail15normal_iteratorINS9_10device_ptrIfEEEEPS5_jNS1_19radix_merge_compareILb0ELb0EfNS0_19identity_decomposerEEEEE10hipError_tT0_T1_T2_jT3_P12ihipStream_tbPNSt15iterator_traitsISK_E10value_typeEPNSQ_ISL_E10value_typeEPSM_NS1_7vsmem_tEENKUlT_SK_SL_SM_E_clIPfSE_SF_SF_EESJ_SZ_SK_SL_SM_EUlSZ_E1_NS1_11comp_targetILNS1_3genE5ELNS1_11target_archE942ELNS1_3gpuE9ELNS1_3repE0EEENS1_36merge_oddeven_config_static_selectorELNS0_4arch9wavefront6targetE0EEEvSL_.uses_vcc, 0
	.set _ZN7rocprim17ROCPRIM_400000_NS6detail17trampoline_kernelINS0_14default_configENS1_38merge_sort_block_merge_config_selectorIfNS0_10empty_typeEEEZZNS1_27merge_sort_block_merge_implIS3_N6thrust23THRUST_200600_302600_NS6detail15normal_iteratorINS9_10device_ptrIfEEEEPS5_jNS1_19radix_merge_compareILb0ELb0EfNS0_19identity_decomposerEEEEE10hipError_tT0_T1_T2_jT3_P12ihipStream_tbPNSt15iterator_traitsISK_E10value_typeEPNSQ_ISL_E10value_typeEPSM_NS1_7vsmem_tEENKUlT_SK_SL_SM_E_clIPfSE_SF_SF_EESJ_SZ_SK_SL_SM_EUlSZ_E1_NS1_11comp_targetILNS1_3genE5ELNS1_11target_archE942ELNS1_3gpuE9ELNS1_3repE0EEENS1_36merge_oddeven_config_static_selectorELNS0_4arch9wavefront6targetE0EEEvSL_.uses_flat_scratch, 0
	.set _ZN7rocprim17ROCPRIM_400000_NS6detail17trampoline_kernelINS0_14default_configENS1_38merge_sort_block_merge_config_selectorIfNS0_10empty_typeEEEZZNS1_27merge_sort_block_merge_implIS3_N6thrust23THRUST_200600_302600_NS6detail15normal_iteratorINS9_10device_ptrIfEEEEPS5_jNS1_19radix_merge_compareILb0ELb0EfNS0_19identity_decomposerEEEEE10hipError_tT0_T1_T2_jT3_P12ihipStream_tbPNSt15iterator_traitsISK_E10value_typeEPNSQ_ISL_E10value_typeEPSM_NS1_7vsmem_tEENKUlT_SK_SL_SM_E_clIPfSE_SF_SF_EESJ_SZ_SK_SL_SM_EUlSZ_E1_NS1_11comp_targetILNS1_3genE5ELNS1_11target_archE942ELNS1_3gpuE9ELNS1_3repE0EEENS1_36merge_oddeven_config_static_selectorELNS0_4arch9wavefront6targetE0EEEvSL_.has_dyn_sized_stack, 0
	.set _ZN7rocprim17ROCPRIM_400000_NS6detail17trampoline_kernelINS0_14default_configENS1_38merge_sort_block_merge_config_selectorIfNS0_10empty_typeEEEZZNS1_27merge_sort_block_merge_implIS3_N6thrust23THRUST_200600_302600_NS6detail15normal_iteratorINS9_10device_ptrIfEEEEPS5_jNS1_19radix_merge_compareILb0ELb0EfNS0_19identity_decomposerEEEEE10hipError_tT0_T1_T2_jT3_P12ihipStream_tbPNSt15iterator_traitsISK_E10value_typeEPNSQ_ISL_E10value_typeEPSM_NS1_7vsmem_tEENKUlT_SK_SL_SM_E_clIPfSE_SF_SF_EESJ_SZ_SK_SL_SM_EUlSZ_E1_NS1_11comp_targetILNS1_3genE5ELNS1_11target_archE942ELNS1_3gpuE9ELNS1_3repE0EEENS1_36merge_oddeven_config_static_selectorELNS0_4arch9wavefront6targetE0EEEvSL_.has_recursion, 0
	.set _ZN7rocprim17ROCPRIM_400000_NS6detail17trampoline_kernelINS0_14default_configENS1_38merge_sort_block_merge_config_selectorIfNS0_10empty_typeEEEZZNS1_27merge_sort_block_merge_implIS3_N6thrust23THRUST_200600_302600_NS6detail15normal_iteratorINS9_10device_ptrIfEEEEPS5_jNS1_19radix_merge_compareILb0ELb0EfNS0_19identity_decomposerEEEEE10hipError_tT0_T1_T2_jT3_P12ihipStream_tbPNSt15iterator_traitsISK_E10value_typeEPNSQ_ISL_E10value_typeEPSM_NS1_7vsmem_tEENKUlT_SK_SL_SM_E_clIPfSE_SF_SF_EESJ_SZ_SK_SL_SM_EUlSZ_E1_NS1_11comp_targetILNS1_3genE5ELNS1_11target_archE942ELNS1_3gpuE9ELNS1_3repE0EEENS1_36merge_oddeven_config_static_selectorELNS0_4arch9wavefront6targetE0EEEvSL_.has_indirect_call, 0
	.section	.AMDGPU.csdata,"",@progbits
; Kernel info:
; codeLenInByte = 0
; TotalNumSgprs: 0
; NumVgprs: 0
; ScratchSize: 0
; MemoryBound: 0
; FloatMode: 240
; IeeeMode: 1
; LDSByteSize: 0 bytes/workgroup (compile time only)
; SGPRBlocks: 0
; VGPRBlocks: 0
; NumSGPRsForWavesPerEU: 1
; NumVGPRsForWavesPerEU: 1
; Occupancy: 16
; WaveLimiterHint : 0
; COMPUTE_PGM_RSRC2:SCRATCH_EN: 0
; COMPUTE_PGM_RSRC2:USER_SGPR: 6
; COMPUTE_PGM_RSRC2:TRAP_HANDLER: 0
; COMPUTE_PGM_RSRC2:TGID_X_EN: 1
; COMPUTE_PGM_RSRC2:TGID_Y_EN: 0
; COMPUTE_PGM_RSRC2:TGID_Z_EN: 0
; COMPUTE_PGM_RSRC2:TIDIG_COMP_CNT: 0
	.section	.text._ZN7rocprim17ROCPRIM_400000_NS6detail17trampoline_kernelINS0_14default_configENS1_38merge_sort_block_merge_config_selectorIfNS0_10empty_typeEEEZZNS1_27merge_sort_block_merge_implIS3_N6thrust23THRUST_200600_302600_NS6detail15normal_iteratorINS9_10device_ptrIfEEEEPS5_jNS1_19radix_merge_compareILb0ELb0EfNS0_19identity_decomposerEEEEE10hipError_tT0_T1_T2_jT3_P12ihipStream_tbPNSt15iterator_traitsISK_E10value_typeEPNSQ_ISL_E10value_typeEPSM_NS1_7vsmem_tEENKUlT_SK_SL_SM_E_clIPfSE_SF_SF_EESJ_SZ_SK_SL_SM_EUlSZ_E1_NS1_11comp_targetILNS1_3genE4ELNS1_11target_archE910ELNS1_3gpuE8ELNS1_3repE0EEENS1_36merge_oddeven_config_static_selectorELNS0_4arch9wavefront6targetE0EEEvSL_,"axG",@progbits,_ZN7rocprim17ROCPRIM_400000_NS6detail17trampoline_kernelINS0_14default_configENS1_38merge_sort_block_merge_config_selectorIfNS0_10empty_typeEEEZZNS1_27merge_sort_block_merge_implIS3_N6thrust23THRUST_200600_302600_NS6detail15normal_iteratorINS9_10device_ptrIfEEEEPS5_jNS1_19radix_merge_compareILb0ELb0EfNS0_19identity_decomposerEEEEE10hipError_tT0_T1_T2_jT3_P12ihipStream_tbPNSt15iterator_traitsISK_E10value_typeEPNSQ_ISL_E10value_typeEPSM_NS1_7vsmem_tEENKUlT_SK_SL_SM_E_clIPfSE_SF_SF_EESJ_SZ_SK_SL_SM_EUlSZ_E1_NS1_11comp_targetILNS1_3genE4ELNS1_11target_archE910ELNS1_3gpuE8ELNS1_3repE0EEENS1_36merge_oddeven_config_static_selectorELNS0_4arch9wavefront6targetE0EEEvSL_,comdat
	.protected	_ZN7rocprim17ROCPRIM_400000_NS6detail17trampoline_kernelINS0_14default_configENS1_38merge_sort_block_merge_config_selectorIfNS0_10empty_typeEEEZZNS1_27merge_sort_block_merge_implIS3_N6thrust23THRUST_200600_302600_NS6detail15normal_iteratorINS9_10device_ptrIfEEEEPS5_jNS1_19radix_merge_compareILb0ELb0EfNS0_19identity_decomposerEEEEE10hipError_tT0_T1_T2_jT3_P12ihipStream_tbPNSt15iterator_traitsISK_E10value_typeEPNSQ_ISL_E10value_typeEPSM_NS1_7vsmem_tEENKUlT_SK_SL_SM_E_clIPfSE_SF_SF_EESJ_SZ_SK_SL_SM_EUlSZ_E1_NS1_11comp_targetILNS1_3genE4ELNS1_11target_archE910ELNS1_3gpuE8ELNS1_3repE0EEENS1_36merge_oddeven_config_static_selectorELNS0_4arch9wavefront6targetE0EEEvSL_ ; -- Begin function _ZN7rocprim17ROCPRIM_400000_NS6detail17trampoline_kernelINS0_14default_configENS1_38merge_sort_block_merge_config_selectorIfNS0_10empty_typeEEEZZNS1_27merge_sort_block_merge_implIS3_N6thrust23THRUST_200600_302600_NS6detail15normal_iteratorINS9_10device_ptrIfEEEEPS5_jNS1_19radix_merge_compareILb0ELb0EfNS0_19identity_decomposerEEEEE10hipError_tT0_T1_T2_jT3_P12ihipStream_tbPNSt15iterator_traitsISK_E10value_typeEPNSQ_ISL_E10value_typeEPSM_NS1_7vsmem_tEENKUlT_SK_SL_SM_E_clIPfSE_SF_SF_EESJ_SZ_SK_SL_SM_EUlSZ_E1_NS1_11comp_targetILNS1_3genE4ELNS1_11target_archE910ELNS1_3gpuE8ELNS1_3repE0EEENS1_36merge_oddeven_config_static_selectorELNS0_4arch9wavefront6targetE0EEEvSL_
	.globl	_ZN7rocprim17ROCPRIM_400000_NS6detail17trampoline_kernelINS0_14default_configENS1_38merge_sort_block_merge_config_selectorIfNS0_10empty_typeEEEZZNS1_27merge_sort_block_merge_implIS3_N6thrust23THRUST_200600_302600_NS6detail15normal_iteratorINS9_10device_ptrIfEEEEPS5_jNS1_19radix_merge_compareILb0ELb0EfNS0_19identity_decomposerEEEEE10hipError_tT0_T1_T2_jT3_P12ihipStream_tbPNSt15iterator_traitsISK_E10value_typeEPNSQ_ISL_E10value_typeEPSM_NS1_7vsmem_tEENKUlT_SK_SL_SM_E_clIPfSE_SF_SF_EESJ_SZ_SK_SL_SM_EUlSZ_E1_NS1_11comp_targetILNS1_3genE4ELNS1_11target_archE910ELNS1_3gpuE8ELNS1_3repE0EEENS1_36merge_oddeven_config_static_selectorELNS0_4arch9wavefront6targetE0EEEvSL_
	.p2align	8
	.type	_ZN7rocprim17ROCPRIM_400000_NS6detail17trampoline_kernelINS0_14default_configENS1_38merge_sort_block_merge_config_selectorIfNS0_10empty_typeEEEZZNS1_27merge_sort_block_merge_implIS3_N6thrust23THRUST_200600_302600_NS6detail15normal_iteratorINS9_10device_ptrIfEEEEPS5_jNS1_19radix_merge_compareILb0ELb0EfNS0_19identity_decomposerEEEEE10hipError_tT0_T1_T2_jT3_P12ihipStream_tbPNSt15iterator_traitsISK_E10value_typeEPNSQ_ISL_E10value_typeEPSM_NS1_7vsmem_tEENKUlT_SK_SL_SM_E_clIPfSE_SF_SF_EESJ_SZ_SK_SL_SM_EUlSZ_E1_NS1_11comp_targetILNS1_3genE4ELNS1_11target_archE910ELNS1_3gpuE8ELNS1_3repE0EEENS1_36merge_oddeven_config_static_selectorELNS0_4arch9wavefront6targetE0EEEvSL_,@function
_ZN7rocprim17ROCPRIM_400000_NS6detail17trampoline_kernelINS0_14default_configENS1_38merge_sort_block_merge_config_selectorIfNS0_10empty_typeEEEZZNS1_27merge_sort_block_merge_implIS3_N6thrust23THRUST_200600_302600_NS6detail15normal_iteratorINS9_10device_ptrIfEEEEPS5_jNS1_19radix_merge_compareILb0ELb0EfNS0_19identity_decomposerEEEEE10hipError_tT0_T1_T2_jT3_P12ihipStream_tbPNSt15iterator_traitsISK_E10value_typeEPNSQ_ISL_E10value_typeEPSM_NS1_7vsmem_tEENKUlT_SK_SL_SM_E_clIPfSE_SF_SF_EESJ_SZ_SK_SL_SM_EUlSZ_E1_NS1_11comp_targetILNS1_3genE4ELNS1_11target_archE910ELNS1_3gpuE8ELNS1_3repE0EEENS1_36merge_oddeven_config_static_selectorELNS0_4arch9wavefront6targetE0EEEvSL_: ; @_ZN7rocprim17ROCPRIM_400000_NS6detail17trampoline_kernelINS0_14default_configENS1_38merge_sort_block_merge_config_selectorIfNS0_10empty_typeEEEZZNS1_27merge_sort_block_merge_implIS3_N6thrust23THRUST_200600_302600_NS6detail15normal_iteratorINS9_10device_ptrIfEEEEPS5_jNS1_19radix_merge_compareILb0ELb0EfNS0_19identity_decomposerEEEEE10hipError_tT0_T1_T2_jT3_P12ihipStream_tbPNSt15iterator_traitsISK_E10value_typeEPNSQ_ISL_E10value_typeEPSM_NS1_7vsmem_tEENKUlT_SK_SL_SM_E_clIPfSE_SF_SF_EESJ_SZ_SK_SL_SM_EUlSZ_E1_NS1_11comp_targetILNS1_3genE4ELNS1_11target_archE910ELNS1_3gpuE8ELNS1_3repE0EEENS1_36merge_oddeven_config_static_selectorELNS0_4arch9wavefront6targetE0EEEvSL_
; %bb.0:
	.section	.rodata,"a",@progbits
	.p2align	6, 0x0
	.amdhsa_kernel _ZN7rocprim17ROCPRIM_400000_NS6detail17trampoline_kernelINS0_14default_configENS1_38merge_sort_block_merge_config_selectorIfNS0_10empty_typeEEEZZNS1_27merge_sort_block_merge_implIS3_N6thrust23THRUST_200600_302600_NS6detail15normal_iteratorINS9_10device_ptrIfEEEEPS5_jNS1_19radix_merge_compareILb0ELb0EfNS0_19identity_decomposerEEEEE10hipError_tT0_T1_T2_jT3_P12ihipStream_tbPNSt15iterator_traitsISK_E10value_typeEPNSQ_ISL_E10value_typeEPSM_NS1_7vsmem_tEENKUlT_SK_SL_SM_E_clIPfSE_SF_SF_EESJ_SZ_SK_SL_SM_EUlSZ_E1_NS1_11comp_targetILNS1_3genE4ELNS1_11target_archE910ELNS1_3gpuE8ELNS1_3repE0EEENS1_36merge_oddeven_config_static_selectorELNS0_4arch9wavefront6targetE0EEEvSL_
		.amdhsa_group_segment_fixed_size 0
		.amdhsa_private_segment_fixed_size 0
		.amdhsa_kernarg_size 48
		.amdhsa_user_sgpr_count 6
		.amdhsa_user_sgpr_private_segment_buffer 1
		.amdhsa_user_sgpr_dispatch_ptr 0
		.amdhsa_user_sgpr_queue_ptr 0
		.amdhsa_user_sgpr_kernarg_segment_ptr 1
		.amdhsa_user_sgpr_dispatch_id 0
		.amdhsa_user_sgpr_flat_scratch_init 0
		.amdhsa_user_sgpr_private_segment_size 0
		.amdhsa_wavefront_size32 1
		.amdhsa_uses_dynamic_stack 0
		.amdhsa_system_sgpr_private_segment_wavefront_offset 0
		.amdhsa_system_sgpr_workgroup_id_x 1
		.amdhsa_system_sgpr_workgroup_id_y 0
		.amdhsa_system_sgpr_workgroup_id_z 0
		.amdhsa_system_sgpr_workgroup_info 0
		.amdhsa_system_vgpr_workitem_id 0
		.amdhsa_next_free_vgpr 1
		.amdhsa_next_free_sgpr 1
		.amdhsa_reserve_vcc 0
		.amdhsa_reserve_flat_scratch 0
		.amdhsa_float_round_mode_32 0
		.amdhsa_float_round_mode_16_64 0
		.amdhsa_float_denorm_mode_32 3
		.amdhsa_float_denorm_mode_16_64 3
		.amdhsa_dx10_clamp 1
		.amdhsa_ieee_mode 1
		.amdhsa_fp16_overflow 0
		.amdhsa_workgroup_processor_mode 1
		.amdhsa_memory_ordered 1
		.amdhsa_forward_progress 1
		.amdhsa_shared_vgpr_count 0
		.amdhsa_exception_fp_ieee_invalid_op 0
		.amdhsa_exception_fp_denorm_src 0
		.amdhsa_exception_fp_ieee_div_zero 0
		.amdhsa_exception_fp_ieee_overflow 0
		.amdhsa_exception_fp_ieee_underflow 0
		.amdhsa_exception_fp_ieee_inexact 0
		.amdhsa_exception_int_div_zero 0
	.end_amdhsa_kernel
	.section	.text._ZN7rocprim17ROCPRIM_400000_NS6detail17trampoline_kernelINS0_14default_configENS1_38merge_sort_block_merge_config_selectorIfNS0_10empty_typeEEEZZNS1_27merge_sort_block_merge_implIS3_N6thrust23THRUST_200600_302600_NS6detail15normal_iteratorINS9_10device_ptrIfEEEEPS5_jNS1_19radix_merge_compareILb0ELb0EfNS0_19identity_decomposerEEEEE10hipError_tT0_T1_T2_jT3_P12ihipStream_tbPNSt15iterator_traitsISK_E10value_typeEPNSQ_ISL_E10value_typeEPSM_NS1_7vsmem_tEENKUlT_SK_SL_SM_E_clIPfSE_SF_SF_EESJ_SZ_SK_SL_SM_EUlSZ_E1_NS1_11comp_targetILNS1_3genE4ELNS1_11target_archE910ELNS1_3gpuE8ELNS1_3repE0EEENS1_36merge_oddeven_config_static_selectorELNS0_4arch9wavefront6targetE0EEEvSL_,"axG",@progbits,_ZN7rocprim17ROCPRIM_400000_NS6detail17trampoline_kernelINS0_14default_configENS1_38merge_sort_block_merge_config_selectorIfNS0_10empty_typeEEEZZNS1_27merge_sort_block_merge_implIS3_N6thrust23THRUST_200600_302600_NS6detail15normal_iteratorINS9_10device_ptrIfEEEEPS5_jNS1_19radix_merge_compareILb0ELb0EfNS0_19identity_decomposerEEEEE10hipError_tT0_T1_T2_jT3_P12ihipStream_tbPNSt15iterator_traitsISK_E10value_typeEPNSQ_ISL_E10value_typeEPSM_NS1_7vsmem_tEENKUlT_SK_SL_SM_E_clIPfSE_SF_SF_EESJ_SZ_SK_SL_SM_EUlSZ_E1_NS1_11comp_targetILNS1_3genE4ELNS1_11target_archE910ELNS1_3gpuE8ELNS1_3repE0EEENS1_36merge_oddeven_config_static_selectorELNS0_4arch9wavefront6targetE0EEEvSL_,comdat
.Lfunc_end494:
	.size	_ZN7rocprim17ROCPRIM_400000_NS6detail17trampoline_kernelINS0_14default_configENS1_38merge_sort_block_merge_config_selectorIfNS0_10empty_typeEEEZZNS1_27merge_sort_block_merge_implIS3_N6thrust23THRUST_200600_302600_NS6detail15normal_iteratorINS9_10device_ptrIfEEEEPS5_jNS1_19radix_merge_compareILb0ELb0EfNS0_19identity_decomposerEEEEE10hipError_tT0_T1_T2_jT3_P12ihipStream_tbPNSt15iterator_traitsISK_E10value_typeEPNSQ_ISL_E10value_typeEPSM_NS1_7vsmem_tEENKUlT_SK_SL_SM_E_clIPfSE_SF_SF_EESJ_SZ_SK_SL_SM_EUlSZ_E1_NS1_11comp_targetILNS1_3genE4ELNS1_11target_archE910ELNS1_3gpuE8ELNS1_3repE0EEENS1_36merge_oddeven_config_static_selectorELNS0_4arch9wavefront6targetE0EEEvSL_, .Lfunc_end494-_ZN7rocprim17ROCPRIM_400000_NS6detail17trampoline_kernelINS0_14default_configENS1_38merge_sort_block_merge_config_selectorIfNS0_10empty_typeEEEZZNS1_27merge_sort_block_merge_implIS3_N6thrust23THRUST_200600_302600_NS6detail15normal_iteratorINS9_10device_ptrIfEEEEPS5_jNS1_19radix_merge_compareILb0ELb0EfNS0_19identity_decomposerEEEEE10hipError_tT0_T1_T2_jT3_P12ihipStream_tbPNSt15iterator_traitsISK_E10value_typeEPNSQ_ISL_E10value_typeEPSM_NS1_7vsmem_tEENKUlT_SK_SL_SM_E_clIPfSE_SF_SF_EESJ_SZ_SK_SL_SM_EUlSZ_E1_NS1_11comp_targetILNS1_3genE4ELNS1_11target_archE910ELNS1_3gpuE8ELNS1_3repE0EEENS1_36merge_oddeven_config_static_selectorELNS0_4arch9wavefront6targetE0EEEvSL_
                                        ; -- End function
	.set _ZN7rocprim17ROCPRIM_400000_NS6detail17trampoline_kernelINS0_14default_configENS1_38merge_sort_block_merge_config_selectorIfNS0_10empty_typeEEEZZNS1_27merge_sort_block_merge_implIS3_N6thrust23THRUST_200600_302600_NS6detail15normal_iteratorINS9_10device_ptrIfEEEEPS5_jNS1_19radix_merge_compareILb0ELb0EfNS0_19identity_decomposerEEEEE10hipError_tT0_T1_T2_jT3_P12ihipStream_tbPNSt15iterator_traitsISK_E10value_typeEPNSQ_ISL_E10value_typeEPSM_NS1_7vsmem_tEENKUlT_SK_SL_SM_E_clIPfSE_SF_SF_EESJ_SZ_SK_SL_SM_EUlSZ_E1_NS1_11comp_targetILNS1_3genE4ELNS1_11target_archE910ELNS1_3gpuE8ELNS1_3repE0EEENS1_36merge_oddeven_config_static_selectorELNS0_4arch9wavefront6targetE0EEEvSL_.num_vgpr, 0
	.set _ZN7rocprim17ROCPRIM_400000_NS6detail17trampoline_kernelINS0_14default_configENS1_38merge_sort_block_merge_config_selectorIfNS0_10empty_typeEEEZZNS1_27merge_sort_block_merge_implIS3_N6thrust23THRUST_200600_302600_NS6detail15normal_iteratorINS9_10device_ptrIfEEEEPS5_jNS1_19radix_merge_compareILb0ELb0EfNS0_19identity_decomposerEEEEE10hipError_tT0_T1_T2_jT3_P12ihipStream_tbPNSt15iterator_traitsISK_E10value_typeEPNSQ_ISL_E10value_typeEPSM_NS1_7vsmem_tEENKUlT_SK_SL_SM_E_clIPfSE_SF_SF_EESJ_SZ_SK_SL_SM_EUlSZ_E1_NS1_11comp_targetILNS1_3genE4ELNS1_11target_archE910ELNS1_3gpuE8ELNS1_3repE0EEENS1_36merge_oddeven_config_static_selectorELNS0_4arch9wavefront6targetE0EEEvSL_.num_agpr, 0
	.set _ZN7rocprim17ROCPRIM_400000_NS6detail17trampoline_kernelINS0_14default_configENS1_38merge_sort_block_merge_config_selectorIfNS0_10empty_typeEEEZZNS1_27merge_sort_block_merge_implIS3_N6thrust23THRUST_200600_302600_NS6detail15normal_iteratorINS9_10device_ptrIfEEEEPS5_jNS1_19radix_merge_compareILb0ELb0EfNS0_19identity_decomposerEEEEE10hipError_tT0_T1_T2_jT3_P12ihipStream_tbPNSt15iterator_traitsISK_E10value_typeEPNSQ_ISL_E10value_typeEPSM_NS1_7vsmem_tEENKUlT_SK_SL_SM_E_clIPfSE_SF_SF_EESJ_SZ_SK_SL_SM_EUlSZ_E1_NS1_11comp_targetILNS1_3genE4ELNS1_11target_archE910ELNS1_3gpuE8ELNS1_3repE0EEENS1_36merge_oddeven_config_static_selectorELNS0_4arch9wavefront6targetE0EEEvSL_.numbered_sgpr, 0
	.set _ZN7rocprim17ROCPRIM_400000_NS6detail17trampoline_kernelINS0_14default_configENS1_38merge_sort_block_merge_config_selectorIfNS0_10empty_typeEEEZZNS1_27merge_sort_block_merge_implIS3_N6thrust23THRUST_200600_302600_NS6detail15normal_iteratorINS9_10device_ptrIfEEEEPS5_jNS1_19radix_merge_compareILb0ELb0EfNS0_19identity_decomposerEEEEE10hipError_tT0_T1_T2_jT3_P12ihipStream_tbPNSt15iterator_traitsISK_E10value_typeEPNSQ_ISL_E10value_typeEPSM_NS1_7vsmem_tEENKUlT_SK_SL_SM_E_clIPfSE_SF_SF_EESJ_SZ_SK_SL_SM_EUlSZ_E1_NS1_11comp_targetILNS1_3genE4ELNS1_11target_archE910ELNS1_3gpuE8ELNS1_3repE0EEENS1_36merge_oddeven_config_static_selectorELNS0_4arch9wavefront6targetE0EEEvSL_.num_named_barrier, 0
	.set _ZN7rocprim17ROCPRIM_400000_NS6detail17trampoline_kernelINS0_14default_configENS1_38merge_sort_block_merge_config_selectorIfNS0_10empty_typeEEEZZNS1_27merge_sort_block_merge_implIS3_N6thrust23THRUST_200600_302600_NS6detail15normal_iteratorINS9_10device_ptrIfEEEEPS5_jNS1_19radix_merge_compareILb0ELb0EfNS0_19identity_decomposerEEEEE10hipError_tT0_T1_T2_jT3_P12ihipStream_tbPNSt15iterator_traitsISK_E10value_typeEPNSQ_ISL_E10value_typeEPSM_NS1_7vsmem_tEENKUlT_SK_SL_SM_E_clIPfSE_SF_SF_EESJ_SZ_SK_SL_SM_EUlSZ_E1_NS1_11comp_targetILNS1_3genE4ELNS1_11target_archE910ELNS1_3gpuE8ELNS1_3repE0EEENS1_36merge_oddeven_config_static_selectorELNS0_4arch9wavefront6targetE0EEEvSL_.private_seg_size, 0
	.set _ZN7rocprim17ROCPRIM_400000_NS6detail17trampoline_kernelINS0_14default_configENS1_38merge_sort_block_merge_config_selectorIfNS0_10empty_typeEEEZZNS1_27merge_sort_block_merge_implIS3_N6thrust23THRUST_200600_302600_NS6detail15normal_iteratorINS9_10device_ptrIfEEEEPS5_jNS1_19radix_merge_compareILb0ELb0EfNS0_19identity_decomposerEEEEE10hipError_tT0_T1_T2_jT3_P12ihipStream_tbPNSt15iterator_traitsISK_E10value_typeEPNSQ_ISL_E10value_typeEPSM_NS1_7vsmem_tEENKUlT_SK_SL_SM_E_clIPfSE_SF_SF_EESJ_SZ_SK_SL_SM_EUlSZ_E1_NS1_11comp_targetILNS1_3genE4ELNS1_11target_archE910ELNS1_3gpuE8ELNS1_3repE0EEENS1_36merge_oddeven_config_static_selectorELNS0_4arch9wavefront6targetE0EEEvSL_.uses_vcc, 0
	.set _ZN7rocprim17ROCPRIM_400000_NS6detail17trampoline_kernelINS0_14default_configENS1_38merge_sort_block_merge_config_selectorIfNS0_10empty_typeEEEZZNS1_27merge_sort_block_merge_implIS3_N6thrust23THRUST_200600_302600_NS6detail15normal_iteratorINS9_10device_ptrIfEEEEPS5_jNS1_19radix_merge_compareILb0ELb0EfNS0_19identity_decomposerEEEEE10hipError_tT0_T1_T2_jT3_P12ihipStream_tbPNSt15iterator_traitsISK_E10value_typeEPNSQ_ISL_E10value_typeEPSM_NS1_7vsmem_tEENKUlT_SK_SL_SM_E_clIPfSE_SF_SF_EESJ_SZ_SK_SL_SM_EUlSZ_E1_NS1_11comp_targetILNS1_3genE4ELNS1_11target_archE910ELNS1_3gpuE8ELNS1_3repE0EEENS1_36merge_oddeven_config_static_selectorELNS0_4arch9wavefront6targetE0EEEvSL_.uses_flat_scratch, 0
	.set _ZN7rocprim17ROCPRIM_400000_NS6detail17trampoline_kernelINS0_14default_configENS1_38merge_sort_block_merge_config_selectorIfNS0_10empty_typeEEEZZNS1_27merge_sort_block_merge_implIS3_N6thrust23THRUST_200600_302600_NS6detail15normal_iteratorINS9_10device_ptrIfEEEEPS5_jNS1_19radix_merge_compareILb0ELb0EfNS0_19identity_decomposerEEEEE10hipError_tT0_T1_T2_jT3_P12ihipStream_tbPNSt15iterator_traitsISK_E10value_typeEPNSQ_ISL_E10value_typeEPSM_NS1_7vsmem_tEENKUlT_SK_SL_SM_E_clIPfSE_SF_SF_EESJ_SZ_SK_SL_SM_EUlSZ_E1_NS1_11comp_targetILNS1_3genE4ELNS1_11target_archE910ELNS1_3gpuE8ELNS1_3repE0EEENS1_36merge_oddeven_config_static_selectorELNS0_4arch9wavefront6targetE0EEEvSL_.has_dyn_sized_stack, 0
	.set _ZN7rocprim17ROCPRIM_400000_NS6detail17trampoline_kernelINS0_14default_configENS1_38merge_sort_block_merge_config_selectorIfNS0_10empty_typeEEEZZNS1_27merge_sort_block_merge_implIS3_N6thrust23THRUST_200600_302600_NS6detail15normal_iteratorINS9_10device_ptrIfEEEEPS5_jNS1_19radix_merge_compareILb0ELb0EfNS0_19identity_decomposerEEEEE10hipError_tT0_T1_T2_jT3_P12ihipStream_tbPNSt15iterator_traitsISK_E10value_typeEPNSQ_ISL_E10value_typeEPSM_NS1_7vsmem_tEENKUlT_SK_SL_SM_E_clIPfSE_SF_SF_EESJ_SZ_SK_SL_SM_EUlSZ_E1_NS1_11comp_targetILNS1_3genE4ELNS1_11target_archE910ELNS1_3gpuE8ELNS1_3repE0EEENS1_36merge_oddeven_config_static_selectorELNS0_4arch9wavefront6targetE0EEEvSL_.has_recursion, 0
	.set _ZN7rocprim17ROCPRIM_400000_NS6detail17trampoline_kernelINS0_14default_configENS1_38merge_sort_block_merge_config_selectorIfNS0_10empty_typeEEEZZNS1_27merge_sort_block_merge_implIS3_N6thrust23THRUST_200600_302600_NS6detail15normal_iteratorINS9_10device_ptrIfEEEEPS5_jNS1_19radix_merge_compareILb0ELb0EfNS0_19identity_decomposerEEEEE10hipError_tT0_T1_T2_jT3_P12ihipStream_tbPNSt15iterator_traitsISK_E10value_typeEPNSQ_ISL_E10value_typeEPSM_NS1_7vsmem_tEENKUlT_SK_SL_SM_E_clIPfSE_SF_SF_EESJ_SZ_SK_SL_SM_EUlSZ_E1_NS1_11comp_targetILNS1_3genE4ELNS1_11target_archE910ELNS1_3gpuE8ELNS1_3repE0EEENS1_36merge_oddeven_config_static_selectorELNS0_4arch9wavefront6targetE0EEEvSL_.has_indirect_call, 0
	.section	.AMDGPU.csdata,"",@progbits
; Kernel info:
; codeLenInByte = 0
; TotalNumSgprs: 0
; NumVgprs: 0
; ScratchSize: 0
; MemoryBound: 0
; FloatMode: 240
; IeeeMode: 1
; LDSByteSize: 0 bytes/workgroup (compile time only)
; SGPRBlocks: 0
; VGPRBlocks: 0
; NumSGPRsForWavesPerEU: 1
; NumVGPRsForWavesPerEU: 1
; Occupancy: 16
; WaveLimiterHint : 0
; COMPUTE_PGM_RSRC2:SCRATCH_EN: 0
; COMPUTE_PGM_RSRC2:USER_SGPR: 6
; COMPUTE_PGM_RSRC2:TRAP_HANDLER: 0
; COMPUTE_PGM_RSRC2:TGID_X_EN: 1
; COMPUTE_PGM_RSRC2:TGID_Y_EN: 0
; COMPUTE_PGM_RSRC2:TGID_Z_EN: 0
; COMPUTE_PGM_RSRC2:TIDIG_COMP_CNT: 0
	.section	.text._ZN7rocprim17ROCPRIM_400000_NS6detail17trampoline_kernelINS0_14default_configENS1_38merge_sort_block_merge_config_selectorIfNS0_10empty_typeEEEZZNS1_27merge_sort_block_merge_implIS3_N6thrust23THRUST_200600_302600_NS6detail15normal_iteratorINS9_10device_ptrIfEEEEPS5_jNS1_19radix_merge_compareILb0ELb0EfNS0_19identity_decomposerEEEEE10hipError_tT0_T1_T2_jT3_P12ihipStream_tbPNSt15iterator_traitsISK_E10value_typeEPNSQ_ISL_E10value_typeEPSM_NS1_7vsmem_tEENKUlT_SK_SL_SM_E_clIPfSE_SF_SF_EESJ_SZ_SK_SL_SM_EUlSZ_E1_NS1_11comp_targetILNS1_3genE3ELNS1_11target_archE908ELNS1_3gpuE7ELNS1_3repE0EEENS1_36merge_oddeven_config_static_selectorELNS0_4arch9wavefront6targetE0EEEvSL_,"axG",@progbits,_ZN7rocprim17ROCPRIM_400000_NS6detail17trampoline_kernelINS0_14default_configENS1_38merge_sort_block_merge_config_selectorIfNS0_10empty_typeEEEZZNS1_27merge_sort_block_merge_implIS3_N6thrust23THRUST_200600_302600_NS6detail15normal_iteratorINS9_10device_ptrIfEEEEPS5_jNS1_19radix_merge_compareILb0ELb0EfNS0_19identity_decomposerEEEEE10hipError_tT0_T1_T2_jT3_P12ihipStream_tbPNSt15iterator_traitsISK_E10value_typeEPNSQ_ISL_E10value_typeEPSM_NS1_7vsmem_tEENKUlT_SK_SL_SM_E_clIPfSE_SF_SF_EESJ_SZ_SK_SL_SM_EUlSZ_E1_NS1_11comp_targetILNS1_3genE3ELNS1_11target_archE908ELNS1_3gpuE7ELNS1_3repE0EEENS1_36merge_oddeven_config_static_selectorELNS0_4arch9wavefront6targetE0EEEvSL_,comdat
	.protected	_ZN7rocprim17ROCPRIM_400000_NS6detail17trampoline_kernelINS0_14default_configENS1_38merge_sort_block_merge_config_selectorIfNS0_10empty_typeEEEZZNS1_27merge_sort_block_merge_implIS3_N6thrust23THRUST_200600_302600_NS6detail15normal_iteratorINS9_10device_ptrIfEEEEPS5_jNS1_19radix_merge_compareILb0ELb0EfNS0_19identity_decomposerEEEEE10hipError_tT0_T1_T2_jT3_P12ihipStream_tbPNSt15iterator_traitsISK_E10value_typeEPNSQ_ISL_E10value_typeEPSM_NS1_7vsmem_tEENKUlT_SK_SL_SM_E_clIPfSE_SF_SF_EESJ_SZ_SK_SL_SM_EUlSZ_E1_NS1_11comp_targetILNS1_3genE3ELNS1_11target_archE908ELNS1_3gpuE7ELNS1_3repE0EEENS1_36merge_oddeven_config_static_selectorELNS0_4arch9wavefront6targetE0EEEvSL_ ; -- Begin function _ZN7rocprim17ROCPRIM_400000_NS6detail17trampoline_kernelINS0_14default_configENS1_38merge_sort_block_merge_config_selectorIfNS0_10empty_typeEEEZZNS1_27merge_sort_block_merge_implIS3_N6thrust23THRUST_200600_302600_NS6detail15normal_iteratorINS9_10device_ptrIfEEEEPS5_jNS1_19radix_merge_compareILb0ELb0EfNS0_19identity_decomposerEEEEE10hipError_tT0_T1_T2_jT3_P12ihipStream_tbPNSt15iterator_traitsISK_E10value_typeEPNSQ_ISL_E10value_typeEPSM_NS1_7vsmem_tEENKUlT_SK_SL_SM_E_clIPfSE_SF_SF_EESJ_SZ_SK_SL_SM_EUlSZ_E1_NS1_11comp_targetILNS1_3genE3ELNS1_11target_archE908ELNS1_3gpuE7ELNS1_3repE0EEENS1_36merge_oddeven_config_static_selectorELNS0_4arch9wavefront6targetE0EEEvSL_
	.globl	_ZN7rocprim17ROCPRIM_400000_NS6detail17trampoline_kernelINS0_14default_configENS1_38merge_sort_block_merge_config_selectorIfNS0_10empty_typeEEEZZNS1_27merge_sort_block_merge_implIS3_N6thrust23THRUST_200600_302600_NS6detail15normal_iteratorINS9_10device_ptrIfEEEEPS5_jNS1_19radix_merge_compareILb0ELb0EfNS0_19identity_decomposerEEEEE10hipError_tT0_T1_T2_jT3_P12ihipStream_tbPNSt15iterator_traitsISK_E10value_typeEPNSQ_ISL_E10value_typeEPSM_NS1_7vsmem_tEENKUlT_SK_SL_SM_E_clIPfSE_SF_SF_EESJ_SZ_SK_SL_SM_EUlSZ_E1_NS1_11comp_targetILNS1_3genE3ELNS1_11target_archE908ELNS1_3gpuE7ELNS1_3repE0EEENS1_36merge_oddeven_config_static_selectorELNS0_4arch9wavefront6targetE0EEEvSL_
	.p2align	8
	.type	_ZN7rocprim17ROCPRIM_400000_NS6detail17trampoline_kernelINS0_14default_configENS1_38merge_sort_block_merge_config_selectorIfNS0_10empty_typeEEEZZNS1_27merge_sort_block_merge_implIS3_N6thrust23THRUST_200600_302600_NS6detail15normal_iteratorINS9_10device_ptrIfEEEEPS5_jNS1_19radix_merge_compareILb0ELb0EfNS0_19identity_decomposerEEEEE10hipError_tT0_T1_T2_jT3_P12ihipStream_tbPNSt15iterator_traitsISK_E10value_typeEPNSQ_ISL_E10value_typeEPSM_NS1_7vsmem_tEENKUlT_SK_SL_SM_E_clIPfSE_SF_SF_EESJ_SZ_SK_SL_SM_EUlSZ_E1_NS1_11comp_targetILNS1_3genE3ELNS1_11target_archE908ELNS1_3gpuE7ELNS1_3repE0EEENS1_36merge_oddeven_config_static_selectorELNS0_4arch9wavefront6targetE0EEEvSL_,@function
_ZN7rocprim17ROCPRIM_400000_NS6detail17trampoline_kernelINS0_14default_configENS1_38merge_sort_block_merge_config_selectorIfNS0_10empty_typeEEEZZNS1_27merge_sort_block_merge_implIS3_N6thrust23THRUST_200600_302600_NS6detail15normal_iteratorINS9_10device_ptrIfEEEEPS5_jNS1_19radix_merge_compareILb0ELb0EfNS0_19identity_decomposerEEEEE10hipError_tT0_T1_T2_jT3_P12ihipStream_tbPNSt15iterator_traitsISK_E10value_typeEPNSQ_ISL_E10value_typeEPSM_NS1_7vsmem_tEENKUlT_SK_SL_SM_E_clIPfSE_SF_SF_EESJ_SZ_SK_SL_SM_EUlSZ_E1_NS1_11comp_targetILNS1_3genE3ELNS1_11target_archE908ELNS1_3gpuE7ELNS1_3repE0EEENS1_36merge_oddeven_config_static_selectorELNS0_4arch9wavefront6targetE0EEEvSL_: ; @_ZN7rocprim17ROCPRIM_400000_NS6detail17trampoline_kernelINS0_14default_configENS1_38merge_sort_block_merge_config_selectorIfNS0_10empty_typeEEEZZNS1_27merge_sort_block_merge_implIS3_N6thrust23THRUST_200600_302600_NS6detail15normal_iteratorINS9_10device_ptrIfEEEEPS5_jNS1_19radix_merge_compareILb0ELb0EfNS0_19identity_decomposerEEEEE10hipError_tT0_T1_T2_jT3_P12ihipStream_tbPNSt15iterator_traitsISK_E10value_typeEPNSQ_ISL_E10value_typeEPSM_NS1_7vsmem_tEENKUlT_SK_SL_SM_E_clIPfSE_SF_SF_EESJ_SZ_SK_SL_SM_EUlSZ_E1_NS1_11comp_targetILNS1_3genE3ELNS1_11target_archE908ELNS1_3gpuE7ELNS1_3repE0EEENS1_36merge_oddeven_config_static_selectorELNS0_4arch9wavefront6targetE0EEEvSL_
; %bb.0:
	.section	.rodata,"a",@progbits
	.p2align	6, 0x0
	.amdhsa_kernel _ZN7rocprim17ROCPRIM_400000_NS6detail17trampoline_kernelINS0_14default_configENS1_38merge_sort_block_merge_config_selectorIfNS0_10empty_typeEEEZZNS1_27merge_sort_block_merge_implIS3_N6thrust23THRUST_200600_302600_NS6detail15normal_iteratorINS9_10device_ptrIfEEEEPS5_jNS1_19radix_merge_compareILb0ELb0EfNS0_19identity_decomposerEEEEE10hipError_tT0_T1_T2_jT3_P12ihipStream_tbPNSt15iterator_traitsISK_E10value_typeEPNSQ_ISL_E10value_typeEPSM_NS1_7vsmem_tEENKUlT_SK_SL_SM_E_clIPfSE_SF_SF_EESJ_SZ_SK_SL_SM_EUlSZ_E1_NS1_11comp_targetILNS1_3genE3ELNS1_11target_archE908ELNS1_3gpuE7ELNS1_3repE0EEENS1_36merge_oddeven_config_static_selectorELNS0_4arch9wavefront6targetE0EEEvSL_
		.amdhsa_group_segment_fixed_size 0
		.amdhsa_private_segment_fixed_size 0
		.amdhsa_kernarg_size 48
		.amdhsa_user_sgpr_count 6
		.amdhsa_user_sgpr_private_segment_buffer 1
		.amdhsa_user_sgpr_dispatch_ptr 0
		.amdhsa_user_sgpr_queue_ptr 0
		.amdhsa_user_sgpr_kernarg_segment_ptr 1
		.amdhsa_user_sgpr_dispatch_id 0
		.amdhsa_user_sgpr_flat_scratch_init 0
		.amdhsa_user_sgpr_private_segment_size 0
		.amdhsa_wavefront_size32 1
		.amdhsa_uses_dynamic_stack 0
		.amdhsa_system_sgpr_private_segment_wavefront_offset 0
		.amdhsa_system_sgpr_workgroup_id_x 1
		.amdhsa_system_sgpr_workgroup_id_y 0
		.amdhsa_system_sgpr_workgroup_id_z 0
		.amdhsa_system_sgpr_workgroup_info 0
		.amdhsa_system_vgpr_workitem_id 0
		.amdhsa_next_free_vgpr 1
		.amdhsa_next_free_sgpr 1
		.amdhsa_reserve_vcc 0
		.amdhsa_reserve_flat_scratch 0
		.amdhsa_float_round_mode_32 0
		.amdhsa_float_round_mode_16_64 0
		.amdhsa_float_denorm_mode_32 3
		.amdhsa_float_denorm_mode_16_64 3
		.amdhsa_dx10_clamp 1
		.amdhsa_ieee_mode 1
		.amdhsa_fp16_overflow 0
		.amdhsa_workgroup_processor_mode 1
		.amdhsa_memory_ordered 1
		.amdhsa_forward_progress 1
		.amdhsa_shared_vgpr_count 0
		.amdhsa_exception_fp_ieee_invalid_op 0
		.amdhsa_exception_fp_denorm_src 0
		.amdhsa_exception_fp_ieee_div_zero 0
		.amdhsa_exception_fp_ieee_overflow 0
		.amdhsa_exception_fp_ieee_underflow 0
		.amdhsa_exception_fp_ieee_inexact 0
		.amdhsa_exception_int_div_zero 0
	.end_amdhsa_kernel
	.section	.text._ZN7rocprim17ROCPRIM_400000_NS6detail17trampoline_kernelINS0_14default_configENS1_38merge_sort_block_merge_config_selectorIfNS0_10empty_typeEEEZZNS1_27merge_sort_block_merge_implIS3_N6thrust23THRUST_200600_302600_NS6detail15normal_iteratorINS9_10device_ptrIfEEEEPS5_jNS1_19radix_merge_compareILb0ELb0EfNS0_19identity_decomposerEEEEE10hipError_tT0_T1_T2_jT3_P12ihipStream_tbPNSt15iterator_traitsISK_E10value_typeEPNSQ_ISL_E10value_typeEPSM_NS1_7vsmem_tEENKUlT_SK_SL_SM_E_clIPfSE_SF_SF_EESJ_SZ_SK_SL_SM_EUlSZ_E1_NS1_11comp_targetILNS1_3genE3ELNS1_11target_archE908ELNS1_3gpuE7ELNS1_3repE0EEENS1_36merge_oddeven_config_static_selectorELNS0_4arch9wavefront6targetE0EEEvSL_,"axG",@progbits,_ZN7rocprim17ROCPRIM_400000_NS6detail17trampoline_kernelINS0_14default_configENS1_38merge_sort_block_merge_config_selectorIfNS0_10empty_typeEEEZZNS1_27merge_sort_block_merge_implIS3_N6thrust23THRUST_200600_302600_NS6detail15normal_iteratorINS9_10device_ptrIfEEEEPS5_jNS1_19radix_merge_compareILb0ELb0EfNS0_19identity_decomposerEEEEE10hipError_tT0_T1_T2_jT3_P12ihipStream_tbPNSt15iterator_traitsISK_E10value_typeEPNSQ_ISL_E10value_typeEPSM_NS1_7vsmem_tEENKUlT_SK_SL_SM_E_clIPfSE_SF_SF_EESJ_SZ_SK_SL_SM_EUlSZ_E1_NS1_11comp_targetILNS1_3genE3ELNS1_11target_archE908ELNS1_3gpuE7ELNS1_3repE0EEENS1_36merge_oddeven_config_static_selectorELNS0_4arch9wavefront6targetE0EEEvSL_,comdat
.Lfunc_end495:
	.size	_ZN7rocprim17ROCPRIM_400000_NS6detail17trampoline_kernelINS0_14default_configENS1_38merge_sort_block_merge_config_selectorIfNS0_10empty_typeEEEZZNS1_27merge_sort_block_merge_implIS3_N6thrust23THRUST_200600_302600_NS6detail15normal_iteratorINS9_10device_ptrIfEEEEPS5_jNS1_19radix_merge_compareILb0ELb0EfNS0_19identity_decomposerEEEEE10hipError_tT0_T1_T2_jT3_P12ihipStream_tbPNSt15iterator_traitsISK_E10value_typeEPNSQ_ISL_E10value_typeEPSM_NS1_7vsmem_tEENKUlT_SK_SL_SM_E_clIPfSE_SF_SF_EESJ_SZ_SK_SL_SM_EUlSZ_E1_NS1_11comp_targetILNS1_3genE3ELNS1_11target_archE908ELNS1_3gpuE7ELNS1_3repE0EEENS1_36merge_oddeven_config_static_selectorELNS0_4arch9wavefront6targetE0EEEvSL_, .Lfunc_end495-_ZN7rocprim17ROCPRIM_400000_NS6detail17trampoline_kernelINS0_14default_configENS1_38merge_sort_block_merge_config_selectorIfNS0_10empty_typeEEEZZNS1_27merge_sort_block_merge_implIS3_N6thrust23THRUST_200600_302600_NS6detail15normal_iteratorINS9_10device_ptrIfEEEEPS5_jNS1_19radix_merge_compareILb0ELb0EfNS0_19identity_decomposerEEEEE10hipError_tT0_T1_T2_jT3_P12ihipStream_tbPNSt15iterator_traitsISK_E10value_typeEPNSQ_ISL_E10value_typeEPSM_NS1_7vsmem_tEENKUlT_SK_SL_SM_E_clIPfSE_SF_SF_EESJ_SZ_SK_SL_SM_EUlSZ_E1_NS1_11comp_targetILNS1_3genE3ELNS1_11target_archE908ELNS1_3gpuE7ELNS1_3repE0EEENS1_36merge_oddeven_config_static_selectorELNS0_4arch9wavefront6targetE0EEEvSL_
                                        ; -- End function
	.set _ZN7rocprim17ROCPRIM_400000_NS6detail17trampoline_kernelINS0_14default_configENS1_38merge_sort_block_merge_config_selectorIfNS0_10empty_typeEEEZZNS1_27merge_sort_block_merge_implIS3_N6thrust23THRUST_200600_302600_NS6detail15normal_iteratorINS9_10device_ptrIfEEEEPS5_jNS1_19radix_merge_compareILb0ELb0EfNS0_19identity_decomposerEEEEE10hipError_tT0_T1_T2_jT3_P12ihipStream_tbPNSt15iterator_traitsISK_E10value_typeEPNSQ_ISL_E10value_typeEPSM_NS1_7vsmem_tEENKUlT_SK_SL_SM_E_clIPfSE_SF_SF_EESJ_SZ_SK_SL_SM_EUlSZ_E1_NS1_11comp_targetILNS1_3genE3ELNS1_11target_archE908ELNS1_3gpuE7ELNS1_3repE0EEENS1_36merge_oddeven_config_static_selectorELNS0_4arch9wavefront6targetE0EEEvSL_.num_vgpr, 0
	.set _ZN7rocprim17ROCPRIM_400000_NS6detail17trampoline_kernelINS0_14default_configENS1_38merge_sort_block_merge_config_selectorIfNS0_10empty_typeEEEZZNS1_27merge_sort_block_merge_implIS3_N6thrust23THRUST_200600_302600_NS6detail15normal_iteratorINS9_10device_ptrIfEEEEPS5_jNS1_19radix_merge_compareILb0ELb0EfNS0_19identity_decomposerEEEEE10hipError_tT0_T1_T2_jT3_P12ihipStream_tbPNSt15iterator_traitsISK_E10value_typeEPNSQ_ISL_E10value_typeEPSM_NS1_7vsmem_tEENKUlT_SK_SL_SM_E_clIPfSE_SF_SF_EESJ_SZ_SK_SL_SM_EUlSZ_E1_NS1_11comp_targetILNS1_3genE3ELNS1_11target_archE908ELNS1_3gpuE7ELNS1_3repE0EEENS1_36merge_oddeven_config_static_selectorELNS0_4arch9wavefront6targetE0EEEvSL_.num_agpr, 0
	.set _ZN7rocprim17ROCPRIM_400000_NS6detail17trampoline_kernelINS0_14default_configENS1_38merge_sort_block_merge_config_selectorIfNS0_10empty_typeEEEZZNS1_27merge_sort_block_merge_implIS3_N6thrust23THRUST_200600_302600_NS6detail15normal_iteratorINS9_10device_ptrIfEEEEPS5_jNS1_19radix_merge_compareILb0ELb0EfNS0_19identity_decomposerEEEEE10hipError_tT0_T1_T2_jT3_P12ihipStream_tbPNSt15iterator_traitsISK_E10value_typeEPNSQ_ISL_E10value_typeEPSM_NS1_7vsmem_tEENKUlT_SK_SL_SM_E_clIPfSE_SF_SF_EESJ_SZ_SK_SL_SM_EUlSZ_E1_NS1_11comp_targetILNS1_3genE3ELNS1_11target_archE908ELNS1_3gpuE7ELNS1_3repE0EEENS1_36merge_oddeven_config_static_selectorELNS0_4arch9wavefront6targetE0EEEvSL_.numbered_sgpr, 0
	.set _ZN7rocprim17ROCPRIM_400000_NS6detail17trampoline_kernelINS0_14default_configENS1_38merge_sort_block_merge_config_selectorIfNS0_10empty_typeEEEZZNS1_27merge_sort_block_merge_implIS3_N6thrust23THRUST_200600_302600_NS6detail15normal_iteratorINS9_10device_ptrIfEEEEPS5_jNS1_19radix_merge_compareILb0ELb0EfNS0_19identity_decomposerEEEEE10hipError_tT0_T1_T2_jT3_P12ihipStream_tbPNSt15iterator_traitsISK_E10value_typeEPNSQ_ISL_E10value_typeEPSM_NS1_7vsmem_tEENKUlT_SK_SL_SM_E_clIPfSE_SF_SF_EESJ_SZ_SK_SL_SM_EUlSZ_E1_NS1_11comp_targetILNS1_3genE3ELNS1_11target_archE908ELNS1_3gpuE7ELNS1_3repE0EEENS1_36merge_oddeven_config_static_selectorELNS0_4arch9wavefront6targetE0EEEvSL_.num_named_barrier, 0
	.set _ZN7rocprim17ROCPRIM_400000_NS6detail17trampoline_kernelINS0_14default_configENS1_38merge_sort_block_merge_config_selectorIfNS0_10empty_typeEEEZZNS1_27merge_sort_block_merge_implIS3_N6thrust23THRUST_200600_302600_NS6detail15normal_iteratorINS9_10device_ptrIfEEEEPS5_jNS1_19radix_merge_compareILb0ELb0EfNS0_19identity_decomposerEEEEE10hipError_tT0_T1_T2_jT3_P12ihipStream_tbPNSt15iterator_traitsISK_E10value_typeEPNSQ_ISL_E10value_typeEPSM_NS1_7vsmem_tEENKUlT_SK_SL_SM_E_clIPfSE_SF_SF_EESJ_SZ_SK_SL_SM_EUlSZ_E1_NS1_11comp_targetILNS1_3genE3ELNS1_11target_archE908ELNS1_3gpuE7ELNS1_3repE0EEENS1_36merge_oddeven_config_static_selectorELNS0_4arch9wavefront6targetE0EEEvSL_.private_seg_size, 0
	.set _ZN7rocprim17ROCPRIM_400000_NS6detail17trampoline_kernelINS0_14default_configENS1_38merge_sort_block_merge_config_selectorIfNS0_10empty_typeEEEZZNS1_27merge_sort_block_merge_implIS3_N6thrust23THRUST_200600_302600_NS6detail15normal_iteratorINS9_10device_ptrIfEEEEPS5_jNS1_19radix_merge_compareILb0ELb0EfNS0_19identity_decomposerEEEEE10hipError_tT0_T1_T2_jT3_P12ihipStream_tbPNSt15iterator_traitsISK_E10value_typeEPNSQ_ISL_E10value_typeEPSM_NS1_7vsmem_tEENKUlT_SK_SL_SM_E_clIPfSE_SF_SF_EESJ_SZ_SK_SL_SM_EUlSZ_E1_NS1_11comp_targetILNS1_3genE3ELNS1_11target_archE908ELNS1_3gpuE7ELNS1_3repE0EEENS1_36merge_oddeven_config_static_selectorELNS0_4arch9wavefront6targetE0EEEvSL_.uses_vcc, 0
	.set _ZN7rocprim17ROCPRIM_400000_NS6detail17trampoline_kernelINS0_14default_configENS1_38merge_sort_block_merge_config_selectorIfNS0_10empty_typeEEEZZNS1_27merge_sort_block_merge_implIS3_N6thrust23THRUST_200600_302600_NS6detail15normal_iteratorINS9_10device_ptrIfEEEEPS5_jNS1_19radix_merge_compareILb0ELb0EfNS0_19identity_decomposerEEEEE10hipError_tT0_T1_T2_jT3_P12ihipStream_tbPNSt15iterator_traitsISK_E10value_typeEPNSQ_ISL_E10value_typeEPSM_NS1_7vsmem_tEENKUlT_SK_SL_SM_E_clIPfSE_SF_SF_EESJ_SZ_SK_SL_SM_EUlSZ_E1_NS1_11comp_targetILNS1_3genE3ELNS1_11target_archE908ELNS1_3gpuE7ELNS1_3repE0EEENS1_36merge_oddeven_config_static_selectorELNS0_4arch9wavefront6targetE0EEEvSL_.uses_flat_scratch, 0
	.set _ZN7rocprim17ROCPRIM_400000_NS6detail17trampoline_kernelINS0_14default_configENS1_38merge_sort_block_merge_config_selectorIfNS0_10empty_typeEEEZZNS1_27merge_sort_block_merge_implIS3_N6thrust23THRUST_200600_302600_NS6detail15normal_iteratorINS9_10device_ptrIfEEEEPS5_jNS1_19radix_merge_compareILb0ELb0EfNS0_19identity_decomposerEEEEE10hipError_tT0_T1_T2_jT3_P12ihipStream_tbPNSt15iterator_traitsISK_E10value_typeEPNSQ_ISL_E10value_typeEPSM_NS1_7vsmem_tEENKUlT_SK_SL_SM_E_clIPfSE_SF_SF_EESJ_SZ_SK_SL_SM_EUlSZ_E1_NS1_11comp_targetILNS1_3genE3ELNS1_11target_archE908ELNS1_3gpuE7ELNS1_3repE0EEENS1_36merge_oddeven_config_static_selectorELNS0_4arch9wavefront6targetE0EEEvSL_.has_dyn_sized_stack, 0
	.set _ZN7rocprim17ROCPRIM_400000_NS6detail17trampoline_kernelINS0_14default_configENS1_38merge_sort_block_merge_config_selectorIfNS0_10empty_typeEEEZZNS1_27merge_sort_block_merge_implIS3_N6thrust23THRUST_200600_302600_NS6detail15normal_iteratorINS9_10device_ptrIfEEEEPS5_jNS1_19radix_merge_compareILb0ELb0EfNS0_19identity_decomposerEEEEE10hipError_tT0_T1_T2_jT3_P12ihipStream_tbPNSt15iterator_traitsISK_E10value_typeEPNSQ_ISL_E10value_typeEPSM_NS1_7vsmem_tEENKUlT_SK_SL_SM_E_clIPfSE_SF_SF_EESJ_SZ_SK_SL_SM_EUlSZ_E1_NS1_11comp_targetILNS1_3genE3ELNS1_11target_archE908ELNS1_3gpuE7ELNS1_3repE0EEENS1_36merge_oddeven_config_static_selectorELNS0_4arch9wavefront6targetE0EEEvSL_.has_recursion, 0
	.set _ZN7rocprim17ROCPRIM_400000_NS6detail17trampoline_kernelINS0_14default_configENS1_38merge_sort_block_merge_config_selectorIfNS0_10empty_typeEEEZZNS1_27merge_sort_block_merge_implIS3_N6thrust23THRUST_200600_302600_NS6detail15normal_iteratorINS9_10device_ptrIfEEEEPS5_jNS1_19radix_merge_compareILb0ELb0EfNS0_19identity_decomposerEEEEE10hipError_tT0_T1_T2_jT3_P12ihipStream_tbPNSt15iterator_traitsISK_E10value_typeEPNSQ_ISL_E10value_typeEPSM_NS1_7vsmem_tEENKUlT_SK_SL_SM_E_clIPfSE_SF_SF_EESJ_SZ_SK_SL_SM_EUlSZ_E1_NS1_11comp_targetILNS1_3genE3ELNS1_11target_archE908ELNS1_3gpuE7ELNS1_3repE0EEENS1_36merge_oddeven_config_static_selectorELNS0_4arch9wavefront6targetE0EEEvSL_.has_indirect_call, 0
	.section	.AMDGPU.csdata,"",@progbits
; Kernel info:
; codeLenInByte = 0
; TotalNumSgprs: 0
; NumVgprs: 0
; ScratchSize: 0
; MemoryBound: 0
; FloatMode: 240
; IeeeMode: 1
; LDSByteSize: 0 bytes/workgroup (compile time only)
; SGPRBlocks: 0
; VGPRBlocks: 0
; NumSGPRsForWavesPerEU: 1
; NumVGPRsForWavesPerEU: 1
; Occupancy: 16
; WaveLimiterHint : 0
; COMPUTE_PGM_RSRC2:SCRATCH_EN: 0
; COMPUTE_PGM_RSRC2:USER_SGPR: 6
; COMPUTE_PGM_RSRC2:TRAP_HANDLER: 0
; COMPUTE_PGM_RSRC2:TGID_X_EN: 1
; COMPUTE_PGM_RSRC2:TGID_Y_EN: 0
; COMPUTE_PGM_RSRC2:TGID_Z_EN: 0
; COMPUTE_PGM_RSRC2:TIDIG_COMP_CNT: 0
	.section	.text._ZN7rocprim17ROCPRIM_400000_NS6detail17trampoline_kernelINS0_14default_configENS1_38merge_sort_block_merge_config_selectorIfNS0_10empty_typeEEEZZNS1_27merge_sort_block_merge_implIS3_N6thrust23THRUST_200600_302600_NS6detail15normal_iteratorINS9_10device_ptrIfEEEEPS5_jNS1_19radix_merge_compareILb0ELb0EfNS0_19identity_decomposerEEEEE10hipError_tT0_T1_T2_jT3_P12ihipStream_tbPNSt15iterator_traitsISK_E10value_typeEPNSQ_ISL_E10value_typeEPSM_NS1_7vsmem_tEENKUlT_SK_SL_SM_E_clIPfSE_SF_SF_EESJ_SZ_SK_SL_SM_EUlSZ_E1_NS1_11comp_targetILNS1_3genE2ELNS1_11target_archE906ELNS1_3gpuE6ELNS1_3repE0EEENS1_36merge_oddeven_config_static_selectorELNS0_4arch9wavefront6targetE0EEEvSL_,"axG",@progbits,_ZN7rocprim17ROCPRIM_400000_NS6detail17trampoline_kernelINS0_14default_configENS1_38merge_sort_block_merge_config_selectorIfNS0_10empty_typeEEEZZNS1_27merge_sort_block_merge_implIS3_N6thrust23THRUST_200600_302600_NS6detail15normal_iteratorINS9_10device_ptrIfEEEEPS5_jNS1_19radix_merge_compareILb0ELb0EfNS0_19identity_decomposerEEEEE10hipError_tT0_T1_T2_jT3_P12ihipStream_tbPNSt15iterator_traitsISK_E10value_typeEPNSQ_ISL_E10value_typeEPSM_NS1_7vsmem_tEENKUlT_SK_SL_SM_E_clIPfSE_SF_SF_EESJ_SZ_SK_SL_SM_EUlSZ_E1_NS1_11comp_targetILNS1_3genE2ELNS1_11target_archE906ELNS1_3gpuE6ELNS1_3repE0EEENS1_36merge_oddeven_config_static_selectorELNS0_4arch9wavefront6targetE0EEEvSL_,comdat
	.protected	_ZN7rocprim17ROCPRIM_400000_NS6detail17trampoline_kernelINS0_14default_configENS1_38merge_sort_block_merge_config_selectorIfNS0_10empty_typeEEEZZNS1_27merge_sort_block_merge_implIS3_N6thrust23THRUST_200600_302600_NS6detail15normal_iteratorINS9_10device_ptrIfEEEEPS5_jNS1_19radix_merge_compareILb0ELb0EfNS0_19identity_decomposerEEEEE10hipError_tT0_T1_T2_jT3_P12ihipStream_tbPNSt15iterator_traitsISK_E10value_typeEPNSQ_ISL_E10value_typeEPSM_NS1_7vsmem_tEENKUlT_SK_SL_SM_E_clIPfSE_SF_SF_EESJ_SZ_SK_SL_SM_EUlSZ_E1_NS1_11comp_targetILNS1_3genE2ELNS1_11target_archE906ELNS1_3gpuE6ELNS1_3repE0EEENS1_36merge_oddeven_config_static_selectorELNS0_4arch9wavefront6targetE0EEEvSL_ ; -- Begin function _ZN7rocprim17ROCPRIM_400000_NS6detail17trampoline_kernelINS0_14default_configENS1_38merge_sort_block_merge_config_selectorIfNS0_10empty_typeEEEZZNS1_27merge_sort_block_merge_implIS3_N6thrust23THRUST_200600_302600_NS6detail15normal_iteratorINS9_10device_ptrIfEEEEPS5_jNS1_19radix_merge_compareILb0ELb0EfNS0_19identity_decomposerEEEEE10hipError_tT0_T1_T2_jT3_P12ihipStream_tbPNSt15iterator_traitsISK_E10value_typeEPNSQ_ISL_E10value_typeEPSM_NS1_7vsmem_tEENKUlT_SK_SL_SM_E_clIPfSE_SF_SF_EESJ_SZ_SK_SL_SM_EUlSZ_E1_NS1_11comp_targetILNS1_3genE2ELNS1_11target_archE906ELNS1_3gpuE6ELNS1_3repE0EEENS1_36merge_oddeven_config_static_selectorELNS0_4arch9wavefront6targetE0EEEvSL_
	.globl	_ZN7rocprim17ROCPRIM_400000_NS6detail17trampoline_kernelINS0_14default_configENS1_38merge_sort_block_merge_config_selectorIfNS0_10empty_typeEEEZZNS1_27merge_sort_block_merge_implIS3_N6thrust23THRUST_200600_302600_NS6detail15normal_iteratorINS9_10device_ptrIfEEEEPS5_jNS1_19radix_merge_compareILb0ELb0EfNS0_19identity_decomposerEEEEE10hipError_tT0_T1_T2_jT3_P12ihipStream_tbPNSt15iterator_traitsISK_E10value_typeEPNSQ_ISL_E10value_typeEPSM_NS1_7vsmem_tEENKUlT_SK_SL_SM_E_clIPfSE_SF_SF_EESJ_SZ_SK_SL_SM_EUlSZ_E1_NS1_11comp_targetILNS1_3genE2ELNS1_11target_archE906ELNS1_3gpuE6ELNS1_3repE0EEENS1_36merge_oddeven_config_static_selectorELNS0_4arch9wavefront6targetE0EEEvSL_
	.p2align	8
	.type	_ZN7rocprim17ROCPRIM_400000_NS6detail17trampoline_kernelINS0_14default_configENS1_38merge_sort_block_merge_config_selectorIfNS0_10empty_typeEEEZZNS1_27merge_sort_block_merge_implIS3_N6thrust23THRUST_200600_302600_NS6detail15normal_iteratorINS9_10device_ptrIfEEEEPS5_jNS1_19radix_merge_compareILb0ELb0EfNS0_19identity_decomposerEEEEE10hipError_tT0_T1_T2_jT3_P12ihipStream_tbPNSt15iterator_traitsISK_E10value_typeEPNSQ_ISL_E10value_typeEPSM_NS1_7vsmem_tEENKUlT_SK_SL_SM_E_clIPfSE_SF_SF_EESJ_SZ_SK_SL_SM_EUlSZ_E1_NS1_11comp_targetILNS1_3genE2ELNS1_11target_archE906ELNS1_3gpuE6ELNS1_3repE0EEENS1_36merge_oddeven_config_static_selectorELNS0_4arch9wavefront6targetE0EEEvSL_,@function
_ZN7rocprim17ROCPRIM_400000_NS6detail17trampoline_kernelINS0_14default_configENS1_38merge_sort_block_merge_config_selectorIfNS0_10empty_typeEEEZZNS1_27merge_sort_block_merge_implIS3_N6thrust23THRUST_200600_302600_NS6detail15normal_iteratorINS9_10device_ptrIfEEEEPS5_jNS1_19radix_merge_compareILb0ELb0EfNS0_19identity_decomposerEEEEE10hipError_tT0_T1_T2_jT3_P12ihipStream_tbPNSt15iterator_traitsISK_E10value_typeEPNSQ_ISL_E10value_typeEPSM_NS1_7vsmem_tEENKUlT_SK_SL_SM_E_clIPfSE_SF_SF_EESJ_SZ_SK_SL_SM_EUlSZ_E1_NS1_11comp_targetILNS1_3genE2ELNS1_11target_archE906ELNS1_3gpuE6ELNS1_3repE0EEENS1_36merge_oddeven_config_static_selectorELNS0_4arch9wavefront6targetE0EEEvSL_: ; @_ZN7rocprim17ROCPRIM_400000_NS6detail17trampoline_kernelINS0_14default_configENS1_38merge_sort_block_merge_config_selectorIfNS0_10empty_typeEEEZZNS1_27merge_sort_block_merge_implIS3_N6thrust23THRUST_200600_302600_NS6detail15normal_iteratorINS9_10device_ptrIfEEEEPS5_jNS1_19radix_merge_compareILb0ELb0EfNS0_19identity_decomposerEEEEE10hipError_tT0_T1_T2_jT3_P12ihipStream_tbPNSt15iterator_traitsISK_E10value_typeEPNSQ_ISL_E10value_typeEPSM_NS1_7vsmem_tEENKUlT_SK_SL_SM_E_clIPfSE_SF_SF_EESJ_SZ_SK_SL_SM_EUlSZ_E1_NS1_11comp_targetILNS1_3genE2ELNS1_11target_archE906ELNS1_3gpuE6ELNS1_3repE0EEENS1_36merge_oddeven_config_static_selectorELNS0_4arch9wavefront6targetE0EEEvSL_
; %bb.0:
	.section	.rodata,"a",@progbits
	.p2align	6, 0x0
	.amdhsa_kernel _ZN7rocprim17ROCPRIM_400000_NS6detail17trampoline_kernelINS0_14default_configENS1_38merge_sort_block_merge_config_selectorIfNS0_10empty_typeEEEZZNS1_27merge_sort_block_merge_implIS3_N6thrust23THRUST_200600_302600_NS6detail15normal_iteratorINS9_10device_ptrIfEEEEPS5_jNS1_19radix_merge_compareILb0ELb0EfNS0_19identity_decomposerEEEEE10hipError_tT0_T1_T2_jT3_P12ihipStream_tbPNSt15iterator_traitsISK_E10value_typeEPNSQ_ISL_E10value_typeEPSM_NS1_7vsmem_tEENKUlT_SK_SL_SM_E_clIPfSE_SF_SF_EESJ_SZ_SK_SL_SM_EUlSZ_E1_NS1_11comp_targetILNS1_3genE2ELNS1_11target_archE906ELNS1_3gpuE6ELNS1_3repE0EEENS1_36merge_oddeven_config_static_selectorELNS0_4arch9wavefront6targetE0EEEvSL_
		.amdhsa_group_segment_fixed_size 0
		.amdhsa_private_segment_fixed_size 0
		.amdhsa_kernarg_size 48
		.amdhsa_user_sgpr_count 6
		.amdhsa_user_sgpr_private_segment_buffer 1
		.amdhsa_user_sgpr_dispatch_ptr 0
		.amdhsa_user_sgpr_queue_ptr 0
		.amdhsa_user_sgpr_kernarg_segment_ptr 1
		.amdhsa_user_sgpr_dispatch_id 0
		.amdhsa_user_sgpr_flat_scratch_init 0
		.amdhsa_user_sgpr_private_segment_size 0
		.amdhsa_wavefront_size32 1
		.amdhsa_uses_dynamic_stack 0
		.amdhsa_system_sgpr_private_segment_wavefront_offset 0
		.amdhsa_system_sgpr_workgroup_id_x 1
		.amdhsa_system_sgpr_workgroup_id_y 0
		.amdhsa_system_sgpr_workgroup_id_z 0
		.amdhsa_system_sgpr_workgroup_info 0
		.amdhsa_system_vgpr_workitem_id 0
		.amdhsa_next_free_vgpr 1
		.amdhsa_next_free_sgpr 1
		.amdhsa_reserve_vcc 0
		.amdhsa_reserve_flat_scratch 0
		.amdhsa_float_round_mode_32 0
		.amdhsa_float_round_mode_16_64 0
		.amdhsa_float_denorm_mode_32 3
		.amdhsa_float_denorm_mode_16_64 3
		.amdhsa_dx10_clamp 1
		.amdhsa_ieee_mode 1
		.amdhsa_fp16_overflow 0
		.amdhsa_workgroup_processor_mode 1
		.amdhsa_memory_ordered 1
		.amdhsa_forward_progress 1
		.amdhsa_shared_vgpr_count 0
		.amdhsa_exception_fp_ieee_invalid_op 0
		.amdhsa_exception_fp_denorm_src 0
		.amdhsa_exception_fp_ieee_div_zero 0
		.amdhsa_exception_fp_ieee_overflow 0
		.amdhsa_exception_fp_ieee_underflow 0
		.amdhsa_exception_fp_ieee_inexact 0
		.amdhsa_exception_int_div_zero 0
	.end_amdhsa_kernel
	.section	.text._ZN7rocprim17ROCPRIM_400000_NS6detail17trampoline_kernelINS0_14default_configENS1_38merge_sort_block_merge_config_selectorIfNS0_10empty_typeEEEZZNS1_27merge_sort_block_merge_implIS3_N6thrust23THRUST_200600_302600_NS6detail15normal_iteratorINS9_10device_ptrIfEEEEPS5_jNS1_19radix_merge_compareILb0ELb0EfNS0_19identity_decomposerEEEEE10hipError_tT0_T1_T2_jT3_P12ihipStream_tbPNSt15iterator_traitsISK_E10value_typeEPNSQ_ISL_E10value_typeEPSM_NS1_7vsmem_tEENKUlT_SK_SL_SM_E_clIPfSE_SF_SF_EESJ_SZ_SK_SL_SM_EUlSZ_E1_NS1_11comp_targetILNS1_3genE2ELNS1_11target_archE906ELNS1_3gpuE6ELNS1_3repE0EEENS1_36merge_oddeven_config_static_selectorELNS0_4arch9wavefront6targetE0EEEvSL_,"axG",@progbits,_ZN7rocprim17ROCPRIM_400000_NS6detail17trampoline_kernelINS0_14default_configENS1_38merge_sort_block_merge_config_selectorIfNS0_10empty_typeEEEZZNS1_27merge_sort_block_merge_implIS3_N6thrust23THRUST_200600_302600_NS6detail15normal_iteratorINS9_10device_ptrIfEEEEPS5_jNS1_19radix_merge_compareILb0ELb0EfNS0_19identity_decomposerEEEEE10hipError_tT0_T1_T2_jT3_P12ihipStream_tbPNSt15iterator_traitsISK_E10value_typeEPNSQ_ISL_E10value_typeEPSM_NS1_7vsmem_tEENKUlT_SK_SL_SM_E_clIPfSE_SF_SF_EESJ_SZ_SK_SL_SM_EUlSZ_E1_NS1_11comp_targetILNS1_3genE2ELNS1_11target_archE906ELNS1_3gpuE6ELNS1_3repE0EEENS1_36merge_oddeven_config_static_selectorELNS0_4arch9wavefront6targetE0EEEvSL_,comdat
.Lfunc_end496:
	.size	_ZN7rocprim17ROCPRIM_400000_NS6detail17trampoline_kernelINS0_14default_configENS1_38merge_sort_block_merge_config_selectorIfNS0_10empty_typeEEEZZNS1_27merge_sort_block_merge_implIS3_N6thrust23THRUST_200600_302600_NS6detail15normal_iteratorINS9_10device_ptrIfEEEEPS5_jNS1_19radix_merge_compareILb0ELb0EfNS0_19identity_decomposerEEEEE10hipError_tT0_T1_T2_jT3_P12ihipStream_tbPNSt15iterator_traitsISK_E10value_typeEPNSQ_ISL_E10value_typeEPSM_NS1_7vsmem_tEENKUlT_SK_SL_SM_E_clIPfSE_SF_SF_EESJ_SZ_SK_SL_SM_EUlSZ_E1_NS1_11comp_targetILNS1_3genE2ELNS1_11target_archE906ELNS1_3gpuE6ELNS1_3repE0EEENS1_36merge_oddeven_config_static_selectorELNS0_4arch9wavefront6targetE0EEEvSL_, .Lfunc_end496-_ZN7rocprim17ROCPRIM_400000_NS6detail17trampoline_kernelINS0_14default_configENS1_38merge_sort_block_merge_config_selectorIfNS0_10empty_typeEEEZZNS1_27merge_sort_block_merge_implIS3_N6thrust23THRUST_200600_302600_NS6detail15normal_iteratorINS9_10device_ptrIfEEEEPS5_jNS1_19radix_merge_compareILb0ELb0EfNS0_19identity_decomposerEEEEE10hipError_tT0_T1_T2_jT3_P12ihipStream_tbPNSt15iterator_traitsISK_E10value_typeEPNSQ_ISL_E10value_typeEPSM_NS1_7vsmem_tEENKUlT_SK_SL_SM_E_clIPfSE_SF_SF_EESJ_SZ_SK_SL_SM_EUlSZ_E1_NS1_11comp_targetILNS1_3genE2ELNS1_11target_archE906ELNS1_3gpuE6ELNS1_3repE0EEENS1_36merge_oddeven_config_static_selectorELNS0_4arch9wavefront6targetE0EEEvSL_
                                        ; -- End function
	.set _ZN7rocprim17ROCPRIM_400000_NS6detail17trampoline_kernelINS0_14default_configENS1_38merge_sort_block_merge_config_selectorIfNS0_10empty_typeEEEZZNS1_27merge_sort_block_merge_implIS3_N6thrust23THRUST_200600_302600_NS6detail15normal_iteratorINS9_10device_ptrIfEEEEPS5_jNS1_19radix_merge_compareILb0ELb0EfNS0_19identity_decomposerEEEEE10hipError_tT0_T1_T2_jT3_P12ihipStream_tbPNSt15iterator_traitsISK_E10value_typeEPNSQ_ISL_E10value_typeEPSM_NS1_7vsmem_tEENKUlT_SK_SL_SM_E_clIPfSE_SF_SF_EESJ_SZ_SK_SL_SM_EUlSZ_E1_NS1_11comp_targetILNS1_3genE2ELNS1_11target_archE906ELNS1_3gpuE6ELNS1_3repE0EEENS1_36merge_oddeven_config_static_selectorELNS0_4arch9wavefront6targetE0EEEvSL_.num_vgpr, 0
	.set _ZN7rocprim17ROCPRIM_400000_NS6detail17trampoline_kernelINS0_14default_configENS1_38merge_sort_block_merge_config_selectorIfNS0_10empty_typeEEEZZNS1_27merge_sort_block_merge_implIS3_N6thrust23THRUST_200600_302600_NS6detail15normal_iteratorINS9_10device_ptrIfEEEEPS5_jNS1_19radix_merge_compareILb0ELb0EfNS0_19identity_decomposerEEEEE10hipError_tT0_T1_T2_jT3_P12ihipStream_tbPNSt15iterator_traitsISK_E10value_typeEPNSQ_ISL_E10value_typeEPSM_NS1_7vsmem_tEENKUlT_SK_SL_SM_E_clIPfSE_SF_SF_EESJ_SZ_SK_SL_SM_EUlSZ_E1_NS1_11comp_targetILNS1_3genE2ELNS1_11target_archE906ELNS1_3gpuE6ELNS1_3repE0EEENS1_36merge_oddeven_config_static_selectorELNS0_4arch9wavefront6targetE0EEEvSL_.num_agpr, 0
	.set _ZN7rocprim17ROCPRIM_400000_NS6detail17trampoline_kernelINS0_14default_configENS1_38merge_sort_block_merge_config_selectorIfNS0_10empty_typeEEEZZNS1_27merge_sort_block_merge_implIS3_N6thrust23THRUST_200600_302600_NS6detail15normal_iteratorINS9_10device_ptrIfEEEEPS5_jNS1_19radix_merge_compareILb0ELb0EfNS0_19identity_decomposerEEEEE10hipError_tT0_T1_T2_jT3_P12ihipStream_tbPNSt15iterator_traitsISK_E10value_typeEPNSQ_ISL_E10value_typeEPSM_NS1_7vsmem_tEENKUlT_SK_SL_SM_E_clIPfSE_SF_SF_EESJ_SZ_SK_SL_SM_EUlSZ_E1_NS1_11comp_targetILNS1_3genE2ELNS1_11target_archE906ELNS1_3gpuE6ELNS1_3repE0EEENS1_36merge_oddeven_config_static_selectorELNS0_4arch9wavefront6targetE0EEEvSL_.numbered_sgpr, 0
	.set _ZN7rocprim17ROCPRIM_400000_NS6detail17trampoline_kernelINS0_14default_configENS1_38merge_sort_block_merge_config_selectorIfNS0_10empty_typeEEEZZNS1_27merge_sort_block_merge_implIS3_N6thrust23THRUST_200600_302600_NS6detail15normal_iteratorINS9_10device_ptrIfEEEEPS5_jNS1_19radix_merge_compareILb0ELb0EfNS0_19identity_decomposerEEEEE10hipError_tT0_T1_T2_jT3_P12ihipStream_tbPNSt15iterator_traitsISK_E10value_typeEPNSQ_ISL_E10value_typeEPSM_NS1_7vsmem_tEENKUlT_SK_SL_SM_E_clIPfSE_SF_SF_EESJ_SZ_SK_SL_SM_EUlSZ_E1_NS1_11comp_targetILNS1_3genE2ELNS1_11target_archE906ELNS1_3gpuE6ELNS1_3repE0EEENS1_36merge_oddeven_config_static_selectorELNS0_4arch9wavefront6targetE0EEEvSL_.num_named_barrier, 0
	.set _ZN7rocprim17ROCPRIM_400000_NS6detail17trampoline_kernelINS0_14default_configENS1_38merge_sort_block_merge_config_selectorIfNS0_10empty_typeEEEZZNS1_27merge_sort_block_merge_implIS3_N6thrust23THRUST_200600_302600_NS6detail15normal_iteratorINS9_10device_ptrIfEEEEPS5_jNS1_19radix_merge_compareILb0ELb0EfNS0_19identity_decomposerEEEEE10hipError_tT0_T1_T2_jT3_P12ihipStream_tbPNSt15iterator_traitsISK_E10value_typeEPNSQ_ISL_E10value_typeEPSM_NS1_7vsmem_tEENKUlT_SK_SL_SM_E_clIPfSE_SF_SF_EESJ_SZ_SK_SL_SM_EUlSZ_E1_NS1_11comp_targetILNS1_3genE2ELNS1_11target_archE906ELNS1_3gpuE6ELNS1_3repE0EEENS1_36merge_oddeven_config_static_selectorELNS0_4arch9wavefront6targetE0EEEvSL_.private_seg_size, 0
	.set _ZN7rocprim17ROCPRIM_400000_NS6detail17trampoline_kernelINS0_14default_configENS1_38merge_sort_block_merge_config_selectorIfNS0_10empty_typeEEEZZNS1_27merge_sort_block_merge_implIS3_N6thrust23THRUST_200600_302600_NS6detail15normal_iteratorINS9_10device_ptrIfEEEEPS5_jNS1_19radix_merge_compareILb0ELb0EfNS0_19identity_decomposerEEEEE10hipError_tT0_T1_T2_jT3_P12ihipStream_tbPNSt15iterator_traitsISK_E10value_typeEPNSQ_ISL_E10value_typeEPSM_NS1_7vsmem_tEENKUlT_SK_SL_SM_E_clIPfSE_SF_SF_EESJ_SZ_SK_SL_SM_EUlSZ_E1_NS1_11comp_targetILNS1_3genE2ELNS1_11target_archE906ELNS1_3gpuE6ELNS1_3repE0EEENS1_36merge_oddeven_config_static_selectorELNS0_4arch9wavefront6targetE0EEEvSL_.uses_vcc, 0
	.set _ZN7rocprim17ROCPRIM_400000_NS6detail17trampoline_kernelINS0_14default_configENS1_38merge_sort_block_merge_config_selectorIfNS0_10empty_typeEEEZZNS1_27merge_sort_block_merge_implIS3_N6thrust23THRUST_200600_302600_NS6detail15normal_iteratorINS9_10device_ptrIfEEEEPS5_jNS1_19radix_merge_compareILb0ELb0EfNS0_19identity_decomposerEEEEE10hipError_tT0_T1_T2_jT3_P12ihipStream_tbPNSt15iterator_traitsISK_E10value_typeEPNSQ_ISL_E10value_typeEPSM_NS1_7vsmem_tEENKUlT_SK_SL_SM_E_clIPfSE_SF_SF_EESJ_SZ_SK_SL_SM_EUlSZ_E1_NS1_11comp_targetILNS1_3genE2ELNS1_11target_archE906ELNS1_3gpuE6ELNS1_3repE0EEENS1_36merge_oddeven_config_static_selectorELNS0_4arch9wavefront6targetE0EEEvSL_.uses_flat_scratch, 0
	.set _ZN7rocprim17ROCPRIM_400000_NS6detail17trampoline_kernelINS0_14default_configENS1_38merge_sort_block_merge_config_selectorIfNS0_10empty_typeEEEZZNS1_27merge_sort_block_merge_implIS3_N6thrust23THRUST_200600_302600_NS6detail15normal_iteratorINS9_10device_ptrIfEEEEPS5_jNS1_19radix_merge_compareILb0ELb0EfNS0_19identity_decomposerEEEEE10hipError_tT0_T1_T2_jT3_P12ihipStream_tbPNSt15iterator_traitsISK_E10value_typeEPNSQ_ISL_E10value_typeEPSM_NS1_7vsmem_tEENKUlT_SK_SL_SM_E_clIPfSE_SF_SF_EESJ_SZ_SK_SL_SM_EUlSZ_E1_NS1_11comp_targetILNS1_3genE2ELNS1_11target_archE906ELNS1_3gpuE6ELNS1_3repE0EEENS1_36merge_oddeven_config_static_selectorELNS0_4arch9wavefront6targetE0EEEvSL_.has_dyn_sized_stack, 0
	.set _ZN7rocprim17ROCPRIM_400000_NS6detail17trampoline_kernelINS0_14default_configENS1_38merge_sort_block_merge_config_selectorIfNS0_10empty_typeEEEZZNS1_27merge_sort_block_merge_implIS3_N6thrust23THRUST_200600_302600_NS6detail15normal_iteratorINS9_10device_ptrIfEEEEPS5_jNS1_19radix_merge_compareILb0ELb0EfNS0_19identity_decomposerEEEEE10hipError_tT0_T1_T2_jT3_P12ihipStream_tbPNSt15iterator_traitsISK_E10value_typeEPNSQ_ISL_E10value_typeEPSM_NS1_7vsmem_tEENKUlT_SK_SL_SM_E_clIPfSE_SF_SF_EESJ_SZ_SK_SL_SM_EUlSZ_E1_NS1_11comp_targetILNS1_3genE2ELNS1_11target_archE906ELNS1_3gpuE6ELNS1_3repE0EEENS1_36merge_oddeven_config_static_selectorELNS0_4arch9wavefront6targetE0EEEvSL_.has_recursion, 0
	.set _ZN7rocprim17ROCPRIM_400000_NS6detail17trampoline_kernelINS0_14default_configENS1_38merge_sort_block_merge_config_selectorIfNS0_10empty_typeEEEZZNS1_27merge_sort_block_merge_implIS3_N6thrust23THRUST_200600_302600_NS6detail15normal_iteratorINS9_10device_ptrIfEEEEPS5_jNS1_19radix_merge_compareILb0ELb0EfNS0_19identity_decomposerEEEEE10hipError_tT0_T1_T2_jT3_P12ihipStream_tbPNSt15iterator_traitsISK_E10value_typeEPNSQ_ISL_E10value_typeEPSM_NS1_7vsmem_tEENKUlT_SK_SL_SM_E_clIPfSE_SF_SF_EESJ_SZ_SK_SL_SM_EUlSZ_E1_NS1_11comp_targetILNS1_3genE2ELNS1_11target_archE906ELNS1_3gpuE6ELNS1_3repE0EEENS1_36merge_oddeven_config_static_selectorELNS0_4arch9wavefront6targetE0EEEvSL_.has_indirect_call, 0
	.section	.AMDGPU.csdata,"",@progbits
; Kernel info:
; codeLenInByte = 0
; TotalNumSgprs: 0
; NumVgprs: 0
; ScratchSize: 0
; MemoryBound: 0
; FloatMode: 240
; IeeeMode: 1
; LDSByteSize: 0 bytes/workgroup (compile time only)
; SGPRBlocks: 0
; VGPRBlocks: 0
; NumSGPRsForWavesPerEU: 1
; NumVGPRsForWavesPerEU: 1
; Occupancy: 16
; WaveLimiterHint : 0
; COMPUTE_PGM_RSRC2:SCRATCH_EN: 0
; COMPUTE_PGM_RSRC2:USER_SGPR: 6
; COMPUTE_PGM_RSRC2:TRAP_HANDLER: 0
; COMPUTE_PGM_RSRC2:TGID_X_EN: 1
; COMPUTE_PGM_RSRC2:TGID_Y_EN: 0
; COMPUTE_PGM_RSRC2:TGID_Z_EN: 0
; COMPUTE_PGM_RSRC2:TIDIG_COMP_CNT: 0
	.section	.text._ZN7rocprim17ROCPRIM_400000_NS6detail17trampoline_kernelINS0_14default_configENS1_38merge_sort_block_merge_config_selectorIfNS0_10empty_typeEEEZZNS1_27merge_sort_block_merge_implIS3_N6thrust23THRUST_200600_302600_NS6detail15normal_iteratorINS9_10device_ptrIfEEEEPS5_jNS1_19radix_merge_compareILb0ELb0EfNS0_19identity_decomposerEEEEE10hipError_tT0_T1_T2_jT3_P12ihipStream_tbPNSt15iterator_traitsISK_E10value_typeEPNSQ_ISL_E10value_typeEPSM_NS1_7vsmem_tEENKUlT_SK_SL_SM_E_clIPfSE_SF_SF_EESJ_SZ_SK_SL_SM_EUlSZ_E1_NS1_11comp_targetILNS1_3genE9ELNS1_11target_archE1100ELNS1_3gpuE3ELNS1_3repE0EEENS1_36merge_oddeven_config_static_selectorELNS0_4arch9wavefront6targetE0EEEvSL_,"axG",@progbits,_ZN7rocprim17ROCPRIM_400000_NS6detail17trampoline_kernelINS0_14default_configENS1_38merge_sort_block_merge_config_selectorIfNS0_10empty_typeEEEZZNS1_27merge_sort_block_merge_implIS3_N6thrust23THRUST_200600_302600_NS6detail15normal_iteratorINS9_10device_ptrIfEEEEPS5_jNS1_19radix_merge_compareILb0ELb0EfNS0_19identity_decomposerEEEEE10hipError_tT0_T1_T2_jT3_P12ihipStream_tbPNSt15iterator_traitsISK_E10value_typeEPNSQ_ISL_E10value_typeEPSM_NS1_7vsmem_tEENKUlT_SK_SL_SM_E_clIPfSE_SF_SF_EESJ_SZ_SK_SL_SM_EUlSZ_E1_NS1_11comp_targetILNS1_3genE9ELNS1_11target_archE1100ELNS1_3gpuE3ELNS1_3repE0EEENS1_36merge_oddeven_config_static_selectorELNS0_4arch9wavefront6targetE0EEEvSL_,comdat
	.protected	_ZN7rocprim17ROCPRIM_400000_NS6detail17trampoline_kernelINS0_14default_configENS1_38merge_sort_block_merge_config_selectorIfNS0_10empty_typeEEEZZNS1_27merge_sort_block_merge_implIS3_N6thrust23THRUST_200600_302600_NS6detail15normal_iteratorINS9_10device_ptrIfEEEEPS5_jNS1_19radix_merge_compareILb0ELb0EfNS0_19identity_decomposerEEEEE10hipError_tT0_T1_T2_jT3_P12ihipStream_tbPNSt15iterator_traitsISK_E10value_typeEPNSQ_ISL_E10value_typeEPSM_NS1_7vsmem_tEENKUlT_SK_SL_SM_E_clIPfSE_SF_SF_EESJ_SZ_SK_SL_SM_EUlSZ_E1_NS1_11comp_targetILNS1_3genE9ELNS1_11target_archE1100ELNS1_3gpuE3ELNS1_3repE0EEENS1_36merge_oddeven_config_static_selectorELNS0_4arch9wavefront6targetE0EEEvSL_ ; -- Begin function _ZN7rocprim17ROCPRIM_400000_NS6detail17trampoline_kernelINS0_14default_configENS1_38merge_sort_block_merge_config_selectorIfNS0_10empty_typeEEEZZNS1_27merge_sort_block_merge_implIS3_N6thrust23THRUST_200600_302600_NS6detail15normal_iteratorINS9_10device_ptrIfEEEEPS5_jNS1_19radix_merge_compareILb0ELb0EfNS0_19identity_decomposerEEEEE10hipError_tT0_T1_T2_jT3_P12ihipStream_tbPNSt15iterator_traitsISK_E10value_typeEPNSQ_ISL_E10value_typeEPSM_NS1_7vsmem_tEENKUlT_SK_SL_SM_E_clIPfSE_SF_SF_EESJ_SZ_SK_SL_SM_EUlSZ_E1_NS1_11comp_targetILNS1_3genE9ELNS1_11target_archE1100ELNS1_3gpuE3ELNS1_3repE0EEENS1_36merge_oddeven_config_static_selectorELNS0_4arch9wavefront6targetE0EEEvSL_
	.globl	_ZN7rocprim17ROCPRIM_400000_NS6detail17trampoline_kernelINS0_14default_configENS1_38merge_sort_block_merge_config_selectorIfNS0_10empty_typeEEEZZNS1_27merge_sort_block_merge_implIS3_N6thrust23THRUST_200600_302600_NS6detail15normal_iteratorINS9_10device_ptrIfEEEEPS5_jNS1_19radix_merge_compareILb0ELb0EfNS0_19identity_decomposerEEEEE10hipError_tT0_T1_T2_jT3_P12ihipStream_tbPNSt15iterator_traitsISK_E10value_typeEPNSQ_ISL_E10value_typeEPSM_NS1_7vsmem_tEENKUlT_SK_SL_SM_E_clIPfSE_SF_SF_EESJ_SZ_SK_SL_SM_EUlSZ_E1_NS1_11comp_targetILNS1_3genE9ELNS1_11target_archE1100ELNS1_3gpuE3ELNS1_3repE0EEENS1_36merge_oddeven_config_static_selectorELNS0_4arch9wavefront6targetE0EEEvSL_
	.p2align	8
	.type	_ZN7rocprim17ROCPRIM_400000_NS6detail17trampoline_kernelINS0_14default_configENS1_38merge_sort_block_merge_config_selectorIfNS0_10empty_typeEEEZZNS1_27merge_sort_block_merge_implIS3_N6thrust23THRUST_200600_302600_NS6detail15normal_iteratorINS9_10device_ptrIfEEEEPS5_jNS1_19radix_merge_compareILb0ELb0EfNS0_19identity_decomposerEEEEE10hipError_tT0_T1_T2_jT3_P12ihipStream_tbPNSt15iterator_traitsISK_E10value_typeEPNSQ_ISL_E10value_typeEPSM_NS1_7vsmem_tEENKUlT_SK_SL_SM_E_clIPfSE_SF_SF_EESJ_SZ_SK_SL_SM_EUlSZ_E1_NS1_11comp_targetILNS1_3genE9ELNS1_11target_archE1100ELNS1_3gpuE3ELNS1_3repE0EEENS1_36merge_oddeven_config_static_selectorELNS0_4arch9wavefront6targetE0EEEvSL_,@function
_ZN7rocprim17ROCPRIM_400000_NS6detail17trampoline_kernelINS0_14default_configENS1_38merge_sort_block_merge_config_selectorIfNS0_10empty_typeEEEZZNS1_27merge_sort_block_merge_implIS3_N6thrust23THRUST_200600_302600_NS6detail15normal_iteratorINS9_10device_ptrIfEEEEPS5_jNS1_19radix_merge_compareILb0ELb0EfNS0_19identity_decomposerEEEEE10hipError_tT0_T1_T2_jT3_P12ihipStream_tbPNSt15iterator_traitsISK_E10value_typeEPNSQ_ISL_E10value_typeEPSM_NS1_7vsmem_tEENKUlT_SK_SL_SM_E_clIPfSE_SF_SF_EESJ_SZ_SK_SL_SM_EUlSZ_E1_NS1_11comp_targetILNS1_3genE9ELNS1_11target_archE1100ELNS1_3gpuE3ELNS1_3repE0EEENS1_36merge_oddeven_config_static_selectorELNS0_4arch9wavefront6targetE0EEEvSL_: ; @_ZN7rocprim17ROCPRIM_400000_NS6detail17trampoline_kernelINS0_14default_configENS1_38merge_sort_block_merge_config_selectorIfNS0_10empty_typeEEEZZNS1_27merge_sort_block_merge_implIS3_N6thrust23THRUST_200600_302600_NS6detail15normal_iteratorINS9_10device_ptrIfEEEEPS5_jNS1_19radix_merge_compareILb0ELb0EfNS0_19identity_decomposerEEEEE10hipError_tT0_T1_T2_jT3_P12ihipStream_tbPNSt15iterator_traitsISK_E10value_typeEPNSQ_ISL_E10value_typeEPSM_NS1_7vsmem_tEENKUlT_SK_SL_SM_E_clIPfSE_SF_SF_EESJ_SZ_SK_SL_SM_EUlSZ_E1_NS1_11comp_targetILNS1_3genE9ELNS1_11target_archE1100ELNS1_3gpuE3ELNS1_3repE0EEENS1_36merge_oddeven_config_static_selectorELNS0_4arch9wavefront6targetE0EEEvSL_
; %bb.0:
	.section	.rodata,"a",@progbits
	.p2align	6, 0x0
	.amdhsa_kernel _ZN7rocprim17ROCPRIM_400000_NS6detail17trampoline_kernelINS0_14default_configENS1_38merge_sort_block_merge_config_selectorIfNS0_10empty_typeEEEZZNS1_27merge_sort_block_merge_implIS3_N6thrust23THRUST_200600_302600_NS6detail15normal_iteratorINS9_10device_ptrIfEEEEPS5_jNS1_19radix_merge_compareILb0ELb0EfNS0_19identity_decomposerEEEEE10hipError_tT0_T1_T2_jT3_P12ihipStream_tbPNSt15iterator_traitsISK_E10value_typeEPNSQ_ISL_E10value_typeEPSM_NS1_7vsmem_tEENKUlT_SK_SL_SM_E_clIPfSE_SF_SF_EESJ_SZ_SK_SL_SM_EUlSZ_E1_NS1_11comp_targetILNS1_3genE9ELNS1_11target_archE1100ELNS1_3gpuE3ELNS1_3repE0EEENS1_36merge_oddeven_config_static_selectorELNS0_4arch9wavefront6targetE0EEEvSL_
		.amdhsa_group_segment_fixed_size 0
		.amdhsa_private_segment_fixed_size 0
		.amdhsa_kernarg_size 48
		.amdhsa_user_sgpr_count 6
		.amdhsa_user_sgpr_private_segment_buffer 1
		.amdhsa_user_sgpr_dispatch_ptr 0
		.amdhsa_user_sgpr_queue_ptr 0
		.amdhsa_user_sgpr_kernarg_segment_ptr 1
		.amdhsa_user_sgpr_dispatch_id 0
		.amdhsa_user_sgpr_flat_scratch_init 0
		.amdhsa_user_sgpr_private_segment_size 0
		.amdhsa_wavefront_size32 1
		.amdhsa_uses_dynamic_stack 0
		.amdhsa_system_sgpr_private_segment_wavefront_offset 0
		.amdhsa_system_sgpr_workgroup_id_x 1
		.amdhsa_system_sgpr_workgroup_id_y 0
		.amdhsa_system_sgpr_workgroup_id_z 0
		.amdhsa_system_sgpr_workgroup_info 0
		.amdhsa_system_vgpr_workitem_id 0
		.amdhsa_next_free_vgpr 1
		.amdhsa_next_free_sgpr 1
		.amdhsa_reserve_vcc 0
		.amdhsa_reserve_flat_scratch 0
		.amdhsa_float_round_mode_32 0
		.amdhsa_float_round_mode_16_64 0
		.amdhsa_float_denorm_mode_32 3
		.amdhsa_float_denorm_mode_16_64 3
		.amdhsa_dx10_clamp 1
		.amdhsa_ieee_mode 1
		.amdhsa_fp16_overflow 0
		.amdhsa_workgroup_processor_mode 1
		.amdhsa_memory_ordered 1
		.amdhsa_forward_progress 1
		.amdhsa_shared_vgpr_count 0
		.amdhsa_exception_fp_ieee_invalid_op 0
		.amdhsa_exception_fp_denorm_src 0
		.amdhsa_exception_fp_ieee_div_zero 0
		.amdhsa_exception_fp_ieee_overflow 0
		.amdhsa_exception_fp_ieee_underflow 0
		.amdhsa_exception_fp_ieee_inexact 0
		.amdhsa_exception_int_div_zero 0
	.end_amdhsa_kernel
	.section	.text._ZN7rocprim17ROCPRIM_400000_NS6detail17trampoline_kernelINS0_14default_configENS1_38merge_sort_block_merge_config_selectorIfNS0_10empty_typeEEEZZNS1_27merge_sort_block_merge_implIS3_N6thrust23THRUST_200600_302600_NS6detail15normal_iteratorINS9_10device_ptrIfEEEEPS5_jNS1_19radix_merge_compareILb0ELb0EfNS0_19identity_decomposerEEEEE10hipError_tT0_T1_T2_jT3_P12ihipStream_tbPNSt15iterator_traitsISK_E10value_typeEPNSQ_ISL_E10value_typeEPSM_NS1_7vsmem_tEENKUlT_SK_SL_SM_E_clIPfSE_SF_SF_EESJ_SZ_SK_SL_SM_EUlSZ_E1_NS1_11comp_targetILNS1_3genE9ELNS1_11target_archE1100ELNS1_3gpuE3ELNS1_3repE0EEENS1_36merge_oddeven_config_static_selectorELNS0_4arch9wavefront6targetE0EEEvSL_,"axG",@progbits,_ZN7rocprim17ROCPRIM_400000_NS6detail17trampoline_kernelINS0_14default_configENS1_38merge_sort_block_merge_config_selectorIfNS0_10empty_typeEEEZZNS1_27merge_sort_block_merge_implIS3_N6thrust23THRUST_200600_302600_NS6detail15normal_iteratorINS9_10device_ptrIfEEEEPS5_jNS1_19radix_merge_compareILb0ELb0EfNS0_19identity_decomposerEEEEE10hipError_tT0_T1_T2_jT3_P12ihipStream_tbPNSt15iterator_traitsISK_E10value_typeEPNSQ_ISL_E10value_typeEPSM_NS1_7vsmem_tEENKUlT_SK_SL_SM_E_clIPfSE_SF_SF_EESJ_SZ_SK_SL_SM_EUlSZ_E1_NS1_11comp_targetILNS1_3genE9ELNS1_11target_archE1100ELNS1_3gpuE3ELNS1_3repE0EEENS1_36merge_oddeven_config_static_selectorELNS0_4arch9wavefront6targetE0EEEvSL_,comdat
.Lfunc_end497:
	.size	_ZN7rocprim17ROCPRIM_400000_NS6detail17trampoline_kernelINS0_14default_configENS1_38merge_sort_block_merge_config_selectorIfNS0_10empty_typeEEEZZNS1_27merge_sort_block_merge_implIS3_N6thrust23THRUST_200600_302600_NS6detail15normal_iteratorINS9_10device_ptrIfEEEEPS5_jNS1_19radix_merge_compareILb0ELb0EfNS0_19identity_decomposerEEEEE10hipError_tT0_T1_T2_jT3_P12ihipStream_tbPNSt15iterator_traitsISK_E10value_typeEPNSQ_ISL_E10value_typeEPSM_NS1_7vsmem_tEENKUlT_SK_SL_SM_E_clIPfSE_SF_SF_EESJ_SZ_SK_SL_SM_EUlSZ_E1_NS1_11comp_targetILNS1_3genE9ELNS1_11target_archE1100ELNS1_3gpuE3ELNS1_3repE0EEENS1_36merge_oddeven_config_static_selectorELNS0_4arch9wavefront6targetE0EEEvSL_, .Lfunc_end497-_ZN7rocprim17ROCPRIM_400000_NS6detail17trampoline_kernelINS0_14default_configENS1_38merge_sort_block_merge_config_selectorIfNS0_10empty_typeEEEZZNS1_27merge_sort_block_merge_implIS3_N6thrust23THRUST_200600_302600_NS6detail15normal_iteratorINS9_10device_ptrIfEEEEPS5_jNS1_19radix_merge_compareILb0ELb0EfNS0_19identity_decomposerEEEEE10hipError_tT0_T1_T2_jT3_P12ihipStream_tbPNSt15iterator_traitsISK_E10value_typeEPNSQ_ISL_E10value_typeEPSM_NS1_7vsmem_tEENKUlT_SK_SL_SM_E_clIPfSE_SF_SF_EESJ_SZ_SK_SL_SM_EUlSZ_E1_NS1_11comp_targetILNS1_3genE9ELNS1_11target_archE1100ELNS1_3gpuE3ELNS1_3repE0EEENS1_36merge_oddeven_config_static_selectorELNS0_4arch9wavefront6targetE0EEEvSL_
                                        ; -- End function
	.set _ZN7rocprim17ROCPRIM_400000_NS6detail17trampoline_kernelINS0_14default_configENS1_38merge_sort_block_merge_config_selectorIfNS0_10empty_typeEEEZZNS1_27merge_sort_block_merge_implIS3_N6thrust23THRUST_200600_302600_NS6detail15normal_iteratorINS9_10device_ptrIfEEEEPS5_jNS1_19radix_merge_compareILb0ELb0EfNS0_19identity_decomposerEEEEE10hipError_tT0_T1_T2_jT3_P12ihipStream_tbPNSt15iterator_traitsISK_E10value_typeEPNSQ_ISL_E10value_typeEPSM_NS1_7vsmem_tEENKUlT_SK_SL_SM_E_clIPfSE_SF_SF_EESJ_SZ_SK_SL_SM_EUlSZ_E1_NS1_11comp_targetILNS1_3genE9ELNS1_11target_archE1100ELNS1_3gpuE3ELNS1_3repE0EEENS1_36merge_oddeven_config_static_selectorELNS0_4arch9wavefront6targetE0EEEvSL_.num_vgpr, 0
	.set _ZN7rocprim17ROCPRIM_400000_NS6detail17trampoline_kernelINS0_14default_configENS1_38merge_sort_block_merge_config_selectorIfNS0_10empty_typeEEEZZNS1_27merge_sort_block_merge_implIS3_N6thrust23THRUST_200600_302600_NS6detail15normal_iteratorINS9_10device_ptrIfEEEEPS5_jNS1_19radix_merge_compareILb0ELb0EfNS0_19identity_decomposerEEEEE10hipError_tT0_T1_T2_jT3_P12ihipStream_tbPNSt15iterator_traitsISK_E10value_typeEPNSQ_ISL_E10value_typeEPSM_NS1_7vsmem_tEENKUlT_SK_SL_SM_E_clIPfSE_SF_SF_EESJ_SZ_SK_SL_SM_EUlSZ_E1_NS1_11comp_targetILNS1_3genE9ELNS1_11target_archE1100ELNS1_3gpuE3ELNS1_3repE0EEENS1_36merge_oddeven_config_static_selectorELNS0_4arch9wavefront6targetE0EEEvSL_.num_agpr, 0
	.set _ZN7rocprim17ROCPRIM_400000_NS6detail17trampoline_kernelINS0_14default_configENS1_38merge_sort_block_merge_config_selectorIfNS0_10empty_typeEEEZZNS1_27merge_sort_block_merge_implIS3_N6thrust23THRUST_200600_302600_NS6detail15normal_iteratorINS9_10device_ptrIfEEEEPS5_jNS1_19radix_merge_compareILb0ELb0EfNS0_19identity_decomposerEEEEE10hipError_tT0_T1_T2_jT3_P12ihipStream_tbPNSt15iterator_traitsISK_E10value_typeEPNSQ_ISL_E10value_typeEPSM_NS1_7vsmem_tEENKUlT_SK_SL_SM_E_clIPfSE_SF_SF_EESJ_SZ_SK_SL_SM_EUlSZ_E1_NS1_11comp_targetILNS1_3genE9ELNS1_11target_archE1100ELNS1_3gpuE3ELNS1_3repE0EEENS1_36merge_oddeven_config_static_selectorELNS0_4arch9wavefront6targetE0EEEvSL_.numbered_sgpr, 0
	.set _ZN7rocprim17ROCPRIM_400000_NS6detail17trampoline_kernelINS0_14default_configENS1_38merge_sort_block_merge_config_selectorIfNS0_10empty_typeEEEZZNS1_27merge_sort_block_merge_implIS3_N6thrust23THRUST_200600_302600_NS6detail15normal_iteratorINS9_10device_ptrIfEEEEPS5_jNS1_19radix_merge_compareILb0ELb0EfNS0_19identity_decomposerEEEEE10hipError_tT0_T1_T2_jT3_P12ihipStream_tbPNSt15iterator_traitsISK_E10value_typeEPNSQ_ISL_E10value_typeEPSM_NS1_7vsmem_tEENKUlT_SK_SL_SM_E_clIPfSE_SF_SF_EESJ_SZ_SK_SL_SM_EUlSZ_E1_NS1_11comp_targetILNS1_3genE9ELNS1_11target_archE1100ELNS1_3gpuE3ELNS1_3repE0EEENS1_36merge_oddeven_config_static_selectorELNS0_4arch9wavefront6targetE0EEEvSL_.num_named_barrier, 0
	.set _ZN7rocprim17ROCPRIM_400000_NS6detail17trampoline_kernelINS0_14default_configENS1_38merge_sort_block_merge_config_selectorIfNS0_10empty_typeEEEZZNS1_27merge_sort_block_merge_implIS3_N6thrust23THRUST_200600_302600_NS6detail15normal_iteratorINS9_10device_ptrIfEEEEPS5_jNS1_19radix_merge_compareILb0ELb0EfNS0_19identity_decomposerEEEEE10hipError_tT0_T1_T2_jT3_P12ihipStream_tbPNSt15iterator_traitsISK_E10value_typeEPNSQ_ISL_E10value_typeEPSM_NS1_7vsmem_tEENKUlT_SK_SL_SM_E_clIPfSE_SF_SF_EESJ_SZ_SK_SL_SM_EUlSZ_E1_NS1_11comp_targetILNS1_3genE9ELNS1_11target_archE1100ELNS1_3gpuE3ELNS1_3repE0EEENS1_36merge_oddeven_config_static_selectorELNS0_4arch9wavefront6targetE0EEEvSL_.private_seg_size, 0
	.set _ZN7rocprim17ROCPRIM_400000_NS6detail17trampoline_kernelINS0_14default_configENS1_38merge_sort_block_merge_config_selectorIfNS0_10empty_typeEEEZZNS1_27merge_sort_block_merge_implIS3_N6thrust23THRUST_200600_302600_NS6detail15normal_iteratorINS9_10device_ptrIfEEEEPS5_jNS1_19radix_merge_compareILb0ELb0EfNS0_19identity_decomposerEEEEE10hipError_tT0_T1_T2_jT3_P12ihipStream_tbPNSt15iterator_traitsISK_E10value_typeEPNSQ_ISL_E10value_typeEPSM_NS1_7vsmem_tEENKUlT_SK_SL_SM_E_clIPfSE_SF_SF_EESJ_SZ_SK_SL_SM_EUlSZ_E1_NS1_11comp_targetILNS1_3genE9ELNS1_11target_archE1100ELNS1_3gpuE3ELNS1_3repE0EEENS1_36merge_oddeven_config_static_selectorELNS0_4arch9wavefront6targetE0EEEvSL_.uses_vcc, 0
	.set _ZN7rocprim17ROCPRIM_400000_NS6detail17trampoline_kernelINS0_14default_configENS1_38merge_sort_block_merge_config_selectorIfNS0_10empty_typeEEEZZNS1_27merge_sort_block_merge_implIS3_N6thrust23THRUST_200600_302600_NS6detail15normal_iteratorINS9_10device_ptrIfEEEEPS5_jNS1_19radix_merge_compareILb0ELb0EfNS0_19identity_decomposerEEEEE10hipError_tT0_T1_T2_jT3_P12ihipStream_tbPNSt15iterator_traitsISK_E10value_typeEPNSQ_ISL_E10value_typeEPSM_NS1_7vsmem_tEENKUlT_SK_SL_SM_E_clIPfSE_SF_SF_EESJ_SZ_SK_SL_SM_EUlSZ_E1_NS1_11comp_targetILNS1_3genE9ELNS1_11target_archE1100ELNS1_3gpuE3ELNS1_3repE0EEENS1_36merge_oddeven_config_static_selectorELNS0_4arch9wavefront6targetE0EEEvSL_.uses_flat_scratch, 0
	.set _ZN7rocprim17ROCPRIM_400000_NS6detail17trampoline_kernelINS0_14default_configENS1_38merge_sort_block_merge_config_selectorIfNS0_10empty_typeEEEZZNS1_27merge_sort_block_merge_implIS3_N6thrust23THRUST_200600_302600_NS6detail15normal_iteratorINS9_10device_ptrIfEEEEPS5_jNS1_19radix_merge_compareILb0ELb0EfNS0_19identity_decomposerEEEEE10hipError_tT0_T1_T2_jT3_P12ihipStream_tbPNSt15iterator_traitsISK_E10value_typeEPNSQ_ISL_E10value_typeEPSM_NS1_7vsmem_tEENKUlT_SK_SL_SM_E_clIPfSE_SF_SF_EESJ_SZ_SK_SL_SM_EUlSZ_E1_NS1_11comp_targetILNS1_3genE9ELNS1_11target_archE1100ELNS1_3gpuE3ELNS1_3repE0EEENS1_36merge_oddeven_config_static_selectorELNS0_4arch9wavefront6targetE0EEEvSL_.has_dyn_sized_stack, 0
	.set _ZN7rocprim17ROCPRIM_400000_NS6detail17trampoline_kernelINS0_14default_configENS1_38merge_sort_block_merge_config_selectorIfNS0_10empty_typeEEEZZNS1_27merge_sort_block_merge_implIS3_N6thrust23THRUST_200600_302600_NS6detail15normal_iteratorINS9_10device_ptrIfEEEEPS5_jNS1_19radix_merge_compareILb0ELb0EfNS0_19identity_decomposerEEEEE10hipError_tT0_T1_T2_jT3_P12ihipStream_tbPNSt15iterator_traitsISK_E10value_typeEPNSQ_ISL_E10value_typeEPSM_NS1_7vsmem_tEENKUlT_SK_SL_SM_E_clIPfSE_SF_SF_EESJ_SZ_SK_SL_SM_EUlSZ_E1_NS1_11comp_targetILNS1_3genE9ELNS1_11target_archE1100ELNS1_3gpuE3ELNS1_3repE0EEENS1_36merge_oddeven_config_static_selectorELNS0_4arch9wavefront6targetE0EEEvSL_.has_recursion, 0
	.set _ZN7rocprim17ROCPRIM_400000_NS6detail17trampoline_kernelINS0_14default_configENS1_38merge_sort_block_merge_config_selectorIfNS0_10empty_typeEEEZZNS1_27merge_sort_block_merge_implIS3_N6thrust23THRUST_200600_302600_NS6detail15normal_iteratorINS9_10device_ptrIfEEEEPS5_jNS1_19radix_merge_compareILb0ELb0EfNS0_19identity_decomposerEEEEE10hipError_tT0_T1_T2_jT3_P12ihipStream_tbPNSt15iterator_traitsISK_E10value_typeEPNSQ_ISL_E10value_typeEPSM_NS1_7vsmem_tEENKUlT_SK_SL_SM_E_clIPfSE_SF_SF_EESJ_SZ_SK_SL_SM_EUlSZ_E1_NS1_11comp_targetILNS1_3genE9ELNS1_11target_archE1100ELNS1_3gpuE3ELNS1_3repE0EEENS1_36merge_oddeven_config_static_selectorELNS0_4arch9wavefront6targetE0EEEvSL_.has_indirect_call, 0
	.section	.AMDGPU.csdata,"",@progbits
; Kernel info:
; codeLenInByte = 0
; TotalNumSgprs: 0
; NumVgprs: 0
; ScratchSize: 0
; MemoryBound: 0
; FloatMode: 240
; IeeeMode: 1
; LDSByteSize: 0 bytes/workgroup (compile time only)
; SGPRBlocks: 0
; VGPRBlocks: 0
; NumSGPRsForWavesPerEU: 1
; NumVGPRsForWavesPerEU: 1
; Occupancy: 16
; WaveLimiterHint : 0
; COMPUTE_PGM_RSRC2:SCRATCH_EN: 0
; COMPUTE_PGM_RSRC2:USER_SGPR: 6
; COMPUTE_PGM_RSRC2:TRAP_HANDLER: 0
; COMPUTE_PGM_RSRC2:TGID_X_EN: 1
; COMPUTE_PGM_RSRC2:TGID_Y_EN: 0
; COMPUTE_PGM_RSRC2:TGID_Z_EN: 0
; COMPUTE_PGM_RSRC2:TIDIG_COMP_CNT: 0
	.section	.text._ZN7rocprim17ROCPRIM_400000_NS6detail17trampoline_kernelINS0_14default_configENS1_38merge_sort_block_merge_config_selectorIfNS0_10empty_typeEEEZZNS1_27merge_sort_block_merge_implIS3_N6thrust23THRUST_200600_302600_NS6detail15normal_iteratorINS9_10device_ptrIfEEEEPS5_jNS1_19radix_merge_compareILb0ELb0EfNS0_19identity_decomposerEEEEE10hipError_tT0_T1_T2_jT3_P12ihipStream_tbPNSt15iterator_traitsISK_E10value_typeEPNSQ_ISL_E10value_typeEPSM_NS1_7vsmem_tEENKUlT_SK_SL_SM_E_clIPfSE_SF_SF_EESJ_SZ_SK_SL_SM_EUlSZ_E1_NS1_11comp_targetILNS1_3genE8ELNS1_11target_archE1030ELNS1_3gpuE2ELNS1_3repE0EEENS1_36merge_oddeven_config_static_selectorELNS0_4arch9wavefront6targetE0EEEvSL_,"axG",@progbits,_ZN7rocprim17ROCPRIM_400000_NS6detail17trampoline_kernelINS0_14default_configENS1_38merge_sort_block_merge_config_selectorIfNS0_10empty_typeEEEZZNS1_27merge_sort_block_merge_implIS3_N6thrust23THRUST_200600_302600_NS6detail15normal_iteratorINS9_10device_ptrIfEEEEPS5_jNS1_19radix_merge_compareILb0ELb0EfNS0_19identity_decomposerEEEEE10hipError_tT0_T1_T2_jT3_P12ihipStream_tbPNSt15iterator_traitsISK_E10value_typeEPNSQ_ISL_E10value_typeEPSM_NS1_7vsmem_tEENKUlT_SK_SL_SM_E_clIPfSE_SF_SF_EESJ_SZ_SK_SL_SM_EUlSZ_E1_NS1_11comp_targetILNS1_3genE8ELNS1_11target_archE1030ELNS1_3gpuE2ELNS1_3repE0EEENS1_36merge_oddeven_config_static_selectorELNS0_4arch9wavefront6targetE0EEEvSL_,comdat
	.protected	_ZN7rocprim17ROCPRIM_400000_NS6detail17trampoline_kernelINS0_14default_configENS1_38merge_sort_block_merge_config_selectorIfNS0_10empty_typeEEEZZNS1_27merge_sort_block_merge_implIS3_N6thrust23THRUST_200600_302600_NS6detail15normal_iteratorINS9_10device_ptrIfEEEEPS5_jNS1_19radix_merge_compareILb0ELb0EfNS0_19identity_decomposerEEEEE10hipError_tT0_T1_T2_jT3_P12ihipStream_tbPNSt15iterator_traitsISK_E10value_typeEPNSQ_ISL_E10value_typeEPSM_NS1_7vsmem_tEENKUlT_SK_SL_SM_E_clIPfSE_SF_SF_EESJ_SZ_SK_SL_SM_EUlSZ_E1_NS1_11comp_targetILNS1_3genE8ELNS1_11target_archE1030ELNS1_3gpuE2ELNS1_3repE0EEENS1_36merge_oddeven_config_static_selectorELNS0_4arch9wavefront6targetE0EEEvSL_ ; -- Begin function _ZN7rocprim17ROCPRIM_400000_NS6detail17trampoline_kernelINS0_14default_configENS1_38merge_sort_block_merge_config_selectorIfNS0_10empty_typeEEEZZNS1_27merge_sort_block_merge_implIS3_N6thrust23THRUST_200600_302600_NS6detail15normal_iteratorINS9_10device_ptrIfEEEEPS5_jNS1_19radix_merge_compareILb0ELb0EfNS0_19identity_decomposerEEEEE10hipError_tT0_T1_T2_jT3_P12ihipStream_tbPNSt15iterator_traitsISK_E10value_typeEPNSQ_ISL_E10value_typeEPSM_NS1_7vsmem_tEENKUlT_SK_SL_SM_E_clIPfSE_SF_SF_EESJ_SZ_SK_SL_SM_EUlSZ_E1_NS1_11comp_targetILNS1_3genE8ELNS1_11target_archE1030ELNS1_3gpuE2ELNS1_3repE0EEENS1_36merge_oddeven_config_static_selectorELNS0_4arch9wavefront6targetE0EEEvSL_
	.globl	_ZN7rocprim17ROCPRIM_400000_NS6detail17trampoline_kernelINS0_14default_configENS1_38merge_sort_block_merge_config_selectorIfNS0_10empty_typeEEEZZNS1_27merge_sort_block_merge_implIS3_N6thrust23THRUST_200600_302600_NS6detail15normal_iteratorINS9_10device_ptrIfEEEEPS5_jNS1_19radix_merge_compareILb0ELb0EfNS0_19identity_decomposerEEEEE10hipError_tT0_T1_T2_jT3_P12ihipStream_tbPNSt15iterator_traitsISK_E10value_typeEPNSQ_ISL_E10value_typeEPSM_NS1_7vsmem_tEENKUlT_SK_SL_SM_E_clIPfSE_SF_SF_EESJ_SZ_SK_SL_SM_EUlSZ_E1_NS1_11comp_targetILNS1_3genE8ELNS1_11target_archE1030ELNS1_3gpuE2ELNS1_3repE0EEENS1_36merge_oddeven_config_static_selectorELNS0_4arch9wavefront6targetE0EEEvSL_
	.p2align	8
	.type	_ZN7rocprim17ROCPRIM_400000_NS6detail17trampoline_kernelINS0_14default_configENS1_38merge_sort_block_merge_config_selectorIfNS0_10empty_typeEEEZZNS1_27merge_sort_block_merge_implIS3_N6thrust23THRUST_200600_302600_NS6detail15normal_iteratorINS9_10device_ptrIfEEEEPS5_jNS1_19radix_merge_compareILb0ELb0EfNS0_19identity_decomposerEEEEE10hipError_tT0_T1_T2_jT3_P12ihipStream_tbPNSt15iterator_traitsISK_E10value_typeEPNSQ_ISL_E10value_typeEPSM_NS1_7vsmem_tEENKUlT_SK_SL_SM_E_clIPfSE_SF_SF_EESJ_SZ_SK_SL_SM_EUlSZ_E1_NS1_11comp_targetILNS1_3genE8ELNS1_11target_archE1030ELNS1_3gpuE2ELNS1_3repE0EEENS1_36merge_oddeven_config_static_selectorELNS0_4arch9wavefront6targetE0EEEvSL_,@function
_ZN7rocprim17ROCPRIM_400000_NS6detail17trampoline_kernelINS0_14default_configENS1_38merge_sort_block_merge_config_selectorIfNS0_10empty_typeEEEZZNS1_27merge_sort_block_merge_implIS3_N6thrust23THRUST_200600_302600_NS6detail15normal_iteratorINS9_10device_ptrIfEEEEPS5_jNS1_19radix_merge_compareILb0ELb0EfNS0_19identity_decomposerEEEEE10hipError_tT0_T1_T2_jT3_P12ihipStream_tbPNSt15iterator_traitsISK_E10value_typeEPNSQ_ISL_E10value_typeEPSM_NS1_7vsmem_tEENKUlT_SK_SL_SM_E_clIPfSE_SF_SF_EESJ_SZ_SK_SL_SM_EUlSZ_E1_NS1_11comp_targetILNS1_3genE8ELNS1_11target_archE1030ELNS1_3gpuE2ELNS1_3repE0EEENS1_36merge_oddeven_config_static_selectorELNS0_4arch9wavefront6targetE0EEEvSL_: ; @_ZN7rocprim17ROCPRIM_400000_NS6detail17trampoline_kernelINS0_14default_configENS1_38merge_sort_block_merge_config_selectorIfNS0_10empty_typeEEEZZNS1_27merge_sort_block_merge_implIS3_N6thrust23THRUST_200600_302600_NS6detail15normal_iteratorINS9_10device_ptrIfEEEEPS5_jNS1_19radix_merge_compareILb0ELb0EfNS0_19identity_decomposerEEEEE10hipError_tT0_T1_T2_jT3_P12ihipStream_tbPNSt15iterator_traitsISK_E10value_typeEPNSQ_ISL_E10value_typeEPSM_NS1_7vsmem_tEENKUlT_SK_SL_SM_E_clIPfSE_SF_SF_EESJ_SZ_SK_SL_SM_EUlSZ_E1_NS1_11comp_targetILNS1_3genE8ELNS1_11target_archE1030ELNS1_3gpuE2ELNS1_3repE0EEENS1_36merge_oddeven_config_static_selectorELNS0_4arch9wavefront6targetE0EEEvSL_
; %bb.0:
	s_load_dword s7, s[4:5], 0x20
	s_waitcnt lgkmcnt(0)
	s_lshr_b32 s0, s7, 8
	s_cmp_lg_u32 s6, s0
	s_cselect_b32 s13, -1, 0
	s_cmp_eq_u32 s6, s0
	s_cselect_b32 s12, -1, 0
	s_lshl_b32 s2, s6, 8
	s_sub_i32 s0, s7, s2
	v_cmp_gt_u32_e64 s1, s0, v0
	s_or_b32 s0, s13, s1
	s_and_saveexec_b32 s3, s0
	s_cbranch_execz .LBB498_20
; %bb.1:
	s_load_dwordx4 s[8:11], s[4:5], 0x0
	s_mov_b32 s3, 0
	v_lshlrev_b32_e32 v1, 2, v0
	s_lshl_b64 s[14:15], s[2:3], 2
	s_load_dword s5, s[4:5], 0x24
	v_add_nc_u32_e32 v0, s2, v0
	s_waitcnt lgkmcnt(0)
	s_add_u32 s14, s8, s14
	s_addc_u32 s15, s9, s15
	global_load_dword v2, v1, s[14:15]
	s_lshr_b32 s0, s5, 8
	s_sub_i32 s4, 0, s0
	s_and_b32 s4, s6, s4
	s_and_b32 s0, s4, s0
	s_lshl_b32 s6, s4, 8
	s_sub_i32 s4, 0, s5
	s_cmp_eq_u32 s0, 0
	s_cselect_b32 s0, -1, 0
	s_and_b32 s14, s0, exec_lo
	s_cselect_b32 s4, s5, s4
	s_add_i32 s4, s4, s6
	s_cmp_gt_u32 s7, s4
	s_cbranch_scc1 .LBB498_3
; %bb.2:
	v_cmp_gt_u32_e32 vcc_lo, s7, v0
	s_or_b32 s3, vcc_lo, s13
	s_and_b32 s3, s3, exec_lo
	s_cbranch_execz .LBB498_4
	s_branch .LBB498_18
.LBB498_3:
.LBB498_4:
	s_waitcnt vmcnt(0)
	v_add_f32_e32 v1, 0, v2
	s_min_u32 s2, s4, s7
	s_and_b32 vcc_lo, exec_lo, s12
	s_add_i32 s13, s6, s2
	s_min_u32 s6, s6, s2
	v_ashrrev_i32_e32 v3, 31, v1
	v_subrev_nc_u32_e32 v0, s13, v0
	s_add_i32 s5, s2, s5
	s_min_u32 s5, s5, s7
	v_or_b32_e32 v4, 0x80000000, v3
	v_add_nc_u32_e32 v3, s6, v0
	v_xor_b32_e32 v4, v4, v1
	s_cbranch_vccz .LBB498_12
; %bb.5:
                                        ; implicit-def: $vgpr0
	s_and_saveexec_b32 s6, s1
	s_cbranch_execz .LBB498_11
; %bb.6:
	v_mov_b32_e32 v5, s2
	s_cmp_ge_u32 s4, s5
	s_cbranch_scc1 .LBB498_10
; %bb.7:
	v_mov_b32_e32 v6, s5
	v_mov_b32_e32 v5, s2
	;; [unrolled: 1-line block ×3, first 2 shown]
	s_mov_b32 s1, 0
	.p2align	6
.LBB498_8:                              ; =>This Inner Loop Header: Depth=1
	v_add_nc_u32_e32 v0, v5, v6
	v_lshrrev_b32_e32 v0, 1, v0
	v_lshlrev_b64 v[7:8], 2, v[0:1]
	v_add_co_u32 v7, vcc_lo, s8, v7
	v_add_co_ci_u32_e64 v8, null, s9, v8, vcc_lo
	global_load_dword v7, v[7:8], off
	s_waitcnt vmcnt(0)
	v_add_f32_e32 v7, 0, v7
	v_ashrrev_i32_e32 v8, 31, v7
	v_or_b32_e32 v8, 0x80000000, v8
	v_xor_b32_e32 v7, v8, v7
	v_cmp_gt_u32_e32 vcc_lo, v4, v7
	v_cndmask_b32_e64 v8, 0, 1, vcc_lo
	v_cmp_le_u32_e32 vcc_lo, v7, v4
	v_cndmask_b32_e64 v7, 0, 1, vcc_lo
	v_cndmask_b32_e64 v7, v7, v8, s0
	v_add_nc_u32_e32 v8, 1, v0
	v_and_b32_e32 v7, 1, v7
	v_cmp_eq_u32_e32 vcc_lo, 1, v7
	v_cndmask_b32_e32 v6, v0, v6, vcc_lo
	v_cndmask_b32_e32 v5, v5, v8, vcc_lo
	v_cmp_ge_u32_e32 vcc_lo, v5, v6
	s_or_b32 s1, vcc_lo, s1
	s_andn2_b32 exec_lo, exec_lo, s1
	s_cbranch_execnz .LBB498_8
; %bb.9:
	s_or_b32 exec_lo, exec_lo, s1
.LBB498_10:
	v_add_nc_u32_e32 v0, v5, v3
	s_or_b32 s3, s3, exec_lo
.LBB498_11:
	s_or_b32 exec_lo, exec_lo, s6
	s_branch .LBB498_18
.LBB498_12:
                                        ; implicit-def: $vgpr0
	s_cbranch_execz .LBB498_18
; %bb.13:
	v_mov_b32_e32 v5, s2
	s_cmp_ge_u32 s4, s5
	s_cbranch_scc1 .LBB498_17
; %bb.14:
	v_mov_b32_e32 v6, s5
	v_mov_b32_e32 v5, s2
	v_mov_b32_e32 v1, 0
	s_mov_b32 s1, 0
	.p2align	6
.LBB498_15:                             ; =>This Inner Loop Header: Depth=1
	v_add_nc_u32_e32 v0, v5, v6
	v_lshrrev_b32_e32 v0, 1, v0
	v_lshlrev_b64 v[7:8], 2, v[0:1]
	v_add_co_u32 v7, vcc_lo, s8, v7
	v_add_co_ci_u32_e64 v8, null, s9, v8, vcc_lo
	global_load_dword v7, v[7:8], off
	s_waitcnt vmcnt(0)
	v_add_f32_e32 v7, 0, v7
	v_ashrrev_i32_e32 v8, 31, v7
	v_or_b32_e32 v8, 0x80000000, v8
	v_xor_b32_e32 v7, v8, v7
	v_cmp_gt_u32_e32 vcc_lo, v4, v7
	v_cndmask_b32_e64 v8, 0, 1, vcc_lo
	v_cmp_le_u32_e32 vcc_lo, v7, v4
	v_cndmask_b32_e64 v7, 0, 1, vcc_lo
	v_cndmask_b32_e64 v7, v7, v8, s0
	v_add_nc_u32_e32 v8, 1, v0
	v_and_b32_e32 v7, 1, v7
	v_cmp_eq_u32_e32 vcc_lo, 1, v7
	v_cndmask_b32_e32 v6, v0, v6, vcc_lo
	v_cndmask_b32_e32 v5, v5, v8, vcc_lo
	v_cmp_ge_u32_e32 vcc_lo, v5, v6
	s_or_b32 s1, vcc_lo, s1
	s_andn2_b32 exec_lo, exec_lo, s1
	s_cbranch_execnz .LBB498_15
; %bb.16:
	s_or_b32 exec_lo, exec_lo, s1
.LBB498_17:
	v_add_nc_u32_e32 v0, v5, v3
	s_mov_b32 s3, -1
.LBB498_18:
	s_and_b32 exec_lo, exec_lo, s3
	s_cbranch_execz .LBB498_20
; %bb.19:
	v_mov_b32_e32 v1, 0
	v_lshlrev_b64 v[0:1], 2, v[0:1]
	v_add_co_u32 v0, vcc_lo, s10, v0
	v_add_co_ci_u32_e64 v1, null, s11, v1, vcc_lo
	s_waitcnt vmcnt(0)
	global_store_dword v[0:1], v2, off
.LBB498_20:
	s_endpgm
	.section	.rodata,"a",@progbits
	.p2align	6, 0x0
	.amdhsa_kernel _ZN7rocprim17ROCPRIM_400000_NS6detail17trampoline_kernelINS0_14default_configENS1_38merge_sort_block_merge_config_selectorIfNS0_10empty_typeEEEZZNS1_27merge_sort_block_merge_implIS3_N6thrust23THRUST_200600_302600_NS6detail15normal_iteratorINS9_10device_ptrIfEEEEPS5_jNS1_19radix_merge_compareILb0ELb0EfNS0_19identity_decomposerEEEEE10hipError_tT0_T1_T2_jT3_P12ihipStream_tbPNSt15iterator_traitsISK_E10value_typeEPNSQ_ISL_E10value_typeEPSM_NS1_7vsmem_tEENKUlT_SK_SL_SM_E_clIPfSE_SF_SF_EESJ_SZ_SK_SL_SM_EUlSZ_E1_NS1_11comp_targetILNS1_3genE8ELNS1_11target_archE1030ELNS1_3gpuE2ELNS1_3repE0EEENS1_36merge_oddeven_config_static_selectorELNS0_4arch9wavefront6targetE0EEEvSL_
		.amdhsa_group_segment_fixed_size 0
		.amdhsa_private_segment_fixed_size 0
		.amdhsa_kernarg_size 48
		.amdhsa_user_sgpr_count 6
		.amdhsa_user_sgpr_private_segment_buffer 1
		.amdhsa_user_sgpr_dispatch_ptr 0
		.amdhsa_user_sgpr_queue_ptr 0
		.amdhsa_user_sgpr_kernarg_segment_ptr 1
		.amdhsa_user_sgpr_dispatch_id 0
		.amdhsa_user_sgpr_flat_scratch_init 0
		.amdhsa_user_sgpr_private_segment_size 0
		.amdhsa_wavefront_size32 1
		.amdhsa_uses_dynamic_stack 0
		.amdhsa_system_sgpr_private_segment_wavefront_offset 0
		.amdhsa_system_sgpr_workgroup_id_x 1
		.amdhsa_system_sgpr_workgroup_id_y 0
		.amdhsa_system_sgpr_workgroup_id_z 0
		.amdhsa_system_sgpr_workgroup_info 0
		.amdhsa_system_vgpr_workitem_id 0
		.amdhsa_next_free_vgpr 9
		.amdhsa_next_free_sgpr 16
		.amdhsa_reserve_vcc 1
		.amdhsa_reserve_flat_scratch 0
		.amdhsa_float_round_mode_32 0
		.amdhsa_float_round_mode_16_64 0
		.amdhsa_float_denorm_mode_32 3
		.amdhsa_float_denorm_mode_16_64 3
		.amdhsa_dx10_clamp 1
		.amdhsa_ieee_mode 1
		.amdhsa_fp16_overflow 0
		.amdhsa_workgroup_processor_mode 1
		.amdhsa_memory_ordered 1
		.amdhsa_forward_progress 1
		.amdhsa_shared_vgpr_count 0
		.amdhsa_exception_fp_ieee_invalid_op 0
		.amdhsa_exception_fp_denorm_src 0
		.amdhsa_exception_fp_ieee_div_zero 0
		.amdhsa_exception_fp_ieee_overflow 0
		.amdhsa_exception_fp_ieee_underflow 0
		.amdhsa_exception_fp_ieee_inexact 0
		.amdhsa_exception_int_div_zero 0
	.end_amdhsa_kernel
	.section	.text._ZN7rocprim17ROCPRIM_400000_NS6detail17trampoline_kernelINS0_14default_configENS1_38merge_sort_block_merge_config_selectorIfNS0_10empty_typeEEEZZNS1_27merge_sort_block_merge_implIS3_N6thrust23THRUST_200600_302600_NS6detail15normal_iteratorINS9_10device_ptrIfEEEEPS5_jNS1_19radix_merge_compareILb0ELb0EfNS0_19identity_decomposerEEEEE10hipError_tT0_T1_T2_jT3_P12ihipStream_tbPNSt15iterator_traitsISK_E10value_typeEPNSQ_ISL_E10value_typeEPSM_NS1_7vsmem_tEENKUlT_SK_SL_SM_E_clIPfSE_SF_SF_EESJ_SZ_SK_SL_SM_EUlSZ_E1_NS1_11comp_targetILNS1_3genE8ELNS1_11target_archE1030ELNS1_3gpuE2ELNS1_3repE0EEENS1_36merge_oddeven_config_static_selectorELNS0_4arch9wavefront6targetE0EEEvSL_,"axG",@progbits,_ZN7rocprim17ROCPRIM_400000_NS6detail17trampoline_kernelINS0_14default_configENS1_38merge_sort_block_merge_config_selectorIfNS0_10empty_typeEEEZZNS1_27merge_sort_block_merge_implIS3_N6thrust23THRUST_200600_302600_NS6detail15normal_iteratorINS9_10device_ptrIfEEEEPS5_jNS1_19radix_merge_compareILb0ELb0EfNS0_19identity_decomposerEEEEE10hipError_tT0_T1_T2_jT3_P12ihipStream_tbPNSt15iterator_traitsISK_E10value_typeEPNSQ_ISL_E10value_typeEPSM_NS1_7vsmem_tEENKUlT_SK_SL_SM_E_clIPfSE_SF_SF_EESJ_SZ_SK_SL_SM_EUlSZ_E1_NS1_11comp_targetILNS1_3genE8ELNS1_11target_archE1030ELNS1_3gpuE2ELNS1_3repE0EEENS1_36merge_oddeven_config_static_selectorELNS0_4arch9wavefront6targetE0EEEvSL_,comdat
.Lfunc_end498:
	.size	_ZN7rocprim17ROCPRIM_400000_NS6detail17trampoline_kernelINS0_14default_configENS1_38merge_sort_block_merge_config_selectorIfNS0_10empty_typeEEEZZNS1_27merge_sort_block_merge_implIS3_N6thrust23THRUST_200600_302600_NS6detail15normal_iteratorINS9_10device_ptrIfEEEEPS5_jNS1_19radix_merge_compareILb0ELb0EfNS0_19identity_decomposerEEEEE10hipError_tT0_T1_T2_jT3_P12ihipStream_tbPNSt15iterator_traitsISK_E10value_typeEPNSQ_ISL_E10value_typeEPSM_NS1_7vsmem_tEENKUlT_SK_SL_SM_E_clIPfSE_SF_SF_EESJ_SZ_SK_SL_SM_EUlSZ_E1_NS1_11comp_targetILNS1_3genE8ELNS1_11target_archE1030ELNS1_3gpuE2ELNS1_3repE0EEENS1_36merge_oddeven_config_static_selectorELNS0_4arch9wavefront6targetE0EEEvSL_, .Lfunc_end498-_ZN7rocprim17ROCPRIM_400000_NS6detail17trampoline_kernelINS0_14default_configENS1_38merge_sort_block_merge_config_selectorIfNS0_10empty_typeEEEZZNS1_27merge_sort_block_merge_implIS3_N6thrust23THRUST_200600_302600_NS6detail15normal_iteratorINS9_10device_ptrIfEEEEPS5_jNS1_19radix_merge_compareILb0ELb0EfNS0_19identity_decomposerEEEEE10hipError_tT0_T1_T2_jT3_P12ihipStream_tbPNSt15iterator_traitsISK_E10value_typeEPNSQ_ISL_E10value_typeEPSM_NS1_7vsmem_tEENKUlT_SK_SL_SM_E_clIPfSE_SF_SF_EESJ_SZ_SK_SL_SM_EUlSZ_E1_NS1_11comp_targetILNS1_3genE8ELNS1_11target_archE1030ELNS1_3gpuE2ELNS1_3repE0EEENS1_36merge_oddeven_config_static_selectorELNS0_4arch9wavefront6targetE0EEEvSL_
                                        ; -- End function
	.set _ZN7rocprim17ROCPRIM_400000_NS6detail17trampoline_kernelINS0_14default_configENS1_38merge_sort_block_merge_config_selectorIfNS0_10empty_typeEEEZZNS1_27merge_sort_block_merge_implIS3_N6thrust23THRUST_200600_302600_NS6detail15normal_iteratorINS9_10device_ptrIfEEEEPS5_jNS1_19radix_merge_compareILb0ELb0EfNS0_19identity_decomposerEEEEE10hipError_tT0_T1_T2_jT3_P12ihipStream_tbPNSt15iterator_traitsISK_E10value_typeEPNSQ_ISL_E10value_typeEPSM_NS1_7vsmem_tEENKUlT_SK_SL_SM_E_clIPfSE_SF_SF_EESJ_SZ_SK_SL_SM_EUlSZ_E1_NS1_11comp_targetILNS1_3genE8ELNS1_11target_archE1030ELNS1_3gpuE2ELNS1_3repE0EEENS1_36merge_oddeven_config_static_selectorELNS0_4arch9wavefront6targetE0EEEvSL_.num_vgpr, 9
	.set _ZN7rocprim17ROCPRIM_400000_NS6detail17trampoline_kernelINS0_14default_configENS1_38merge_sort_block_merge_config_selectorIfNS0_10empty_typeEEEZZNS1_27merge_sort_block_merge_implIS3_N6thrust23THRUST_200600_302600_NS6detail15normal_iteratorINS9_10device_ptrIfEEEEPS5_jNS1_19radix_merge_compareILb0ELb0EfNS0_19identity_decomposerEEEEE10hipError_tT0_T1_T2_jT3_P12ihipStream_tbPNSt15iterator_traitsISK_E10value_typeEPNSQ_ISL_E10value_typeEPSM_NS1_7vsmem_tEENKUlT_SK_SL_SM_E_clIPfSE_SF_SF_EESJ_SZ_SK_SL_SM_EUlSZ_E1_NS1_11comp_targetILNS1_3genE8ELNS1_11target_archE1030ELNS1_3gpuE2ELNS1_3repE0EEENS1_36merge_oddeven_config_static_selectorELNS0_4arch9wavefront6targetE0EEEvSL_.num_agpr, 0
	.set _ZN7rocprim17ROCPRIM_400000_NS6detail17trampoline_kernelINS0_14default_configENS1_38merge_sort_block_merge_config_selectorIfNS0_10empty_typeEEEZZNS1_27merge_sort_block_merge_implIS3_N6thrust23THRUST_200600_302600_NS6detail15normal_iteratorINS9_10device_ptrIfEEEEPS5_jNS1_19radix_merge_compareILb0ELb0EfNS0_19identity_decomposerEEEEE10hipError_tT0_T1_T2_jT3_P12ihipStream_tbPNSt15iterator_traitsISK_E10value_typeEPNSQ_ISL_E10value_typeEPSM_NS1_7vsmem_tEENKUlT_SK_SL_SM_E_clIPfSE_SF_SF_EESJ_SZ_SK_SL_SM_EUlSZ_E1_NS1_11comp_targetILNS1_3genE8ELNS1_11target_archE1030ELNS1_3gpuE2ELNS1_3repE0EEENS1_36merge_oddeven_config_static_selectorELNS0_4arch9wavefront6targetE0EEEvSL_.numbered_sgpr, 16
	.set _ZN7rocprim17ROCPRIM_400000_NS6detail17trampoline_kernelINS0_14default_configENS1_38merge_sort_block_merge_config_selectorIfNS0_10empty_typeEEEZZNS1_27merge_sort_block_merge_implIS3_N6thrust23THRUST_200600_302600_NS6detail15normal_iteratorINS9_10device_ptrIfEEEEPS5_jNS1_19radix_merge_compareILb0ELb0EfNS0_19identity_decomposerEEEEE10hipError_tT0_T1_T2_jT3_P12ihipStream_tbPNSt15iterator_traitsISK_E10value_typeEPNSQ_ISL_E10value_typeEPSM_NS1_7vsmem_tEENKUlT_SK_SL_SM_E_clIPfSE_SF_SF_EESJ_SZ_SK_SL_SM_EUlSZ_E1_NS1_11comp_targetILNS1_3genE8ELNS1_11target_archE1030ELNS1_3gpuE2ELNS1_3repE0EEENS1_36merge_oddeven_config_static_selectorELNS0_4arch9wavefront6targetE0EEEvSL_.num_named_barrier, 0
	.set _ZN7rocprim17ROCPRIM_400000_NS6detail17trampoline_kernelINS0_14default_configENS1_38merge_sort_block_merge_config_selectorIfNS0_10empty_typeEEEZZNS1_27merge_sort_block_merge_implIS3_N6thrust23THRUST_200600_302600_NS6detail15normal_iteratorINS9_10device_ptrIfEEEEPS5_jNS1_19radix_merge_compareILb0ELb0EfNS0_19identity_decomposerEEEEE10hipError_tT0_T1_T2_jT3_P12ihipStream_tbPNSt15iterator_traitsISK_E10value_typeEPNSQ_ISL_E10value_typeEPSM_NS1_7vsmem_tEENKUlT_SK_SL_SM_E_clIPfSE_SF_SF_EESJ_SZ_SK_SL_SM_EUlSZ_E1_NS1_11comp_targetILNS1_3genE8ELNS1_11target_archE1030ELNS1_3gpuE2ELNS1_3repE0EEENS1_36merge_oddeven_config_static_selectorELNS0_4arch9wavefront6targetE0EEEvSL_.private_seg_size, 0
	.set _ZN7rocprim17ROCPRIM_400000_NS6detail17trampoline_kernelINS0_14default_configENS1_38merge_sort_block_merge_config_selectorIfNS0_10empty_typeEEEZZNS1_27merge_sort_block_merge_implIS3_N6thrust23THRUST_200600_302600_NS6detail15normal_iteratorINS9_10device_ptrIfEEEEPS5_jNS1_19radix_merge_compareILb0ELb0EfNS0_19identity_decomposerEEEEE10hipError_tT0_T1_T2_jT3_P12ihipStream_tbPNSt15iterator_traitsISK_E10value_typeEPNSQ_ISL_E10value_typeEPSM_NS1_7vsmem_tEENKUlT_SK_SL_SM_E_clIPfSE_SF_SF_EESJ_SZ_SK_SL_SM_EUlSZ_E1_NS1_11comp_targetILNS1_3genE8ELNS1_11target_archE1030ELNS1_3gpuE2ELNS1_3repE0EEENS1_36merge_oddeven_config_static_selectorELNS0_4arch9wavefront6targetE0EEEvSL_.uses_vcc, 1
	.set _ZN7rocprim17ROCPRIM_400000_NS6detail17trampoline_kernelINS0_14default_configENS1_38merge_sort_block_merge_config_selectorIfNS0_10empty_typeEEEZZNS1_27merge_sort_block_merge_implIS3_N6thrust23THRUST_200600_302600_NS6detail15normal_iteratorINS9_10device_ptrIfEEEEPS5_jNS1_19radix_merge_compareILb0ELb0EfNS0_19identity_decomposerEEEEE10hipError_tT0_T1_T2_jT3_P12ihipStream_tbPNSt15iterator_traitsISK_E10value_typeEPNSQ_ISL_E10value_typeEPSM_NS1_7vsmem_tEENKUlT_SK_SL_SM_E_clIPfSE_SF_SF_EESJ_SZ_SK_SL_SM_EUlSZ_E1_NS1_11comp_targetILNS1_3genE8ELNS1_11target_archE1030ELNS1_3gpuE2ELNS1_3repE0EEENS1_36merge_oddeven_config_static_selectorELNS0_4arch9wavefront6targetE0EEEvSL_.uses_flat_scratch, 0
	.set _ZN7rocprim17ROCPRIM_400000_NS6detail17trampoline_kernelINS0_14default_configENS1_38merge_sort_block_merge_config_selectorIfNS0_10empty_typeEEEZZNS1_27merge_sort_block_merge_implIS3_N6thrust23THRUST_200600_302600_NS6detail15normal_iteratorINS9_10device_ptrIfEEEEPS5_jNS1_19radix_merge_compareILb0ELb0EfNS0_19identity_decomposerEEEEE10hipError_tT0_T1_T2_jT3_P12ihipStream_tbPNSt15iterator_traitsISK_E10value_typeEPNSQ_ISL_E10value_typeEPSM_NS1_7vsmem_tEENKUlT_SK_SL_SM_E_clIPfSE_SF_SF_EESJ_SZ_SK_SL_SM_EUlSZ_E1_NS1_11comp_targetILNS1_3genE8ELNS1_11target_archE1030ELNS1_3gpuE2ELNS1_3repE0EEENS1_36merge_oddeven_config_static_selectorELNS0_4arch9wavefront6targetE0EEEvSL_.has_dyn_sized_stack, 0
	.set _ZN7rocprim17ROCPRIM_400000_NS6detail17trampoline_kernelINS0_14default_configENS1_38merge_sort_block_merge_config_selectorIfNS0_10empty_typeEEEZZNS1_27merge_sort_block_merge_implIS3_N6thrust23THRUST_200600_302600_NS6detail15normal_iteratorINS9_10device_ptrIfEEEEPS5_jNS1_19radix_merge_compareILb0ELb0EfNS0_19identity_decomposerEEEEE10hipError_tT0_T1_T2_jT3_P12ihipStream_tbPNSt15iterator_traitsISK_E10value_typeEPNSQ_ISL_E10value_typeEPSM_NS1_7vsmem_tEENKUlT_SK_SL_SM_E_clIPfSE_SF_SF_EESJ_SZ_SK_SL_SM_EUlSZ_E1_NS1_11comp_targetILNS1_3genE8ELNS1_11target_archE1030ELNS1_3gpuE2ELNS1_3repE0EEENS1_36merge_oddeven_config_static_selectorELNS0_4arch9wavefront6targetE0EEEvSL_.has_recursion, 0
	.set _ZN7rocprim17ROCPRIM_400000_NS6detail17trampoline_kernelINS0_14default_configENS1_38merge_sort_block_merge_config_selectorIfNS0_10empty_typeEEEZZNS1_27merge_sort_block_merge_implIS3_N6thrust23THRUST_200600_302600_NS6detail15normal_iteratorINS9_10device_ptrIfEEEEPS5_jNS1_19radix_merge_compareILb0ELb0EfNS0_19identity_decomposerEEEEE10hipError_tT0_T1_T2_jT3_P12ihipStream_tbPNSt15iterator_traitsISK_E10value_typeEPNSQ_ISL_E10value_typeEPSM_NS1_7vsmem_tEENKUlT_SK_SL_SM_E_clIPfSE_SF_SF_EESJ_SZ_SK_SL_SM_EUlSZ_E1_NS1_11comp_targetILNS1_3genE8ELNS1_11target_archE1030ELNS1_3gpuE2ELNS1_3repE0EEENS1_36merge_oddeven_config_static_selectorELNS0_4arch9wavefront6targetE0EEEvSL_.has_indirect_call, 0
	.section	.AMDGPU.csdata,"",@progbits
; Kernel info:
; codeLenInByte = 708
; TotalNumSgprs: 18
; NumVgprs: 9
; ScratchSize: 0
; MemoryBound: 0
; FloatMode: 240
; IeeeMode: 1
; LDSByteSize: 0 bytes/workgroup (compile time only)
; SGPRBlocks: 0
; VGPRBlocks: 1
; NumSGPRsForWavesPerEU: 18
; NumVGPRsForWavesPerEU: 9
; Occupancy: 16
; WaveLimiterHint : 0
; COMPUTE_PGM_RSRC2:SCRATCH_EN: 0
; COMPUTE_PGM_RSRC2:USER_SGPR: 6
; COMPUTE_PGM_RSRC2:TRAP_HANDLER: 0
; COMPUTE_PGM_RSRC2:TGID_X_EN: 1
; COMPUTE_PGM_RSRC2:TGID_Y_EN: 0
; COMPUTE_PGM_RSRC2:TGID_Z_EN: 0
; COMPUTE_PGM_RSRC2:TIDIG_COMP_CNT: 0
	.section	.text._ZN7rocprim17ROCPRIM_400000_NS6detail17trampoline_kernelINS0_14default_configENS1_38merge_sort_block_merge_config_selectorIfNS0_10empty_typeEEEZZNS1_27merge_sort_block_merge_implIS3_N6thrust23THRUST_200600_302600_NS6detail15normal_iteratorINS9_10device_ptrIfEEEEPS5_jNS1_19radix_merge_compareILb0ELb0EfNS0_19identity_decomposerEEEEE10hipError_tT0_T1_T2_jT3_P12ihipStream_tbPNSt15iterator_traitsISK_E10value_typeEPNSQ_ISL_E10value_typeEPSM_NS1_7vsmem_tEENKUlT_SK_SL_SM_E_clISE_PfSF_SF_EESJ_SZ_SK_SL_SM_EUlSZ_E_NS1_11comp_targetILNS1_3genE0ELNS1_11target_archE4294967295ELNS1_3gpuE0ELNS1_3repE0EEENS1_48merge_mergepath_partition_config_static_selectorELNS0_4arch9wavefront6targetE0EEEvSL_,"axG",@progbits,_ZN7rocprim17ROCPRIM_400000_NS6detail17trampoline_kernelINS0_14default_configENS1_38merge_sort_block_merge_config_selectorIfNS0_10empty_typeEEEZZNS1_27merge_sort_block_merge_implIS3_N6thrust23THRUST_200600_302600_NS6detail15normal_iteratorINS9_10device_ptrIfEEEEPS5_jNS1_19radix_merge_compareILb0ELb0EfNS0_19identity_decomposerEEEEE10hipError_tT0_T1_T2_jT3_P12ihipStream_tbPNSt15iterator_traitsISK_E10value_typeEPNSQ_ISL_E10value_typeEPSM_NS1_7vsmem_tEENKUlT_SK_SL_SM_E_clISE_PfSF_SF_EESJ_SZ_SK_SL_SM_EUlSZ_E_NS1_11comp_targetILNS1_3genE0ELNS1_11target_archE4294967295ELNS1_3gpuE0ELNS1_3repE0EEENS1_48merge_mergepath_partition_config_static_selectorELNS0_4arch9wavefront6targetE0EEEvSL_,comdat
	.protected	_ZN7rocprim17ROCPRIM_400000_NS6detail17trampoline_kernelINS0_14default_configENS1_38merge_sort_block_merge_config_selectorIfNS0_10empty_typeEEEZZNS1_27merge_sort_block_merge_implIS3_N6thrust23THRUST_200600_302600_NS6detail15normal_iteratorINS9_10device_ptrIfEEEEPS5_jNS1_19radix_merge_compareILb0ELb0EfNS0_19identity_decomposerEEEEE10hipError_tT0_T1_T2_jT3_P12ihipStream_tbPNSt15iterator_traitsISK_E10value_typeEPNSQ_ISL_E10value_typeEPSM_NS1_7vsmem_tEENKUlT_SK_SL_SM_E_clISE_PfSF_SF_EESJ_SZ_SK_SL_SM_EUlSZ_E_NS1_11comp_targetILNS1_3genE0ELNS1_11target_archE4294967295ELNS1_3gpuE0ELNS1_3repE0EEENS1_48merge_mergepath_partition_config_static_selectorELNS0_4arch9wavefront6targetE0EEEvSL_ ; -- Begin function _ZN7rocprim17ROCPRIM_400000_NS6detail17trampoline_kernelINS0_14default_configENS1_38merge_sort_block_merge_config_selectorIfNS0_10empty_typeEEEZZNS1_27merge_sort_block_merge_implIS3_N6thrust23THRUST_200600_302600_NS6detail15normal_iteratorINS9_10device_ptrIfEEEEPS5_jNS1_19radix_merge_compareILb0ELb0EfNS0_19identity_decomposerEEEEE10hipError_tT0_T1_T2_jT3_P12ihipStream_tbPNSt15iterator_traitsISK_E10value_typeEPNSQ_ISL_E10value_typeEPSM_NS1_7vsmem_tEENKUlT_SK_SL_SM_E_clISE_PfSF_SF_EESJ_SZ_SK_SL_SM_EUlSZ_E_NS1_11comp_targetILNS1_3genE0ELNS1_11target_archE4294967295ELNS1_3gpuE0ELNS1_3repE0EEENS1_48merge_mergepath_partition_config_static_selectorELNS0_4arch9wavefront6targetE0EEEvSL_
	.globl	_ZN7rocprim17ROCPRIM_400000_NS6detail17trampoline_kernelINS0_14default_configENS1_38merge_sort_block_merge_config_selectorIfNS0_10empty_typeEEEZZNS1_27merge_sort_block_merge_implIS3_N6thrust23THRUST_200600_302600_NS6detail15normal_iteratorINS9_10device_ptrIfEEEEPS5_jNS1_19radix_merge_compareILb0ELb0EfNS0_19identity_decomposerEEEEE10hipError_tT0_T1_T2_jT3_P12ihipStream_tbPNSt15iterator_traitsISK_E10value_typeEPNSQ_ISL_E10value_typeEPSM_NS1_7vsmem_tEENKUlT_SK_SL_SM_E_clISE_PfSF_SF_EESJ_SZ_SK_SL_SM_EUlSZ_E_NS1_11comp_targetILNS1_3genE0ELNS1_11target_archE4294967295ELNS1_3gpuE0ELNS1_3repE0EEENS1_48merge_mergepath_partition_config_static_selectorELNS0_4arch9wavefront6targetE0EEEvSL_
	.p2align	8
	.type	_ZN7rocprim17ROCPRIM_400000_NS6detail17trampoline_kernelINS0_14default_configENS1_38merge_sort_block_merge_config_selectorIfNS0_10empty_typeEEEZZNS1_27merge_sort_block_merge_implIS3_N6thrust23THRUST_200600_302600_NS6detail15normal_iteratorINS9_10device_ptrIfEEEEPS5_jNS1_19radix_merge_compareILb0ELb0EfNS0_19identity_decomposerEEEEE10hipError_tT0_T1_T2_jT3_P12ihipStream_tbPNSt15iterator_traitsISK_E10value_typeEPNSQ_ISL_E10value_typeEPSM_NS1_7vsmem_tEENKUlT_SK_SL_SM_E_clISE_PfSF_SF_EESJ_SZ_SK_SL_SM_EUlSZ_E_NS1_11comp_targetILNS1_3genE0ELNS1_11target_archE4294967295ELNS1_3gpuE0ELNS1_3repE0EEENS1_48merge_mergepath_partition_config_static_selectorELNS0_4arch9wavefront6targetE0EEEvSL_,@function
_ZN7rocprim17ROCPRIM_400000_NS6detail17trampoline_kernelINS0_14default_configENS1_38merge_sort_block_merge_config_selectorIfNS0_10empty_typeEEEZZNS1_27merge_sort_block_merge_implIS3_N6thrust23THRUST_200600_302600_NS6detail15normal_iteratorINS9_10device_ptrIfEEEEPS5_jNS1_19radix_merge_compareILb0ELb0EfNS0_19identity_decomposerEEEEE10hipError_tT0_T1_T2_jT3_P12ihipStream_tbPNSt15iterator_traitsISK_E10value_typeEPNSQ_ISL_E10value_typeEPSM_NS1_7vsmem_tEENKUlT_SK_SL_SM_E_clISE_PfSF_SF_EESJ_SZ_SK_SL_SM_EUlSZ_E_NS1_11comp_targetILNS1_3genE0ELNS1_11target_archE4294967295ELNS1_3gpuE0ELNS1_3repE0EEENS1_48merge_mergepath_partition_config_static_selectorELNS0_4arch9wavefront6targetE0EEEvSL_: ; @_ZN7rocprim17ROCPRIM_400000_NS6detail17trampoline_kernelINS0_14default_configENS1_38merge_sort_block_merge_config_selectorIfNS0_10empty_typeEEEZZNS1_27merge_sort_block_merge_implIS3_N6thrust23THRUST_200600_302600_NS6detail15normal_iteratorINS9_10device_ptrIfEEEEPS5_jNS1_19radix_merge_compareILb0ELb0EfNS0_19identity_decomposerEEEEE10hipError_tT0_T1_T2_jT3_P12ihipStream_tbPNSt15iterator_traitsISK_E10value_typeEPNSQ_ISL_E10value_typeEPSM_NS1_7vsmem_tEENKUlT_SK_SL_SM_E_clISE_PfSF_SF_EESJ_SZ_SK_SL_SM_EUlSZ_E_NS1_11comp_targetILNS1_3genE0ELNS1_11target_archE4294967295ELNS1_3gpuE0ELNS1_3repE0EEENS1_48merge_mergepath_partition_config_static_selectorELNS0_4arch9wavefront6targetE0EEEvSL_
; %bb.0:
	.section	.rodata,"a",@progbits
	.p2align	6, 0x0
	.amdhsa_kernel _ZN7rocprim17ROCPRIM_400000_NS6detail17trampoline_kernelINS0_14default_configENS1_38merge_sort_block_merge_config_selectorIfNS0_10empty_typeEEEZZNS1_27merge_sort_block_merge_implIS3_N6thrust23THRUST_200600_302600_NS6detail15normal_iteratorINS9_10device_ptrIfEEEEPS5_jNS1_19radix_merge_compareILb0ELb0EfNS0_19identity_decomposerEEEEE10hipError_tT0_T1_T2_jT3_P12ihipStream_tbPNSt15iterator_traitsISK_E10value_typeEPNSQ_ISL_E10value_typeEPSM_NS1_7vsmem_tEENKUlT_SK_SL_SM_E_clISE_PfSF_SF_EESJ_SZ_SK_SL_SM_EUlSZ_E_NS1_11comp_targetILNS1_3genE0ELNS1_11target_archE4294967295ELNS1_3gpuE0ELNS1_3repE0EEENS1_48merge_mergepath_partition_config_static_selectorELNS0_4arch9wavefront6targetE0EEEvSL_
		.amdhsa_group_segment_fixed_size 0
		.amdhsa_private_segment_fixed_size 0
		.amdhsa_kernarg_size 40
		.amdhsa_user_sgpr_count 6
		.amdhsa_user_sgpr_private_segment_buffer 1
		.amdhsa_user_sgpr_dispatch_ptr 0
		.amdhsa_user_sgpr_queue_ptr 0
		.amdhsa_user_sgpr_kernarg_segment_ptr 1
		.amdhsa_user_sgpr_dispatch_id 0
		.amdhsa_user_sgpr_flat_scratch_init 0
		.amdhsa_user_sgpr_private_segment_size 0
		.amdhsa_wavefront_size32 1
		.amdhsa_uses_dynamic_stack 0
		.amdhsa_system_sgpr_private_segment_wavefront_offset 0
		.amdhsa_system_sgpr_workgroup_id_x 1
		.amdhsa_system_sgpr_workgroup_id_y 0
		.amdhsa_system_sgpr_workgroup_id_z 0
		.amdhsa_system_sgpr_workgroup_info 0
		.amdhsa_system_vgpr_workitem_id 0
		.amdhsa_next_free_vgpr 1
		.amdhsa_next_free_sgpr 1
		.amdhsa_reserve_vcc 0
		.amdhsa_reserve_flat_scratch 0
		.amdhsa_float_round_mode_32 0
		.amdhsa_float_round_mode_16_64 0
		.amdhsa_float_denorm_mode_32 3
		.amdhsa_float_denorm_mode_16_64 3
		.amdhsa_dx10_clamp 1
		.amdhsa_ieee_mode 1
		.amdhsa_fp16_overflow 0
		.amdhsa_workgroup_processor_mode 1
		.amdhsa_memory_ordered 1
		.amdhsa_forward_progress 1
		.amdhsa_shared_vgpr_count 0
		.amdhsa_exception_fp_ieee_invalid_op 0
		.amdhsa_exception_fp_denorm_src 0
		.amdhsa_exception_fp_ieee_div_zero 0
		.amdhsa_exception_fp_ieee_overflow 0
		.amdhsa_exception_fp_ieee_underflow 0
		.amdhsa_exception_fp_ieee_inexact 0
		.amdhsa_exception_int_div_zero 0
	.end_amdhsa_kernel
	.section	.text._ZN7rocprim17ROCPRIM_400000_NS6detail17trampoline_kernelINS0_14default_configENS1_38merge_sort_block_merge_config_selectorIfNS0_10empty_typeEEEZZNS1_27merge_sort_block_merge_implIS3_N6thrust23THRUST_200600_302600_NS6detail15normal_iteratorINS9_10device_ptrIfEEEEPS5_jNS1_19radix_merge_compareILb0ELb0EfNS0_19identity_decomposerEEEEE10hipError_tT0_T1_T2_jT3_P12ihipStream_tbPNSt15iterator_traitsISK_E10value_typeEPNSQ_ISL_E10value_typeEPSM_NS1_7vsmem_tEENKUlT_SK_SL_SM_E_clISE_PfSF_SF_EESJ_SZ_SK_SL_SM_EUlSZ_E_NS1_11comp_targetILNS1_3genE0ELNS1_11target_archE4294967295ELNS1_3gpuE0ELNS1_3repE0EEENS1_48merge_mergepath_partition_config_static_selectorELNS0_4arch9wavefront6targetE0EEEvSL_,"axG",@progbits,_ZN7rocprim17ROCPRIM_400000_NS6detail17trampoline_kernelINS0_14default_configENS1_38merge_sort_block_merge_config_selectorIfNS0_10empty_typeEEEZZNS1_27merge_sort_block_merge_implIS3_N6thrust23THRUST_200600_302600_NS6detail15normal_iteratorINS9_10device_ptrIfEEEEPS5_jNS1_19radix_merge_compareILb0ELb0EfNS0_19identity_decomposerEEEEE10hipError_tT0_T1_T2_jT3_P12ihipStream_tbPNSt15iterator_traitsISK_E10value_typeEPNSQ_ISL_E10value_typeEPSM_NS1_7vsmem_tEENKUlT_SK_SL_SM_E_clISE_PfSF_SF_EESJ_SZ_SK_SL_SM_EUlSZ_E_NS1_11comp_targetILNS1_3genE0ELNS1_11target_archE4294967295ELNS1_3gpuE0ELNS1_3repE0EEENS1_48merge_mergepath_partition_config_static_selectorELNS0_4arch9wavefront6targetE0EEEvSL_,comdat
.Lfunc_end499:
	.size	_ZN7rocprim17ROCPRIM_400000_NS6detail17trampoline_kernelINS0_14default_configENS1_38merge_sort_block_merge_config_selectorIfNS0_10empty_typeEEEZZNS1_27merge_sort_block_merge_implIS3_N6thrust23THRUST_200600_302600_NS6detail15normal_iteratorINS9_10device_ptrIfEEEEPS5_jNS1_19radix_merge_compareILb0ELb0EfNS0_19identity_decomposerEEEEE10hipError_tT0_T1_T2_jT3_P12ihipStream_tbPNSt15iterator_traitsISK_E10value_typeEPNSQ_ISL_E10value_typeEPSM_NS1_7vsmem_tEENKUlT_SK_SL_SM_E_clISE_PfSF_SF_EESJ_SZ_SK_SL_SM_EUlSZ_E_NS1_11comp_targetILNS1_3genE0ELNS1_11target_archE4294967295ELNS1_3gpuE0ELNS1_3repE0EEENS1_48merge_mergepath_partition_config_static_selectorELNS0_4arch9wavefront6targetE0EEEvSL_, .Lfunc_end499-_ZN7rocprim17ROCPRIM_400000_NS6detail17trampoline_kernelINS0_14default_configENS1_38merge_sort_block_merge_config_selectorIfNS0_10empty_typeEEEZZNS1_27merge_sort_block_merge_implIS3_N6thrust23THRUST_200600_302600_NS6detail15normal_iteratorINS9_10device_ptrIfEEEEPS5_jNS1_19radix_merge_compareILb0ELb0EfNS0_19identity_decomposerEEEEE10hipError_tT0_T1_T2_jT3_P12ihipStream_tbPNSt15iterator_traitsISK_E10value_typeEPNSQ_ISL_E10value_typeEPSM_NS1_7vsmem_tEENKUlT_SK_SL_SM_E_clISE_PfSF_SF_EESJ_SZ_SK_SL_SM_EUlSZ_E_NS1_11comp_targetILNS1_3genE0ELNS1_11target_archE4294967295ELNS1_3gpuE0ELNS1_3repE0EEENS1_48merge_mergepath_partition_config_static_selectorELNS0_4arch9wavefront6targetE0EEEvSL_
                                        ; -- End function
	.set _ZN7rocprim17ROCPRIM_400000_NS6detail17trampoline_kernelINS0_14default_configENS1_38merge_sort_block_merge_config_selectorIfNS0_10empty_typeEEEZZNS1_27merge_sort_block_merge_implIS3_N6thrust23THRUST_200600_302600_NS6detail15normal_iteratorINS9_10device_ptrIfEEEEPS5_jNS1_19radix_merge_compareILb0ELb0EfNS0_19identity_decomposerEEEEE10hipError_tT0_T1_T2_jT3_P12ihipStream_tbPNSt15iterator_traitsISK_E10value_typeEPNSQ_ISL_E10value_typeEPSM_NS1_7vsmem_tEENKUlT_SK_SL_SM_E_clISE_PfSF_SF_EESJ_SZ_SK_SL_SM_EUlSZ_E_NS1_11comp_targetILNS1_3genE0ELNS1_11target_archE4294967295ELNS1_3gpuE0ELNS1_3repE0EEENS1_48merge_mergepath_partition_config_static_selectorELNS0_4arch9wavefront6targetE0EEEvSL_.num_vgpr, 0
	.set _ZN7rocprim17ROCPRIM_400000_NS6detail17trampoline_kernelINS0_14default_configENS1_38merge_sort_block_merge_config_selectorIfNS0_10empty_typeEEEZZNS1_27merge_sort_block_merge_implIS3_N6thrust23THRUST_200600_302600_NS6detail15normal_iteratorINS9_10device_ptrIfEEEEPS5_jNS1_19radix_merge_compareILb0ELb0EfNS0_19identity_decomposerEEEEE10hipError_tT0_T1_T2_jT3_P12ihipStream_tbPNSt15iterator_traitsISK_E10value_typeEPNSQ_ISL_E10value_typeEPSM_NS1_7vsmem_tEENKUlT_SK_SL_SM_E_clISE_PfSF_SF_EESJ_SZ_SK_SL_SM_EUlSZ_E_NS1_11comp_targetILNS1_3genE0ELNS1_11target_archE4294967295ELNS1_3gpuE0ELNS1_3repE0EEENS1_48merge_mergepath_partition_config_static_selectorELNS0_4arch9wavefront6targetE0EEEvSL_.num_agpr, 0
	.set _ZN7rocprim17ROCPRIM_400000_NS6detail17trampoline_kernelINS0_14default_configENS1_38merge_sort_block_merge_config_selectorIfNS0_10empty_typeEEEZZNS1_27merge_sort_block_merge_implIS3_N6thrust23THRUST_200600_302600_NS6detail15normal_iteratorINS9_10device_ptrIfEEEEPS5_jNS1_19radix_merge_compareILb0ELb0EfNS0_19identity_decomposerEEEEE10hipError_tT0_T1_T2_jT3_P12ihipStream_tbPNSt15iterator_traitsISK_E10value_typeEPNSQ_ISL_E10value_typeEPSM_NS1_7vsmem_tEENKUlT_SK_SL_SM_E_clISE_PfSF_SF_EESJ_SZ_SK_SL_SM_EUlSZ_E_NS1_11comp_targetILNS1_3genE0ELNS1_11target_archE4294967295ELNS1_3gpuE0ELNS1_3repE0EEENS1_48merge_mergepath_partition_config_static_selectorELNS0_4arch9wavefront6targetE0EEEvSL_.numbered_sgpr, 0
	.set _ZN7rocprim17ROCPRIM_400000_NS6detail17trampoline_kernelINS0_14default_configENS1_38merge_sort_block_merge_config_selectorIfNS0_10empty_typeEEEZZNS1_27merge_sort_block_merge_implIS3_N6thrust23THRUST_200600_302600_NS6detail15normal_iteratorINS9_10device_ptrIfEEEEPS5_jNS1_19radix_merge_compareILb0ELb0EfNS0_19identity_decomposerEEEEE10hipError_tT0_T1_T2_jT3_P12ihipStream_tbPNSt15iterator_traitsISK_E10value_typeEPNSQ_ISL_E10value_typeEPSM_NS1_7vsmem_tEENKUlT_SK_SL_SM_E_clISE_PfSF_SF_EESJ_SZ_SK_SL_SM_EUlSZ_E_NS1_11comp_targetILNS1_3genE0ELNS1_11target_archE4294967295ELNS1_3gpuE0ELNS1_3repE0EEENS1_48merge_mergepath_partition_config_static_selectorELNS0_4arch9wavefront6targetE0EEEvSL_.num_named_barrier, 0
	.set _ZN7rocprim17ROCPRIM_400000_NS6detail17trampoline_kernelINS0_14default_configENS1_38merge_sort_block_merge_config_selectorIfNS0_10empty_typeEEEZZNS1_27merge_sort_block_merge_implIS3_N6thrust23THRUST_200600_302600_NS6detail15normal_iteratorINS9_10device_ptrIfEEEEPS5_jNS1_19radix_merge_compareILb0ELb0EfNS0_19identity_decomposerEEEEE10hipError_tT0_T1_T2_jT3_P12ihipStream_tbPNSt15iterator_traitsISK_E10value_typeEPNSQ_ISL_E10value_typeEPSM_NS1_7vsmem_tEENKUlT_SK_SL_SM_E_clISE_PfSF_SF_EESJ_SZ_SK_SL_SM_EUlSZ_E_NS1_11comp_targetILNS1_3genE0ELNS1_11target_archE4294967295ELNS1_3gpuE0ELNS1_3repE0EEENS1_48merge_mergepath_partition_config_static_selectorELNS0_4arch9wavefront6targetE0EEEvSL_.private_seg_size, 0
	.set _ZN7rocprim17ROCPRIM_400000_NS6detail17trampoline_kernelINS0_14default_configENS1_38merge_sort_block_merge_config_selectorIfNS0_10empty_typeEEEZZNS1_27merge_sort_block_merge_implIS3_N6thrust23THRUST_200600_302600_NS6detail15normal_iteratorINS9_10device_ptrIfEEEEPS5_jNS1_19radix_merge_compareILb0ELb0EfNS0_19identity_decomposerEEEEE10hipError_tT0_T1_T2_jT3_P12ihipStream_tbPNSt15iterator_traitsISK_E10value_typeEPNSQ_ISL_E10value_typeEPSM_NS1_7vsmem_tEENKUlT_SK_SL_SM_E_clISE_PfSF_SF_EESJ_SZ_SK_SL_SM_EUlSZ_E_NS1_11comp_targetILNS1_3genE0ELNS1_11target_archE4294967295ELNS1_3gpuE0ELNS1_3repE0EEENS1_48merge_mergepath_partition_config_static_selectorELNS0_4arch9wavefront6targetE0EEEvSL_.uses_vcc, 0
	.set _ZN7rocprim17ROCPRIM_400000_NS6detail17trampoline_kernelINS0_14default_configENS1_38merge_sort_block_merge_config_selectorIfNS0_10empty_typeEEEZZNS1_27merge_sort_block_merge_implIS3_N6thrust23THRUST_200600_302600_NS6detail15normal_iteratorINS9_10device_ptrIfEEEEPS5_jNS1_19radix_merge_compareILb0ELb0EfNS0_19identity_decomposerEEEEE10hipError_tT0_T1_T2_jT3_P12ihipStream_tbPNSt15iterator_traitsISK_E10value_typeEPNSQ_ISL_E10value_typeEPSM_NS1_7vsmem_tEENKUlT_SK_SL_SM_E_clISE_PfSF_SF_EESJ_SZ_SK_SL_SM_EUlSZ_E_NS1_11comp_targetILNS1_3genE0ELNS1_11target_archE4294967295ELNS1_3gpuE0ELNS1_3repE0EEENS1_48merge_mergepath_partition_config_static_selectorELNS0_4arch9wavefront6targetE0EEEvSL_.uses_flat_scratch, 0
	.set _ZN7rocprim17ROCPRIM_400000_NS6detail17trampoline_kernelINS0_14default_configENS1_38merge_sort_block_merge_config_selectorIfNS0_10empty_typeEEEZZNS1_27merge_sort_block_merge_implIS3_N6thrust23THRUST_200600_302600_NS6detail15normal_iteratorINS9_10device_ptrIfEEEEPS5_jNS1_19radix_merge_compareILb0ELb0EfNS0_19identity_decomposerEEEEE10hipError_tT0_T1_T2_jT3_P12ihipStream_tbPNSt15iterator_traitsISK_E10value_typeEPNSQ_ISL_E10value_typeEPSM_NS1_7vsmem_tEENKUlT_SK_SL_SM_E_clISE_PfSF_SF_EESJ_SZ_SK_SL_SM_EUlSZ_E_NS1_11comp_targetILNS1_3genE0ELNS1_11target_archE4294967295ELNS1_3gpuE0ELNS1_3repE0EEENS1_48merge_mergepath_partition_config_static_selectorELNS0_4arch9wavefront6targetE0EEEvSL_.has_dyn_sized_stack, 0
	.set _ZN7rocprim17ROCPRIM_400000_NS6detail17trampoline_kernelINS0_14default_configENS1_38merge_sort_block_merge_config_selectorIfNS0_10empty_typeEEEZZNS1_27merge_sort_block_merge_implIS3_N6thrust23THRUST_200600_302600_NS6detail15normal_iteratorINS9_10device_ptrIfEEEEPS5_jNS1_19radix_merge_compareILb0ELb0EfNS0_19identity_decomposerEEEEE10hipError_tT0_T1_T2_jT3_P12ihipStream_tbPNSt15iterator_traitsISK_E10value_typeEPNSQ_ISL_E10value_typeEPSM_NS1_7vsmem_tEENKUlT_SK_SL_SM_E_clISE_PfSF_SF_EESJ_SZ_SK_SL_SM_EUlSZ_E_NS1_11comp_targetILNS1_3genE0ELNS1_11target_archE4294967295ELNS1_3gpuE0ELNS1_3repE0EEENS1_48merge_mergepath_partition_config_static_selectorELNS0_4arch9wavefront6targetE0EEEvSL_.has_recursion, 0
	.set _ZN7rocprim17ROCPRIM_400000_NS6detail17trampoline_kernelINS0_14default_configENS1_38merge_sort_block_merge_config_selectorIfNS0_10empty_typeEEEZZNS1_27merge_sort_block_merge_implIS3_N6thrust23THRUST_200600_302600_NS6detail15normal_iteratorINS9_10device_ptrIfEEEEPS5_jNS1_19radix_merge_compareILb0ELb0EfNS0_19identity_decomposerEEEEE10hipError_tT0_T1_T2_jT3_P12ihipStream_tbPNSt15iterator_traitsISK_E10value_typeEPNSQ_ISL_E10value_typeEPSM_NS1_7vsmem_tEENKUlT_SK_SL_SM_E_clISE_PfSF_SF_EESJ_SZ_SK_SL_SM_EUlSZ_E_NS1_11comp_targetILNS1_3genE0ELNS1_11target_archE4294967295ELNS1_3gpuE0ELNS1_3repE0EEENS1_48merge_mergepath_partition_config_static_selectorELNS0_4arch9wavefront6targetE0EEEvSL_.has_indirect_call, 0
	.section	.AMDGPU.csdata,"",@progbits
; Kernel info:
; codeLenInByte = 0
; TotalNumSgprs: 0
; NumVgprs: 0
; ScratchSize: 0
; MemoryBound: 0
; FloatMode: 240
; IeeeMode: 1
; LDSByteSize: 0 bytes/workgroup (compile time only)
; SGPRBlocks: 0
; VGPRBlocks: 0
; NumSGPRsForWavesPerEU: 1
; NumVGPRsForWavesPerEU: 1
; Occupancy: 16
; WaveLimiterHint : 0
; COMPUTE_PGM_RSRC2:SCRATCH_EN: 0
; COMPUTE_PGM_RSRC2:USER_SGPR: 6
; COMPUTE_PGM_RSRC2:TRAP_HANDLER: 0
; COMPUTE_PGM_RSRC2:TGID_X_EN: 1
; COMPUTE_PGM_RSRC2:TGID_Y_EN: 0
; COMPUTE_PGM_RSRC2:TGID_Z_EN: 0
; COMPUTE_PGM_RSRC2:TIDIG_COMP_CNT: 0
	.section	.text._ZN7rocprim17ROCPRIM_400000_NS6detail17trampoline_kernelINS0_14default_configENS1_38merge_sort_block_merge_config_selectorIfNS0_10empty_typeEEEZZNS1_27merge_sort_block_merge_implIS3_N6thrust23THRUST_200600_302600_NS6detail15normal_iteratorINS9_10device_ptrIfEEEEPS5_jNS1_19radix_merge_compareILb0ELb0EfNS0_19identity_decomposerEEEEE10hipError_tT0_T1_T2_jT3_P12ihipStream_tbPNSt15iterator_traitsISK_E10value_typeEPNSQ_ISL_E10value_typeEPSM_NS1_7vsmem_tEENKUlT_SK_SL_SM_E_clISE_PfSF_SF_EESJ_SZ_SK_SL_SM_EUlSZ_E_NS1_11comp_targetILNS1_3genE10ELNS1_11target_archE1201ELNS1_3gpuE5ELNS1_3repE0EEENS1_48merge_mergepath_partition_config_static_selectorELNS0_4arch9wavefront6targetE0EEEvSL_,"axG",@progbits,_ZN7rocprim17ROCPRIM_400000_NS6detail17trampoline_kernelINS0_14default_configENS1_38merge_sort_block_merge_config_selectorIfNS0_10empty_typeEEEZZNS1_27merge_sort_block_merge_implIS3_N6thrust23THRUST_200600_302600_NS6detail15normal_iteratorINS9_10device_ptrIfEEEEPS5_jNS1_19radix_merge_compareILb0ELb0EfNS0_19identity_decomposerEEEEE10hipError_tT0_T1_T2_jT3_P12ihipStream_tbPNSt15iterator_traitsISK_E10value_typeEPNSQ_ISL_E10value_typeEPSM_NS1_7vsmem_tEENKUlT_SK_SL_SM_E_clISE_PfSF_SF_EESJ_SZ_SK_SL_SM_EUlSZ_E_NS1_11comp_targetILNS1_3genE10ELNS1_11target_archE1201ELNS1_3gpuE5ELNS1_3repE0EEENS1_48merge_mergepath_partition_config_static_selectorELNS0_4arch9wavefront6targetE0EEEvSL_,comdat
	.protected	_ZN7rocprim17ROCPRIM_400000_NS6detail17trampoline_kernelINS0_14default_configENS1_38merge_sort_block_merge_config_selectorIfNS0_10empty_typeEEEZZNS1_27merge_sort_block_merge_implIS3_N6thrust23THRUST_200600_302600_NS6detail15normal_iteratorINS9_10device_ptrIfEEEEPS5_jNS1_19radix_merge_compareILb0ELb0EfNS0_19identity_decomposerEEEEE10hipError_tT0_T1_T2_jT3_P12ihipStream_tbPNSt15iterator_traitsISK_E10value_typeEPNSQ_ISL_E10value_typeEPSM_NS1_7vsmem_tEENKUlT_SK_SL_SM_E_clISE_PfSF_SF_EESJ_SZ_SK_SL_SM_EUlSZ_E_NS1_11comp_targetILNS1_3genE10ELNS1_11target_archE1201ELNS1_3gpuE5ELNS1_3repE0EEENS1_48merge_mergepath_partition_config_static_selectorELNS0_4arch9wavefront6targetE0EEEvSL_ ; -- Begin function _ZN7rocprim17ROCPRIM_400000_NS6detail17trampoline_kernelINS0_14default_configENS1_38merge_sort_block_merge_config_selectorIfNS0_10empty_typeEEEZZNS1_27merge_sort_block_merge_implIS3_N6thrust23THRUST_200600_302600_NS6detail15normal_iteratorINS9_10device_ptrIfEEEEPS5_jNS1_19radix_merge_compareILb0ELb0EfNS0_19identity_decomposerEEEEE10hipError_tT0_T1_T2_jT3_P12ihipStream_tbPNSt15iterator_traitsISK_E10value_typeEPNSQ_ISL_E10value_typeEPSM_NS1_7vsmem_tEENKUlT_SK_SL_SM_E_clISE_PfSF_SF_EESJ_SZ_SK_SL_SM_EUlSZ_E_NS1_11comp_targetILNS1_3genE10ELNS1_11target_archE1201ELNS1_3gpuE5ELNS1_3repE0EEENS1_48merge_mergepath_partition_config_static_selectorELNS0_4arch9wavefront6targetE0EEEvSL_
	.globl	_ZN7rocprim17ROCPRIM_400000_NS6detail17trampoline_kernelINS0_14default_configENS1_38merge_sort_block_merge_config_selectorIfNS0_10empty_typeEEEZZNS1_27merge_sort_block_merge_implIS3_N6thrust23THRUST_200600_302600_NS6detail15normal_iteratorINS9_10device_ptrIfEEEEPS5_jNS1_19radix_merge_compareILb0ELb0EfNS0_19identity_decomposerEEEEE10hipError_tT0_T1_T2_jT3_P12ihipStream_tbPNSt15iterator_traitsISK_E10value_typeEPNSQ_ISL_E10value_typeEPSM_NS1_7vsmem_tEENKUlT_SK_SL_SM_E_clISE_PfSF_SF_EESJ_SZ_SK_SL_SM_EUlSZ_E_NS1_11comp_targetILNS1_3genE10ELNS1_11target_archE1201ELNS1_3gpuE5ELNS1_3repE0EEENS1_48merge_mergepath_partition_config_static_selectorELNS0_4arch9wavefront6targetE0EEEvSL_
	.p2align	8
	.type	_ZN7rocprim17ROCPRIM_400000_NS6detail17trampoline_kernelINS0_14default_configENS1_38merge_sort_block_merge_config_selectorIfNS0_10empty_typeEEEZZNS1_27merge_sort_block_merge_implIS3_N6thrust23THRUST_200600_302600_NS6detail15normal_iteratorINS9_10device_ptrIfEEEEPS5_jNS1_19radix_merge_compareILb0ELb0EfNS0_19identity_decomposerEEEEE10hipError_tT0_T1_T2_jT3_P12ihipStream_tbPNSt15iterator_traitsISK_E10value_typeEPNSQ_ISL_E10value_typeEPSM_NS1_7vsmem_tEENKUlT_SK_SL_SM_E_clISE_PfSF_SF_EESJ_SZ_SK_SL_SM_EUlSZ_E_NS1_11comp_targetILNS1_3genE10ELNS1_11target_archE1201ELNS1_3gpuE5ELNS1_3repE0EEENS1_48merge_mergepath_partition_config_static_selectorELNS0_4arch9wavefront6targetE0EEEvSL_,@function
_ZN7rocprim17ROCPRIM_400000_NS6detail17trampoline_kernelINS0_14default_configENS1_38merge_sort_block_merge_config_selectorIfNS0_10empty_typeEEEZZNS1_27merge_sort_block_merge_implIS3_N6thrust23THRUST_200600_302600_NS6detail15normal_iteratorINS9_10device_ptrIfEEEEPS5_jNS1_19radix_merge_compareILb0ELb0EfNS0_19identity_decomposerEEEEE10hipError_tT0_T1_T2_jT3_P12ihipStream_tbPNSt15iterator_traitsISK_E10value_typeEPNSQ_ISL_E10value_typeEPSM_NS1_7vsmem_tEENKUlT_SK_SL_SM_E_clISE_PfSF_SF_EESJ_SZ_SK_SL_SM_EUlSZ_E_NS1_11comp_targetILNS1_3genE10ELNS1_11target_archE1201ELNS1_3gpuE5ELNS1_3repE0EEENS1_48merge_mergepath_partition_config_static_selectorELNS0_4arch9wavefront6targetE0EEEvSL_: ; @_ZN7rocprim17ROCPRIM_400000_NS6detail17trampoline_kernelINS0_14default_configENS1_38merge_sort_block_merge_config_selectorIfNS0_10empty_typeEEEZZNS1_27merge_sort_block_merge_implIS3_N6thrust23THRUST_200600_302600_NS6detail15normal_iteratorINS9_10device_ptrIfEEEEPS5_jNS1_19radix_merge_compareILb0ELb0EfNS0_19identity_decomposerEEEEE10hipError_tT0_T1_T2_jT3_P12ihipStream_tbPNSt15iterator_traitsISK_E10value_typeEPNSQ_ISL_E10value_typeEPSM_NS1_7vsmem_tEENKUlT_SK_SL_SM_E_clISE_PfSF_SF_EESJ_SZ_SK_SL_SM_EUlSZ_E_NS1_11comp_targetILNS1_3genE10ELNS1_11target_archE1201ELNS1_3gpuE5ELNS1_3repE0EEENS1_48merge_mergepath_partition_config_static_selectorELNS0_4arch9wavefront6targetE0EEEvSL_
; %bb.0:
	.section	.rodata,"a",@progbits
	.p2align	6, 0x0
	.amdhsa_kernel _ZN7rocprim17ROCPRIM_400000_NS6detail17trampoline_kernelINS0_14default_configENS1_38merge_sort_block_merge_config_selectorIfNS0_10empty_typeEEEZZNS1_27merge_sort_block_merge_implIS3_N6thrust23THRUST_200600_302600_NS6detail15normal_iteratorINS9_10device_ptrIfEEEEPS5_jNS1_19radix_merge_compareILb0ELb0EfNS0_19identity_decomposerEEEEE10hipError_tT0_T1_T2_jT3_P12ihipStream_tbPNSt15iterator_traitsISK_E10value_typeEPNSQ_ISL_E10value_typeEPSM_NS1_7vsmem_tEENKUlT_SK_SL_SM_E_clISE_PfSF_SF_EESJ_SZ_SK_SL_SM_EUlSZ_E_NS1_11comp_targetILNS1_3genE10ELNS1_11target_archE1201ELNS1_3gpuE5ELNS1_3repE0EEENS1_48merge_mergepath_partition_config_static_selectorELNS0_4arch9wavefront6targetE0EEEvSL_
		.amdhsa_group_segment_fixed_size 0
		.amdhsa_private_segment_fixed_size 0
		.amdhsa_kernarg_size 40
		.amdhsa_user_sgpr_count 6
		.amdhsa_user_sgpr_private_segment_buffer 1
		.amdhsa_user_sgpr_dispatch_ptr 0
		.amdhsa_user_sgpr_queue_ptr 0
		.amdhsa_user_sgpr_kernarg_segment_ptr 1
		.amdhsa_user_sgpr_dispatch_id 0
		.amdhsa_user_sgpr_flat_scratch_init 0
		.amdhsa_user_sgpr_private_segment_size 0
		.amdhsa_wavefront_size32 1
		.amdhsa_uses_dynamic_stack 0
		.amdhsa_system_sgpr_private_segment_wavefront_offset 0
		.amdhsa_system_sgpr_workgroup_id_x 1
		.amdhsa_system_sgpr_workgroup_id_y 0
		.amdhsa_system_sgpr_workgroup_id_z 0
		.amdhsa_system_sgpr_workgroup_info 0
		.amdhsa_system_vgpr_workitem_id 0
		.amdhsa_next_free_vgpr 1
		.amdhsa_next_free_sgpr 1
		.amdhsa_reserve_vcc 0
		.amdhsa_reserve_flat_scratch 0
		.amdhsa_float_round_mode_32 0
		.amdhsa_float_round_mode_16_64 0
		.amdhsa_float_denorm_mode_32 3
		.amdhsa_float_denorm_mode_16_64 3
		.amdhsa_dx10_clamp 1
		.amdhsa_ieee_mode 1
		.amdhsa_fp16_overflow 0
		.amdhsa_workgroup_processor_mode 1
		.amdhsa_memory_ordered 1
		.amdhsa_forward_progress 1
		.amdhsa_shared_vgpr_count 0
		.amdhsa_exception_fp_ieee_invalid_op 0
		.amdhsa_exception_fp_denorm_src 0
		.amdhsa_exception_fp_ieee_div_zero 0
		.amdhsa_exception_fp_ieee_overflow 0
		.amdhsa_exception_fp_ieee_underflow 0
		.amdhsa_exception_fp_ieee_inexact 0
		.amdhsa_exception_int_div_zero 0
	.end_amdhsa_kernel
	.section	.text._ZN7rocprim17ROCPRIM_400000_NS6detail17trampoline_kernelINS0_14default_configENS1_38merge_sort_block_merge_config_selectorIfNS0_10empty_typeEEEZZNS1_27merge_sort_block_merge_implIS3_N6thrust23THRUST_200600_302600_NS6detail15normal_iteratorINS9_10device_ptrIfEEEEPS5_jNS1_19radix_merge_compareILb0ELb0EfNS0_19identity_decomposerEEEEE10hipError_tT0_T1_T2_jT3_P12ihipStream_tbPNSt15iterator_traitsISK_E10value_typeEPNSQ_ISL_E10value_typeEPSM_NS1_7vsmem_tEENKUlT_SK_SL_SM_E_clISE_PfSF_SF_EESJ_SZ_SK_SL_SM_EUlSZ_E_NS1_11comp_targetILNS1_3genE10ELNS1_11target_archE1201ELNS1_3gpuE5ELNS1_3repE0EEENS1_48merge_mergepath_partition_config_static_selectorELNS0_4arch9wavefront6targetE0EEEvSL_,"axG",@progbits,_ZN7rocprim17ROCPRIM_400000_NS6detail17trampoline_kernelINS0_14default_configENS1_38merge_sort_block_merge_config_selectorIfNS0_10empty_typeEEEZZNS1_27merge_sort_block_merge_implIS3_N6thrust23THRUST_200600_302600_NS6detail15normal_iteratorINS9_10device_ptrIfEEEEPS5_jNS1_19radix_merge_compareILb0ELb0EfNS0_19identity_decomposerEEEEE10hipError_tT0_T1_T2_jT3_P12ihipStream_tbPNSt15iterator_traitsISK_E10value_typeEPNSQ_ISL_E10value_typeEPSM_NS1_7vsmem_tEENKUlT_SK_SL_SM_E_clISE_PfSF_SF_EESJ_SZ_SK_SL_SM_EUlSZ_E_NS1_11comp_targetILNS1_3genE10ELNS1_11target_archE1201ELNS1_3gpuE5ELNS1_3repE0EEENS1_48merge_mergepath_partition_config_static_selectorELNS0_4arch9wavefront6targetE0EEEvSL_,comdat
.Lfunc_end500:
	.size	_ZN7rocprim17ROCPRIM_400000_NS6detail17trampoline_kernelINS0_14default_configENS1_38merge_sort_block_merge_config_selectorIfNS0_10empty_typeEEEZZNS1_27merge_sort_block_merge_implIS3_N6thrust23THRUST_200600_302600_NS6detail15normal_iteratorINS9_10device_ptrIfEEEEPS5_jNS1_19radix_merge_compareILb0ELb0EfNS0_19identity_decomposerEEEEE10hipError_tT0_T1_T2_jT3_P12ihipStream_tbPNSt15iterator_traitsISK_E10value_typeEPNSQ_ISL_E10value_typeEPSM_NS1_7vsmem_tEENKUlT_SK_SL_SM_E_clISE_PfSF_SF_EESJ_SZ_SK_SL_SM_EUlSZ_E_NS1_11comp_targetILNS1_3genE10ELNS1_11target_archE1201ELNS1_3gpuE5ELNS1_3repE0EEENS1_48merge_mergepath_partition_config_static_selectorELNS0_4arch9wavefront6targetE0EEEvSL_, .Lfunc_end500-_ZN7rocprim17ROCPRIM_400000_NS6detail17trampoline_kernelINS0_14default_configENS1_38merge_sort_block_merge_config_selectorIfNS0_10empty_typeEEEZZNS1_27merge_sort_block_merge_implIS3_N6thrust23THRUST_200600_302600_NS6detail15normal_iteratorINS9_10device_ptrIfEEEEPS5_jNS1_19radix_merge_compareILb0ELb0EfNS0_19identity_decomposerEEEEE10hipError_tT0_T1_T2_jT3_P12ihipStream_tbPNSt15iterator_traitsISK_E10value_typeEPNSQ_ISL_E10value_typeEPSM_NS1_7vsmem_tEENKUlT_SK_SL_SM_E_clISE_PfSF_SF_EESJ_SZ_SK_SL_SM_EUlSZ_E_NS1_11comp_targetILNS1_3genE10ELNS1_11target_archE1201ELNS1_3gpuE5ELNS1_3repE0EEENS1_48merge_mergepath_partition_config_static_selectorELNS0_4arch9wavefront6targetE0EEEvSL_
                                        ; -- End function
	.set _ZN7rocprim17ROCPRIM_400000_NS6detail17trampoline_kernelINS0_14default_configENS1_38merge_sort_block_merge_config_selectorIfNS0_10empty_typeEEEZZNS1_27merge_sort_block_merge_implIS3_N6thrust23THRUST_200600_302600_NS6detail15normal_iteratorINS9_10device_ptrIfEEEEPS5_jNS1_19radix_merge_compareILb0ELb0EfNS0_19identity_decomposerEEEEE10hipError_tT0_T1_T2_jT3_P12ihipStream_tbPNSt15iterator_traitsISK_E10value_typeEPNSQ_ISL_E10value_typeEPSM_NS1_7vsmem_tEENKUlT_SK_SL_SM_E_clISE_PfSF_SF_EESJ_SZ_SK_SL_SM_EUlSZ_E_NS1_11comp_targetILNS1_3genE10ELNS1_11target_archE1201ELNS1_3gpuE5ELNS1_3repE0EEENS1_48merge_mergepath_partition_config_static_selectorELNS0_4arch9wavefront6targetE0EEEvSL_.num_vgpr, 0
	.set _ZN7rocprim17ROCPRIM_400000_NS6detail17trampoline_kernelINS0_14default_configENS1_38merge_sort_block_merge_config_selectorIfNS0_10empty_typeEEEZZNS1_27merge_sort_block_merge_implIS3_N6thrust23THRUST_200600_302600_NS6detail15normal_iteratorINS9_10device_ptrIfEEEEPS5_jNS1_19radix_merge_compareILb0ELb0EfNS0_19identity_decomposerEEEEE10hipError_tT0_T1_T2_jT3_P12ihipStream_tbPNSt15iterator_traitsISK_E10value_typeEPNSQ_ISL_E10value_typeEPSM_NS1_7vsmem_tEENKUlT_SK_SL_SM_E_clISE_PfSF_SF_EESJ_SZ_SK_SL_SM_EUlSZ_E_NS1_11comp_targetILNS1_3genE10ELNS1_11target_archE1201ELNS1_3gpuE5ELNS1_3repE0EEENS1_48merge_mergepath_partition_config_static_selectorELNS0_4arch9wavefront6targetE0EEEvSL_.num_agpr, 0
	.set _ZN7rocprim17ROCPRIM_400000_NS6detail17trampoline_kernelINS0_14default_configENS1_38merge_sort_block_merge_config_selectorIfNS0_10empty_typeEEEZZNS1_27merge_sort_block_merge_implIS3_N6thrust23THRUST_200600_302600_NS6detail15normal_iteratorINS9_10device_ptrIfEEEEPS5_jNS1_19radix_merge_compareILb0ELb0EfNS0_19identity_decomposerEEEEE10hipError_tT0_T1_T2_jT3_P12ihipStream_tbPNSt15iterator_traitsISK_E10value_typeEPNSQ_ISL_E10value_typeEPSM_NS1_7vsmem_tEENKUlT_SK_SL_SM_E_clISE_PfSF_SF_EESJ_SZ_SK_SL_SM_EUlSZ_E_NS1_11comp_targetILNS1_3genE10ELNS1_11target_archE1201ELNS1_3gpuE5ELNS1_3repE0EEENS1_48merge_mergepath_partition_config_static_selectorELNS0_4arch9wavefront6targetE0EEEvSL_.numbered_sgpr, 0
	.set _ZN7rocprim17ROCPRIM_400000_NS6detail17trampoline_kernelINS0_14default_configENS1_38merge_sort_block_merge_config_selectorIfNS0_10empty_typeEEEZZNS1_27merge_sort_block_merge_implIS3_N6thrust23THRUST_200600_302600_NS6detail15normal_iteratorINS9_10device_ptrIfEEEEPS5_jNS1_19radix_merge_compareILb0ELb0EfNS0_19identity_decomposerEEEEE10hipError_tT0_T1_T2_jT3_P12ihipStream_tbPNSt15iterator_traitsISK_E10value_typeEPNSQ_ISL_E10value_typeEPSM_NS1_7vsmem_tEENKUlT_SK_SL_SM_E_clISE_PfSF_SF_EESJ_SZ_SK_SL_SM_EUlSZ_E_NS1_11comp_targetILNS1_3genE10ELNS1_11target_archE1201ELNS1_3gpuE5ELNS1_3repE0EEENS1_48merge_mergepath_partition_config_static_selectorELNS0_4arch9wavefront6targetE0EEEvSL_.num_named_barrier, 0
	.set _ZN7rocprim17ROCPRIM_400000_NS6detail17trampoline_kernelINS0_14default_configENS1_38merge_sort_block_merge_config_selectorIfNS0_10empty_typeEEEZZNS1_27merge_sort_block_merge_implIS3_N6thrust23THRUST_200600_302600_NS6detail15normal_iteratorINS9_10device_ptrIfEEEEPS5_jNS1_19radix_merge_compareILb0ELb0EfNS0_19identity_decomposerEEEEE10hipError_tT0_T1_T2_jT3_P12ihipStream_tbPNSt15iterator_traitsISK_E10value_typeEPNSQ_ISL_E10value_typeEPSM_NS1_7vsmem_tEENKUlT_SK_SL_SM_E_clISE_PfSF_SF_EESJ_SZ_SK_SL_SM_EUlSZ_E_NS1_11comp_targetILNS1_3genE10ELNS1_11target_archE1201ELNS1_3gpuE5ELNS1_3repE0EEENS1_48merge_mergepath_partition_config_static_selectorELNS0_4arch9wavefront6targetE0EEEvSL_.private_seg_size, 0
	.set _ZN7rocprim17ROCPRIM_400000_NS6detail17trampoline_kernelINS0_14default_configENS1_38merge_sort_block_merge_config_selectorIfNS0_10empty_typeEEEZZNS1_27merge_sort_block_merge_implIS3_N6thrust23THRUST_200600_302600_NS6detail15normal_iteratorINS9_10device_ptrIfEEEEPS5_jNS1_19radix_merge_compareILb0ELb0EfNS0_19identity_decomposerEEEEE10hipError_tT0_T1_T2_jT3_P12ihipStream_tbPNSt15iterator_traitsISK_E10value_typeEPNSQ_ISL_E10value_typeEPSM_NS1_7vsmem_tEENKUlT_SK_SL_SM_E_clISE_PfSF_SF_EESJ_SZ_SK_SL_SM_EUlSZ_E_NS1_11comp_targetILNS1_3genE10ELNS1_11target_archE1201ELNS1_3gpuE5ELNS1_3repE0EEENS1_48merge_mergepath_partition_config_static_selectorELNS0_4arch9wavefront6targetE0EEEvSL_.uses_vcc, 0
	.set _ZN7rocprim17ROCPRIM_400000_NS6detail17trampoline_kernelINS0_14default_configENS1_38merge_sort_block_merge_config_selectorIfNS0_10empty_typeEEEZZNS1_27merge_sort_block_merge_implIS3_N6thrust23THRUST_200600_302600_NS6detail15normal_iteratorINS9_10device_ptrIfEEEEPS5_jNS1_19radix_merge_compareILb0ELb0EfNS0_19identity_decomposerEEEEE10hipError_tT0_T1_T2_jT3_P12ihipStream_tbPNSt15iterator_traitsISK_E10value_typeEPNSQ_ISL_E10value_typeEPSM_NS1_7vsmem_tEENKUlT_SK_SL_SM_E_clISE_PfSF_SF_EESJ_SZ_SK_SL_SM_EUlSZ_E_NS1_11comp_targetILNS1_3genE10ELNS1_11target_archE1201ELNS1_3gpuE5ELNS1_3repE0EEENS1_48merge_mergepath_partition_config_static_selectorELNS0_4arch9wavefront6targetE0EEEvSL_.uses_flat_scratch, 0
	.set _ZN7rocprim17ROCPRIM_400000_NS6detail17trampoline_kernelINS0_14default_configENS1_38merge_sort_block_merge_config_selectorIfNS0_10empty_typeEEEZZNS1_27merge_sort_block_merge_implIS3_N6thrust23THRUST_200600_302600_NS6detail15normal_iteratorINS9_10device_ptrIfEEEEPS5_jNS1_19radix_merge_compareILb0ELb0EfNS0_19identity_decomposerEEEEE10hipError_tT0_T1_T2_jT3_P12ihipStream_tbPNSt15iterator_traitsISK_E10value_typeEPNSQ_ISL_E10value_typeEPSM_NS1_7vsmem_tEENKUlT_SK_SL_SM_E_clISE_PfSF_SF_EESJ_SZ_SK_SL_SM_EUlSZ_E_NS1_11comp_targetILNS1_3genE10ELNS1_11target_archE1201ELNS1_3gpuE5ELNS1_3repE0EEENS1_48merge_mergepath_partition_config_static_selectorELNS0_4arch9wavefront6targetE0EEEvSL_.has_dyn_sized_stack, 0
	.set _ZN7rocprim17ROCPRIM_400000_NS6detail17trampoline_kernelINS0_14default_configENS1_38merge_sort_block_merge_config_selectorIfNS0_10empty_typeEEEZZNS1_27merge_sort_block_merge_implIS3_N6thrust23THRUST_200600_302600_NS6detail15normal_iteratorINS9_10device_ptrIfEEEEPS5_jNS1_19radix_merge_compareILb0ELb0EfNS0_19identity_decomposerEEEEE10hipError_tT0_T1_T2_jT3_P12ihipStream_tbPNSt15iterator_traitsISK_E10value_typeEPNSQ_ISL_E10value_typeEPSM_NS1_7vsmem_tEENKUlT_SK_SL_SM_E_clISE_PfSF_SF_EESJ_SZ_SK_SL_SM_EUlSZ_E_NS1_11comp_targetILNS1_3genE10ELNS1_11target_archE1201ELNS1_3gpuE5ELNS1_3repE0EEENS1_48merge_mergepath_partition_config_static_selectorELNS0_4arch9wavefront6targetE0EEEvSL_.has_recursion, 0
	.set _ZN7rocprim17ROCPRIM_400000_NS6detail17trampoline_kernelINS0_14default_configENS1_38merge_sort_block_merge_config_selectorIfNS0_10empty_typeEEEZZNS1_27merge_sort_block_merge_implIS3_N6thrust23THRUST_200600_302600_NS6detail15normal_iteratorINS9_10device_ptrIfEEEEPS5_jNS1_19radix_merge_compareILb0ELb0EfNS0_19identity_decomposerEEEEE10hipError_tT0_T1_T2_jT3_P12ihipStream_tbPNSt15iterator_traitsISK_E10value_typeEPNSQ_ISL_E10value_typeEPSM_NS1_7vsmem_tEENKUlT_SK_SL_SM_E_clISE_PfSF_SF_EESJ_SZ_SK_SL_SM_EUlSZ_E_NS1_11comp_targetILNS1_3genE10ELNS1_11target_archE1201ELNS1_3gpuE5ELNS1_3repE0EEENS1_48merge_mergepath_partition_config_static_selectorELNS0_4arch9wavefront6targetE0EEEvSL_.has_indirect_call, 0
	.section	.AMDGPU.csdata,"",@progbits
; Kernel info:
; codeLenInByte = 0
; TotalNumSgprs: 0
; NumVgprs: 0
; ScratchSize: 0
; MemoryBound: 0
; FloatMode: 240
; IeeeMode: 1
; LDSByteSize: 0 bytes/workgroup (compile time only)
; SGPRBlocks: 0
; VGPRBlocks: 0
; NumSGPRsForWavesPerEU: 1
; NumVGPRsForWavesPerEU: 1
; Occupancy: 16
; WaveLimiterHint : 0
; COMPUTE_PGM_RSRC2:SCRATCH_EN: 0
; COMPUTE_PGM_RSRC2:USER_SGPR: 6
; COMPUTE_PGM_RSRC2:TRAP_HANDLER: 0
; COMPUTE_PGM_RSRC2:TGID_X_EN: 1
; COMPUTE_PGM_RSRC2:TGID_Y_EN: 0
; COMPUTE_PGM_RSRC2:TGID_Z_EN: 0
; COMPUTE_PGM_RSRC2:TIDIG_COMP_CNT: 0
	.section	.text._ZN7rocprim17ROCPRIM_400000_NS6detail17trampoline_kernelINS0_14default_configENS1_38merge_sort_block_merge_config_selectorIfNS0_10empty_typeEEEZZNS1_27merge_sort_block_merge_implIS3_N6thrust23THRUST_200600_302600_NS6detail15normal_iteratorINS9_10device_ptrIfEEEEPS5_jNS1_19radix_merge_compareILb0ELb0EfNS0_19identity_decomposerEEEEE10hipError_tT0_T1_T2_jT3_P12ihipStream_tbPNSt15iterator_traitsISK_E10value_typeEPNSQ_ISL_E10value_typeEPSM_NS1_7vsmem_tEENKUlT_SK_SL_SM_E_clISE_PfSF_SF_EESJ_SZ_SK_SL_SM_EUlSZ_E_NS1_11comp_targetILNS1_3genE5ELNS1_11target_archE942ELNS1_3gpuE9ELNS1_3repE0EEENS1_48merge_mergepath_partition_config_static_selectorELNS0_4arch9wavefront6targetE0EEEvSL_,"axG",@progbits,_ZN7rocprim17ROCPRIM_400000_NS6detail17trampoline_kernelINS0_14default_configENS1_38merge_sort_block_merge_config_selectorIfNS0_10empty_typeEEEZZNS1_27merge_sort_block_merge_implIS3_N6thrust23THRUST_200600_302600_NS6detail15normal_iteratorINS9_10device_ptrIfEEEEPS5_jNS1_19radix_merge_compareILb0ELb0EfNS0_19identity_decomposerEEEEE10hipError_tT0_T1_T2_jT3_P12ihipStream_tbPNSt15iterator_traitsISK_E10value_typeEPNSQ_ISL_E10value_typeEPSM_NS1_7vsmem_tEENKUlT_SK_SL_SM_E_clISE_PfSF_SF_EESJ_SZ_SK_SL_SM_EUlSZ_E_NS1_11comp_targetILNS1_3genE5ELNS1_11target_archE942ELNS1_3gpuE9ELNS1_3repE0EEENS1_48merge_mergepath_partition_config_static_selectorELNS0_4arch9wavefront6targetE0EEEvSL_,comdat
	.protected	_ZN7rocprim17ROCPRIM_400000_NS6detail17trampoline_kernelINS0_14default_configENS1_38merge_sort_block_merge_config_selectorIfNS0_10empty_typeEEEZZNS1_27merge_sort_block_merge_implIS3_N6thrust23THRUST_200600_302600_NS6detail15normal_iteratorINS9_10device_ptrIfEEEEPS5_jNS1_19radix_merge_compareILb0ELb0EfNS0_19identity_decomposerEEEEE10hipError_tT0_T1_T2_jT3_P12ihipStream_tbPNSt15iterator_traitsISK_E10value_typeEPNSQ_ISL_E10value_typeEPSM_NS1_7vsmem_tEENKUlT_SK_SL_SM_E_clISE_PfSF_SF_EESJ_SZ_SK_SL_SM_EUlSZ_E_NS1_11comp_targetILNS1_3genE5ELNS1_11target_archE942ELNS1_3gpuE9ELNS1_3repE0EEENS1_48merge_mergepath_partition_config_static_selectorELNS0_4arch9wavefront6targetE0EEEvSL_ ; -- Begin function _ZN7rocprim17ROCPRIM_400000_NS6detail17trampoline_kernelINS0_14default_configENS1_38merge_sort_block_merge_config_selectorIfNS0_10empty_typeEEEZZNS1_27merge_sort_block_merge_implIS3_N6thrust23THRUST_200600_302600_NS6detail15normal_iteratorINS9_10device_ptrIfEEEEPS5_jNS1_19radix_merge_compareILb0ELb0EfNS0_19identity_decomposerEEEEE10hipError_tT0_T1_T2_jT3_P12ihipStream_tbPNSt15iterator_traitsISK_E10value_typeEPNSQ_ISL_E10value_typeEPSM_NS1_7vsmem_tEENKUlT_SK_SL_SM_E_clISE_PfSF_SF_EESJ_SZ_SK_SL_SM_EUlSZ_E_NS1_11comp_targetILNS1_3genE5ELNS1_11target_archE942ELNS1_3gpuE9ELNS1_3repE0EEENS1_48merge_mergepath_partition_config_static_selectorELNS0_4arch9wavefront6targetE0EEEvSL_
	.globl	_ZN7rocprim17ROCPRIM_400000_NS6detail17trampoline_kernelINS0_14default_configENS1_38merge_sort_block_merge_config_selectorIfNS0_10empty_typeEEEZZNS1_27merge_sort_block_merge_implIS3_N6thrust23THRUST_200600_302600_NS6detail15normal_iteratorINS9_10device_ptrIfEEEEPS5_jNS1_19radix_merge_compareILb0ELb0EfNS0_19identity_decomposerEEEEE10hipError_tT0_T1_T2_jT3_P12ihipStream_tbPNSt15iterator_traitsISK_E10value_typeEPNSQ_ISL_E10value_typeEPSM_NS1_7vsmem_tEENKUlT_SK_SL_SM_E_clISE_PfSF_SF_EESJ_SZ_SK_SL_SM_EUlSZ_E_NS1_11comp_targetILNS1_3genE5ELNS1_11target_archE942ELNS1_3gpuE9ELNS1_3repE0EEENS1_48merge_mergepath_partition_config_static_selectorELNS0_4arch9wavefront6targetE0EEEvSL_
	.p2align	8
	.type	_ZN7rocprim17ROCPRIM_400000_NS6detail17trampoline_kernelINS0_14default_configENS1_38merge_sort_block_merge_config_selectorIfNS0_10empty_typeEEEZZNS1_27merge_sort_block_merge_implIS3_N6thrust23THRUST_200600_302600_NS6detail15normal_iteratorINS9_10device_ptrIfEEEEPS5_jNS1_19radix_merge_compareILb0ELb0EfNS0_19identity_decomposerEEEEE10hipError_tT0_T1_T2_jT3_P12ihipStream_tbPNSt15iterator_traitsISK_E10value_typeEPNSQ_ISL_E10value_typeEPSM_NS1_7vsmem_tEENKUlT_SK_SL_SM_E_clISE_PfSF_SF_EESJ_SZ_SK_SL_SM_EUlSZ_E_NS1_11comp_targetILNS1_3genE5ELNS1_11target_archE942ELNS1_3gpuE9ELNS1_3repE0EEENS1_48merge_mergepath_partition_config_static_selectorELNS0_4arch9wavefront6targetE0EEEvSL_,@function
_ZN7rocprim17ROCPRIM_400000_NS6detail17trampoline_kernelINS0_14default_configENS1_38merge_sort_block_merge_config_selectorIfNS0_10empty_typeEEEZZNS1_27merge_sort_block_merge_implIS3_N6thrust23THRUST_200600_302600_NS6detail15normal_iteratorINS9_10device_ptrIfEEEEPS5_jNS1_19radix_merge_compareILb0ELb0EfNS0_19identity_decomposerEEEEE10hipError_tT0_T1_T2_jT3_P12ihipStream_tbPNSt15iterator_traitsISK_E10value_typeEPNSQ_ISL_E10value_typeEPSM_NS1_7vsmem_tEENKUlT_SK_SL_SM_E_clISE_PfSF_SF_EESJ_SZ_SK_SL_SM_EUlSZ_E_NS1_11comp_targetILNS1_3genE5ELNS1_11target_archE942ELNS1_3gpuE9ELNS1_3repE0EEENS1_48merge_mergepath_partition_config_static_selectorELNS0_4arch9wavefront6targetE0EEEvSL_: ; @_ZN7rocprim17ROCPRIM_400000_NS6detail17trampoline_kernelINS0_14default_configENS1_38merge_sort_block_merge_config_selectorIfNS0_10empty_typeEEEZZNS1_27merge_sort_block_merge_implIS3_N6thrust23THRUST_200600_302600_NS6detail15normal_iteratorINS9_10device_ptrIfEEEEPS5_jNS1_19radix_merge_compareILb0ELb0EfNS0_19identity_decomposerEEEEE10hipError_tT0_T1_T2_jT3_P12ihipStream_tbPNSt15iterator_traitsISK_E10value_typeEPNSQ_ISL_E10value_typeEPSM_NS1_7vsmem_tEENKUlT_SK_SL_SM_E_clISE_PfSF_SF_EESJ_SZ_SK_SL_SM_EUlSZ_E_NS1_11comp_targetILNS1_3genE5ELNS1_11target_archE942ELNS1_3gpuE9ELNS1_3repE0EEENS1_48merge_mergepath_partition_config_static_selectorELNS0_4arch9wavefront6targetE0EEEvSL_
; %bb.0:
	.section	.rodata,"a",@progbits
	.p2align	6, 0x0
	.amdhsa_kernel _ZN7rocprim17ROCPRIM_400000_NS6detail17trampoline_kernelINS0_14default_configENS1_38merge_sort_block_merge_config_selectorIfNS0_10empty_typeEEEZZNS1_27merge_sort_block_merge_implIS3_N6thrust23THRUST_200600_302600_NS6detail15normal_iteratorINS9_10device_ptrIfEEEEPS5_jNS1_19radix_merge_compareILb0ELb0EfNS0_19identity_decomposerEEEEE10hipError_tT0_T1_T2_jT3_P12ihipStream_tbPNSt15iterator_traitsISK_E10value_typeEPNSQ_ISL_E10value_typeEPSM_NS1_7vsmem_tEENKUlT_SK_SL_SM_E_clISE_PfSF_SF_EESJ_SZ_SK_SL_SM_EUlSZ_E_NS1_11comp_targetILNS1_3genE5ELNS1_11target_archE942ELNS1_3gpuE9ELNS1_3repE0EEENS1_48merge_mergepath_partition_config_static_selectorELNS0_4arch9wavefront6targetE0EEEvSL_
		.amdhsa_group_segment_fixed_size 0
		.amdhsa_private_segment_fixed_size 0
		.amdhsa_kernarg_size 40
		.amdhsa_user_sgpr_count 6
		.amdhsa_user_sgpr_private_segment_buffer 1
		.amdhsa_user_sgpr_dispatch_ptr 0
		.amdhsa_user_sgpr_queue_ptr 0
		.amdhsa_user_sgpr_kernarg_segment_ptr 1
		.amdhsa_user_sgpr_dispatch_id 0
		.amdhsa_user_sgpr_flat_scratch_init 0
		.amdhsa_user_sgpr_private_segment_size 0
		.amdhsa_wavefront_size32 1
		.amdhsa_uses_dynamic_stack 0
		.amdhsa_system_sgpr_private_segment_wavefront_offset 0
		.amdhsa_system_sgpr_workgroup_id_x 1
		.amdhsa_system_sgpr_workgroup_id_y 0
		.amdhsa_system_sgpr_workgroup_id_z 0
		.amdhsa_system_sgpr_workgroup_info 0
		.amdhsa_system_vgpr_workitem_id 0
		.amdhsa_next_free_vgpr 1
		.amdhsa_next_free_sgpr 1
		.amdhsa_reserve_vcc 0
		.amdhsa_reserve_flat_scratch 0
		.amdhsa_float_round_mode_32 0
		.amdhsa_float_round_mode_16_64 0
		.amdhsa_float_denorm_mode_32 3
		.amdhsa_float_denorm_mode_16_64 3
		.amdhsa_dx10_clamp 1
		.amdhsa_ieee_mode 1
		.amdhsa_fp16_overflow 0
		.amdhsa_workgroup_processor_mode 1
		.amdhsa_memory_ordered 1
		.amdhsa_forward_progress 1
		.amdhsa_shared_vgpr_count 0
		.amdhsa_exception_fp_ieee_invalid_op 0
		.amdhsa_exception_fp_denorm_src 0
		.amdhsa_exception_fp_ieee_div_zero 0
		.amdhsa_exception_fp_ieee_overflow 0
		.amdhsa_exception_fp_ieee_underflow 0
		.amdhsa_exception_fp_ieee_inexact 0
		.amdhsa_exception_int_div_zero 0
	.end_amdhsa_kernel
	.section	.text._ZN7rocprim17ROCPRIM_400000_NS6detail17trampoline_kernelINS0_14default_configENS1_38merge_sort_block_merge_config_selectorIfNS0_10empty_typeEEEZZNS1_27merge_sort_block_merge_implIS3_N6thrust23THRUST_200600_302600_NS6detail15normal_iteratorINS9_10device_ptrIfEEEEPS5_jNS1_19radix_merge_compareILb0ELb0EfNS0_19identity_decomposerEEEEE10hipError_tT0_T1_T2_jT3_P12ihipStream_tbPNSt15iterator_traitsISK_E10value_typeEPNSQ_ISL_E10value_typeEPSM_NS1_7vsmem_tEENKUlT_SK_SL_SM_E_clISE_PfSF_SF_EESJ_SZ_SK_SL_SM_EUlSZ_E_NS1_11comp_targetILNS1_3genE5ELNS1_11target_archE942ELNS1_3gpuE9ELNS1_3repE0EEENS1_48merge_mergepath_partition_config_static_selectorELNS0_4arch9wavefront6targetE0EEEvSL_,"axG",@progbits,_ZN7rocprim17ROCPRIM_400000_NS6detail17trampoline_kernelINS0_14default_configENS1_38merge_sort_block_merge_config_selectorIfNS0_10empty_typeEEEZZNS1_27merge_sort_block_merge_implIS3_N6thrust23THRUST_200600_302600_NS6detail15normal_iteratorINS9_10device_ptrIfEEEEPS5_jNS1_19radix_merge_compareILb0ELb0EfNS0_19identity_decomposerEEEEE10hipError_tT0_T1_T2_jT3_P12ihipStream_tbPNSt15iterator_traitsISK_E10value_typeEPNSQ_ISL_E10value_typeEPSM_NS1_7vsmem_tEENKUlT_SK_SL_SM_E_clISE_PfSF_SF_EESJ_SZ_SK_SL_SM_EUlSZ_E_NS1_11comp_targetILNS1_3genE5ELNS1_11target_archE942ELNS1_3gpuE9ELNS1_3repE0EEENS1_48merge_mergepath_partition_config_static_selectorELNS0_4arch9wavefront6targetE0EEEvSL_,comdat
.Lfunc_end501:
	.size	_ZN7rocprim17ROCPRIM_400000_NS6detail17trampoline_kernelINS0_14default_configENS1_38merge_sort_block_merge_config_selectorIfNS0_10empty_typeEEEZZNS1_27merge_sort_block_merge_implIS3_N6thrust23THRUST_200600_302600_NS6detail15normal_iteratorINS9_10device_ptrIfEEEEPS5_jNS1_19radix_merge_compareILb0ELb0EfNS0_19identity_decomposerEEEEE10hipError_tT0_T1_T2_jT3_P12ihipStream_tbPNSt15iterator_traitsISK_E10value_typeEPNSQ_ISL_E10value_typeEPSM_NS1_7vsmem_tEENKUlT_SK_SL_SM_E_clISE_PfSF_SF_EESJ_SZ_SK_SL_SM_EUlSZ_E_NS1_11comp_targetILNS1_3genE5ELNS1_11target_archE942ELNS1_3gpuE9ELNS1_3repE0EEENS1_48merge_mergepath_partition_config_static_selectorELNS0_4arch9wavefront6targetE0EEEvSL_, .Lfunc_end501-_ZN7rocprim17ROCPRIM_400000_NS6detail17trampoline_kernelINS0_14default_configENS1_38merge_sort_block_merge_config_selectorIfNS0_10empty_typeEEEZZNS1_27merge_sort_block_merge_implIS3_N6thrust23THRUST_200600_302600_NS6detail15normal_iteratorINS9_10device_ptrIfEEEEPS5_jNS1_19radix_merge_compareILb0ELb0EfNS0_19identity_decomposerEEEEE10hipError_tT0_T1_T2_jT3_P12ihipStream_tbPNSt15iterator_traitsISK_E10value_typeEPNSQ_ISL_E10value_typeEPSM_NS1_7vsmem_tEENKUlT_SK_SL_SM_E_clISE_PfSF_SF_EESJ_SZ_SK_SL_SM_EUlSZ_E_NS1_11comp_targetILNS1_3genE5ELNS1_11target_archE942ELNS1_3gpuE9ELNS1_3repE0EEENS1_48merge_mergepath_partition_config_static_selectorELNS0_4arch9wavefront6targetE0EEEvSL_
                                        ; -- End function
	.set _ZN7rocprim17ROCPRIM_400000_NS6detail17trampoline_kernelINS0_14default_configENS1_38merge_sort_block_merge_config_selectorIfNS0_10empty_typeEEEZZNS1_27merge_sort_block_merge_implIS3_N6thrust23THRUST_200600_302600_NS6detail15normal_iteratorINS9_10device_ptrIfEEEEPS5_jNS1_19radix_merge_compareILb0ELb0EfNS0_19identity_decomposerEEEEE10hipError_tT0_T1_T2_jT3_P12ihipStream_tbPNSt15iterator_traitsISK_E10value_typeEPNSQ_ISL_E10value_typeEPSM_NS1_7vsmem_tEENKUlT_SK_SL_SM_E_clISE_PfSF_SF_EESJ_SZ_SK_SL_SM_EUlSZ_E_NS1_11comp_targetILNS1_3genE5ELNS1_11target_archE942ELNS1_3gpuE9ELNS1_3repE0EEENS1_48merge_mergepath_partition_config_static_selectorELNS0_4arch9wavefront6targetE0EEEvSL_.num_vgpr, 0
	.set _ZN7rocprim17ROCPRIM_400000_NS6detail17trampoline_kernelINS0_14default_configENS1_38merge_sort_block_merge_config_selectorIfNS0_10empty_typeEEEZZNS1_27merge_sort_block_merge_implIS3_N6thrust23THRUST_200600_302600_NS6detail15normal_iteratorINS9_10device_ptrIfEEEEPS5_jNS1_19radix_merge_compareILb0ELb0EfNS0_19identity_decomposerEEEEE10hipError_tT0_T1_T2_jT3_P12ihipStream_tbPNSt15iterator_traitsISK_E10value_typeEPNSQ_ISL_E10value_typeEPSM_NS1_7vsmem_tEENKUlT_SK_SL_SM_E_clISE_PfSF_SF_EESJ_SZ_SK_SL_SM_EUlSZ_E_NS1_11comp_targetILNS1_3genE5ELNS1_11target_archE942ELNS1_3gpuE9ELNS1_3repE0EEENS1_48merge_mergepath_partition_config_static_selectorELNS0_4arch9wavefront6targetE0EEEvSL_.num_agpr, 0
	.set _ZN7rocprim17ROCPRIM_400000_NS6detail17trampoline_kernelINS0_14default_configENS1_38merge_sort_block_merge_config_selectorIfNS0_10empty_typeEEEZZNS1_27merge_sort_block_merge_implIS3_N6thrust23THRUST_200600_302600_NS6detail15normal_iteratorINS9_10device_ptrIfEEEEPS5_jNS1_19radix_merge_compareILb0ELb0EfNS0_19identity_decomposerEEEEE10hipError_tT0_T1_T2_jT3_P12ihipStream_tbPNSt15iterator_traitsISK_E10value_typeEPNSQ_ISL_E10value_typeEPSM_NS1_7vsmem_tEENKUlT_SK_SL_SM_E_clISE_PfSF_SF_EESJ_SZ_SK_SL_SM_EUlSZ_E_NS1_11comp_targetILNS1_3genE5ELNS1_11target_archE942ELNS1_3gpuE9ELNS1_3repE0EEENS1_48merge_mergepath_partition_config_static_selectorELNS0_4arch9wavefront6targetE0EEEvSL_.numbered_sgpr, 0
	.set _ZN7rocprim17ROCPRIM_400000_NS6detail17trampoline_kernelINS0_14default_configENS1_38merge_sort_block_merge_config_selectorIfNS0_10empty_typeEEEZZNS1_27merge_sort_block_merge_implIS3_N6thrust23THRUST_200600_302600_NS6detail15normal_iteratorINS9_10device_ptrIfEEEEPS5_jNS1_19radix_merge_compareILb0ELb0EfNS0_19identity_decomposerEEEEE10hipError_tT0_T1_T2_jT3_P12ihipStream_tbPNSt15iterator_traitsISK_E10value_typeEPNSQ_ISL_E10value_typeEPSM_NS1_7vsmem_tEENKUlT_SK_SL_SM_E_clISE_PfSF_SF_EESJ_SZ_SK_SL_SM_EUlSZ_E_NS1_11comp_targetILNS1_3genE5ELNS1_11target_archE942ELNS1_3gpuE9ELNS1_3repE0EEENS1_48merge_mergepath_partition_config_static_selectorELNS0_4arch9wavefront6targetE0EEEvSL_.num_named_barrier, 0
	.set _ZN7rocprim17ROCPRIM_400000_NS6detail17trampoline_kernelINS0_14default_configENS1_38merge_sort_block_merge_config_selectorIfNS0_10empty_typeEEEZZNS1_27merge_sort_block_merge_implIS3_N6thrust23THRUST_200600_302600_NS6detail15normal_iteratorINS9_10device_ptrIfEEEEPS5_jNS1_19radix_merge_compareILb0ELb0EfNS0_19identity_decomposerEEEEE10hipError_tT0_T1_T2_jT3_P12ihipStream_tbPNSt15iterator_traitsISK_E10value_typeEPNSQ_ISL_E10value_typeEPSM_NS1_7vsmem_tEENKUlT_SK_SL_SM_E_clISE_PfSF_SF_EESJ_SZ_SK_SL_SM_EUlSZ_E_NS1_11comp_targetILNS1_3genE5ELNS1_11target_archE942ELNS1_3gpuE9ELNS1_3repE0EEENS1_48merge_mergepath_partition_config_static_selectorELNS0_4arch9wavefront6targetE0EEEvSL_.private_seg_size, 0
	.set _ZN7rocprim17ROCPRIM_400000_NS6detail17trampoline_kernelINS0_14default_configENS1_38merge_sort_block_merge_config_selectorIfNS0_10empty_typeEEEZZNS1_27merge_sort_block_merge_implIS3_N6thrust23THRUST_200600_302600_NS6detail15normal_iteratorINS9_10device_ptrIfEEEEPS5_jNS1_19radix_merge_compareILb0ELb0EfNS0_19identity_decomposerEEEEE10hipError_tT0_T1_T2_jT3_P12ihipStream_tbPNSt15iterator_traitsISK_E10value_typeEPNSQ_ISL_E10value_typeEPSM_NS1_7vsmem_tEENKUlT_SK_SL_SM_E_clISE_PfSF_SF_EESJ_SZ_SK_SL_SM_EUlSZ_E_NS1_11comp_targetILNS1_3genE5ELNS1_11target_archE942ELNS1_3gpuE9ELNS1_3repE0EEENS1_48merge_mergepath_partition_config_static_selectorELNS0_4arch9wavefront6targetE0EEEvSL_.uses_vcc, 0
	.set _ZN7rocprim17ROCPRIM_400000_NS6detail17trampoline_kernelINS0_14default_configENS1_38merge_sort_block_merge_config_selectorIfNS0_10empty_typeEEEZZNS1_27merge_sort_block_merge_implIS3_N6thrust23THRUST_200600_302600_NS6detail15normal_iteratorINS9_10device_ptrIfEEEEPS5_jNS1_19radix_merge_compareILb0ELb0EfNS0_19identity_decomposerEEEEE10hipError_tT0_T1_T2_jT3_P12ihipStream_tbPNSt15iterator_traitsISK_E10value_typeEPNSQ_ISL_E10value_typeEPSM_NS1_7vsmem_tEENKUlT_SK_SL_SM_E_clISE_PfSF_SF_EESJ_SZ_SK_SL_SM_EUlSZ_E_NS1_11comp_targetILNS1_3genE5ELNS1_11target_archE942ELNS1_3gpuE9ELNS1_3repE0EEENS1_48merge_mergepath_partition_config_static_selectorELNS0_4arch9wavefront6targetE0EEEvSL_.uses_flat_scratch, 0
	.set _ZN7rocprim17ROCPRIM_400000_NS6detail17trampoline_kernelINS0_14default_configENS1_38merge_sort_block_merge_config_selectorIfNS0_10empty_typeEEEZZNS1_27merge_sort_block_merge_implIS3_N6thrust23THRUST_200600_302600_NS6detail15normal_iteratorINS9_10device_ptrIfEEEEPS5_jNS1_19radix_merge_compareILb0ELb0EfNS0_19identity_decomposerEEEEE10hipError_tT0_T1_T2_jT3_P12ihipStream_tbPNSt15iterator_traitsISK_E10value_typeEPNSQ_ISL_E10value_typeEPSM_NS1_7vsmem_tEENKUlT_SK_SL_SM_E_clISE_PfSF_SF_EESJ_SZ_SK_SL_SM_EUlSZ_E_NS1_11comp_targetILNS1_3genE5ELNS1_11target_archE942ELNS1_3gpuE9ELNS1_3repE0EEENS1_48merge_mergepath_partition_config_static_selectorELNS0_4arch9wavefront6targetE0EEEvSL_.has_dyn_sized_stack, 0
	.set _ZN7rocprim17ROCPRIM_400000_NS6detail17trampoline_kernelINS0_14default_configENS1_38merge_sort_block_merge_config_selectorIfNS0_10empty_typeEEEZZNS1_27merge_sort_block_merge_implIS3_N6thrust23THRUST_200600_302600_NS6detail15normal_iteratorINS9_10device_ptrIfEEEEPS5_jNS1_19radix_merge_compareILb0ELb0EfNS0_19identity_decomposerEEEEE10hipError_tT0_T1_T2_jT3_P12ihipStream_tbPNSt15iterator_traitsISK_E10value_typeEPNSQ_ISL_E10value_typeEPSM_NS1_7vsmem_tEENKUlT_SK_SL_SM_E_clISE_PfSF_SF_EESJ_SZ_SK_SL_SM_EUlSZ_E_NS1_11comp_targetILNS1_3genE5ELNS1_11target_archE942ELNS1_3gpuE9ELNS1_3repE0EEENS1_48merge_mergepath_partition_config_static_selectorELNS0_4arch9wavefront6targetE0EEEvSL_.has_recursion, 0
	.set _ZN7rocprim17ROCPRIM_400000_NS6detail17trampoline_kernelINS0_14default_configENS1_38merge_sort_block_merge_config_selectorIfNS0_10empty_typeEEEZZNS1_27merge_sort_block_merge_implIS3_N6thrust23THRUST_200600_302600_NS6detail15normal_iteratorINS9_10device_ptrIfEEEEPS5_jNS1_19radix_merge_compareILb0ELb0EfNS0_19identity_decomposerEEEEE10hipError_tT0_T1_T2_jT3_P12ihipStream_tbPNSt15iterator_traitsISK_E10value_typeEPNSQ_ISL_E10value_typeEPSM_NS1_7vsmem_tEENKUlT_SK_SL_SM_E_clISE_PfSF_SF_EESJ_SZ_SK_SL_SM_EUlSZ_E_NS1_11comp_targetILNS1_3genE5ELNS1_11target_archE942ELNS1_3gpuE9ELNS1_3repE0EEENS1_48merge_mergepath_partition_config_static_selectorELNS0_4arch9wavefront6targetE0EEEvSL_.has_indirect_call, 0
	.section	.AMDGPU.csdata,"",@progbits
; Kernel info:
; codeLenInByte = 0
; TotalNumSgprs: 0
; NumVgprs: 0
; ScratchSize: 0
; MemoryBound: 0
; FloatMode: 240
; IeeeMode: 1
; LDSByteSize: 0 bytes/workgroup (compile time only)
; SGPRBlocks: 0
; VGPRBlocks: 0
; NumSGPRsForWavesPerEU: 1
; NumVGPRsForWavesPerEU: 1
; Occupancy: 16
; WaveLimiterHint : 0
; COMPUTE_PGM_RSRC2:SCRATCH_EN: 0
; COMPUTE_PGM_RSRC2:USER_SGPR: 6
; COMPUTE_PGM_RSRC2:TRAP_HANDLER: 0
; COMPUTE_PGM_RSRC2:TGID_X_EN: 1
; COMPUTE_PGM_RSRC2:TGID_Y_EN: 0
; COMPUTE_PGM_RSRC2:TGID_Z_EN: 0
; COMPUTE_PGM_RSRC2:TIDIG_COMP_CNT: 0
	.section	.text._ZN7rocprim17ROCPRIM_400000_NS6detail17trampoline_kernelINS0_14default_configENS1_38merge_sort_block_merge_config_selectorIfNS0_10empty_typeEEEZZNS1_27merge_sort_block_merge_implIS3_N6thrust23THRUST_200600_302600_NS6detail15normal_iteratorINS9_10device_ptrIfEEEEPS5_jNS1_19radix_merge_compareILb0ELb0EfNS0_19identity_decomposerEEEEE10hipError_tT0_T1_T2_jT3_P12ihipStream_tbPNSt15iterator_traitsISK_E10value_typeEPNSQ_ISL_E10value_typeEPSM_NS1_7vsmem_tEENKUlT_SK_SL_SM_E_clISE_PfSF_SF_EESJ_SZ_SK_SL_SM_EUlSZ_E_NS1_11comp_targetILNS1_3genE4ELNS1_11target_archE910ELNS1_3gpuE8ELNS1_3repE0EEENS1_48merge_mergepath_partition_config_static_selectorELNS0_4arch9wavefront6targetE0EEEvSL_,"axG",@progbits,_ZN7rocprim17ROCPRIM_400000_NS6detail17trampoline_kernelINS0_14default_configENS1_38merge_sort_block_merge_config_selectorIfNS0_10empty_typeEEEZZNS1_27merge_sort_block_merge_implIS3_N6thrust23THRUST_200600_302600_NS6detail15normal_iteratorINS9_10device_ptrIfEEEEPS5_jNS1_19radix_merge_compareILb0ELb0EfNS0_19identity_decomposerEEEEE10hipError_tT0_T1_T2_jT3_P12ihipStream_tbPNSt15iterator_traitsISK_E10value_typeEPNSQ_ISL_E10value_typeEPSM_NS1_7vsmem_tEENKUlT_SK_SL_SM_E_clISE_PfSF_SF_EESJ_SZ_SK_SL_SM_EUlSZ_E_NS1_11comp_targetILNS1_3genE4ELNS1_11target_archE910ELNS1_3gpuE8ELNS1_3repE0EEENS1_48merge_mergepath_partition_config_static_selectorELNS0_4arch9wavefront6targetE0EEEvSL_,comdat
	.protected	_ZN7rocprim17ROCPRIM_400000_NS6detail17trampoline_kernelINS0_14default_configENS1_38merge_sort_block_merge_config_selectorIfNS0_10empty_typeEEEZZNS1_27merge_sort_block_merge_implIS3_N6thrust23THRUST_200600_302600_NS6detail15normal_iteratorINS9_10device_ptrIfEEEEPS5_jNS1_19radix_merge_compareILb0ELb0EfNS0_19identity_decomposerEEEEE10hipError_tT0_T1_T2_jT3_P12ihipStream_tbPNSt15iterator_traitsISK_E10value_typeEPNSQ_ISL_E10value_typeEPSM_NS1_7vsmem_tEENKUlT_SK_SL_SM_E_clISE_PfSF_SF_EESJ_SZ_SK_SL_SM_EUlSZ_E_NS1_11comp_targetILNS1_3genE4ELNS1_11target_archE910ELNS1_3gpuE8ELNS1_3repE0EEENS1_48merge_mergepath_partition_config_static_selectorELNS0_4arch9wavefront6targetE0EEEvSL_ ; -- Begin function _ZN7rocprim17ROCPRIM_400000_NS6detail17trampoline_kernelINS0_14default_configENS1_38merge_sort_block_merge_config_selectorIfNS0_10empty_typeEEEZZNS1_27merge_sort_block_merge_implIS3_N6thrust23THRUST_200600_302600_NS6detail15normal_iteratorINS9_10device_ptrIfEEEEPS5_jNS1_19radix_merge_compareILb0ELb0EfNS0_19identity_decomposerEEEEE10hipError_tT0_T1_T2_jT3_P12ihipStream_tbPNSt15iterator_traitsISK_E10value_typeEPNSQ_ISL_E10value_typeEPSM_NS1_7vsmem_tEENKUlT_SK_SL_SM_E_clISE_PfSF_SF_EESJ_SZ_SK_SL_SM_EUlSZ_E_NS1_11comp_targetILNS1_3genE4ELNS1_11target_archE910ELNS1_3gpuE8ELNS1_3repE0EEENS1_48merge_mergepath_partition_config_static_selectorELNS0_4arch9wavefront6targetE0EEEvSL_
	.globl	_ZN7rocprim17ROCPRIM_400000_NS6detail17trampoline_kernelINS0_14default_configENS1_38merge_sort_block_merge_config_selectorIfNS0_10empty_typeEEEZZNS1_27merge_sort_block_merge_implIS3_N6thrust23THRUST_200600_302600_NS6detail15normal_iteratorINS9_10device_ptrIfEEEEPS5_jNS1_19radix_merge_compareILb0ELb0EfNS0_19identity_decomposerEEEEE10hipError_tT0_T1_T2_jT3_P12ihipStream_tbPNSt15iterator_traitsISK_E10value_typeEPNSQ_ISL_E10value_typeEPSM_NS1_7vsmem_tEENKUlT_SK_SL_SM_E_clISE_PfSF_SF_EESJ_SZ_SK_SL_SM_EUlSZ_E_NS1_11comp_targetILNS1_3genE4ELNS1_11target_archE910ELNS1_3gpuE8ELNS1_3repE0EEENS1_48merge_mergepath_partition_config_static_selectorELNS0_4arch9wavefront6targetE0EEEvSL_
	.p2align	8
	.type	_ZN7rocprim17ROCPRIM_400000_NS6detail17trampoline_kernelINS0_14default_configENS1_38merge_sort_block_merge_config_selectorIfNS0_10empty_typeEEEZZNS1_27merge_sort_block_merge_implIS3_N6thrust23THRUST_200600_302600_NS6detail15normal_iteratorINS9_10device_ptrIfEEEEPS5_jNS1_19radix_merge_compareILb0ELb0EfNS0_19identity_decomposerEEEEE10hipError_tT0_T1_T2_jT3_P12ihipStream_tbPNSt15iterator_traitsISK_E10value_typeEPNSQ_ISL_E10value_typeEPSM_NS1_7vsmem_tEENKUlT_SK_SL_SM_E_clISE_PfSF_SF_EESJ_SZ_SK_SL_SM_EUlSZ_E_NS1_11comp_targetILNS1_3genE4ELNS1_11target_archE910ELNS1_3gpuE8ELNS1_3repE0EEENS1_48merge_mergepath_partition_config_static_selectorELNS0_4arch9wavefront6targetE0EEEvSL_,@function
_ZN7rocprim17ROCPRIM_400000_NS6detail17trampoline_kernelINS0_14default_configENS1_38merge_sort_block_merge_config_selectorIfNS0_10empty_typeEEEZZNS1_27merge_sort_block_merge_implIS3_N6thrust23THRUST_200600_302600_NS6detail15normal_iteratorINS9_10device_ptrIfEEEEPS5_jNS1_19radix_merge_compareILb0ELb0EfNS0_19identity_decomposerEEEEE10hipError_tT0_T1_T2_jT3_P12ihipStream_tbPNSt15iterator_traitsISK_E10value_typeEPNSQ_ISL_E10value_typeEPSM_NS1_7vsmem_tEENKUlT_SK_SL_SM_E_clISE_PfSF_SF_EESJ_SZ_SK_SL_SM_EUlSZ_E_NS1_11comp_targetILNS1_3genE4ELNS1_11target_archE910ELNS1_3gpuE8ELNS1_3repE0EEENS1_48merge_mergepath_partition_config_static_selectorELNS0_4arch9wavefront6targetE0EEEvSL_: ; @_ZN7rocprim17ROCPRIM_400000_NS6detail17trampoline_kernelINS0_14default_configENS1_38merge_sort_block_merge_config_selectorIfNS0_10empty_typeEEEZZNS1_27merge_sort_block_merge_implIS3_N6thrust23THRUST_200600_302600_NS6detail15normal_iteratorINS9_10device_ptrIfEEEEPS5_jNS1_19radix_merge_compareILb0ELb0EfNS0_19identity_decomposerEEEEE10hipError_tT0_T1_T2_jT3_P12ihipStream_tbPNSt15iterator_traitsISK_E10value_typeEPNSQ_ISL_E10value_typeEPSM_NS1_7vsmem_tEENKUlT_SK_SL_SM_E_clISE_PfSF_SF_EESJ_SZ_SK_SL_SM_EUlSZ_E_NS1_11comp_targetILNS1_3genE4ELNS1_11target_archE910ELNS1_3gpuE8ELNS1_3repE0EEENS1_48merge_mergepath_partition_config_static_selectorELNS0_4arch9wavefront6targetE0EEEvSL_
; %bb.0:
	.section	.rodata,"a",@progbits
	.p2align	6, 0x0
	.amdhsa_kernel _ZN7rocprim17ROCPRIM_400000_NS6detail17trampoline_kernelINS0_14default_configENS1_38merge_sort_block_merge_config_selectorIfNS0_10empty_typeEEEZZNS1_27merge_sort_block_merge_implIS3_N6thrust23THRUST_200600_302600_NS6detail15normal_iteratorINS9_10device_ptrIfEEEEPS5_jNS1_19radix_merge_compareILb0ELb0EfNS0_19identity_decomposerEEEEE10hipError_tT0_T1_T2_jT3_P12ihipStream_tbPNSt15iterator_traitsISK_E10value_typeEPNSQ_ISL_E10value_typeEPSM_NS1_7vsmem_tEENKUlT_SK_SL_SM_E_clISE_PfSF_SF_EESJ_SZ_SK_SL_SM_EUlSZ_E_NS1_11comp_targetILNS1_3genE4ELNS1_11target_archE910ELNS1_3gpuE8ELNS1_3repE0EEENS1_48merge_mergepath_partition_config_static_selectorELNS0_4arch9wavefront6targetE0EEEvSL_
		.amdhsa_group_segment_fixed_size 0
		.amdhsa_private_segment_fixed_size 0
		.amdhsa_kernarg_size 40
		.amdhsa_user_sgpr_count 6
		.amdhsa_user_sgpr_private_segment_buffer 1
		.amdhsa_user_sgpr_dispatch_ptr 0
		.amdhsa_user_sgpr_queue_ptr 0
		.amdhsa_user_sgpr_kernarg_segment_ptr 1
		.amdhsa_user_sgpr_dispatch_id 0
		.amdhsa_user_sgpr_flat_scratch_init 0
		.amdhsa_user_sgpr_private_segment_size 0
		.amdhsa_wavefront_size32 1
		.amdhsa_uses_dynamic_stack 0
		.amdhsa_system_sgpr_private_segment_wavefront_offset 0
		.amdhsa_system_sgpr_workgroup_id_x 1
		.amdhsa_system_sgpr_workgroup_id_y 0
		.amdhsa_system_sgpr_workgroup_id_z 0
		.amdhsa_system_sgpr_workgroup_info 0
		.amdhsa_system_vgpr_workitem_id 0
		.amdhsa_next_free_vgpr 1
		.amdhsa_next_free_sgpr 1
		.amdhsa_reserve_vcc 0
		.amdhsa_reserve_flat_scratch 0
		.amdhsa_float_round_mode_32 0
		.amdhsa_float_round_mode_16_64 0
		.amdhsa_float_denorm_mode_32 3
		.amdhsa_float_denorm_mode_16_64 3
		.amdhsa_dx10_clamp 1
		.amdhsa_ieee_mode 1
		.amdhsa_fp16_overflow 0
		.amdhsa_workgroup_processor_mode 1
		.amdhsa_memory_ordered 1
		.amdhsa_forward_progress 1
		.amdhsa_shared_vgpr_count 0
		.amdhsa_exception_fp_ieee_invalid_op 0
		.amdhsa_exception_fp_denorm_src 0
		.amdhsa_exception_fp_ieee_div_zero 0
		.amdhsa_exception_fp_ieee_overflow 0
		.amdhsa_exception_fp_ieee_underflow 0
		.amdhsa_exception_fp_ieee_inexact 0
		.amdhsa_exception_int_div_zero 0
	.end_amdhsa_kernel
	.section	.text._ZN7rocprim17ROCPRIM_400000_NS6detail17trampoline_kernelINS0_14default_configENS1_38merge_sort_block_merge_config_selectorIfNS0_10empty_typeEEEZZNS1_27merge_sort_block_merge_implIS3_N6thrust23THRUST_200600_302600_NS6detail15normal_iteratorINS9_10device_ptrIfEEEEPS5_jNS1_19radix_merge_compareILb0ELb0EfNS0_19identity_decomposerEEEEE10hipError_tT0_T1_T2_jT3_P12ihipStream_tbPNSt15iterator_traitsISK_E10value_typeEPNSQ_ISL_E10value_typeEPSM_NS1_7vsmem_tEENKUlT_SK_SL_SM_E_clISE_PfSF_SF_EESJ_SZ_SK_SL_SM_EUlSZ_E_NS1_11comp_targetILNS1_3genE4ELNS1_11target_archE910ELNS1_3gpuE8ELNS1_3repE0EEENS1_48merge_mergepath_partition_config_static_selectorELNS0_4arch9wavefront6targetE0EEEvSL_,"axG",@progbits,_ZN7rocprim17ROCPRIM_400000_NS6detail17trampoline_kernelINS0_14default_configENS1_38merge_sort_block_merge_config_selectorIfNS0_10empty_typeEEEZZNS1_27merge_sort_block_merge_implIS3_N6thrust23THRUST_200600_302600_NS6detail15normal_iteratorINS9_10device_ptrIfEEEEPS5_jNS1_19radix_merge_compareILb0ELb0EfNS0_19identity_decomposerEEEEE10hipError_tT0_T1_T2_jT3_P12ihipStream_tbPNSt15iterator_traitsISK_E10value_typeEPNSQ_ISL_E10value_typeEPSM_NS1_7vsmem_tEENKUlT_SK_SL_SM_E_clISE_PfSF_SF_EESJ_SZ_SK_SL_SM_EUlSZ_E_NS1_11comp_targetILNS1_3genE4ELNS1_11target_archE910ELNS1_3gpuE8ELNS1_3repE0EEENS1_48merge_mergepath_partition_config_static_selectorELNS0_4arch9wavefront6targetE0EEEvSL_,comdat
.Lfunc_end502:
	.size	_ZN7rocprim17ROCPRIM_400000_NS6detail17trampoline_kernelINS0_14default_configENS1_38merge_sort_block_merge_config_selectorIfNS0_10empty_typeEEEZZNS1_27merge_sort_block_merge_implIS3_N6thrust23THRUST_200600_302600_NS6detail15normal_iteratorINS9_10device_ptrIfEEEEPS5_jNS1_19radix_merge_compareILb0ELb0EfNS0_19identity_decomposerEEEEE10hipError_tT0_T1_T2_jT3_P12ihipStream_tbPNSt15iterator_traitsISK_E10value_typeEPNSQ_ISL_E10value_typeEPSM_NS1_7vsmem_tEENKUlT_SK_SL_SM_E_clISE_PfSF_SF_EESJ_SZ_SK_SL_SM_EUlSZ_E_NS1_11comp_targetILNS1_3genE4ELNS1_11target_archE910ELNS1_3gpuE8ELNS1_3repE0EEENS1_48merge_mergepath_partition_config_static_selectorELNS0_4arch9wavefront6targetE0EEEvSL_, .Lfunc_end502-_ZN7rocprim17ROCPRIM_400000_NS6detail17trampoline_kernelINS0_14default_configENS1_38merge_sort_block_merge_config_selectorIfNS0_10empty_typeEEEZZNS1_27merge_sort_block_merge_implIS3_N6thrust23THRUST_200600_302600_NS6detail15normal_iteratorINS9_10device_ptrIfEEEEPS5_jNS1_19radix_merge_compareILb0ELb0EfNS0_19identity_decomposerEEEEE10hipError_tT0_T1_T2_jT3_P12ihipStream_tbPNSt15iterator_traitsISK_E10value_typeEPNSQ_ISL_E10value_typeEPSM_NS1_7vsmem_tEENKUlT_SK_SL_SM_E_clISE_PfSF_SF_EESJ_SZ_SK_SL_SM_EUlSZ_E_NS1_11comp_targetILNS1_3genE4ELNS1_11target_archE910ELNS1_3gpuE8ELNS1_3repE0EEENS1_48merge_mergepath_partition_config_static_selectorELNS0_4arch9wavefront6targetE0EEEvSL_
                                        ; -- End function
	.set _ZN7rocprim17ROCPRIM_400000_NS6detail17trampoline_kernelINS0_14default_configENS1_38merge_sort_block_merge_config_selectorIfNS0_10empty_typeEEEZZNS1_27merge_sort_block_merge_implIS3_N6thrust23THRUST_200600_302600_NS6detail15normal_iteratorINS9_10device_ptrIfEEEEPS5_jNS1_19radix_merge_compareILb0ELb0EfNS0_19identity_decomposerEEEEE10hipError_tT0_T1_T2_jT3_P12ihipStream_tbPNSt15iterator_traitsISK_E10value_typeEPNSQ_ISL_E10value_typeEPSM_NS1_7vsmem_tEENKUlT_SK_SL_SM_E_clISE_PfSF_SF_EESJ_SZ_SK_SL_SM_EUlSZ_E_NS1_11comp_targetILNS1_3genE4ELNS1_11target_archE910ELNS1_3gpuE8ELNS1_3repE0EEENS1_48merge_mergepath_partition_config_static_selectorELNS0_4arch9wavefront6targetE0EEEvSL_.num_vgpr, 0
	.set _ZN7rocprim17ROCPRIM_400000_NS6detail17trampoline_kernelINS0_14default_configENS1_38merge_sort_block_merge_config_selectorIfNS0_10empty_typeEEEZZNS1_27merge_sort_block_merge_implIS3_N6thrust23THRUST_200600_302600_NS6detail15normal_iteratorINS9_10device_ptrIfEEEEPS5_jNS1_19radix_merge_compareILb0ELb0EfNS0_19identity_decomposerEEEEE10hipError_tT0_T1_T2_jT3_P12ihipStream_tbPNSt15iterator_traitsISK_E10value_typeEPNSQ_ISL_E10value_typeEPSM_NS1_7vsmem_tEENKUlT_SK_SL_SM_E_clISE_PfSF_SF_EESJ_SZ_SK_SL_SM_EUlSZ_E_NS1_11comp_targetILNS1_3genE4ELNS1_11target_archE910ELNS1_3gpuE8ELNS1_3repE0EEENS1_48merge_mergepath_partition_config_static_selectorELNS0_4arch9wavefront6targetE0EEEvSL_.num_agpr, 0
	.set _ZN7rocprim17ROCPRIM_400000_NS6detail17trampoline_kernelINS0_14default_configENS1_38merge_sort_block_merge_config_selectorIfNS0_10empty_typeEEEZZNS1_27merge_sort_block_merge_implIS3_N6thrust23THRUST_200600_302600_NS6detail15normal_iteratorINS9_10device_ptrIfEEEEPS5_jNS1_19radix_merge_compareILb0ELb0EfNS0_19identity_decomposerEEEEE10hipError_tT0_T1_T2_jT3_P12ihipStream_tbPNSt15iterator_traitsISK_E10value_typeEPNSQ_ISL_E10value_typeEPSM_NS1_7vsmem_tEENKUlT_SK_SL_SM_E_clISE_PfSF_SF_EESJ_SZ_SK_SL_SM_EUlSZ_E_NS1_11comp_targetILNS1_3genE4ELNS1_11target_archE910ELNS1_3gpuE8ELNS1_3repE0EEENS1_48merge_mergepath_partition_config_static_selectorELNS0_4arch9wavefront6targetE0EEEvSL_.numbered_sgpr, 0
	.set _ZN7rocprim17ROCPRIM_400000_NS6detail17trampoline_kernelINS0_14default_configENS1_38merge_sort_block_merge_config_selectorIfNS0_10empty_typeEEEZZNS1_27merge_sort_block_merge_implIS3_N6thrust23THRUST_200600_302600_NS6detail15normal_iteratorINS9_10device_ptrIfEEEEPS5_jNS1_19radix_merge_compareILb0ELb0EfNS0_19identity_decomposerEEEEE10hipError_tT0_T1_T2_jT3_P12ihipStream_tbPNSt15iterator_traitsISK_E10value_typeEPNSQ_ISL_E10value_typeEPSM_NS1_7vsmem_tEENKUlT_SK_SL_SM_E_clISE_PfSF_SF_EESJ_SZ_SK_SL_SM_EUlSZ_E_NS1_11comp_targetILNS1_3genE4ELNS1_11target_archE910ELNS1_3gpuE8ELNS1_3repE0EEENS1_48merge_mergepath_partition_config_static_selectorELNS0_4arch9wavefront6targetE0EEEvSL_.num_named_barrier, 0
	.set _ZN7rocprim17ROCPRIM_400000_NS6detail17trampoline_kernelINS0_14default_configENS1_38merge_sort_block_merge_config_selectorIfNS0_10empty_typeEEEZZNS1_27merge_sort_block_merge_implIS3_N6thrust23THRUST_200600_302600_NS6detail15normal_iteratorINS9_10device_ptrIfEEEEPS5_jNS1_19radix_merge_compareILb0ELb0EfNS0_19identity_decomposerEEEEE10hipError_tT0_T1_T2_jT3_P12ihipStream_tbPNSt15iterator_traitsISK_E10value_typeEPNSQ_ISL_E10value_typeEPSM_NS1_7vsmem_tEENKUlT_SK_SL_SM_E_clISE_PfSF_SF_EESJ_SZ_SK_SL_SM_EUlSZ_E_NS1_11comp_targetILNS1_3genE4ELNS1_11target_archE910ELNS1_3gpuE8ELNS1_3repE0EEENS1_48merge_mergepath_partition_config_static_selectorELNS0_4arch9wavefront6targetE0EEEvSL_.private_seg_size, 0
	.set _ZN7rocprim17ROCPRIM_400000_NS6detail17trampoline_kernelINS0_14default_configENS1_38merge_sort_block_merge_config_selectorIfNS0_10empty_typeEEEZZNS1_27merge_sort_block_merge_implIS3_N6thrust23THRUST_200600_302600_NS6detail15normal_iteratorINS9_10device_ptrIfEEEEPS5_jNS1_19radix_merge_compareILb0ELb0EfNS0_19identity_decomposerEEEEE10hipError_tT0_T1_T2_jT3_P12ihipStream_tbPNSt15iterator_traitsISK_E10value_typeEPNSQ_ISL_E10value_typeEPSM_NS1_7vsmem_tEENKUlT_SK_SL_SM_E_clISE_PfSF_SF_EESJ_SZ_SK_SL_SM_EUlSZ_E_NS1_11comp_targetILNS1_3genE4ELNS1_11target_archE910ELNS1_3gpuE8ELNS1_3repE0EEENS1_48merge_mergepath_partition_config_static_selectorELNS0_4arch9wavefront6targetE0EEEvSL_.uses_vcc, 0
	.set _ZN7rocprim17ROCPRIM_400000_NS6detail17trampoline_kernelINS0_14default_configENS1_38merge_sort_block_merge_config_selectorIfNS0_10empty_typeEEEZZNS1_27merge_sort_block_merge_implIS3_N6thrust23THRUST_200600_302600_NS6detail15normal_iteratorINS9_10device_ptrIfEEEEPS5_jNS1_19radix_merge_compareILb0ELb0EfNS0_19identity_decomposerEEEEE10hipError_tT0_T1_T2_jT3_P12ihipStream_tbPNSt15iterator_traitsISK_E10value_typeEPNSQ_ISL_E10value_typeEPSM_NS1_7vsmem_tEENKUlT_SK_SL_SM_E_clISE_PfSF_SF_EESJ_SZ_SK_SL_SM_EUlSZ_E_NS1_11comp_targetILNS1_3genE4ELNS1_11target_archE910ELNS1_3gpuE8ELNS1_3repE0EEENS1_48merge_mergepath_partition_config_static_selectorELNS0_4arch9wavefront6targetE0EEEvSL_.uses_flat_scratch, 0
	.set _ZN7rocprim17ROCPRIM_400000_NS6detail17trampoline_kernelINS0_14default_configENS1_38merge_sort_block_merge_config_selectorIfNS0_10empty_typeEEEZZNS1_27merge_sort_block_merge_implIS3_N6thrust23THRUST_200600_302600_NS6detail15normal_iteratorINS9_10device_ptrIfEEEEPS5_jNS1_19radix_merge_compareILb0ELb0EfNS0_19identity_decomposerEEEEE10hipError_tT0_T1_T2_jT3_P12ihipStream_tbPNSt15iterator_traitsISK_E10value_typeEPNSQ_ISL_E10value_typeEPSM_NS1_7vsmem_tEENKUlT_SK_SL_SM_E_clISE_PfSF_SF_EESJ_SZ_SK_SL_SM_EUlSZ_E_NS1_11comp_targetILNS1_3genE4ELNS1_11target_archE910ELNS1_3gpuE8ELNS1_3repE0EEENS1_48merge_mergepath_partition_config_static_selectorELNS0_4arch9wavefront6targetE0EEEvSL_.has_dyn_sized_stack, 0
	.set _ZN7rocprim17ROCPRIM_400000_NS6detail17trampoline_kernelINS0_14default_configENS1_38merge_sort_block_merge_config_selectorIfNS0_10empty_typeEEEZZNS1_27merge_sort_block_merge_implIS3_N6thrust23THRUST_200600_302600_NS6detail15normal_iteratorINS9_10device_ptrIfEEEEPS5_jNS1_19radix_merge_compareILb0ELb0EfNS0_19identity_decomposerEEEEE10hipError_tT0_T1_T2_jT3_P12ihipStream_tbPNSt15iterator_traitsISK_E10value_typeEPNSQ_ISL_E10value_typeEPSM_NS1_7vsmem_tEENKUlT_SK_SL_SM_E_clISE_PfSF_SF_EESJ_SZ_SK_SL_SM_EUlSZ_E_NS1_11comp_targetILNS1_3genE4ELNS1_11target_archE910ELNS1_3gpuE8ELNS1_3repE0EEENS1_48merge_mergepath_partition_config_static_selectorELNS0_4arch9wavefront6targetE0EEEvSL_.has_recursion, 0
	.set _ZN7rocprim17ROCPRIM_400000_NS6detail17trampoline_kernelINS0_14default_configENS1_38merge_sort_block_merge_config_selectorIfNS0_10empty_typeEEEZZNS1_27merge_sort_block_merge_implIS3_N6thrust23THRUST_200600_302600_NS6detail15normal_iteratorINS9_10device_ptrIfEEEEPS5_jNS1_19radix_merge_compareILb0ELb0EfNS0_19identity_decomposerEEEEE10hipError_tT0_T1_T2_jT3_P12ihipStream_tbPNSt15iterator_traitsISK_E10value_typeEPNSQ_ISL_E10value_typeEPSM_NS1_7vsmem_tEENKUlT_SK_SL_SM_E_clISE_PfSF_SF_EESJ_SZ_SK_SL_SM_EUlSZ_E_NS1_11comp_targetILNS1_3genE4ELNS1_11target_archE910ELNS1_3gpuE8ELNS1_3repE0EEENS1_48merge_mergepath_partition_config_static_selectorELNS0_4arch9wavefront6targetE0EEEvSL_.has_indirect_call, 0
	.section	.AMDGPU.csdata,"",@progbits
; Kernel info:
; codeLenInByte = 0
; TotalNumSgprs: 0
; NumVgprs: 0
; ScratchSize: 0
; MemoryBound: 0
; FloatMode: 240
; IeeeMode: 1
; LDSByteSize: 0 bytes/workgroup (compile time only)
; SGPRBlocks: 0
; VGPRBlocks: 0
; NumSGPRsForWavesPerEU: 1
; NumVGPRsForWavesPerEU: 1
; Occupancy: 16
; WaveLimiterHint : 0
; COMPUTE_PGM_RSRC2:SCRATCH_EN: 0
; COMPUTE_PGM_RSRC2:USER_SGPR: 6
; COMPUTE_PGM_RSRC2:TRAP_HANDLER: 0
; COMPUTE_PGM_RSRC2:TGID_X_EN: 1
; COMPUTE_PGM_RSRC2:TGID_Y_EN: 0
; COMPUTE_PGM_RSRC2:TGID_Z_EN: 0
; COMPUTE_PGM_RSRC2:TIDIG_COMP_CNT: 0
	.section	.text._ZN7rocprim17ROCPRIM_400000_NS6detail17trampoline_kernelINS0_14default_configENS1_38merge_sort_block_merge_config_selectorIfNS0_10empty_typeEEEZZNS1_27merge_sort_block_merge_implIS3_N6thrust23THRUST_200600_302600_NS6detail15normal_iteratorINS9_10device_ptrIfEEEEPS5_jNS1_19radix_merge_compareILb0ELb0EfNS0_19identity_decomposerEEEEE10hipError_tT0_T1_T2_jT3_P12ihipStream_tbPNSt15iterator_traitsISK_E10value_typeEPNSQ_ISL_E10value_typeEPSM_NS1_7vsmem_tEENKUlT_SK_SL_SM_E_clISE_PfSF_SF_EESJ_SZ_SK_SL_SM_EUlSZ_E_NS1_11comp_targetILNS1_3genE3ELNS1_11target_archE908ELNS1_3gpuE7ELNS1_3repE0EEENS1_48merge_mergepath_partition_config_static_selectorELNS0_4arch9wavefront6targetE0EEEvSL_,"axG",@progbits,_ZN7rocprim17ROCPRIM_400000_NS6detail17trampoline_kernelINS0_14default_configENS1_38merge_sort_block_merge_config_selectorIfNS0_10empty_typeEEEZZNS1_27merge_sort_block_merge_implIS3_N6thrust23THRUST_200600_302600_NS6detail15normal_iteratorINS9_10device_ptrIfEEEEPS5_jNS1_19radix_merge_compareILb0ELb0EfNS0_19identity_decomposerEEEEE10hipError_tT0_T1_T2_jT3_P12ihipStream_tbPNSt15iterator_traitsISK_E10value_typeEPNSQ_ISL_E10value_typeEPSM_NS1_7vsmem_tEENKUlT_SK_SL_SM_E_clISE_PfSF_SF_EESJ_SZ_SK_SL_SM_EUlSZ_E_NS1_11comp_targetILNS1_3genE3ELNS1_11target_archE908ELNS1_3gpuE7ELNS1_3repE0EEENS1_48merge_mergepath_partition_config_static_selectorELNS0_4arch9wavefront6targetE0EEEvSL_,comdat
	.protected	_ZN7rocprim17ROCPRIM_400000_NS6detail17trampoline_kernelINS0_14default_configENS1_38merge_sort_block_merge_config_selectorIfNS0_10empty_typeEEEZZNS1_27merge_sort_block_merge_implIS3_N6thrust23THRUST_200600_302600_NS6detail15normal_iteratorINS9_10device_ptrIfEEEEPS5_jNS1_19radix_merge_compareILb0ELb0EfNS0_19identity_decomposerEEEEE10hipError_tT0_T1_T2_jT3_P12ihipStream_tbPNSt15iterator_traitsISK_E10value_typeEPNSQ_ISL_E10value_typeEPSM_NS1_7vsmem_tEENKUlT_SK_SL_SM_E_clISE_PfSF_SF_EESJ_SZ_SK_SL_SM_EUlSZ_E_NS1_11comp_targetILNS1_3genE3ELNS1_11target_archE908ELNS1_3gpuE7ELNS1_3repE0EEENS1_48merge_mergepath_partition_config_static_selectorELNS0_4arch9wavefront6targetE0EEEvSL_ ; -- Begin function _ZN7rocprim17ROCPRIM_400000_NS6detail17trampoline_kernelINS0_14default_configENS1_38merge_sort_block_merge_config_selectorIfNS0_10empty_typeEEEZZNS1_27merge_sort_block_merge_implIS3_N6thrust23THRUST_200600_302600_NS6detail15normal_iteratorINS9_10device_ptrIfEEEEPS5_jNS1_19radix_merge_compareILb0ELb0EfNS0_19identity_decomposerEEEEE10hipError_tT0_T1_T2_jT3_P12ihipStream_tbPNSt15iterator_traitsISK_E10value_typeEPNSQ_ISL_E10value_typeEPSM_NS1_7vsmem_tEENKUlT_SK_SL_SM_E_clISE_PfSF_SF_EESJ_SZ_SK_SL_SM_EUlSZ_E_NS1_11comp_targetILNS1_3genE3ELNS1_11target_archE908ELNS1_3gpuE7ELNS1_3repE0EEENS1_48merge_mergepath_partition_config_static_selectorELNS0_4arch9wavefront6targetE0EEEvSL_
	.globl	_ZN7rocprim17ROCPRIM_400000_NS6detail17trampoline_kernelINS0_14default_configENS1_38merge_sort_block_merge_config_selectorIfNS0_10empty_typeEEEZZNS1_27merge_sort_block_merge_implIS3_N6thrust23THRUST_200600_302600_NS6detail15normal_iteratorINS9_10device_ptrIfEEEEPS5_jNS1_19radix_merge_compareILb0ELb0EfNS0_19identity_decomposerEEEEE10hipError_tT0_T1_T2_jT3_P12ihipStream_tbPNSt15iterator_traitsISK_E10value_typeEPNSQ_ISL_E10value_typeEPSM_NS1_7vsmem_tEENKUlT_SK_SL_SM_E_clISE_PfSF_SF_EESJ_SZ_SK_SL_SM_EUlSZ_E_NS1_11comp_targetILNS1_3genE3ELNS1_11target_archE908ELNS1_3gpuE7ELNS1_3repE0EEENS1_48merge_mergepath_partition_config_static_selectorELNS0_4arch9wavefront6targetE0EEEvSL_
	.p2align	8
	.type	_ZN7rocprim17ROCPRIM_400000_NS6detail17trampoline_kernelINS0_14default_configENS1_38merge_sort_block_merge_config_selectorIfNS0_10empty_typeEEEZZNS1_27merge_sort_block_merge_implIS3_N6thrust23THRUST_200600_302600_NS6detail15normal_iteratorINS9_10device_ptrIfEEEEPS5_jNS1_19radix_merge_compareILb0ELb0EfNS0_19identity_decomposerEEEEE10hipError_tT0_T1_T2_jT3_P12ihipStream_tbPNSt15iterator_traitsISK_E10value_typeEPNSQ_ISL_E10value_typeEPSM_NS1_7vsmem_tEENKUlT_SK_SL_SM_E_clISE_PfSF_SF_EESJ_SZ_SK_SL_SM_EUlSZ_E_NS1_11comp_targetILNS1_3genE3ELNS1_11target_archE908ELNS1_3gpuE7ELNS1_3repE0EEENS1_48merge_mergepath_partition_config_static_selectorELNS0_4arch9wavefront6targetE0EEEvSL_,@function
_ZN7rocprim17ROCPRIM_400000_NS6detail17trampoline_kernelINS0_14default_configENS1_38merge_sort_block_merge_config_selectorIfNS0_10empty_typeEEEZZNS1_27merge_sort_block_merge_implIS3_N6thrust23THRUST_200600_302600_NS6detail15normal_iteratorINS9_10device_ptrIfEEEEPS5_jNS1_19radix_merge_compareILb0ELb0EfNS0_19identity_decomposerEEEEE10hipError_tT0_T1_T2_jT3_P12ihipStream_tbPNSt15iterator_traitsISK_E10value_typeEPNSQ_ISL_E10value_typeEPSM_NS1_7vsmem_tEENKUlT_SK_SL_SM_E_clISE_PfSF_SF_EESJ_SZ_SK_SL_SM_EUlSZ_E_NS1_11comp_targetILNS1_3genE3ELNS1_11target_archE908ELNS1_3gpuE7ELNS1_3repE0EEENS1_48merge_mergepath_partition_config_static_selectorELNS0_4arch9wavefront6targetE0EEEvSL_: ; @_ZN7rocprim17ROCPRIM_400000_NS6detail17trampoline_kernelINS0_14default_configENS1_38merge_sort_block_merge_config_selectorIfNS0_10empty_typeEEEZZNS1_27merge_sort_block_merge_implIS3_N6thrust23THRUST_200600_302600_NS6detail15normal_iteratorINS9_10device_ptrIfEEEEPS5_jNS1_19radix_merge_compareILb0ELb0EfNS0_19identity_decomposerEEEEE10hipError_tT0_T1_T2_jT3_P12ihipStream_tbPNSt15iterator_traitsISK_E10value_typeEPNSQ_ISL_E10value_typeEPSM_NS1_7vsmem_tEENKUlT_SK_SL_SM_E_clISE_PfSF_SF_EESJ_SZ_SK_SL_SM_EUlSZ_E_NS1_11comp_targetILNS1_3genE3ELNS1_11target_archE908ELNS1_3gpuE7ELNS1_3repE0EEENS1_48merge_mergepath_partition_config_static_selectorELNS0_4arch9wavefront6targetE0EEEvSL_
; %bb.0:
	.section	.rodata,"a",@progbits
	.p2align	6, 0x0
	.amdhsa_kernel _ZN7rocprim17ROCPRIM_400000_NS6detail17trampoline_kernelINS0_14default_configENS1_38merge_sort_block_merge_config_selectorIfNS0_10empty_typeEEEZZNS1_27merge_sort_block_merge_implIS3_N6thrust23THRUST_200600_302600_NS6detail15normal_iteratorINS9_10device_ptrIfEEEEPS5_jNS1_19radix_merge_compareILb0ELb0EfNS0_19identity_decomposerEEEEE10hipError_tT0_T1_T2_jT3_P12ihipStream_tbPNSt15iterator_traitsISK_E10value_typeEPNSQ_ISL_E10value_typeEPSM_NS1_7vsmem_tEENKUlT_SK_SL_SM_E_clISE_PfSF_SF_EESJ_SZ_SK_SL_SM_EUlSZ_E_NS1_11comp_targetILNS1_3genE3ELNS1_11target_archE908ELNS1_3gpuE7ELNS1_3repE0EEENS1_48merge_mergepath_partition_config_static_selectorELNS0_4arch9wavefront6targetE0EEEvSL_
		.amdhsa_group_segment_fixed_size 0
		.amdhsa_private_segment_fixed_size 0
		.amdhsa_kernarg_size 40
		.amdhsa_user_sgpr_count 6
		.amdhsa_user_sgpr_private_segment_buffer 1
		.amdhsa_user_sgpr_dispatch_ptr 0
		.amdhsa_user_sgpr_queue_ptr 0
		.amdhsa_user_sgpr_kernarg_segment_ptr 1
		.amdhsa_user_sgpr_dispatch_id 0
		.amdhsa_user_sgpr_flat_scratch_init 0
		.amdhsa_user_sgpr_private_segment_size 0
		.amdhsa_wavefront_size32 1
		.amdhsa_uses_dynamic_stack 0
		.amdhsa_system_sgpr_private_segment_wavefront_offset 0
		.amdhsa_system_sgpr_workgroup_id_x 1
		.amdhsa_system_sgpr_workgroup_id_y 0
		.amdhsa_system_sgpr_workgroup_id_z 0
		.amdhsa_system_sgpr_workgroup_info 0
		.amdhsa_system_vgpr_workitem_id 0
		.amdhsa_next_free_vgpr 1
		.amdhsa_next_free_sgpr 1
		.amdhsa_reserve_vcc 0
		.amdhsa_reserve_flat_scratch 0
		.amdhsa_float_round_mode_32 0
		.amdhsa_float_round_mode_16_64 0
		.amdhsa_float_denorm_mode_32 3
		.amdhsa_float_denorm_mode_16_64 3
		.amdhsa_dx10_clamp 1
		.amdhsa_ieee_mode 1
		.amdhsa_fp16_overflow 0
		.amdhsa_workgroup_processor_mode 1
		.amdhsa_memory_ordered 1
		.amdhsa_forward_progress 1
		.amdhsa_shared_vgpr_count 0
		.amdhsa_exception_fp_ieee_invalid_op 0
		.amdhsa_exception_fp_denorm_src 0
		.amdhsa_exception_fp_ieee_div_zero 0
		.amdhsa_exception_fp_ieee_overflow 0
		.amdhsa_exception_fp_ieee_underflow 0
		.amdhsa_exception_fp_ieee_inexact 0
		.amdhsa_exception_int_div_zero 0
	.end_amdhsa_kernel
	.section	.text._ZN7rocprim17ROCPRIM_400000_NS6detail17trampoline_kernelINS0_14default_configENS1_38merge_sort_block_merge_config_selectorIfNS0_10empty_typeEEEZZNS1_27merge_sort_block_merge_implIS3_N6thrust23THRUST_200600_302600_NS6detail15normal_iteratorINS9_10device_ptrIfEEEEPS5_jNS1_19radix_merge_compareILb0ELb0EfNS0_19identity_decomposerEEEEE10hipError_tT0_T1_T2_jT3_P12ihipStream_tbPNSt15iterator_traitsISK_E10value_typeEPNSQ_ISL_E10value_typeEPSM_NS1_7vsmem_tEENKUlT_SK_SL_SM_E_clISE_PfSF_SF_EESJ_SZ_SK_SL_SM_EUlSZ_E_NS1_11comp_targetILNS1_3genE3ELNS1_11target_archE908ELNS1_3gpuE7ELNS1_3repE0EEENS1_48merge_mergepath_partition_config_static_selectorELNS0_4arch9wavefront6targetE0EEEvSL_,"axG",@progbits,_ZN7rocprim17ROCPRIM_400000_NS6detail17trampoline_kernelINS0_14default_configENS1_38merge_sort_block_merge_config_selectorIfNS0_10empty_typeEEEZZNS1_27merge_sort_block_merge_implIS3_N6thrust23THRUST_200600_302600_NS6detail15normal_iteratorINS9_10device_ptrIfEEEEPS5_jNS1_19radix_merge_compareILb0ELb0EfNS0_19identity_decomposerEEEEE10hipError_tT0_T1_T2_jT3_P12ihipStream_tbPNSt15iterator_traitsISK_E10value_typeEPNSQ_ISL_E10value_typeEPSM_NS1_7vsmem_tEENKUlT_SK_SL_SM_E_clISE_PfSF_SF_EESJ_SZ_SK_SL_SM_EUlSZ_E_NS1_11comp_targetILNS1_3genE3ELNS1_11target_archE908ELNS1_3gpuE7ELNS1_3repE0EEENS1_48merge_mergepath_partition_config_static_selectorELNS0_4arch9wavefront6targetE0EEEvSL_,comdat
.Lfunc_end503:
	.size	_ZN7rocprim17ROCPRIM_400000_NS6detail17trampoline_kernelINS0_14default_configENS1_38merge_sort_block_merge_config_selectorIfNS0_10empty_typeEEEZZNS1_27merge_sort_block_merge_implIS3_N6thrust23THRUST_200600_302600_NS6detail15normal_iteratorINS9_10device_ptrIfEEEEPS5_jNS1_19radix_merge_compareILb0ELb0EfNS0_19identity_decomposerEEEEE10hipError_tT0_T1_T2_jT3_P12ihipStream_tbPNSt15iterator_traitsISK_E10value_typeEPNSQ_ISL_E10value_typeEPSM_NS1_7vsmem_tEENKUlT_SK_SL_SM_E_clISE_PfSF_SF_EESJ_SZ_SK_SL_SM_EUlSZ_E_NS1_11comp_targetILNS1_3genE3ELNS1_11target_archE908ELNS1_3gpuE7ELNS1_3repE0EEENS1_48merge_mergepath_partition_config_static_selectorELNS0_4arch9wavefront6targetE0EEEvSL_, .Lfunc_end503-_ZN7rocprim17ROCPRIM_400000_NS6detail17trampoline_kernelINS0_14default_configENS1_38merge_sort_block_merge_config_selectorIfNS0_10empty_typeEEEZZNS1_27merge_sort_block_merge_implIS3_N6thrust23THRUST_200600_302600_NS6detail15normal_iteratorINS9_10device_ptrIfEEEEPS5_jNS1_19radix_merge_compareILb0ELb0EfNS0_19identity_decomposerEEEEE10hipError_tT0_T1_T2_jT3_P12ihipStream_tbPNSt15iterator_traitsISK_E10value_typeEPNSQ_ISL_E10value_typeEPSM_NS1_7vsmem_tEENKUlT_SK_SL_SM_E_clISE_PfSF_SF_EESJ_SZ_SK_SL_SM_EUlSZ_E_NS1_11comp_targetILNS1_3genE3ELNS1_11target_archE908ELNS1_3gpuE7ELNS1_3repE0EEENS1_48merge_mergepath_partition_config_static_selectorELNS0_4arch9wavefront6targetE0EEEvSL_
                                        ; -- End function
	.set _ZN7rocprim17ROCPRIM_400000_NS6detail17trampoline_kernelINS0_14default_configENS1_38merge_sort_block_merge_config_selectorIfNS0_10empty_typeEEEZZNS1_27merge_sort_block_merge_implIS3_N6thrust23THRUST_200600_302600_NS6detail15normal_iteratorINS9_10device_ptrIfEEEEPS5_jNS1_19radix_merge_compareILb0ELb0EfNS0_19identity_decomposerEEEEE10hipError_tT0_T1_T2_jT3_P12ihipStream_tbPNSt15iterator_traitsISK_E10value_typeEPNSQ_ISL_E10value_typeEPSM_NS1_7vsmem_tEENKUlT_SK_SL_SM_E_clISE_PfSF_SF_EESJ_SZ_SK_SL_SM_EUlSZ_E_NS1_11comp_targetILNS1_3genE3ELNS1_11target_archE908ELNS1_3gpuE7ELNS1_3repE0EEENS1_48merge_mergepath_partition_config_static_selectorELNS0_4arch9wavefront6targetE0EEEvSL_.num_vgpr, 0
	.set _ZN7rocprim17ROCPRIM_400000_NS6detail17trampoline_kernelINS0_14default_configENS1_38merge_sort_block_merge_config_selectorIfNS0_10empty_typeEEEZZNS1_27merge_sort_block_merge_implIS3_N6thrust23THRUST_200600_302600_NS6detail15normal_iteratorINS9_10device_ptrIfEEEEPS5_jNS1_19radix_merge_compareILb0ELb0EfNS0_19identity_decomposerEEEEE10hipError_tT0_T1_T2_jT3_P12ihipStream_tbPNSt15iterator_traitsISK_E10value_typeEPNSQ_ISL_E10value_typeEPSM_NS1_7vsmem_tEENKUlT_SK_SL_SM_E_clISE_PfSF_SF_EESJ_SZ_SK_SL_SM_EUlSZ_E_NS1_11comp_targetILNS1_3genE3ELNS1_11target_archE908ELNS1_3gpuE7ELNS1_3repE0EEENS1_48merge_mergepath_partition_config_static_selectorELNS0_4arch9wavefront6targetE0EEEvSL_.num_agpr, 0
	.set _ZN7rocprim17ROCPRIM_400000_NS6detail17trampoline_kernelINS0_14default_configENS1_38merge_sort_block_merge_config_selectorIfNS0_10empty_typeEEEZZNS1_27merge_sort_block_merge_implIS3_N6thrust23THRUST_200600_302600_NS6detail15normal_iteratorINS9_10device_ptrIfEEEEPS5_jNS1_19radix_merge_compareILb0ELb0EfNS0_19identity_decomposerEEEEE10hipError_tT0_T1_T2_jT3_P12ihipStream_tbPNSt15iterator_traitsISK_E10value_typeEPNSQ_ISL_E10value_typeEPSM_NS1_7vsmem_tEENKUlT_SK_SL_SM_E_clISE_PfSF_SF_EESJ_SZ_SK_SL_SM_EUlSZ_E_NS1_11comp_targetILNS1_3genE3ELNS1_11target_archE908ELNS1_3gpuE7ELNS1_3repE0EEENS1_48merge_mergepath_partition_config_static_selectorELNS0_4arch9wavefront6targetE0EEEvSL_.numbered_sgpr, 0
	.set _ZN7rocprim17ROCPRIM_400000_NS6detail17trampoline_kernelINS0_14default_configENS1_38merge_sort_block_merge_config_selectorIfNS0_10empty_typeEEEZZNS1_27merge_sort_block_merge_implIS3_N6thrust23THRUST_200600_302600_NS6detail15normal_iteratorINS9_10device_ptrIfEEEEPS5_jNS1_19radix_merge_compareILb0ELb0EfNS0_19identity_decomposerEEEEE10hipError_tT0_T1_T2_jT3_P12ihipStream_tbPNSt15iterator_traitsISK_E10value_typeEPNSQ_ISL_E10value_typeEPSM_NS1_7vsmem_tEENKUlT_SK_SL_SM_E_clISE_PfSF_SF_EESJ_SZ_SK_SL_SM_EUlSZ_E_NS1_11comp_targetILNS1_3genE3ELNS1_11target_archE908ELNS1_3gpuE7ELNS1_3repE0EEENS1_48merge_mergepath_partition_config_static_selectorELNS0_4arch9wavefront6targetE0EEEvSL_.num_named_barrier, 0
	.set _ZN7rocprim17ROCPRIM_400000_NS6detail17trampoline_kernelINS0_14default_configENS1_38merge_sort_block_merge_config_selectorIfNS0_10empty_typeEEEZZNS1_27merge_sort_block_merge_implIS3_N6thrust23THRUST_200600_302600_NS6detail15normal_iteratorINS9_10device_ptrIfEEEEPS5_jNS1_19radix_merge_compareILb0ELb0EfNS0_19identity_decomposerEEEEE10hipError_tT0_T1_T2_jT3_P12ihipStream_tbPNSt15iterator_traitsISK_E10value_typeEPNSQ_ISL_E10value_typeEPSM_NS1_7vsmem_tEENKUlT_SK_SL_SM_E_clISE_PfSF_SF_EESJ_SZ_SK_SL_SM_EUlSZ_E_NS1_11comp_targetILNS1_3genE3ELNS1_11target_archE908ELNS1_3gpuE7ELNS1_3repE0EEENS1_48merge_mergepath_partition_config_static_selectorELNS0_4arch9wavefront6targetE0EEEvSL_.private_seg_size, 0
	.set _ZN7rocprim17ROCPRIM_400000_NS6detail17trampoline_kernelINS0_14default_configENS1_38merge_sort_block_merge_config_selectorIfNS0_10empty_typeEEEZZNS1_27merge_sort_block_merge_implIS3_N6thrust23THRUST_200600_302600_NS6detail15normal_iteratorINS9_10device_ptrIfEEEEPS5_jNS1_19radix_merge_compareILb0ELb0EfNS0_19identity_decomposerEEEEE10hipError_tT0_T1_T2_jT3_P12ihipStream_tbPNSt15iterator_traitsISK_E10value_typeEPNSQ_ISL_E10value_typeEPSM_NS1_7vsmem_tEENKUlT_SK_SL_SM_E_clISE_PfSF_SF_EESJ_SZ_SK_SL_SM_EUlSZ_E_NS1_11comp_targetILNS1_3genE3ELNS1_11target_archE908ELNS1_3gpuE7ELNS1_3repE0EEENS1_48merge_mergepath_partition_config_static_selectorELNS0_4arch9wavefront6targetE0EEEvSL_.uses_vcc, 0
	.set _ZN7rocprim17ROCPRIM_400000_NS6detail17trampoline_kernelINS0_14default_configENS1_38merge_sort_block_merge_config_selectorIfNS0_10empty_typeEEEZZNS1_27merge_sort_block_merge_implIS3_N6thrust23THRUST_200600_302600_NS6detail15normal_iteratorINS9_10device_ptrIfEEEEPS5_jNS1_19radix_merge_compareILb0ELb0EfNS0_19identity_decomposerEEEEE10hipError_tT0_T1_T2_jT3_P12ihipStream_tbPNSt15iterator_traitsISK_E10value_typeEPNSQ_ISL_E10value_typeEPSM_NS1_7vsmem_tEENKUlT_SK_SL_SM_E_clISE_PfSF_SF_EESJ_SZ_SK_SL_SM_EUlSZ_E_NS1_11comp_targetILNS1_3genE3ELNS1_11target_archE908ELNS1_3gpuE7ELNS1_3repE0EEENS1_48merge_mergepath_partition_config_static_selectorELNS0_4arch9wavefront6targetE0EEEvSL_.uses_flat_scratch, 0
	.set _ZN7rocprim17ROCPRIM_400000_NS6detail17trampoline_kernelINS0_14default_configENS1_38merge_sort_block_merge_config_selectorIfNS0_10empty_typeEEEZZNS1_27merge_sort_block_merge_implIS3_N6thrust23THRUST_200600_302600_NS6detail15normal_iteratorINS9_10device_ptrIfEEEEPS5_jNS1_19radix_merge_compareILb0ELb0EfNS0_19identity_decomposerEEEEE10hipError_tT0_T1_T2_jT3_P12ihipStream_tbPNSt15iterator_traitsISK_E10value_typeEPNSQ_ISL_E10value_typeEPSM_NS1_7vsmem_tEENKUlT_SK_SL_SM_E_clISE_PfSF_SF_EESJ_SZ_SK_SL_SM_EUlSZ_E_NS1_11comp_targetILNS1_3genE3ELNS1_11target_archE908ELNS1_3gpuE7ELNS1_3repE0EEENS1_48merge_mergepath_partition_config_static_selectorELNS0_4arch9wavefront6targetE0EEEvSL_.has_dyn_sized_stack, 0
	.set _ZN7rocprim17ROCPRIM_400000_NS6detail17trampoline_kernelINS0_14default_configENS1_38merge_sort_block_merge_config_selectorIfNS0_10empty_typeEEEZZNS1_27merge_sort_block_merge_implIS3_N6thrust23THRUST_200600_302600_NS6detail15normal_iteratorINS9_10device_ptrIfEEEEPS5_jNS1_19radix_merge_compareILb0ELb0EfNS0_19identity_decomposerEEEEE10hipError_tT0_T1_T2_jT3_P12ihipStream_tbPNSt15iterator_traitsISK_E10value_typeEPNSQ_ISL_E10value_typeEPSM_NS1_7vsmem_tEENKUlT_SK_SL_SM_E_clISE_PfSF_SF_EESJ_SZ_SK_SL_SM_EUlSZ_E_NS1_11comp_targetILNS1_3genE3ELNS1_11target_archE908ELNS1_3gpuE7ELNS1_3repE0EEENS1_48merge_mergepath_partition_config_static_selectorELNS0_4arch9wavefront6targetE0EEEvSL_.has_recursion, 0
	.set _ZN7rocprim17ROCPRIM_400000_NS6detail17trampoline_kernelINS0_14default_configENS1_38merge_sort_block_merge_config_selectorIfNS0_10empty_typeEEEZZNS1_27merge_sort_block_merge_implIS3_N6thrust23THRUST_200600_302600_NS6detail15normal_iteratorINS9_10device_ptrIfEEEEPS5_jNS1_19radix_merge_compareILb0ELb0EfNS0_19identity_decomposerEEEEE10hipError_tT0_T1_T2_jT3_P12ihipStream_tbPNSt15iterator_traitsISK_E10value_typeEPNSQ_ISL_E10value_typeEPSM_NS1_7vsmem_tEENKUlT_SK_SL_SM_E_clISE_PfSF_SF_EESJ_SZ_SK_SL_SM_EUlSZ_E_NS1_11comp_targetILNS1_3genE3ELNS1_11target_archE908ELNS1_3gpuE7ELNS1_3repE0EEENS1_48merge_mergepath_partition_config_static_selectorELNS0_4arch9wavefront6targetE0EEEvSL_.has_indirect_call, 0
	.section	.AMDGPU.csdata,"",@progbits
; Kernel info:
; codeLenInByte = 0
; TotalNumSgprs: 0
; NumVgprs: 0
; ScratchSize: 0
; MemoryBound: 0
; FloatMode: 240
; IeeeMode: 1
; LDSByteSize: 0 bytes/workgroup (compile time only)
; SGPRBlocks: 0
; VGPRBlocks: 0
; NumSGPRsForWavesPerEU: 1
; NumVGPRsForWavesPerEU: 1
; Occupancy: 16
; WaveLimiterHint : 0
; COMPUTE_PGM_RSRC2:SCRATCH_EN: 0
; COMPUTE_PGM_RSRC2:USER_SGPR: 6
; COMPUTE_PGM_RSRC2:TRAP_HANDLER: 0
; COMPUTE_PGM_RSRC2:TGID_X_EN: 1
; COMPUTE_PGM_RSRC2:TGID_Y_EN: 0
; COMPUTE_PGM_RSRC2:TGID_Z_EN: 0
; COMPUTE_PGM_RSRC2:TIDIG_COMP_CNT: 0
	.section	.text._ZN7rocprim17ROCPRIM_400000_NS6detail17trampoline_kernelINS0_14default_configENS1_38merge_sort_block_merge_config_selectorIfNS0_10empty_typeEEEZZNS1_27merge_sort_block_merge_implIS3_N6thrust23THRUST_200600_302600_NS6detail15normal_iteratorINS9_10device_ptrIfEEEEPS5_jNS1_19radix_merge_compareILb0ELb0EfNS0_19identity_decomposerEEEEE10hipError_tT0_T1_T2_jT3_P12ihipStream_tbPNSt15iterator_traitsISK_E10value_typeEPNSQ_ISL_E10value_typeEPSM_NS1_7vsmem_tEENKUlT_SK_SL_SM_E_clISE_PfSF_SF_EESJ_SZ_SK_SL_SM_EUlSZ_E_NS1_11comp_targetILNS1_3genE2ELNS1_11target_archE906ELNS1_3gpuE6ELNS1_3repE0EEENS1_48merge_mergepath_partition_config_static_selectorELNS0_4arch9wavefront6targetE0EEEvSL_,"axG",@progbits,_ZN7rocprim17ROCPRIM_400000_NS6detail17trampoline_kernelINS0_14default_configENS1_38merge_sort_block_merge_config_selectorIfNS0_10empty_typeEEEZZNS1_27merge_sort_block_merge_implIS3_N6thrust23THRUST_200600_302600_NS6detail15normal_iteratorINS9_10device_ptrIfEEEEPS5_jNS1_19radix_merge_compareILb0ELb0EfNS0_19identity_decomposerEEEEE10hipError_tT0_T1_T2_jT3_P12ihipStream_tbPNSt15iterator_traitsISK_E10value_typeEPNSQ_ISL_E10value_typeEPSM_NS1_7vsmem_tEENKUlT_SK_SL_SM_E_clISE_PfSF_SF_EESJ_SZ_SK_SL_SM_EUlSZ_E_NS1_11comp_targetILNS1_3genE2ELNS1_11target_archE906ELNS1_3gpuE6ELNS1_3repE0EEENS1_48merge_mergepath_partition_config_static_selectorELNS0_4arch9wavefront6targetE0EEEvSL_,comdat
	.protected	_ZN7rocprim17ROCPRIM_400000_NS6detail17trampoline_kernelINS0_14default_configENS1_38merge_sort_block_merge_config_selectorIfNS0_10empty_typeEEEZZNS1_27merge_sort_block_merge_implIS3_N6thrust23THRUST_200600_302600_NS6detail15normal_iteratorINS9_10device_ptrIfEEEEPS5_jNS1_19radix_merge_compareILb0ELb0EfNS0_19identity_decomposerEEEEE10hipError_tT0_T1_T2_jT3_P12ihipStream_tbPNSt15iterator_traitsISK_E10value_typeEPNSQ_ISL_E10value_typeEPSM_NS1_7vsmem_tEENKUlT_SK_SL_SM_E_clISE_PfSF_SF_EESJ_SZ_SK_SL_SM_EUlSZ_E_NS1_11comp_targetILNS1_3genE2ELNS1_11target_archE906ELNS1_3gpuE6ELNS1_3repE0EEENS1_48merge_mergepath_partition_config_static_selectorELNS0_4arch9wavefront6targetE0EEEvSL_ ; -- Begin function _ZN7rocprim17ROCPRIM_400000_NS6detail17trampoline_kernelINS0_14default_configENS1_38merge_sort_block_merge_config_selectorIfNS0_10empty_typeEEEZZNS1_27merge_sort_block_merge_implIS3_N6thrust23THRUST_200600_302600_NS6detail15normal_iteratorINS9_10device_ptrIfEEEEPS5_jNS1_19radix_merge_compareILb0ELb0EfNS0_19identity_decomposerEEEEE10hipError_tT0_T1_T2_jT3_P12ihipStream_tbPNSt15iterator_traitsISK_E10value_typeEPNSQ_ISL_E10value_typeEPSM_NS1_7vsmem_tEENKUlT_SK_SL_SM_E_clISE_PfSF_SF_EESJ_SZ_SK_SL_SM_EUlSZ_E_NS1_11comp_targetILNS1_3genE2ELNS1_11target_archE906ELNS1_3gpuE6ELNS1_3repE0EEENS1_48merge_mergepath_partition_config_static_selectorELNS0_4arch9wavefront6targetE0EEEvSL_
	.globl	_ZN7rocprim17ROCPRIM_400000_NS6detail17trampoline_kernelINS0_14default_configENS1_38merge_sort_block_merge_config_selectorIfNS0_10empty_typeEEEZZNS1_27merge_sort_block_merge_implIS3_N6thrust23THRUST_200600_302600_NS6detail15normal_iteratorINS9_10device_ptrIfEEEEPS5_jNS1_19radix_merge_compareILb0ELb0EfNS0_19identity_decomposerEEEEE10hipError_tT0_T1_T2_jT3_P12ihipStream_tbPNSt15iterator_traitsISK_E10value_typeEPNSQ_ISL_E10value_typeEPSM_NS1_7vsmem_tEENKUlT_SK_SL_SM_E_clISE_PfSF_SF_EESJ_SZ_SK_SL_SM_EUlSZ_E_NS1_11comp_targetILNS1_3genE2ELNS1_11target_archE906ELNS1_3gpuE6ELNS1_3repE0EEENS1_48merge_mergepath_partition_config_static_selectorELNS0_4arch9wavefront6targetE0EEEvSL_
	.p2align	8
	.type	_ZN7rocprim17ROCPRIM_400000_NS6detail17trampoline_kernelINS0_14default_configENS1_38merge_sort_block_merge_config_selectorIfNS0_10empty_typeEEEZZNS1_27merge_sort_block_merge_implIS3_N6thrust23THRUST_200600_302600_NS6detail15normal_iteratorINS9_10device_ptrIfEEEEPS5_jNS1_19radix_merge_compareILb0ELb0EfNS0_19identity_decomposerEEEEE10hipError_tT0_T1_T2_jT3_P12ihipStream_tbPNSt15iterator_traitsISK_E10value_typeEPNSQ_ISL_E10value_typeEPSM_NS1_7vsmem_tEENKUlT_SK_SL_SM_E_clISE_PfSF_SF_EESJ_SZ_SK_SL_SM_EUlSZ_E_NS1_11comp_targetILNS1_3genE2ELNS1_11target_archE906ELNS1_3gpuE6ELNS1_3repE0EEENS1_48merge_mergepath_partition_config_static_selectorELNS0_4arch9wavefront6targetE0EEEvSL_,@function
_ZN7rocprim17ROCPRIM_400000_NS6detail17trampoline_kernelINS0_14default_configENS1_38merge_sort_block_merge_config_selectorIfNS0_10empty_typeEEEZZNS1_27merge_sort_block_merge_implIS3_N6thrust23THRUST_200600_302600_NS6detail15normal_iteratorINS9_10device_ptrIfEEEEPS5_jNS1_19radix_merge_compareILb0ELb0EfNS0_19identity_decomposerEEEEE10hipError_tT0_T1_T2_jT3_P12ihipStream_tbPNSt15iterator_traitsISK_E10value_typeEPNSQ_ISL_E10value_typeEPSM_NS1_7vsmem_tEENKUlT_SK_SL_SM_E_clISE_PfSF_SF_EESJ_SZ_SK_SL_SM_EUlSZ_E_NS1_11comp_targetILNS1_3genE2ELNS1_11target_archE906ELNS1_3gpuE6ELNS1_3repE0EEENS1_48merge_mergepath_partition_config_static_selectorELNS0_4arch9wavefront6targetE0EEEvSL_: ; @_ZN7rocprim17ROCPRIM_400000_NS6detail17trampoline_kernelINS0_14default_configENS1_38merge_sort_block_merge_config_selectorIfNS0_10empty_typeEEEZZNS1_27merge_sort_block_merge_implIS3_N6thrust23THRUST_200600_302600_NS6detail15normal_iteratorINS9_10device_ptrIfEEEEPS5_jNS1_19radix_merge_compareILb0ELb0EfNS0_19identity_decomposerEEEEE10hipError_tT0_T1_T2_jT3_P12ihipStream_tbPNSt15iterator_traitsISK_E10value_typeEPNSQ_ISL_E10value_typeEPSM_NS1_7vsmem_tEENKUlT_SK_SL_SM_E_clISE_PfSF_SF_EESJ_SZ_SK_SL_SM_EUlSZ_E_NS1_11comp_targetILNS1_3genE2ELNS1_11target_archE906ELNS1_3gpuE6ELNS1_3repE0EEENS1_48merge_mergepath_partition_config_static_selectorELNS0_4arch9wavefront6targetE0EEEvSL_
; %bb.0:
	.section	.rodata,"a",@progbits
	.p2align	6, 0x0
	.amdhsa_kernel _ZN7rocprim17ROCPRIM_400000_NS6detail17trampoline_kernelINS0_14default_configENS1_38merge_sort_block_merge_config_selectorIfNS0_10empty_typeEEEZZNS1_27merge_sort_block_merge_implIS3_N6thrust23THRUST_200600_302600_NS6detail15normal_iteratorINS9_10device_ptrIfEEEEPS5_jNS1_19radix_merge_compareILb0ELb0EfNS0_19identity_decomposerEEEEE10hipError_tT0_T1_T2_jT3_P12ihipStream_tbPNSt15iterator_traitsISK_E10value_typeEPNSQ_ISL_E10value_typeEPSM_NS1_7vsmem_tEENKUlT_SK_SL_SM_E_clISE_PfSF_SF_EESJ_SZ_SK_SL_SM_EUlSZ_E_NS1_11comp_targetILNS1_3genE2ELNS1_11target_archE906ELNS1_3gpuE6ELNS1_3repE0EEENS1_48merge_mergepath_partition_config_static_selectorELNS0_4arch9wavefront6targetE0EEEvSL_
		.amdhsa_group_segment_fixed_size 0
		.amdhsa_private_segment_fixed_size 0
		.amdhsa_kernarg_size 40
		.amdhsa_user_sgpr_count 6
		.amdhsa_user_sgpr_private_segment_buffer 1
		.amdhsa_user_sgpr_dispatch_ptr 0
		.amdhsa_user_sgpr_queue_ptr 0
		.amdhsa_user_sgpr_kernarg_segment_ptr 1
		.amdhsa_user_sgpr_dispatch_id 0
		.amdhsa_user_sgpr_flat_scratch_init 0
		.amdhsa_user_sgpr_private_segment_size 0
		.amdhsa_wavefront_size32 1
		.amdhsa_uses_dynamic_stack 0
		.amdhsa_system_sgpr_private_segment_wavefront_offset 0
		.amdhsa_system_sgpr_workgroup_id_x 1
		.amdhsa_system_sgpr_workgroup_id_y 0
		.amdhsa_system_sgpr_workgroup_id_z 0
		.amdhsa_system_sgpr_workgroup_info 0
		.amdhsa_system_vgpr_workitem_id 0
		.amdhsa_next_free_vgpr 1
		.amdhsa_next_free_sgpr 1
		.amdhsa_reserve_vcc 0
		.amdhsa_reserve_flat_scratch 0
		.amdhsa_float_round_mode_32 0
		.amdhsa_float_round_mode_16_64 0
		.amdhsa_float_denorm_mode_32 3
		.amdhsa_float_denorm_mode_16_64 3
		.amdhsa_dx10_clamp 1
		.amdhsa_ieee_mode 1
		.amdhsa_fp16_overflow 0
		.amdhsa_workgroup_processor_mode 1
		.amdhsa_memory_ordered 1
		.amdhsa_forward_progress 1
		.amdhsa_shared_vgpr_count 0
		.amdhsa_exception_fp_ieee_invalid_op 0
		.amdhsa_exception_fp_denorm_src 0
		.amdhsa_exception_fp_ieee_div_zero 0
		.amdhsa_exception_fp_ieee_overflow 0
		.amdhsa_exception_fp_ieee_underflow 0
		.amdhsa_exception_fp_ieee_inexact 0
		.amdhsa_exception_int_div_zero 0
	.end_amdhsa_kernel
	.section	.text._ZN7rocprim17ROCPRIM_400000_NS6detail17trampoline_kernelINS0_14default_configENS1_38merge_sort_block_merge_config_selectorIfNS0_10empty_typeEEEZZNS1_27merge_sort_block_merge_implIS3_N6thrust23THRUST_200600_302600_NS6detail15normal_iteratorINS9_10device_ptrIfEEEEPS5_jNS1_19radix_merge_compareILb0ELb0EfNS0_19identity_decomposerEEEEE10hipError_tT0_T1_T2_jT3_P12ihipStream_tbPNSt15iterator_traitsISK_E10value_typeEPNSQ_ISL_E10value_typeEPSM_NS1_7vsmem_tEENKUlT_SK_SL_SM_E_clISE_PfSF_SF_EESJ_SZ_SK_SL_SM_EUlSZ_E_NS1_11comp_targetILNS1_3genE2ELNS1_11target_archE906ELNS1_3gpuE6ELNS1_3repE0EEENS1_48merge_mergepath_partition_config_static_selectorELNS0_4arch9wavefront6targetE0EEEvSL_,"axG",@progbits,_ZN7rocprim17ROCPRIM_400000_NS6detail17trampoline_kernelINS0_14default_configENS1_38merge_sort_block_merge_config_selectorIfNS0_10empty_typeEEEZZNS1_27merge_sort_block_merge_implIS3_N6thrust23THRUST_200600_302600_NS6detail15normal_iteratorINS9_10device_ptrIfEEEEPS5_jNS1_19radix_merge_compareILb0ELb0EfNS0_19identity_decomposerEEEEE10hipError_tT0_T1_T2_jT3_P12ihipStream_tbPNSt15iterator_traitsISK_E10value_typeEPNSQ_ISL_E10value_typeEPSM_NS1_7vsmem_tEENKUlT_SK_SL_SM_E_clISE_PfSF_SF_EESJ_SZ_SK_SL_SM_EUlSZ_E_NS1_11comp_targetILNS1_3genE2ELNS1_11target_archE906ELNS1_3gpuE6ELNS1_3repE0EEENS1_48merge_mergepath_partition_config_static_selectorELNS0_4arch9wavefront6targetE0EEEvSL_,comdat
.Lfunc_end504:
	.size	_ZN7rocprim17ROCPRIM_400000_NS6detail17trampoline_kernelINS0_14default_configENS1_38merge_sort_block_merge_config_selectorIfNS0_10empty_typeEEEZZNS1_27merge_sort_block_merge_implIS3_N6thrust23THRUST_200600_302600_NS6detail15normal_iteratorINS9_10device_ptrIfEEEEPS5_jNS1_19radix_merge_compareILb0ELb0EfNS0_19identity_decomposerEEEEE10hipError_tT0_T1_T2_jT3_P12ihipStream_tbPNSt15iterator_traitsISK_E10value_typeEPNSQ_ISL_E10value_typeEPSM_NS1_7vsmem_tEENKUlT_SK_SL_SM_E_clISE_PfSF_SF_EESJ_SZ_SK_SL_SM_EUlSZ_E_NS1_11comp_targetILNS1_3genE2ELNS1_11target_archE906ELNS1_3gpuE6ELNS1_3repE0EEENS1_48merge_mergepath_partition_config_static_selectorELNS0_4arch9wavefront6targetE0EEEvSL_, .Lfunc_end504-_ZN7rocprim17ROCPRIM_400000_NS6detail17trampoline_kernelINS0_14default_configENS1_38merge_sort_block_merge_config_selectorIfNS0_10empty_typeEEEZZNS1_27merge_sort_block_merge_implIS3_N6thrust23THRUST_200600_302600_NS6detail15normal_iteratorINS9_10device_ptrIfEEEEPS5_jNS1_19radix_merge_compareILb0ELb0EfNS0_19identity_decomposerEEEEE10hipError_tT0_T1_T2_jT3_P12ihipStream_tbPNSt15iterator_traitsISK_E10value_typeEPNSQ_ISL_E10value_typeEPSM_NS1_7vsmem_tEENKUlT_SK_SL_SM_E_clISE_PfSF_SF_EESJ_SZ_SK_SL_SM_EUlSZ_E_NS1_11comp_targetILNS1_3genE2ELNS1_11target_archE906ELNS1_3gpuE6ELNS1_3repE0EEENS1_48merge_mergepath_partition_config_static_selectorELNS0_4arch9wavefront6targetE0EEEvSL_
                                        ; -- End function
	.set _ZN7rocprim17ROCPRIM_400000_NS6detail17trampoline_kernelINS0_14default_configENS1_38merge_sort_block_merge_config_selectorIfNS0_10empty_typeEEEZZNS1_27merge_sort_block_merge_implIS3_N6thrust23THRUST_200600_302600_NS6detail15normal_iteratorINS9_10device_ptrIfEEEEPS5_jNS1_19radix_merge_compareILb0ELb0EfNS0_19identity_decomposerEEEEE10hipError_tT0_T1_T2_jT3_P12ihipStream_tbPNSt15iterator_traitsISK_E10value_typeEPNSQ_ISL_E10value_typeEPSM_NS1_7vsmem_tEENKUlT_SK_SL_SM_E_clISE_PfSF_SF_EESJ_SZ_SK_SL_SM_EUlSZ_E_NS1_11comp_targetILNS1_3genE2ELNS1_11target_archE906ELNS1_3gpuE6ELNS1_3repE0EEENS1_48merge_mergepath_partition_config_static_selectorELNS0_4arch9wavefront6targetE0EEEvSL_.num_vgpr, 0
	.set _ZN7rocprim17ROCPRIM_400000_NS6detail17trampoline_kernelINS0_14default_configENS1_38merge_sort_block_merge_config_selectorIfNS0_10empty_typeEEEZZNS1_27merge_sort_block_merge_implIS3_N6thrust23THRUST_200600_302600_NS6detail15normal_iteratorINS9_10device_ptrIfEEEEPS5_jNS1_19radix_merge_compareILb0ELb0EfNS0_19identity_decomposerEEEEE10hipError_tT0_T1_T2_jT3_P12ihipStream_tbPNSt15iterator_traitsISK_E10value_typeEPNSQ_ISL_E10value_typeEPSM_NS1_7vsmem_tEENKUlT_SK_SL_SM_E_clISE_PfSF_SF_EESJ_SZ_SK_SL_SM_EUlSZ_E_NS1_11comp_targetILNS1_3genE2ELNS1_11target_archE906ELNS1_3gpuE6ELNS1_3repE0EEENS1_48merge_mergepath_partition_config_static_selectorELNS0_4arch9wavefront6targetE0EEEvSL_.num_agpr, 0
	.set _ZN7rocprim17ROCPRIM_400000_NS6detail17trampoline_kernelINS0_14default_configENS1_38merge_sort_block_merge_config_selectorIfNS0_10empty_typeEEEZZNS1_27merge_sort_block_merge_implIS3_N6thrust23THRUST_200600_302600_NS6detail15normal_iteratorINS9_10device_ptrIfEEEEPS5_jNS1_19radix_merge_compareILb0ELb0EfNS0_19identity_decomposerEEEEE10hipError_tT0_T1_T2_jT3_P12ihipStream_tbPNSt15iterator_traitsISK_E10value_typeEPNSQ_ISL_E10value_typeEPSM_NS1_7vsmem_tEENKUlT_SK_SL_SM_E_clISE_PfSF_SF_EESJ_SZ_SK_SL_SM_EUlSZ_E_NS1_11comp_targetILNS1_3genE2ELNS1_11target_archE906ELNS1_3gpuE6ELNS1_3repE0EEENS1_48merge_mergepath_partition_config_static_selectorELNS0_4arch9wavefront6targetE0EEEvSL_.numbered_sgpr, 0
	.set _ZN7rocprim17ROCPRIM_400000_NS6detail17trampoline_kernelINS0_14default_configENS1_38merge_sort_block_merge_config_selectorIfNS0_10empty_typeEEEZZNS1_27merge_sort_block_merge_implIS3_N6thrust23THRUST_200600_302600_NS6detail15normal_iteratorINS9_10device_ptrIfEEEEPS5_jNS1_19radix_merge_compareILb0ELb0EfNS0_19identity_decomposerEEEEE10hipError_tT0_T1_T2_jT3_P12ihipStream_tbPNSt15iterator_traitsISK_E10value_typeEPNSQ_ISL_E10value_typeEPSM_NS1_7vsmem_tEENKUlT_SK_SL_SM_E_clISE_PfSF_SF_EESJ_SZ_SK_SL_SM_EUlSZ_E_NS1_11comp_targetILNS1_3genE2ELNS1_11target_archE906ELNS1_3gpuE6ELNS1_3repE0EEENS1_48merge_mergepath_partition_config_static_selectorELNS0_4arch9wavefront6targetE0EEEvSL_.num_named_barrier, 0
	.set _ZN7rocprim17ROCPRIM_400000_NS6detail17trampoline_kernelINS0_14default_configENS1_38merge_sort_block_merge_config_selectorIfNS0_10empty_typeEEEZZNS1_27merge_sort_block_merge_implIS3_N6thrust23THRUST_200600_302600_NS6detail15normal_iteratorINS9_10device_ptrIfEEEEPS5_jNS1_19radix_merge_compareILb0ELb0EfNS0_19identity_decomposerEEEEE10hipError_tT0_T1_T2_jT3_P12ihipStream_tbPNSt15iterator_traitsISK_E10value_typeEPNSQ_ISL_E10value_typeEPSM_NS1_7vsmem_tEENKUlT_SK_SL_SM_E_clISE_PfSF_SF_EESJ_SZ_SK_SL_SM_EUlSZ_E_NS1_11comp_targetILNS1_3genE2ELNS1_11target_archE906ELNS1_3gpuE6ELNS1_3repE0EEENS1_48merge_mergepath_partition_config_static_selectorELNS0_4arch9wavefront6targetE0EEEvSL_.private_seg_size, 0
	.set _ZN7rocprim17ROCPRIM_400000_NS6detail17trampoline_kernelINS0_14default_configENS1_38merge_sort_block_merge_config_selectorIfNS0_10empty_typeEEEZZNS1_27merge_sort_block_merge_implIS3_N6thrust23THRUST_200600_302600_NS6detail15normal_iteratorINS9_10device_ptrIfEEEEPS5_jNS1_19radix_merge_compareILb0ELb0EfNS0_19identity_decomposerEEEEE10hipError_tT0_T1_T2_jT3_P12ihipStream_tbPNSt15iterator_traitsISK_E10value_typeEPNSQ_ISL_E10value_typeEPSM_NS1_7vsmem_tEENKUlT_SK_SL_SM_E_clISE_PfSF_SF_EESJ_SZ_SK_SL_SM_EUlSZ_E_NS1_11comp_targetILNS1_3genE2ELNS1_11target_archE906ELNS1_3gpuE6ELNS1_3repE0EEENS1_48merge_mergepath_partition_config_static_selectorELNS0_4arch9wavefront6targetE0EEEvSL_.uses_vcc, 0
	.set _ZN7rocprim17ROCPRIM_400000_NS6detail17trampoline_kernelINS0_14default_configENS1_38merge_sort_block_merge_config_selectorIfNS0_10empty_typeEEEZZNS1_27merge_sort_block_merge_implIS3_N6thrust23THRUST_200600_302600_NS6detail15normal_iteratorINS9_10device_ptrIfEEEEPS5_jNS1_19radix_merge_compareILb0ELb0EfNS0_19identity_decomposerEEEEE10hipError_tT0_T1_T2_jT3_P12ihipStream_tbPNSt15iterator_traitsISK_E10value_typeEPNSQ_ISL_E10value_typeEPSM_NS1_7vsmem_tEENKUlT_SK_SL_SM_E_clISE_PfSF_SF_EESJ_SZ_SK_SL_SM_EUlSZ_E_NS1_11comp_targetILNS1_3genE2ELNS1_11target_archE906ELNS1_3gpuE6ELNS1_3repE0EEENS1_48merge_mergepath_partition_config_static_selectorELNS0_4arch9wavefront6targetE0EEEvSL_.uses_flat_scratch, 0
	.set _ZN7rocprim17ROCPRIM_400000_NS6detail17trampoline_kernelINS0_14default_configENS1_38merge_sort_block_merge_config_selectorIfNS0_10empty_typeEEEZZNS1_27merge_sort_block_merge_implIS3_N6thrust23THRUST_200600_302600_NS6detail15normal_iteratorINS9_10device_ptrIfEEEEPS5_jNS1_19radix_merge_compareILb0ELb0EfNS0_19identity_decomposerEEEEE10hipError_tT0_T1_T2_jT3_P12ihipStream_tbPNSt15iterator_traitsISK_E10value_typeEPNSQ_ISL_E10value_typeEPSM_NS1_7vsmem_tEENKUlT_SK_SL_SM_E_clISE_PfSF_SF_EESJ_SZ_SK_SL_SM_EUlSZ_E_NS1_11comp_targetILNS1_3genE2ELNS1_11target_archE906ELNS1_3gpuE6ELNS1_3repE0EEENS1_48merge_mergepath_partition_config_static_selectorELNS0_4arch9wavefront6targetE0EEEvSL_.has_dyn_sized_stack, 0
	.set _ZN7rocprim17ROCPRIM_400000_NS6detail17trampoline_kernelINS0_14default_configENS1_38merge_sort_block_merge_config_selectorIfNS0_10empty_typeEEEZZNS1_27merge_sort_block_merge_implIS3_N6thrust23THRUST_200600_302600_NS6detail15normal_iteratorINS9_10device_ptrIfEEEEPS5_jNS1_19radix_merge_compareILb0ELb0EfNS0_19identity_decomposerEEEEE10hipError_tT0_T1_T2_jT3_P12ihipStream_tbPNSt15iterator_traitsISK_E10value_typeEPNSQ_ISL_E10value_typeEPSM_NS1_7vsmem_tEENKUlT_SK_SL_SM_E_clISE_PfSF_SF_EESJ_SZ_SK_SL_SM_EUlSZ_E_NS1_11comp_targetILNS1_3genE2ELNS1_11target_archE906ELNS1_3gpuE6ELNS1_3repE0EEENS1_48merge_mergepath_partition_config_static_selectorELNS0_4arch9wavefront6targetE0EEEvSL_.has_recursion, 0
	.set _ZN7rocprim17ROCPRIM_400000_NS6detail17trampoline_kernelINS0_14default_configENS1_38merge_sort_block_merge_config_selectorIfNS0_10empty_typeEEEZZNS1_27merge_sort_block_merge_implIS3_N6thrust23THRUST_200600_302600_NS6detail15normal_iteratorINS9_10device_ptrIfEEEEPS5_jNS1_19radix_merge_compareILb0ELb0EfNS0_19identity_decomposerEEEEE10hipError_tT0_T1_T2_jT3_P12ihipStream_tbPNSt15iterator_traitsISK_E10value_typeEPNSQ_ISL_E10value_typeEPSM_NS1_7vsmem_tEENKUlT_SK_SL_SM_E_clISE_PfSF_SF_EESJ_SZ_SK_SL_SM_EUlSZ_E_NS1_11comp_targetILNS1_3genE2ELNS1_11target_archE906ELNS1_3gpuE6ELNS1_3repE0EEENS1_48merge_mergepath_partition_config_static_selectorELNS0_4arch9wavefront6targetE0EEEvSL_.has_indirect_call, 0
	.section	.AMDGPU.csdata,"",@progbits
; Kernel info:
; codeLenInByte = 0
; TotalNumSgprs: 0
; NumVgprs: 0
; ScratchSize: 0
; MemoryBound: 0
; FloatMode: 240
; IeeeMode: 1
; LDSByteSize: 0 bytes/workgroup (compile time only)
; SGPRBlocks: 0
; VGPRBlocks: 0
; NumSGPRsForWavesPerEU: 1
; NumVGPRsForWavesPerEU: 1
; Occupancy: 16
; WaveLimiterHint : 0
; COMPUTE_PGM_RSRC2:SCRATCH_EN: 0
; COMPUTE_PGM_RSRC2:USER_SGPR: 6
; COMPUTE_PGM_RSRC2:TRAP_HANDLER: 0
; COMPUTE_PGM_RSRC2:TGID_X_EN: 1
; COMPUTE_PGM_RSRC2:TGID_Y_EN: 0
; COMPUTE_PGM_RSRC2:TGID_Z_EN: 0
; COMPUTE_PGM_RSRC2:TIDIG_COMP_CNT: 0
	.section	.text._ZN7rocprim17ROCPRIM_400000_NS6detail17trampoline_kernelINS0_14default_configENS1_38merge_sort_block_merge_config_selectorIfNS0_10empty_typeEEEZZNS1_27merge_sort_block_merge_implIS3_N6thrust23THRUST_200600_302600_NS6detail15normal_iteratorINS9_10device_ptrIfEEEEPS5_jNS1_19radix_merge_compareILb0ELb0EfNS0_19identity_decomposerEEEEE10hipError_tT0_T1_T2_jT3_P12ihipStream_tbPNSt15iterator_traitsISK_E10value_typeEPNSQ_ISL_E10value_typeEPSM_NS1_7vsmem_tEENKUlT_SK_SL_SM_E_clISE_PfSF_SF_EESJ_SZ_SK_SL_SM_EUlSZ_E_NS1_11comp_targetILNS1_3genE9ELNS1_11target_archE1100ELNS1_3gpuE3ELNS1_3repE0EEENS1_48merge_mergepath_partition_config_static_selectorELNS0_4arch9wavefront6targetE0EEEvSL_,"axG",@progbits,_ZN7rocprim17ROCPRIM_400000_NS6detail17trampoline_kernelINS0_14default_configENS1_38merge_sort_block_merge_config_selectorIfNS0_10empty_typeEEEZZNS1_27merge_sort_block_merge_implIS3_N6thrust23THRUST_200600_302600_NS6detail15normal_iteratorINS9_10device_ptrIfEEEEPS5_jNS1_19radix_merge_compareILb0ELb0EfNS0_19identity_decomposerEEEEE10hipError_tT0_T1_T2_jT3_P12ihipStream_tbPNSt15iterator_traitsISK_E10value_typeEPNSQ_ISL_E10value_typeEPSM_NS1_7vsmem_tEENKUlT_SK_SL_SM_E_clISE_PfSF_SF_EESJ_SZ_SK_SL_SM_EUlSZ_E_NS1_11comp_targetILNS1_3genE9ELNS1_11target_archE1100ELNS1_3gpuE3ELNS1_3repE0EEENS1_48merge_mergepath_partition_config_static_selectorELNS0_4arch9wavefront6targetE0EEEvSL_,comdat
	.protected	_ZN7rocprim17ROCPRIM_400000_NS6detail17trampoline_kernelINS0_14default_configENS1_38merge_sort_block_merge_config_selectorIfNS0_10empty_typeEEEZZNS1_27merge_sort_block_merge_implIS3_N6thrust23THRUST_200600_302600_NS6detail15normal_iteratorINS9_10device_ptrIfEEEEPS5_jNS1_19radix_merge_compareILb0ELb0EfNS0_19identity_decomposerEEEEE10hipError_tT0_T1_T2_jT3_P12ihipStream_tbPNSt15iterator_traitsISK_E10value_typeEPNSQ_ISL_E10value_typeEPSM_NS1_7vsmem_tEENKUlT_SK_SL_SM_E_clISE_PfSF_SF_EESJ_SZ_SK_SL_SM_EUlSZ_E_NS1_11comp_targetILNS1_3genE9ELNS1_11target_archE1100ELNS1_3gpuE3ELNS1_3repE0EEENS1_48merge_mergepath_partition_config_static_selectorELNS0_4arch9wavefront6targetE0EEEvSL_ ; -- Begin function _ZN7rocprim17ROCPRIM_400000_NS6detail17trampoline_kernelINS0_14default_configENS1_38merge_sort_block_merge_config_selectorIfNS0_10empty_typeEEEZZNS1_27merge_sort_block_merge_implIS3_N6thrust23THRUST_200600_302600_NS6detail15normal_iteratorINS9_10device_ptrIfEEEEPS5_jNS1_19radix_merge_compareILb0ELb0EfNS0_19identity_decomposerEEEEE10hipError_tT0_T1_T2_jT3_P12ihipStream_tbPNSt15iterator_traitsISK_E10value_typeEPNSQ_ISL_E10value_typeEPSM_NS1_7vsmem_tEENKUlT_SK_SL_SM_E_clISE_PfSF_SF_EESJ_SZ_SK_SL_SM_EUlSZ_E_NS1_11comp_targetILNS1_3genE9ELNS1_11target_archE1100ELNS1_3gpuE3ELNS1_3repE0EEENS1_48merge_mergepath_partition_config_static_selectorELNS0_4arch9wavefront6targetE0EEEvSL_
	.globl	_ZN7rocprim17ROCPRIM_400000_NS6detail17trampoline_kernelINS0_14default_configENS1_38merge_sort_block_merge_config_selectorIfNS0_10empty_typeEEEZZNS1_27merge_sort_block_merge_implIS3_N6thrust23THRUST_200600_302600_NS6detail15normal_iteratorINS9_10device_ptrIfEEEEPS5_jNS1_19radix_merge_compareILb0ELb0EfNS0_19identity_decomposerEEEEE10hipError_tT0_T1_T2_jT3_P12ihipStream_tbPNSt15iterator_traitsISK_E10value_typeEPNSQ_ISL_E10value_typeEPSM_NS1_7vsmem_tEENKUlT_SK_SL_SM_E_clISE_PfSF_SF_EESJ_SZ_SK_SL_SM_EUlSZ_E_NS1_11comp_targetILNS1_3genE9ELNS1_11target_archE1100ELNS1_3gpuE3ELNS1_3repE0EEENS1_48merge_mergepath_partition_config_static_selectorELNS0_4arch9wavefront6targetE0EEEvSL_
	.p2align	8
	.type	_ZN7rocprim17ROCPRIM_400000_NS6detail17trampoline_kernelINS0_14default_configENS1_38merge_sort_block_merge_config_selectorIfNS0_10empty_typeEEEZZNS1_27merge_sort_block_merge_implIS3_N6thrust23THRUST_200600_302600_NS6detail15normal_iteratorINS9_10device_ptrIfEEEEPS5_jNS1_19radix_merge_compareILb0ELb0EfNS0_19identity_decomposerEEEEE10hipError_tT0_T1_T2_jT3_P12ihipStream_tbPNSt15iterator_traitsISK_E10value_typeEPNSQ_ISL_E10value_typeEPSM_NS1_7vsmem_tEENKUlT_SK_SL_SM_E_clISE_PfSF_SF_EESJ_SZ_SK_SL_SM_EUlSZ_E_NS1_11comp_targetILNS1_3genE9ELNS1_11target_archE1100ELNS1_3gpuE3ELNS1_3repE0EEENS1_48merge_mergepath_partition_config_static_selectorELNS0_4arch9wavefront6targetE0EEEvSL_,@function
_ZN7rocprim17ROCPRIM_400000_NS6detail17trampoline_kernelINS0_14default_configENS1_38merge_sort_block_merge_config_selectorIfNS0_10empty_typeEEEZZNS1_27merge_sort_block_merge_implIS3_N6thrust23THRUST_200600_302600_NS6detail15normal_iteratorINS9_10device_ptrIfEEEEPS5_jNS1_19radix_merge_compareILb0ELb0EfNS0_19identity_decomposerEEEEE10hipError_tT0_T1_T2_jT3_P12ihipStream_tbPNSt15iterator_traitsISK_E10value_typeEPNSQ_ISL_E10value_typeEPSM_NS1_7vsmem_tEENKUlT_SK_SL_SM_E_clISE_PfSF_SF_EESJ_SZ_SK_SL_SM_EUlSZ_E_NS1_11comp_targetILNS1_3genE9ELNS1_11target_archE1100ELNS1_3gpuE3ELNS1_3repE0EEENS1_48merge_mergepath_partition_config_static_selectorELNS0_4arch9wavefront6targetE0EEEvSL_: ; @_ZN7rocprim17ROCPRIM_400000_NS6detail17trampoline_kernelINS0_14default_configENS1_38merge_sort_block_merge_config_selectorIfNS0_10empty_typeEEEZZNS1_27merge_sort_block_merge_implIS3_N6thrust23THRUST_200600_302600_NS6detail15normal_iteratorINS9_10device_ptrIfEEEEPS5_jNS1_19radix_merge_compareILb0ELb0EfNS0_19identity_decomposerEEEEE10hipError_tT0_T1_T2_jT3_P12ihipStream_tbPNSt15iterator_traitsISK_E10value_typeEPNSQ_ISL_E10value_typeEPSM_NS1_7vsmem_tEENKUlT_SK_SL_SM_E_clISE_PfSF_SF_EESJ_SZ_SK_SL_SM_EUlSZ_E_NS1_11comp_targetILNS1_3genE9ELNS1_11target_archE1100ELNS1_3gpuE3ELNS1_3repE0EEENS1_48merge_mergepath_partition_config_static_selectorELNS0_4arch9wavefront6targetE0EEEvSL_
; %bb.0:
	.section	.rodata,"a",@progbits
	.p2align	6, 0x0
	.amdhsa_kernel _ZN7rocprim17ROCPRIM_400000_NS6detail17trampoline_kernelINS0_14default_configENS1_38merge_sort_block_merge_config_selectorIfNS0_10empty_typeEEEZZNS1_27merge_sort_block_merge_implIS3_N6thrust23THRUST_200600_302600_NS6detail15normal_iteratorINS9_10device_ptrIfEEEEPS5_jNS1_19radix_merge_compareILb0ELb0EfNS0_19identity_decomposerEEEEE10hipError_tT0_T1_T2_jT3_P12ihipStream_tbPNSt15iterator_traitsISK_E10value_typeEPNSQ_ISL_E10value_typeEPSM_NS1_7vsmem_tEENKUlT_SK_SL_SM_E_clISE_PfSF_SF_EESJ_SZ_SK_SL_SM_EUlSZ_E_NS1_11comp_targetILNS1_3genE9ELNS1_11target_archE1100ELNS1_3gpuE3ELNS1_3repE0EEENS1_48merge_mergepath_partition_config_static_selectorELNS0_4arch9wavefront6targetE0EEEvSL_
		.amdhsa_group_segment_fixed_size 0
		.amdhsa_private_segment_fixed_size 0
		.amdhsa_kernarg_size 40
		.amdhsa_user_sgpr_count 6
		.amdhsa_user_sgpr_private_segment_buffer 1
		.amdhsa_user_sgpr_dispatch_ptr 0
		.amdhsa_user_sgpr_queue_ptr 0
		.amdhsa_user_sgpr_kernarg_segment_ptr 1
		.amdhsa_user_sgpr_dispatch_id 0
		.amdhsa_user_sgpr_flat_scratch_init 0
		.amdhsa_user_sgpr_private_segment_size 0
		.amdhsa_wavefront_size32 1
		.amdhsa_uses_dynamic_stack 0
		.amdhsa_system_sgpr_private_segment_wavefront_offset 0
		.amdhsa_system_sgpr_workgroup_id_x 1
		.amdhsa_system_sgpr_workgroup_id_y 0
		.amdhsa_system_sgpr_workgroup_id_z 0
		.amdhsa_system_sgpr_workgroup_info 0
		.amdhsa_system_vgpr_workitem_id 0
		.amdhsa_next_free_vgpr 1
		.amdhsa_next_free_sgpr 1
		.amdhsa_reserve_vcc 0
		.amdhsa_reserve_flat_scratch 0
		.amdhsa_float_round_mode_32 0
		.amdhsa_float_round_mode_16_64 0
		.amdhsa_float_denorm_mode_32 3
		.amdhsa_float_denorm_mode_16_64 3
		.amdhsa_dx10_clamp 1
		.amdhsa_ieee_mode 1
		.amdhsa_fp16_overflow 0
		.amdhsa_workgroup_processor_mode 1
		.amdhsa_memory_ordered 1
		.amdhsa_forward_progress 1
		.amdhsa_shared_vgpr_count 0
		.amdhsa_exception_fp_ieee_invalid_op 0
		.amdhsa_exception_fp_denorm_src 0
		.amdhsa_exception_fp_ieee_div_zero 0
		.amdhsa_exception_fp_ieee_overflow 0
		.amdhsa_exception_fp_ieee_underflow 0
		.amdhsa_exception_fp_ieee_inexact 0
		.amdhsa_exception_int_div_zero 0
	.end_amdhsa_kernel
	.section	.text._ZN7rocprim17ROCPRIM_400000_NS6detail17trampoline_kernelINS0_14default_configENS1_38merge_sort_block_merge_config_selectorIfNS0_10empty_typeEEEZZNS1_27merge_sort_block_merge_implIS3_N6thrust23THRUST_200600_302600_NS6detail15normal_iteratorINS9_10device_ptrIfEEEEPS5_jNS1_19radix_merge_compareILb0ELb0EfNS0_19identity_decomposerEEEEE10hipError_tT0_T1_T2_jT3_P12ihipStream_tbPNSt15iterator_traitsISK_E10value_typeEPNSQ_ISL_E10value_typeEPSM_NS1_7vsmem_tEENKUlT_SK_SL_SM_E_clISE_PfSF_SF_EESJ_SZ_SK_SL_SM_EUlSZ_E_NS1_11comp_targetILNS1_3genE9ELNS1_11target_archE1100ELNS1_3gpuE3ELNS1_3repE0EEENS1_48merge_mergepath_partition_config_static_selectorELNS0_4arch9wavefront6targetE0EEEvSL_,"axG",@progbits,_ZN7rocprim17ROCPRIM_400000_NS6detail17trampoline_kernelINS0_14default_configENS1_38merge_sort_block_merge_config_selectorIfNS0_10empty_typeEEEZZNS1_27merge_sort_block_merge_implIS3_N6thrust23THRUST_200600_302600_NS6detail15normal_iteratorINS9_10device_ptrIfEEEEPS5_jNS1_19radix_merge_compareILb0ELb0EfNS0_19identity_decomposerEEEEE10hipError_tT0_T1_T2_jT3_P12ihipStream_tbPNSt15iterator_traitsISK_E10value_typeEPNSQ_ISL_E10value_typeEPSM_NS1_7vsmem_tEENKUlT_SK_SL_SM_E_clISE_PfSF_SF_EESJ_SZ_SK_SL_SM_EUlSZ_E_NS1_11comp_targetILNS1_3genE9ELNS1_11target_archE1100ELNS1_3gpuE3ELNS1_3repE0EEENS1_48merge_mergepath_partition_config_static_selectorELNS0_4arch9wavefront6targetE0EEEvSL_,comdat
.Lfunc_end505:
	.size	_ZN7rocprim17ROCPRIM_400000_NS6detail17trampoline_kernelINS0_14default_configENS1_38merge_sort_block_merge_config_selectorIfNS0_10empty_typeEEEZZNS1_27merge_sort_block_merge_implIS3_N6thrust23THRUST_200600_302600_NS6detail15normal_iteratorINS9_10device_ptrIfEEEEPS5_jNS1_19radix_merge_compareILb0ELb0EfNS0_19identity_decomposerEEEEE10hipError_tT0_T1_T2_jT3_P12ihipStream_tbPNSt15iterator_traitsISK_E10value_typeEPNSQ_ISL_E10value_typeEPSM_NS1_7vsmem_tEENKUlT_SK_SL_SM_E_clISE_PfSF_SF_EESJ_SZ_SK_SL_SM_EUlSZ_E_NS1_11comp_targetILNS1_3genE9ELNS1_11target_archE1100ELNS1_3gpuE3ELNS1_3repE0EEENS1_48merge_mergepath_partition_config_static_selectorELNS0_4arch9wavefront6targetE0EEEvSL_, .Lfunc_end505-_ZN7rocprim17ROCPRIM_400000_NS6detail17trampoline_kernelINS0_14default_configENS1_38merge_sort_block_merge_config_selectorIfNS0_10empty_typeEEEZZNS1_27merge_sort_block_merge_implIS3_N6thrust23THRUST_200600_302600_NS6detail15normal_iteratorINS9_10device_ptrIfEEEEPS5_jNS1_19radix_merge_compareILb0ELb0EfNS0_19identity_decomposerEEEEE10hipError_tT0_T1_T2_jT3_P12ihipStream_tbPNSt15iterator_traitsISK_E10value_typeEPNSQ_ISL_E10value_typeEPSM_NS1_7vsmem_tEENKUlT_SK_SL_SM_E_clISE_PfSF_SF_EESJ_SZ_SK_SL_SM_EUlSZ_E_NS1_11comp_targetILNS1_3genE9ELNS1_11target_archE1100ELNS1_3gpuE3ELNS1_3repE0EEENS1_48merge_mergepath_partition_config_static_selectorELNS0_4arch9wavefront6targetE0EEEvSL_
                                        ; -- End function
	.set _ZN7rocprim17ROCPRIM_400000_NS6detail17trampoline_kernelINS0_14default_configENS1_38merge_sort_block_merge_config_selectorIfNS0_10empty_typeEEEZZNS1_27merge_sort_block_merge_implIS3_N6thrust23THRUST_200600_302600_NS6detail15normal_iteratorINS9_10device_ptrIfEEEEPS5_jNS1_19radix_merge_compareILb0ELb0EfNS0_19identity_decomposerEEEEE10hipError_tT0_T1_T2_jT3_P12ihipStream_tbPNSt15iterator_traitsISK_E10value_typeEPNSQ_ISL_E10value_typeEPSM_NS1_7vsmem_tEENKUlT_SK_SL_SM_E_clISE_PfSF_SF_EESJ_SZ_SK_SL_SM_EUlSZ_E_NS1_11comp_targetILNS1_3genE9ELNS1_11target_archE1100ELNS1_3gpuE3ELNS1_3repE0EEENS1_48merge_mergepath_partition_config_static_selectorELNS0_4arch9wavefront6targetE0EEEvSL_.num_vgpr, 0
	.set _ZN7rocprim17ROCPRIM_400000_NS6detail17trampoline_kernelINS0_14default_configENS1_38merge_sort_block_merge_config_selectorIfNS0_10empty_typeEEEZZNS1_27merge_sort_block_merge_implIS3_N6thrust23THRUST_200600_302600_NS6detail15normal_iteratorINS9_10device_ptrIfEEEEPS5_jNS1_19radix_merge_compareILb0ELb0EfNS0_19identity_decomposerEEEEE10hipError_tT0_T1_T2_jT3_P12ihipStream_tbPNSt15iterator_traitsISK_E10value_typeEPNSQ_ISL_E10value_typeEPSM_NS1_7vsmem_tEENKUlT_SK_SL_SM_E_clISE_PfSF_SF_EESJ_SZ_SK_SL_SM_EUlSZ_E_NS1_11comp_targetILNS1_3genE9ELNS1_11target_archE1100ELNS1_3gpuE3ELNS1_3repE0EEENS1_48merge_mergepath_partition_config_static_selectorELNS0_4arch9wavefront6targetE0EEEvSL_.num_agpr, 0
	.set _ZN7rocprim17ROCPRIM_400000_NS6detail17trampoline_kernelINS0_14default_configENS1_38merge_sort_block_merge_config_selectorIfNS0_10empty_typeEEEZZNS1_27merge_sort_block_merge_implIS3_N6thrust23THRUST_200600_302600_NS6detail15normal_iteratorINS9_10device_ptrIfEEEEPS5_jNS1_19radix_merge_compareILb0ELb0EfNS0_19identity_decomposerEEEEE10hipError_tT0_T1_T2_jT3_P12ihipStream_tbPNSt15iterator_traitsISK_E10value_typeEPNSQ_ISL_E10value_typeEPSM_NS1_7vsmem_tEENKUlT_SK_SL_SM_E_clISE_PfSF_SF_EESJ_SZ_SK_SL_SM_EUlSZ_E_NS1_11comp_targetILNS1_3genE9ELNS1_11target_archE1100ELNS1_3gpuE3ELNS1_3repE0EEENS1_48merge_mergepath_partition_config_static_selectorELNS0_4arch9wavefront6targetE0EEEvSL_.numbered_sgpr, 0
	.set _ZN7rocprim17ROCPRIM_400000_NS6detail17trampoline_kernelINS0_14default_configENS1_38merge_sort_block_merge_config_selectorIfNS0_10empty_typeEEEZZNS1_27merge_sort_block_merge_implIS3_N6thrust23THRUST_200600_302600_NS6detail15normal_iteratorINS9_10device_ptrIfEEEEPS5_jNS1_19radix_merge_compareILb0ELb0EfNS0_19identity_decomposerEEEEE10hipError_tT0_T1_T2_jT3_P12ihipStream_tbPNSt15iterator_traitsISK_E10value_typeEPNSQ_ISL_E10value_typeEPSM_NS1_7vsmem_tEENKUlT_SK_SL_SM_E_clISE_PfSF_SF_EESJ_SZ_SK_SL_SM_EUlSZ_E_NS1_11comp_targetILNS1_3genE9ELNS1_11target_archE1100ELNS1_3gpuE3ELNS1_3repE0EEENS1_48merge_mergepath_partition_config_static_selectorELNS0_4arch9wavefront6targetE0EEEvSL_.num_named_barrier, 0
	.set _ZN7rocprim17ROCPRIM_400000_NS6detail17trampoline_kernelINS0_14default_configENS1_38merge_sort_block_merge_config_selectorIfNS0_10empty_typeEEEZZNS1_27merge_sort_block_merge_implIS3_N6thrust23THRUST_200600_302600_NS6detail15normal_iteratorINS9_10device_ptrIfEEEEPS5_jNS1_19radix_merge_compareILb0ELb0EfNS0_19identity_decomposerEEEEE10hipError_tT0_T1_T2_jT3_P12ihipStream_tbPNSt15iterator_traitsISK_E10value_typeEPNSQ_ISL_E10value_typeEPSM_NS1_7vsmem_tEENKUlT_SK_SL_SM_E_clISE_PfSF_SF_EESJ_SZ_SK_SL_SM_EUlSZ_E_NS1_11comp_targetILNS1_3genE9ELNS1_11target_archE1100ELNS1_3gpuE3ELNS1_3repE0EEENS1_48merge_mergepath_partition_config_static_selectorELNS0_4arch9wavefront6targetE0EEEvSL_.private_seg_size, 0
	.set _ZN7rocprim17ROCPRIM_400000_NS6detail17trampoline_kernelINS0_14default_configENS1_38merge_sort_block_merge_config_selectorIfNS0_10empty_typeEEEZZNS1_27merge_sort_block_merge_implIS3_N6thrust23THRUST_200600_302600_NS6detail15normal_iteratorINS9_10device_ptrIfEEEEPS5_jNS1_19radix_merge_compareILb0ELb0EfNS0_19identity_decomposerEEEEE10hipError_tT0_T1_T2_jT3_P12ihipStream_tbPNSt15iterator_traitsISK_E10value_typeEPNSQ_ISL_E10value_typeEPSM_NS1_7vsmem_tEENKUlT_SK_SL_SM_E_clISE_PfSF_SF_EESJ_SZ_SK_SL_SM_EUlSZ_E_NS1_11comp_targetILNS1_3genE9ELNS1_11target_archE1100ELNS1_3gpuE3ELNS1_3repE0EEENS1_48merge_mergepath_partition_config_static_selectorELNS0_4arch9wavefront6targetE0EEEvSL_.uses_vcc, 0
	.set _ZN7rocprim17ROCPRIM_400000_NS6detail17trampoline_kernelINS0_14default_configENS1_38merge_sort_block_merge_config_selectorIfNS0_10empty_typeEEEZZNS1_27merge_sort_block_merge_implIS3_N6thrust23THRUST_200600_302600_NS6detail15normal_iteratorINS9_10device_ptrIfEEEEPS5_jNS1_19radix_merge_compareILb0ELb0EfNS0_19identity_decomposerEEEEE10hipError_tT0_T1_T2_jT3_P12ihipStream_tbPNSt15iterator_traitsISK_E10value_typeEPNSQ_ISL_E10value_typeEPSM_NS1_7vsmem_tEENKUlT_SK_SL_SM_E_clISE_PfSF_SF_EESJ_SZ_SK_SL_SM_EUlSZ_E_NS1_11comp_targetILNS1_3genE9ELNS1_11target_archE1100ELNS1_3gpuE3ELNS1_3repE0EEENS1_48merge_mergepath_partition_config_static_selectorELNS0_4arch9wavefront6targetE0EEEvSL_.uses_flat_scratch, 0
	.set _ZN7rocprim17ROCPRIM_400000_NS6detail17trampoline_kernelINS0_14default_configENS1_38merge_sort_block_merge_config_selectorIfNS0_10empty_typeEEEZZNS1_27merge_sort_block_merge_implIS3_N6thrust23THRUST_200600_302600_NS6detail15normal_iteratorINS9_10device_ptrIfEEEEPS5_jNS1_19radix_merge_compareILb0ELb0EfNS0_19identity_decomposerEEEEE10hipError_tT0_T1_T2_jT3_P12ihipStream_tbPNSt15iterator_traitsISK_E10value_typeEPNSQ_ISL_E10value_typeEPSM_NS1_7vsmem_tEENKUlT_SK_SL_SM_E_clISE_PfSF_SF_EESJ_SZ_SK_SL_SM_EUlSZ_E_NS1_11comp_targetILNS1_3genE9ELNS1_11target_archE1100ELNS1_3gpuE3ELNS1_3repE0EEENS1_48merge_mergepath_partition_config_static_selectorELNS0_4arch9wavefront6targetE0EEEvSL_.has_dyn_sized_stack, 0
	.set _ZN7rocprim17ROCPRIM_400000_NS6detail17trampoline_kernelINS0_14default_configENS1_38merge_sort_block_merge_config_selectorIfNS0_10empty_typeEEEZZNS1_27merge_sort_block_merge_implIS3_N6thrust23THRUST_200600_302600_NS6detail15normal_iteratorINS9_10device_ptrIfEEEEPS5_jNS1_19radix_merge_compareILb0ELb0EfNS0_19identity_decomposerEEEEE10hipError_tT0_T1_T2_jT3_P12ihipStream_tbPNSt15iterator_traitsISK_E10value_typeEPNSQ_ISL_E10value_typeEPSM_NS1_7vsmem_tEENKUlT_SK_SL_SM_E_clISE_PfSF_SF_EESJ_SZ_SK_SL_SM_EUlSZ_E_NS1_11comp_targetILNS1_3genE9ELNS1_11target_archE1100ELNS1_3gpuE3ELNS1_3repE0EEENS1_48merge_mergepath_partition_config_static_selectorELNS0_4arch9wavefront6targetE0EEEvSL_.has_recursion, 0
	.set _ZN7rocprim17ROCPRIM_400000_NS6detail17trampoline_kernelINS0_14default_configENS1_38merge_sort_block_merge_config_selectorIfNS0_10empty_typeEEEZZNS1_27merge_sort_block_merge_implIS3_N6thrust23THRUST_200600_302600_NS6detail15normal_iteratorINS9_10device_ptrIfEEEEPS5_jNS1_19radix_merge_compareILb0ELb0EfNS0_19identity_decomposerEEEEE10hipError_tT0_T1_T2_jT3_P12ihipStream_tbPNSt15iterator_traitsISK_E10value_typeEPNSQ_ISL_E10value_typeEPSM_NS1_7vsmem_tEENKUlT_SK_SL_SM_E_clISE_PfSF_SF_EESJ_SZ_SK_SL_SM_EUlSZ_E_NS1_11comp_targetILNS1_3genE9ELNS1_11target_archE1100ELNS1_3gpuE3ELNS1_3repE0EEENS1_48merge_mergepath_partition_config_static_selectorELNS0_4arch9wavefront6targetE0EEEvSL_.has_indirect_call, 0
	.section	.AMDGPU.csdata,"",@progbits
; Kernel info:
; codeLenInByte = 0
; TotalNumSgprs: 0
; NumVgprs: 0
; ScratchSize: 0
; MemoryBound: 0
; FloatMode: 240
; IeeeMode: 1
; LDSByteSize: 0 bytes/workgroup (compile time only)
; SGPRBlocks: 0
; VGPRBlocks: 0
; NumSGPRsForWavesPerEU: 1
; NumVGPRsForWavesPerEU: 1
; Occupancy: 16
; WaveLimiterHint : 0
; COMPUTE_PGM_RSRC2:SCRATCH_EN: 0
; COMPUTE_PGM_RSRC2:USER_SGPR: 6
; COMPUTE_PGM_RSRC2:TRAP_HANDLER: 0
; COMPUTE_PGM_RSRC2:TGID_X_EN: 1
; COMPUTE_PGM_RSRC2:TGID_Y_EN: 0
; COMPUTE_PGM_RSRC2:TGID_Z_EN: 0
; COMPUTE_PGM_RSRC2:TIDIG_COMP_CNT: 0
	.section	.text._ZN7rocprim17ROCPRIM_400000_NS6detail17trampoline_kernelINS0_14default_configENS1_38merge_sort_block_merge_config_selectorIfNS0_10empty_typeEEEZZNS1_27merge_sort_block_merge_implIS3_N6thrust23THRUST_200600_302600_NS6detail15normal_iteratorINS9_10device_ptrIfEEEEPS5_jNS1_19radix_merge_compareILb0ELb0EfNS0_19identity_decomposerEEEEE10hipError_tT0_T1_T2_jT3_P12ihipStream_tbPNSt15iterator_traitsISK_E10value_typeEPNSQ_ISL_E10value_typeEPSM_NS1_7vsmem_tEENKUlT_SK_SL_SM_E_clISE_PfSF_SF_EESJ_SZ_SK_SL_SM_EUlSZ_E_NS1_11comp_targetILNS1_3genE8ELNS1_11target_archE1030ELNS1_3gpuE2ELNS1_3repE0EEENS1_48merge_mergepath_partition_config_static_selectorELNS0_4arch9wavefront6targetE0EEEvSL_,"axG",@progbits,_ZN7rocprim17ROCPRIM_400000_NS6detail17trampoline_kernelINS0_14default_configENS1_38merge_sort_block_merge_config_selectorIfNS0_10empty_typeEEEZZNS1_27merge_sort_block_merge_implIS3_N6thrust23THRUST_200600_302600_NS6detail15normal_iteratorINS9_10device_ptrIfEEEEPS5_jNS1_19radix_merge_compareILb0ELb0EfNS0_19identity_decomposerEEEEE10hipError_tT0_T1_T2_jT3_P12ihipStream_tbPNSt15iterator_traitsISK_E10value_typeEPNSQ_ISL_E10value_typeEPSM_NS1_7vsmem_tEENKUlT_SK_SL_SM_E_clISE_PfSF_SF_EESJ_SZ_SK_SL_SM_EUlSZ_E_NS1_11comp_targetILNS1_3genE8ELNS1_11target_archE1030ELNS1_3gpuE2ELNS1_3repE0EEENS1_48merge_mergepath_partition_config_static_selectorELNS0_4arch9wavefront6targetE0EEEvSL_,comdat
	.protected	_ZN7rocprim17ROCPRIM_400000_NS6detail17trampoline_kernelINS0_14default_configENS1_38merge_sort_block_merge_config_selectorIfNS0_10empty_typeEEEZZNS1_27merge_sort_block_merge_implIS3_N6thrust23THRUST_200600_302600_NS6detail15normal_iteratorINS9_10device_ptrIfEEEEPS5_jNS1_19radix_merge_compareILb0ELb0EfNS0_19identity_decomposerEEEEE10hipError_tT0_T1_T2_jT3_P12ihipStream_tbPNSt15iterator_traitsISK_E10value_typeEPNSQ_ISL_E10value_typeEPSM_NS1_7vsmem_tEENKUlT_SK_SL_SM_E_clISE_PfSF_SF_EESJ_SZ_SK_SL_SM_EUlSZ_E_NS1_11comp_targetILNS1_3genE8ELNS1_11target_archE1030ELNS1_3gpuE2ELNS1_3repE0EEENS1_48merge_mergepath_partition_config_static_selectorELNS0_4arch9wavefront6targetE0EEEvSL_ ; -- Begin function _ZN7rocprim17ROCPRIM_400000_NS6detail17trampoline_kernelINS0_14default_configENS1_38merge_sort_block_merge_config_selectorIfNS0_10empty_typeEEEZZNS1_27merge_sort_block_merge_implIS3_N6thrust23THRUST_200600_302600_NS6detail15normal_iteratorINS9_10device_ptrIfEEEEPS5_jNS1_19radix_merge_compareILb0ELb0EfNS0_19identity_decomposerEEEEE10hipError_tT0_T1_T2_jT3_P12ihipStream_tbPNSt15iterator_traitsISK_E10value_typeEPNSQ_ISL_E10value_typeEPSM_NS1_7vsmem_tEENKUlT_SK_SL_SM_E_clISE_PfSF_SF_EESJ_SZ_SK_SL_SM_EUlSZ_E_NS1_11comp_targetILNS1_3genE8ELNS1_11target_archE1030ELNS1_3gpuE2ELNS1_3repE0EEENS1_48merge_mergepath_partition_config_static_selectorELNS0_4arch9wavefront6targetE0EEEvSL_
	.globl	_ZN7rocprim17ROCPRIM_400000_NS6detail17trampoline_kernelINS0_14default_configENS1_38merge_sort_block_merge_config_selectorIfNS0_10empty_typeEEEZZNS1_27merge_sort_block_merge_implIS3_N6thrust23THRUST_200600_302600_NS6detail15normal_iteratorINS9_10device_ptrIfEEEEPS5_jNS1_19radix_merge_compareILb0ELb0EfNS0_19identity_decomposerEEEEE10hipError_tT0_T1_T2_jT3_P12ihipStream_tbPNSt15iterator_traitsISK_E10value_typeEPNSQ_ISL_E10value_typeEPSM_NS1_7vsmem_tEENKUlT_SK_SL_SM_E_clISE_PfSF_SF_EESJ_SZ_SK_SL_SM_EUlSZ_E_NS1_11comp_targetILNS1_3genE8ELNS1_11target_archE1030ELNS1_3gpuE2ELNS1_3repE0EEENS1_48merge_mergepath_partition_config_static_selectorELNS0_4arch9wavefront6targetE0EEEvSL_
	.p2align	8
	.type	_ZN7rocprim17ROCPRIM_400000_NS6detail17trampoline_kernelINS0_14default_configENS1_38merge_sort_block_merge_config_selectorIfNS0_10empty_typeEEEZZNS1_27merge_sort_block_merge_implIS3_N6thrust23THRUST_200600_302600_NS6detail15normal_iteratorINS9_10device_ptrIfEEEEPS5_jNS1_19radix_merge_compareILb0ELb0EfNS0_19identity_decomposerEEEEE10hipError_tT0_T1_T2_jT3_P12ihipStream_tbPNSt15iterator_traitsISK_E10value_typeEPNSQ_ISL_E10value_typeEPSM_NS1_7vsmem_tEENKUlT_SK_SL_SM_E_clISE_PfSF_SF_EESJ_SZ_SK_SL_SM_EUlSZ_E_NS1_11comp_targetILNS1_3genE8ELNS1_11target_archE1030ELNS1_3gpuE2ELNS1_3repE0EEENS1_48merge_mergepath_partition_config_static_selectorELNS0_4arch9wavefront6targetE0EEEvSL_,@function
_ZN7rocprim17ROCPRIM_400000_NS6detail17trampoline_kernelINS0_14default_configENS1_38merge_sort_block_merge_config_selectorIfNS0_10empty_typeEEEZZNS1_27merge_sort_block_merge_implIS3_N6thrust23THRUST_200600_302600_NS6detail15normal_iteratorINS9_10device_ptrIfEEEEPS5_jNS1_19radix_merge_compareILb0ELb0EfNS0_19identity_decomposerEEEEE10hipError_tT0_T1_T2_jT3_P12ihipStream_tbPNSt15iterator_traitsISK_E10value_typeEPNSQ_ISL_E10value_typeEPSM_NS1_7vsmem_tEENKUlT_SK_SL_SM_E_clISE_PfSF_SF_EESJ_SZ_SK_SL_SM_EUlSZ_E_NS1_11comp_targetILNS1_3genE8ELNS1_11target_archE1030ELNS1_3gpuE2ELNS1_3repE0EEENS1_48merge_mergepath_partition_config_static_selectorELNS0_4arch9wavefront6targetE0EEEvSL_: ; @_ZN7rocprim17ROCPRIM_400000_NS6detail17trampoline_kernelINS0_14default_configENS1_38merge_sort_block_merge_config_selectorIfNS0_10empty_typeEEEZZNS1_27merge_sort_block_merge_implIS3_N6thrust23THRUST_200600_302600_NS6detail15normal_iteratorINS9_10device_ptrIfEEEEPS5_jNS1_19radix_merge_compareILb0ELb0EfNS0_19identity_decomposerEEEEE10hipError_tT0_T1_T2_jT3_P12ihipStream_tbPNSt15iterator_traitsISK_E10value_typeEPNSQ_ISL_E10value_typeEPSM_NS1_7vsmem_tEENKUlT_SK_SL_SM_E_clISE_PfSF_SF_EESJ_SZ_SK_SL_SM_EUlSZ_E_NS1_11comp_targetILNS1_3genE8ELNS1_11target_archE1030ELNS1_3gpuE2ELNS1_3repE0EEENS1_48merge_mergepath_partition_config_static_selectorELNS0_4arch9wavefront6targetE0EEEvSL_
; %bb.0:
	s_load_dword s0, s[4:5], 0x0
	v_lshl_or_b32 v0, s6, 7, v0
	s_waitcnt lgkmcnt(0)
	v_cmp_gt_u32_e32 vcc_lo, s0, v0
	s_and_saveexec_b32 s0, vcc_lo
	s_cbranch_execz .LBB506_6
; %bb.1:
	s_load_dwordx2 s[0:1], s[4:5], 0x4
	s_waitcnt lgkmcnt(0)
	s_lshr_b32 s2, s0, 9
	s_and_b32 s2, s2, 0x7ffffe
	s_sub_i32 s3, 0, s2
	s_add_i32 s2, s2, -1
	v_and_b32_e32 v1, s3, v0
	v_and_b32_e32 v5, s2, v0
	s_mov_b32 s3, 0
	s_mov_b32 s2, exec_lo
	v_lshlrev_b32_e32 v1, 10, v1
	v_add_nc_u32_e32 v2, s0, v1
	v_min_u32_e32 v4, s1, v2
	v_min_u32_e32 v2, s1, v1
	v_add_nc_u32_e32 v3, s0, v4
	v_min_u32_e32 v1, s1, v3
	s_load_dwordx2 s[0:1], s[4:5], 0x20
	v_lshlrev_b32_e32 v3, 10, v5
	v_sub_nc_u32_e32 v5, v1, v2
	v_sub_nc_u32_e32 v6, v1, v4
	v_min_u32_e32 v1, v5, v3
	v_sub_nc_u32_e32 v3, v4, v2
	v_sub_nc_u32_e64 v6, v1, v6 clamp
	v_min_u32_e32 v7, v1, v3
	v_cmpx_lt_u32_e64 v6, v7
	s_cbranch_execz .LBB506_5
; %bb.2:
	s_load_dwordx2 s[4:5], s[4:5], 0x10
	v_mov_b32_e32 v5, 0
	v_mov_b32_e32 v3, v5
	v_lshlrev_b64 v[10:11], 2, v[4:5]
	v_lshlrev_b64 v[8:9], 2, v[2:3]
	s_waitcnt lgkmcnt(0)
	v_add_co_u32 v3, vcc_lo, s4, v8
	v_add_co_ci_u32_e64 v8, null, s5, v9, vcc_lo
	v_add_co_u32 v9, vcc_lo, s4, v10
	v_add_co_ci_u32_e64 v10, null, s5, v11, vcc_lo
	s_inst_prefetch 0x1
	.p2align	6
.LBB506_3:                              ; =>This Inner Loop Header: Depth=1
	v_add_nc_u32_e32 v4, v7, v6
	v_mov_b32_e32 v12, v5
	v_lshrrev_b32_e32 v4, 1, v4
	v_xad_u32 v11, v4, -1, v1
	v_lshlrev_b64 v[13:14], 2, v[4:5]
	v_lshlrev_b64 v[11:12], 2, v[11:12]
	v_add_co_u32 v13, vcc_lo, v3, v13
	v_add_co_ci_u32_e64 v14, null, v8, v14, vcc_lo
	v_add_co_u32 v11, vcc_lo, v9, v11
	v_add_co_ci_u32_e64 v12, null, v10, v12, vcc_lo
	s_clause 0x1
	flat_load_dword v13, v[13:14]
	flat_load_dword v11, v[11:12]
	s_waitcnt vmcnt(1) lgkmcnt(1)
	v_add_f32_e32 v12, 0, v13
	s_waitcnt vmcnt(0) lgkmcnt(0)
	v_add_f32_e32 v11, 0, v11
	v_ashrrev_i32_e32 v13, 31, v12
	v_ashrrev_i32_e32 v14, 31, v11
	v_or_b32_e32 v13, 0x80000000, v13
	v_or_b32_e32 v14, 0x80000000, v14
	v_xor_b32_e32 v12, v13, v12
	v_xor_b32_e32 v11, v14, v11
	v_add_nc_u32_e32 v13, 1, v4
	v_cmp_gt_u32_e32 vcc_lo, v12, v11
	v_cndmask_b32_e32 v7, v7, v4, vcc_lo
	v_cndmask_b32_e32 v6, v13, v6, vcc_lo
	v_cmp_ge_u32_e32 vcc_lo, v6, v7
	s_or_b32 s3, vcc_lo, s3
	s_andn2_b32 exec_lo, exec_lo, s3
	s_cbranch_execnz .LBB506_3
; %bb.4:
	s_inst_prefetch 0x2
	s_or_b32 exec_lo, exec_lo, s3
.LBB506_5:
	s_or_b32 exec_lo, exec_lo, s2
	v_mov_b32_e32 v1, 0
	v_add_nc_u32_e32 v2, v6, v2
	v_lshlrev_b64 v[0:1], 2, v[0:1]
	s_waitcnt lgkmcnt(0)
	v_add_co_u32 v0, vcc_lo, s0, v0
	v_add_co_ci_u32_e64 v1, null, s1, v1, vcc_lo
	global_store_dword v[0:1], v2, off
.LBB506_6:
	s_endpgm
	.section	.rodata,"a",@progbits
	.p2align	6, 0x0
	.amdhsa_kernel _ZN7rocprim17ROCPRIM_400000_NS6detail17trampoline_kernelINS0_14default_configENS1_38merge_sort_block_merge_config_selectorIfNS0_10empty_typeEEEZZNS1_27merge_sort_block_merge_implIS3_N6thrust23THRUST_200600_302600_NS6detail15normal_iteratorINS9_10device_ptrIfEEEEPS5_jNS1_19radix_merge_compareILb0ELb0EfNS0_19identity_decomposerEEEEE10hipError_tT0_T1_T2_jT3_P12ihipStream_tbPNSt15iterator_traitsISK_E10value_typeEPNSQ_ISL_E10value_typeEPSM_NS1_7vsmem_tEENKUlT_SK_SL_SM_E_clISE_PfSF_SF_EESJ_SZ_SK_SL_SM_EUlSZ_E_NS1_11comp_targetILNS1_3genE8ELNS1_11target_archE1030ELNS1_3gpuE2ELNS1_3repE0EEENS1_48merge_mergepath_partition_config_static_selectorELNS0_4arch9wavefront6targetE0EEEvSL_
		.amdhsa_group_segment_fixed_size 0
		.amdhsa_private_segment_fixed_size 0
		.amdhsa_kernarg_size 40
		.amdhsa_user_sgpr_count 6
		.amdhsa_user_sgpr_private_segment_buffer 1
		.amdhsa_user_sgpr_dispatch_ptr 0
		.amdhsa_user_sgpr_queue_ptr 0
		.amdhsa_user_sgpr_kernarg_segment_ptr 1
		.amdhsa_user_sgpr_dispatch_id 0
		.amdhsa_user_sgpr_flat_scratch_init 0
		.amdhsa_user_sgpr_private_segment_size 0
		.amdhsa_wavefront_size32 1
		.amdhsa_uses_dynamic_stack 0
		.amdhsa_system_sgpr_private_segment_wavefront_offset 0
		.amdhsa_system_sgpr_workgroup_id_x 1
		.amdhsa_system_sgpr_workgroup_id_y 0
		.amdhsa_system_sgpr_workgroup_id_z 0
		.amdhsa_system_sgpr_workgroup_info 0
		.amdhsa_system_vgpr_workitem_id 0
		.amdhsa_next_free_vgpr 15
		.amdhsa_next_free_sgpr 7
		.amdhsa_reserve_vcc 1
		.amdhsa_reserve_flat_scratch 1
		.amdhsa_float_round_mode_32 0
		.amdhsa_float_round_mode_16_64 0
		.amdhsa_float_denorm_mode_32 3
		.amdhsa_float_denorm_mode_16_64 3
		.amdhsa_dx10_clamp 1
		.amdhsa_ieee_mode 1
		.amdhsa_fp16_overflow 0
		.amdhsa_workgroup_processor_mode 1
		.amdhsa_memory_ordered 1
		.amdhsa_forward_progress 1
		.amdhsa_shared_vgpr_count 0
		.amdhsa_exception_fp_ieee_invalid_op 0
		.amdhsa_exception_fp_denorm_src 0
		.amdhsa_exception_fp_ieee_div_zero 0
		.amdhsa_exception_fp_ieee_overflow 0
		.amdhsa_exception_fp_ieee_underflow 0
		.amdhsa_exception_fp_ieee_inexact 0
		.amdhsa_exception_int_div_zero 0
	.end_amdhsa_kernel
	.section	.text._ZN7rocprim17ROCPRIM_400000_NS6detail17trampoline_kernelINS0_14default_configENS1_38merge_sort_block_merge_config_selectorIfNS0_10empty_typeEEEZZNS1_27merge_sort_block_merge_implIS3_N6thrust23THRUST_200600_302600_NS6detail15normal_iteratorINS9_10device_ptrIfEEEEPS5_jNS1_19radix_merge_compareILb0ELb0EfNS0_19identity_decomposerEEEEE10hipError_tT0_T1_T2_jT3_P12ihipStream_tbPNSt15iterator_traitsISK_E10value_typeEPNSQ_ISL_E10value_typeEPSM_NS1_7vsmem_tEENKUlT_SK_SL_SM_E_clISE_PfSF_SF_EESJ_SZ_SK_SL_SM_EUlSZ_E_NS1_11comp_targetILNS1_3genE8ELNS1_11target_archE1030ELNS1_3gpuE2ELNS1_3repE0EEENS1_48merge_mergepath_partition_config_static_selectorELNS0_4arch9wavefront6targetE0EEEvSL_,"axG",@progbits,_ZN7rocprim17ROCPRIM_400000_NS6detail17trampoline_kernelINS0_14default_configENS1_38merge_sort_block_merge_config_selectorIfNS0_10empty_typeEEEZZNS1_27merge_sort_block_merge_implIS3_N6thrust23THRUST_200600_302600_NS6detail15normal_iteratorINS9_10device_ptrIfEEEEPS5_jNS1_19radix_merge_compareILb0ELb0EfNS0_19identity_decomposerEEEEE10hipError_tT0_T1_T2_jT3_P12ihipStream_tbPNSt15iterator_traitsISK_E10value_typeEPNSQ_ISL_E10value_typeEPSM_NS1_7vsmem_tEENKUlT_SK_SL_SM_E_clISE_PfSF_SF_EESJ_SZ_SK_SL_SM_EUlSZ_E_NS1_11comp_targetILNS1_3genE8ELNS1_11target_archE1030ELNS1_3gpuE2ELNS1_3repE0EEENS1_48merge_mergepath_partition_config_static_selectorELNS0_4arch9wavefront6targetE0EEEvSL_,comdat
.Lfunc_end506:
	.size	_ZN7rocprim17ROCPRIM_400000_NS6detail17trampoline_kernelINS0_14default_configENS1_38merge_sort_block_merge_config_selectorIfNS0_10empty_typeEEEZZNS1_27merge_sort_block_merge_implIS3_N6thrust23THRUST_200600_302600_NS6detail15normal_iteratorINS9_10device_ptrIfEEEEPS5_jNS1_19radix_merge_compareILb0ELb0EfNS0_19identity_decomposerEEEEE10hipError_tT0_T1_T2_jT3_P12ihipStream_tbPNSt15iterator_traitsISK_E10value_typeEPNSQ_ISL_E10value_typeEPSM_NS1_7vsmem_tEENKUlT_SK_SL_SM_E_clISE_PfSF_SF_EESJ_SZ_SK_SL_SM_EUlSZ_E_NS1_11comp_targetILNS1_3genE8ELNS1_11target_archE1030ELNS1_3gpuE2ELNS1_3repE0EEENS1_48merge_mergepath_partition_config_static_selectorELNS0_4arch9wavefront6targetE0EEEvSL_, .Lfunc_end506-_ZN7rocprim17ROCPRIM_400000_NS6detail17trampoline_kernelINS0_14default_configENS1_38merge_sort_block_merge_config_selectorIfNS0_10empty_typeEEEZZNS1_27merge_sort_block_merge_implIS3_N6thrust23THRUST_200600_302600_NS6detail15normal_iteratorINS9_10device_ptrIfEEEEPS5_jNS1_19radix_merge_compareILb0ELb0EfNS0_19identity_decomposerEEEEE10hipError_tT0_T1_T2_jT3_P12ihipStream_tbPNSt15iterator_traitsISK_E10value_typeEPNSQ_ISL_E10value_typeEPSM_NS1_7vsmem_tEENKUlT_SK_SL_SM_E_clISE_PfSF_SF_EESJ_SZ_SK_SL_SM_EUlSZ_E_NS1_11comp_targetILNS1_3genE8ELNS1_11target_archE1030ELNS1_3gpuE2ELNS1_3repE0EEENS1_48merge_mergepath_partition_config_static_selectorELNS0_4arch9wavefront6targetE0EEEvSL_
                                        ; -- End function
	.set _ZN7rocprim17ROCPRIM_400000_NS6detail17trampoline_kernelINS0_14default_configENS1_38merge_sort_block_merge_config_selectorIfNS0_10empty_typeEEEZZNS1_27merge_sort_block_merge_implIS3_N6thrust23THRUST_200600_302600_NS6detail15normal_iteratorINS9_10device_ptrIfEEEEPS5_jNS1_19radix_merge_compareILb0ELb0EfNS0_19identity_decomposerEEEEE10hipError_tT0_T1_T2_jT3_P12ihipStream_tbPNSt15iterator_traitsISK_E10value_typeEPNSQ_ISL_E10value_typeEPSM_NS1_7vsmem_tEENKUlT_SK_SL_SM_E_clISE_PfSF_SF_EESJ_SZ_SK_SL_SM_EUlSZ_E_NS1_11comp_targetILNS1_3genE8ELNS1_11target_archE1030ELNS1_3gpuE2ELNS1_3repE0EEENS1_48merge_mergepath_partition_config_static_selectorELNS0_4arch9wavefront6targetE0EEEvSL_.num_vgpr, 15
	.set _ZN7rocprim17ROCPRIM_400000_NS6detail17trampoline_kernelINS0_14default_configENS1_38merge_sort_block_merge_config_selectorIfNS0_10empty_typeEEEZZNS1_27merge_sort_block_merge_implIS3_N6thrust23THRUST_200600_302600_NS6detail15normal_iteratorINS9_10device_ptrIfEEEEPS5_jNS1_19radix_merge_compareILb0ELb0EfNS0_19identity_decomposerEEEEE10hipError_tT0_T1_T2_jT3_P12ihipStream_tbPNSt15iterator_traitsISK_E10value_typeEPNSQ_ISL_E10value_typeEPSM_NS1_7vsmem_tEENKUlT_SK_SL_SM_E_clISE_PfSF_SF_EESJ_SZ_SK_SL_SM_EUlSZ_E_NS1_11comp_targetILNS1_3genE8ELNS1_11target_archE1030ELNS1_3gpuE2ELNS1_3repE0EEENS1_48merge_mergepath_partition_config_static_selectorELNS0_4arch9wavefront6targetE0EEEvSL_.num_agpr, 0
	.set _ZN7rocprim17ROCPRIM_400000_NS6detail17trampoline_kernelINS0_14default_configENS1_38merge_sort_block_merge_config_selectorIfNS0_10empty_typeEEEZZNS1_27merge_sort_block_merge_implIS3_N6thrust23THRUST_200600_302600_NS6detail15normal_iteratorINS9_10device_ptrIfEEEEPS5_jNS1_19radix_merge_compareILb0ELb0EfNS0_19identity_decomposerEEEEE10hipError_tT0_T1_T2_jT3_P12ihipStream_tbPNSt15iterator_traitsISK_E10value_typeEPNSQ_ISL_E10value_typeEPSM_NS1_7vsmem_tEENKUlT_SK_SL_SM_E_clISE_PfSF_SF_EESJ_SZ_SK_SL_SM_EUlSZ_E_NS1_11comp_targetILNS1_3genE8ELNS1_11target_archE1030ELNS1_3gpuE2ELNS1_3repE0EEENS1_48merge_mergepath_partition_config_static_selectorELNS0_4arch9wavefront6targetE0EEEvSL_.numbered_sgpr, 7
	.set _ZN7rocprim17ROCPRIM_400000_NS6detail17trampoline_kernelINS0_14default_configENS1_38merge_sort_block_merge_config_selectorIfNS0_10empty_typeEEEZZNS1_27merge_sort_block_merge_implIS3_N6thrust23THRUST_200600_302600_NS6detail15normal_iteratorINS9_10device_ptrIfEEEEPS5_jNS1_19radix_merge_compareILb0ELb0EfNS0_19identity_decomposerEEEEE10hipError_tT0_T1_T2_jT3_P12ihipStream_tbPNSt15iterator_traitsISK_E10value_typeEPNSQ_ISL_E10value_typeEPSM_NS1_7vsmem_tEENKUlT_SK_SL_SM_E_clISE_PfSF_SF_EESJ_SZ_SK_SL_SM_EUlSZ_E_NS1_11comp_targetILNS1_3genE8ELNS1_11target_archE1030ELNS1_3gpuE2ELNS1_3repE0EEENS1_48merge_mergepath_partition_config_static_selectorELNS0_4arch9wavefront6targetE0EEEvSL_.num_named_barrier, 0
	.set _ZN7rocprim17ROCPRIM_400000_NS6detail17trampoline_kernelINS0_14default_configENS1_38merge_sort_block_merge_config_selectorIfNS0_10empty_typeEEEZZNS1_27merge_sort_block_merge_implIS3_N6thrust23THRUST_200600_302600_NS6detail15normal_iteratorINS9_10device_ptrIfEEEEPS5_jNS1_19radix_merge_compareILb0ELb0EfNS0_19identity_decomposerEEEEE10hipError_tT0_T1_T2_jT3_P12ihipStream_tbPNSt15iterator_traitsISK_E10value_typeEPNSQ_ISL_E10value_typeEPSM_NS1_7vsmem_tEENKUlT_SK_SL_SM_E_clISE_PfSF_SF_EESJ_SZ_SK_SL_SM_EUlSZ_E_NS1_11comp_targetILNS1_3genE8ELNS1_11target_archE1030ELNS1_3gpuE2ELNS1_3repE0EEENS1_48merge_mergepath_partition_config_static_selectorELNS0_4arch9wavefront6targetE0EEEvSL_.private_seg_size, 0
	.set _ZN7rocprim17ROCPRIM_400000_NS6detail17trampoline_kernelINS0_14default_configENS1_38merge_sort_block_merge_config_selectorIfNS0_10empty_typeEEEZZNS1_27merge_sort_block_merge_implIS3_N6thrust23THRUST_200600_302600_NS6detail15normal_iteratorINS9_10device_ptrIfEEEEPS5_jNS1_19radix_merge_compareILb0ELb0EfNS0_19identity_decomposerEEEEE10hipError_tT0_T1_T2_jT3_P12ihipStream_tbPNSt15iterator_traitsISK_E10value_typeEPNSQ_ISL_E10value_typeEPSM_NS1_7vsmem_tEENKUlT_SK_SL_SM_E_clISE_PfSF_SF_EESJ_SZ_SK_SL_SM_EUlSZ_E_NS1_11comp_targetILNS1_3genE8ELNS1_11target_archE1030ELNS1_3gpuE2ELNS1_3repE0EEENS1_48merge_mergepath_partition_config_static_selectorELNS0_4arch9wavefront6targetE0EEEvSL_.uses_vcc, 1
	.set _ZN7rocprim17ROCPRIM_400000_NS6detail17trampoline_kernelINS0_14default_configENS1_38merge_sort_block_merge_config_selectorIfNS0_10empty_typeEEEZZNS1_27merge_sort_block_merge_implIS3_N6thrust23THRUST_200600_302600_NS6detail15normal_iteratorINS9_10device_ptrIfEEEEPS5_jNS1_19radix_merge_compareILb0ELb0EfNS0_19identity_decomposerEEEEE10hipError_tT0_T1_T2_jT3_P12ihipStream_tbPNSt15iterator_traitsISK_E10value_typeEPNSQ_ISL_E10value_typeEPSM_NS1_7vsmem_tEENKUlT_SK_SL_SM_E_clISE_PfSF_SF_EESJ_SZ_SK_SL_SM_EUlSZ_E_NS1_11comp_targetILNS1_3genE8ELNS1_11target_archE1030ELNS1_3gpuE2ELNS1_3repE0EEENS1_48merge_mergepath_partition_config_static_selectorELNS0_4arch9wavefront6targetE0EEEvSL_.uses_flat_scratch, 1
	.set _ZN7rocprim17ROCPRIM_400000_NS6detail17trampoline_kernelINS0_14default_configENS1_38merge_sort_block_merge_config_selectorIfNS0_10empty_typeEEEZZNS1_27merge_sort_block_merge_implIS3_N6thrust23THRUST_200600_302600_NS6detail15normal_iteratorINS9_10device_ptrIfEEEEPS5_jNS1_19radix_merge_compareILb0ELb0EfNS0_19identity_decomposerEEEEE10hipError_tT0_T1_T2_jT3_P12ihipStream_tbPNSt15iterator_traitsISK_E10value_typeEPNSQ_ISL_E10value_typeEPSM_NS1_7vsmem_tEENKUlT_SK_SL_SM_E_clISE_PfSF_SF_EESJ_SZ_SK_SL_SM_EUlSZ_E_NS1_11comp_targetILNS1_3genE8ELNS1_11target_archE1030ELNS1_3gpuE2ELNS1_3repE0EEENS1_48merge_mergepath_partition_config_static_selectorELNS0_4arch9wavefront6targetE0EEEvSL_.has_dyn_sized_stack, 0
	.set _ZN7rocprim17ROCPRIM_400000_NS6detail17trampoline_kernelINS0_14default_configENS1_38merge_sort_block_merge_config_selectorIfNS0_10empty_typeEEEZZNS1_27merge_sort_block_merge_implIS3_N6thrust23THRUST_200600_302600_NS6detail15normal_iteratorINS9_10device_ptrIfEEEEPS5_jNS1_19radix_merge_compareILb0ELb0EfNS0_19identity_decomposerEEEEE10hipError_tT0_T1_T2_jT3_P12ihipStream_tbPNSt15iterator_traitsISK_E10value_typeEPNSQ_ISL_E10value_typeEPSM_NS1_7vsmem_tEENKUlT_SK_SL_SM_E_clISE_PfSF_SF_EESJ_SZ_SK_SL_SM_EUlSZ_E_NS1_11comp_targetILNS1_3genE8ELNS1_11target_archE1030ELNS1_3gpuE2ELNS1_3repE0EEENS1_48merge_mergepath_partition_config_static_selectorELNS0_4arch9wavefront6targetE0EEEvSL_.has_recursion, 0
	.set _ZN7rocprim17ROCPRIM_400000_NS6detail17trampoline_kernelINS0_14default_configENS1_38merge_sort_block_merge_config_selectorIfNS0_10empty_typeEEEZZNS1_27merge_sort_block_merge_implIS3_N6thrust23THRUST_200600_302600_NS6detail15normal_iteratorINS9_10device_ptrIfEEEEPS5_jNS1_19radix_merge_compareILb0ELb0EfNS0_19identity_decomposerEEEEE10hipError_tT0_T1_T2_jT3_P12ihipStream_tbPNSt15iterator_traitsISK_E10value_typeEPNSQ_ISL_E10value_typeEPSM_NS1_7vsmem_tEENKUlT_SK_SL_SM_E_clISE_PfSF_SF_EESJ_SZ_SK_SL_SM_EUlSZ_E_NS1_11comp_targetILNS1_3genE8ELNS1_11target_archE1030ELNS1_3gpuE2ELNS1_3repE0EEENS1_48merge_mergepath_partition_config_static_selectorELNS0_4arch9wavefront6targetE0EEEvSL_.has_indirect_call, 0
	.section	.AMDGPU.csdata,"",@progbits
; Kernel info:
; codeLenInByte = 484
; TotalNumSgprs: 9
; NumVgprs: 15
; ScratchSize: 0
; MemoryBound: 0
; FloatMode: 240
; IeeeMode: 1
; LDSByteSize: 0 bytes/workgroup (compile time only)
; SGPRBlocks: 0
; VGPRBlocks: 1
; NumSGPRsForWavesPerEU: 9
; NumVGPRsForWavesPerEU: 15
; Occupancy: 16
; WaveLimiterHint : 0
; COMPUTE_PGM_RSRC2:SCRATCH_EN: 0
; COMPUTE_PGM_RSRC2:USER_SGPR: 6
; COMPUTE_PGM_RSRC2:TRAP_HANDLER: 0
; COMPUTE_PGM_RSRC2:TGID_X_EN: 1
; COMPUTE_PGM_RSRC2:TGID_Y_EN: 0
; COMPUTE_PGM_RSRC2:TGID_Z_EN: 0
; COMPUTE_PGM_RSRC2:TIDIG_COMP_CNT: 0
	.section	.text._ZN7rocprim17ROCPRIM_400000_NS6detail17trampoline_kernelINS0_14default_configENS1_38merge_sort_block_merge_config_selectorIfNS0_10empty_typeEEEZZNS1_27merge_sort_block_merge_implIS3_N6thrust23THRUST_200600_302600_NS6detail15normal_iteratorINS9_10device_ptrIfEEEEPS5_jNS1_19radix_merge_compareILb0ELb0EfNS0_19identity_decomposerEEEEE10hipError_tT0_T1_T2_jT3_P12ihipStream_tbPNSt15iterator_traitsISK_E10value_typeEPNSQ_ISL_E10value_typeEPSM_NS1_7vsmem_tEENKUlT_SK_SL_SM_E_clISE_PfSF_SF_EESJ_SZ_SK_SL_SM_EUlSZ_E0_NS1_11comp_targetILNS1_3genE0ELNS1_11target_archE4294967295ELNS1_3gpuE0ELNS1_3repE0EEENS1_38merge_mergepath_config_static_selectorELNS0_4arch9wavefront6targetE0EEEvSL_,"axG",@progbits,_ZN7rocprim17ROCPRIM_400000_NS6detail17trampoline_kernelINS0_14default_configENS1_38merge_sort_block_merge_config_selectorIfNS0_10empty_typeEEEZZNS1_27merge_sort_block_merge_implIS3_N6thrust23THRUST_200600_302600_NS6detail15normal_iteratorINS9_10device_ptrIfEEEEPS5_jNS1_19radix_merge_compareILb0ELb0EfNS0_19identity_decomposerEEEEE10hipError_tT0_T1_T2_jT3_P12ihipStream_tbPNSt15iterator_traitsISK_E10value_typeEPNSQ_ISL_E10value_typeEPSM_NS1_7vsmem_tEENKUlT_SK_SL_SM_E_clISE_PfSF_SF_EESJ_SZ_SK_SL_SM_EUlSZ_E0_NS1_11comp_targetILNS1_3genE0ELNS1_11target_archE4294967295ELNS1_3gpuE0ELNS1_3repE0EEENS1_38merge_mergepath_config_static_selectorELNS0_4arch9wavefront6targetE0EEEvSL_,comdat
	.protected	_ZN7rocprim17ROCPRIM_400000_NS6detail17trampoline_kernelINS0_14default_configENS1_38merge_sort_block_merge_config_selectorIfNS0_10empty_typeEEEZZNS1_27merge_sort_block_merge_implIS3_N6thrust23THRUST_200600_302600_NS6detail15normal_iteratorINS9_10device_ptrIfEEEEPS5_jNS1_19radix_merge_compareILb0ELb0EfNS0_19identity_decomposerEEEEE10hipError_tT0_T1_T2_jT3_P12ihipStream_tbPNSt15iterator_traitsISK_E10value_typeEPNSQ_ISL_E10value_typeEPSM_NS1_7vsmem_tEENKUlT_SK_SL_SM_E_clISE_PfSF_SF_EESJ_SZ_SK_SL_SM_EUlSZ_E0_NS1_11comp_targetILNS1_3genE0ELNS1_11target_archE4294967295ELNS1_3gpuE0ELNS1_3repE0EEENS1_38merge_mergepath_config_static_selectorELNS0_4arch9wavefront6targetE0EEEvSL_ ; -- Begin function _ZN7rocprim17ROCPRIM_400000_NS6detail17trampoline_kernelINS0_14default_configENS1_38merge_sort_block_merge_config_selectorIfNS0_10empty_typeEEEZZNS1_27merge_sort_block_merge_implIS3_N6thrust23THRUST_200600_302600_NS6detail15normal_iteratorINS9_10device_ptrIfEEEEPS5_jNS1_19radix_merge_compareILb0ELb0EfNS0_19identity_decomposerEEEEE10hipError_tT0_T1_T2_jT3_P12ihipStream_tbPNSt15iterator_traitsISK_E10value_typeEPNSQ_ISL_E10value_typeEPSM_NS1_7vsmem_tEENKUlT_SK_SL_SM_E_clISE_PfSF_SF_EESJ_SZ_SK_SL_SM_EUlSZ_E0_NS1_11comp_targetILNS1_3genE0ELNS1_11target_archE4294967295ELNS1_3gpuE0ELNS1_3repE0EEENS1_38merge_mergepath_config_static_selectorELNS0_4arch9wavefront6targetE0EEEvSL_
	.globl	_ZN7rocprim17ROCPRIM_400000_NS6detail17trampoline_kernelINS0_14default_configENS1_38merge_sort_block_merge_config_selectorIfNS0_10empty_typeEEEZZNS1_27merge_sort_block_merge_implIS3_N6thrust23THRUST_200600_302600_NS6detail15normal_iteratorINS9_10device_ptrIfEEEEPS5_jNS1_19radix_merge_compareILb0ELb0EfNS0_19identity_decomposerEEEEE10hipError_tT0_T1_T2_jT3_P12ihipStream_tbPNSt15iterator_traitsISK_E10value_typeEPNSQ_ISL_E10value_typeEPSM_NS1_7vsmem_tEENKUlT_SK_SL_SM_E_clISE_PfSF_SF_EESJ_SZ_SK_SL_SM_EUlSZ_E0_NS1_11comp_targetILNS1_3genE0ELNS1_11target_archE4294967295ELNS1_3gpuE0ELNS1_3repE0EEENS1_38merge_mergepath_config_static_selectorELNS0_4arch9wavefront6targetE0EEEvSL_
	.p2align	8
	.type	_ZN7rocprim17ROCPRIM_400000_NS6detail17trampoline_kernelINS0_14default_configENS1_38merge_sort_block_merge_config_selectorIfNS0_10empty_typeEEEZZNS1_27merge_sort_block_merge_implIS3_N6thrust23THRUST_200600_302600_NS6detail15normal_iteratorINS9_10device_ptrIfEEEEPS5_jNS1_19radix_merge_compareILb0ELb0EfNS0_19identity_decomposerEEEEE10hipError_tT0_T1_T2_jT3_P12ihipStream_tbPNSt15iterator_traitsISK_E10value_typeEPNSQ_ISL_E10value_typeEPSM_NS1_7vsmem_tEENKUlT_SK_SL_SM_E_clISE_PfSF_SF_EESJ_SZ_SK_SL_SM_EUlSZ_E0_NS1_11comp_targetILNS1_3genE0ELNS1_11target_archE4294967295ELNS1_3gpuE0ELNS1_3repE0EEENS1_38merge_mergepath_config_static_selectorELNS0_4arch9wavefront6targetE0EEEvSL_,@function
_ZN7rocprim17ROCPRIM_400000_NS6detail17trampoline_kernelINS0_14default_configENS1_38merge_sort_block_merge_config_selectorIfNS0_10empty_typeEEEZZNS1_27merge_sort_block_merge_implIS3_N6thrust23THRUST_200600_302600_NS6detail15normal_iteratorINS9_10device_ptrIfEEEEPS5_jNS1_19radix_merge_compareILb0ELb0EfNS0_19identity_decomposerEEEEE10hipError_tT0_T1_T2_jT3_P12ihipStream_tbPNSt15iterator_traitsISK_E10value_typeEPNSQ_ISL_E10value_typeEPSM_NS1_7vsmem_tEENKUlT_SK_SL_SM_E_clISE_PfSF_SF_EESJ_SZ_SK_SL_SM_EUlSZ_E0_NS1_11comp_targetILNS1_3genE0ELNS1_11target_archE4294967295ELNS1_3gpuE0ELNS1_3repE0EEENS1_38merge_mergepath_config_static_selectorELNS0_4arch9wavefront6targetE0EEEvSL_: ; @_ZN7rocprim17ROCPRIM_400000_NS6detail17trampoline_kernelINS0_14default_configENS1_38merge_sort_block_merge_config_selectorIfNS0_10empty_typeEEEZZNS1_27merge_sort_block_merge_implIS3_N6thrust23THRUST_200600_302600_NS6detail15normal_iteratorINS9_10device_ptrIfEEEEPS5_jNS1_19radix_merge_compareILb0ELb0EfNS0_19identity_decomposerEEEEE10hipError_tT0_T1_T2_jT3_P12ihipStream_tbPNSt15iterator_traitsISK_E10value_typeEPNSQ_ISL_E10value_typeEPSM_NS1_7vsmem_tEENKUlT_SK_SL_SM_E_clISE_PfSF_SF_EESJ_SZ_SK_SL_SM_EUlSZ_E0_NS1_11comp_targetILNS1_3genE0ELNS1_11target_archE4294967295ELNS1_3gpuE0ELNS1_3repE0EEENS1_38merge_mergepath_config_static_selectorELNS0_4arch9wavefront6targetE0EEEvSL_
; %bb.0:
	.section	.rodata,"a",@progbits
	.p2align	6, 0x0
	.amdhsa_kernel _ZN7rocprim17ROCPRIM_400000_NS6detail17trampoline_kernelINS0_14default_configENS1_38merge_sort_block_merge_config_selectorIfNS0_10empty_typeEEEZZNS1_27merge_sort_block_merge_implIS3_N6thrust23THRUST_200600_302600_NS6detail15normal_iteratorINS9_10device_ptrIfEEEEPS5_jNS1_19radix_merge_compareILb0ELb0EfNS0_19identity_decomposerEEEEE10hipError_tT0_T1_T2_jT3_P12ihipStream_tbPNSt15iterator_traitsISK_E10value_typeEPNSQ_ISL_E10value_typeEPSM_NS1_7vsmem_tEENKUlT_SK_SL_SM_E_clISE_PfSF_SF_EESJ_SZ_SK_SL_SM_EUlSZ_E0_NS1_11comp_targetILNS1_3genE0ELNS1_11target_archE4294967295ELNS1_3gpuE0ELNS1_3repE0EEENS1_38merge_mergepath_config_static_selectorELNS0_4arch9wavefront6targetE0EEEvSL_
		.amdhsa_group_segment_fixed_size 0
		.amdhsa_private_segment_fixed_size 0
		.amdhsa_kernarg_size 64
		.amdhsa_user_sgpr_count 6
		.amdhsa_user_sgpr_private_segment_buffer 1
		.amdhsa_user_sgpr_dispatch_ptr 0
		.amdhsa_user_sgpr_queue_ptr 0
		.amdhsa_user_sgpr_kernarg_segment_ptr 1
		.amdhsa_user_sgpr_dispatch_id 0
		.amdhsa_user_sgpr_flat_scratch_init 0
		.amdhsa_user_sgpr_private_segment_size 0
		.amdhsa_wavefront_size32 1
		.amdhsa_uses_dynamic_stack 0
		.amdhsa_system_sgpr_private_segment_wavefront_offset 0
		.amdhsa_system_sgpr_workgroup_id_x 1
		.amdhsa_system_sgpr_workgroup_id_y 0
		.amdhsa_system_sgpr_workgroup_id_z 0
		.amdhsa_system_sgpr_workgroup_info 0
		.amdhsa_system_vgpr_workitem_id 0
		.amdhsa_next_free_vgpr 1
		.amdhsa_next_free_sgpr 1
		.amdhsa_reserve_vcc 0
		.amdhsa_reserve_flat_scratch 0
		.amdhsa_float_round_mode_32 0
		.amdhsa_float_round_mode_16_64 0
		.amdhsa_float_denorm_mode_32 3
		.amdhsa_float_denorm_mode_16_64 3
		.amdhsa_dx10_clamp 1
		.amdhsa_ieee_mode 1
		.amdhsa_fp16_overflow 0
		.amdhsa_workgroup_processor_mode 1
		.amdhsa_memory_ordered 1
		.amdhsa_forward_progress 1
		.amdhsa_shared_vgpr_count 0
		.amdhsa_exception_fp_ieee_invalid_op 0
		.amdhsa_exception_fp_denorm_src 0
		.amdhsa_exception_fp_ieee_div_zero 0
		.amdhsa_exception_fp_ieee_overflow 0
		.amdhsa_exception_fp_ieee_underflow 0
		.amdhsa_exception_fp_ieee_inexact 0
		.amdhsa_exception_int_div_zero 0
	.end_amdhsa_kernel
	.section	.text._ZN7rocprim17ROCPRIM_400000_NS6detail17trampoline_kernelINS0_14default_configENS1_38merge_sort_block_merge_config_selectorIfNS0_10empty_typeEEEZZNS1_27merge_sort_block_merge_implIS3_N6thrust23THRUST_200600_302600_NS6detail15normal_iteratorINS9_10device_ptrIfEEEEPS5_jNS1_19radix_merge_compareILb0ELb0EfNS0_19identity_decomposerEEEEE10hipError_tT0_T1_T2_jT3_P12ihipStream_tbPNSt15iterator_traitsISK_E10value_typeEPNSQ_ISL_E10value_typeEPSM_NS1_7vsmem_tEENKUlT_SK_SL_SM_E_clISE_PfSF_SF_EESJ_SZ_SK_SL_SM_EUlSZ_E0_NS1_11comp_targetILNS1_3genE0ELNS1_11target_archE4294967295ELNS1_3gpuE0ELNS1_3repE0EEENS1_38merge_mergepath_config_static_selectorELNS0_4arch9wavefront6targetE0EEEvSL_,"axG",@progbits,_ZN7rocprim17ROCPRIM_400000_NS6detail17trampoline_kernelINS0_14default_configENS1_38merge_sort_block_merge_config_selectorIfNS0_10empty_typeEEEZZNS1_27merge_sort_block_merge_implIS3_N6thrust23THRUST_200600_302600_NS6detail15normal_iteratorINS9_10device_ptrIfEEEEPS5_jNS1_19radix_merge_compareILb0ELb0EfNS0_19identity_decomposerEEEEE10hipError_tT0_T1_T2_jT3_P12ihipStream_tbPNSt15iterator_traitsISK_E10value_typeEPNSQ_ISL_E10value_typeEPSM_NS1_7vsmem_tEENKUlT_SK_SL_SM_E_clISE_PfSF_SF_EESJ_SZ_SK_SL_SM_EUlSZ_E0_NS1_11comp_targetILNS1_3genE0ELNS1_11target_archE4294967295ELNS1_3gpuE0ELNS1_3repE0EEENS1_38merge_mergepath_config_static_selectorELNS0_4arch9wavefront6targetE0EEEvSL_,comdat
.Lfunc_end507:
	.size	_ZN7rocprim17ROCPRIM_400000_NS6detail17trampoline_kernelINS0_14default_configENS1_38merge_sort_block_merge_config_selectorIfNS0_10empty_typeEEEZZNS1_27merge_sort_block_merge_implIS3_N6thrust23THRUST_200600_302600_NS6detail15normal_iteratorINS9_10device_ptrIfEEEEPS5_jNS1_19radix_merge_compareILb0ELb0EfNS0_19identity_decomposerEEEEE10hipError_tT0_T1_T2_jT3_P12ihipStream_tbPNSt15iterator_traitsISK_E10value_typeEPNSQ_ISL_E10value_typeEPSM_NS1_7vsmem_tEENKUlT_SK_SL_SM_E_clISE_PfSF_SF_EESJ_SZ_SK_SL_SM_EUlSZ_E0_NS1_11comp_targetILNS1_3genE0ELNS1_11target_archE4294967295ELNS1_3gpuE0ELNS1_3repE0EEENS1_38merge_mergepath_config_static_selectorELNS0_4arch9wavefront6targetE0EEEvSL_, .Lfunc_end507-_ZN7rocprim17ROCPRIM_400000_NS6detail17trampoline_kernelINS0_14default_configENS1_38merge_sort_block_merge_config_selectorIfNS0_10empty_typeEEEZZNS1_27merge_sort_block_merge_implIS3_N6thrust23THRUST_200600_302600_NS6detail15normal_iteratorINS9_10device_ptrIfEEEEPS5_jNS1_19radix_merge_compareILb0ELb0EfNS0_19identity_decomposerEEEEE10hipError_tT0_T1_T2_jT3_P12ihipStream_tbPNSt15iterator_traitsISK_E10value_typeEPNSQ_ISL_E10value_typeEPSM_NS1_7vsmem_tEENKUlT_SK_SL_SM_E_clISE_PfSF_SF_EESJ_SZ_SK_SL_SM_EUlSZ_E0_NS1_11comp_targetILNS1_3genE0ELNS1_11target_archE4294967295ELNS1_3gpuE0ELNS1_3repE0EEENS1_38merge_mergepath_config_static_selectorELNS0_4arch9wavefront6targetE0EEEvSL_
                                        ; -- End function
	.set _ZN7rocprim17ROCPRIM_400000_NS6detail17trampoline_kernelINS0_14default_configENS1_38merge_sort_block_merge_config_selectorIfNS0_10empty_typeEEEZZNS1_27merge_sort_block_merge_implIS3_N6thrust23THRUST_200600_302600_NS6detail15normal_iteratorINS9_10device_ptrIfEEEEPS5_jNS1_19radix_merge_compareILb0ELb0EfNS0_19identity_decomposerEEEEE10hipError_tT0_T1_T2_jT3_P12ihipStream_tbPNSt15iterator_traitsISK_E10value_typeEPNSQ_ISL_E10value_typeEPSM_NS1_7vsmem_tEENKUlT_SK_SL_SM_E_clISE_PfSF_SF_EESJ_SZ_SK_SL_SM_EUlSZ_E0_NS1_11comp_targetILNS1_3genE0ELNS1_11target_archE4294967295ELNS1_3gpuE0ELNS1_3repE0EEENS1_38merge_mergepath_config_static_selectorELNS0_4arch9wavefront6targetE0EEEvSL_.num_vgpr, 0
	.set _ZN7rocprim17ROCPRIM_400000_NS6detail17trampoline_kernelINS0_14default_configENS1_38merge_sort_block_merge_config_selectorIfNS0_10empty_typeEEEZZNS1_27merge_sort_block_merge_implIS3_N6thrust23THRUST_200600_302600_NS6detail15normal_iteratorINS9_10device_ptrIfEEEEPS5_jNS1_19radix_merge_compareILb0ELb0EfNS0_19identity_decomposerEEEEE10hipError_tT0_T1_T2_jT3_P12ihipStream_tbPNSt15iterator_traitsISK_E10value_typeEPNSQ_ISL_E10value_typeEPSM_NS1_7vsmem_tEENKUlT_SK_SL_SM_E_clISE_PfSF_SF_EESJ_SZ_SK_SL_SM_EUlSZ_E0_NS1_11comp_targetILNS1_3genE0ELNS1_11target_archE4294967295ELNS1_3gpuE0ELNS1_3repE0EEENS1_38merge_mergepath_config_static_selectorELNS0_4arch9wavefront6targetE0EEEvSL_.num_agpr, 0
	.set _ZN7rocprim17ROCPRIM_400000_NS6detail17trampoline_kernelINS0_14default_configENS1_38merge_sort_block_merge_config_selectorIfNS0_10empty_typeEEEZZNS1_27merge_sort_block_merge_implIS3_N6thrust23THRUST_200600_302600_NS6detail15normal_iteratorINS9_10device_ptrIfEEEEPS5_jNS1_19radix_merge_compareILb0ELb0EfNS0_19identity_decomposerEEEEE10hipError_tT0_T1_T2_jT3_P12ihipStream_tbPNSt15iterator_traitsISK_E10value_typeEPNSQ_ISL_E10value_typeEPSM_NS1_7vsmem_tEENKUlT_SK_SL_SM_E_clISE_PfSF_SF_EESJ_SZ_SK_SL_SM_EUlSZ_E0_NS1_11comp_targetILNS1_3genE0ELNS1_11target_archE4294967295ELNS1_3gpuE0ELNS1_3repE0EEENS1_38merge_mergepath_config_static_selectorELNS0_4arch9wavefront6targetE0EEEvSL_.numbered_sgpr, 0
	.set _ZN7rocprim17ROCPRIM_400000_NS6detail17trampoline_kernelINS0_14default_configENS1_38merge_sort_block_merge_config_selectorIfNS0_10empty_typeEEEZZNS1_27merge_sort_block_merge_implIS3_N6thrust23THRUST_200600_302600_NS6detail15normal_iteratorINS9_10device_ptrIfEEEEPS5_jNS1_19radix_merge_compareILb0ELb0EfNS0_19identity_decomposerEEEEE10hipError_tT0_T1_T2_jT3_P12ihipStream_tbPNSt15iterator_traitsISK_E10value_typeEPNSQ_ISL_E10value_typeEPSM_NS1_7vsmem_tEENKUlT_SK_SL_SM_E_clISE_PfSF_SF_EESJ_SZ_SK_SL_SM_EUlSZ_E0_NS1_11comp_targetILNS1_3genE0ELNS1_11target_archE4294967295ELNS1_3gpuE0ELNS1_3repE0EEENS1_38merge_mergepath_config_static_selectorELNS0_4arch9wavefront6targetE0EEEvSL_.num_named_barrier, 0
	.set _ZN7rocprim17ROCPRIM_400000_NS6detail17trampoline_kernelINS0_14default_configENS1_38merge_sort_block_merge_config_selectorIfNS0_10empty_typeEEEZZNS1_27merge_sort_block_merge_implIS3_N6thrust23THRUST_200600_302600_NS6detail15normal_iteratorINS9_10device_ptrIfEEEEPS5_jNS1_19radix_merge_compareILb0ELb0EfNS0_19identity_decomposerEEEEE10hipError_tT0_T1_T2_jT3_P12ihipStream_tbPNSt15iterator_traitsISK_E10value_typeEPNSQ_ISL_E10value_typeEPSM_NS1_7vsmem_tEENKUlT_SK_SL_SM_E_clISE_PfSF_SF_EESJ_SZ_SK_SL_SM_EUlSZ_E0_NS1_11comp_targetILNS1_3genE0ELNS1_11target_archE4294967295ELNS1_3gpuE0ELNS1_3repE0EEENS1_38merge_mergepath_config_static_selectorELNS0_4arch9wavefront6targetE0EEEvSL_.private_seg_size, 0
	.set _ZN7rocprim17ROCPRIM_400000_NS6detail17trampoline_kernelINS0_14default_configENS1_38merge_sort_block_merge_config_selectorIfNS0_10empty_typeEEEZZNS1_27merge_sort_block_merge_implIS3_N6thrust23THRUST_200600_302600_NS6detail15normal_iteratorINS9_10device_ptrIfEEEEPS5_jNS1_19radix_merge_compareILb0ELb0EfNS0_19identity_decomposerEEEEE10hipError_tT0_T1_T2_jT3_P12ihipStream_tbPNSt15iterator_traitsISK_E10value_typeEPNSQ_ISL_E10value_typeEPSM_NS1_7vsmem_tEENKUlT_SK_SL_SM_E_clISE_PfSF_SF_EESJ_SZ_SK_SL_SM_EUlSZ_E0_NS1_11comp_targetILNS1_3genE0ELNS1_11target_archE4294967295ELNS1_3gpuE0ELNS1_3repE0EEENS1_38merge_mergepath_config_static_selectorELNS0_4arch9wavefront6targetE0EEEvSL_.uses_vcc, 0
	.set _ZN7rocprim17ROCPRIM_400000_NS6detail17trampoline_kernelINS0_14default_configENS1_38merge_sort_block_merge_config_selectorIfNS0_10empty_typeEEEZZNS1_27merge_sort_block_merge_implIS3_N6thrust23THRUST_200600_302600_NS6detail15normal_iteratorINS9_10device_ptrIfEEEEPS5_jNS1_19radix_merge_compareILb0ELb0EfNS0_19identity_decomposerEEEEE10hipError_tT0_T1_T2_jT3_P12ihipStream_tbPNSt15iterator_traitsISK_E10value_typeEPNSQ_ISL_E10value_typeEPSM_NS1_7vsmem_tEENKUlT_SK_SL_SM_E_clISE_PfSF_SF_EESJ_SZ_SK_SL_SM_EUlSZ_E0_NS1_11comp_targetILNS1_3genE0ELNS1_11target_archE4294967295ELNS1_3gpuE0ELNS1_3repE0EEENS1_38merge_mergepath_config_static_selectorELNS0_4arch9wavefront6targetE0EEEvSL_.uses_flat_scratch, 0
	.set _ZN7rocprim17ROCPRIM_400000_NS6detail17trampoline_kernelINS0_14default_configENS1_38merge_sort_block_merge_config_selectorIfNS0_10empty_typeEEEZZNS1_27merge_sort_block_merge_implIS3_N6thrust23THRUST_200600_302600_NS6detail15normal_iteratorINS9_10device_ptrIfEEEEPS5_jNS1_19radix_merge_compareILb0ELb0EfNS0_19identity_decomposerEEEEE10hipError_tT0_T1_T2_jT3_P12ihipStream_tbPNSt15iterator_traitsISK_E10value_typeEPNSQ_ISL_E10value_typeEPSM_NS1_7vsmem_tEENKUlT_SK_SL_SM_E_clISE_PfSF_SF_EESJ_SZ_SK_SL_SM_EUlSZ_E0_NS1_11comp_targetILNS1_3genE0ELNS1_11target_archE4294967295ELNS1_3gpuE0ELNS1_3repE0EEENS1_38merge_mergepath_config_static_selectorELNS0_4arch9wavefront6targetE0EEEvSL_.has_dyn_sized_stack, 0
	.set _ZN7rocprim17ROCPRIM_400000_NS6detail17trampoline_kernelINS0_14default_configENS1_38merge_sort_block_merge_config_selectorIfNS0_10empty_typeEEEZZNS1_27merge_sort_block_merge_implIS3_N6thrust23THRUST_200600_302600_NS6detail15normal_iteratorINS9_10device_ptrIfEEEEPS5_jNS1_19radix_merge_compareILb0ELb0EfNS0_19identity_decomposerEEEEE10hipError_tT0_T1_T2_jT3_P12ihipStream_tbPNSt15iterator_traitsISK_E10value_typeEPNSQ_ISL_E10value_typeEPSM_NS1_7vsmem_tEENKUlT_SK_SL_SM_E_clISE_PfSF_SF_EESJ_SZ_SK_SL_SM_EUlSZ_E0_NS1_11comp_targetILNS1_3genE0ELNS1_11target_archE4294967295ELNS1_3gpuE0ELNS1_3repE0EEENS1_38merge_mergepath_config_static_selectorELNS0_4arch9wavefront6targetE0EEEvSL_.has_recursion, 0
	.set _ZN7rocprim17ROCPRIM_400000_NS6detail17trampoline_kernelINS0_14default_configENS1_38merge_sort_block_merge_config_selectorIfNS0_10empty_typeEEEZZNS1_27merge_sort_block_merge_implIS3_N6thrust23THRUST_200600_302600_NS6detail15normal_iteratorINS9_10device_ptrIfEEEEPS5_jNS1_19radix_merge_compareILb0ELb0EfNS0_19identity_decomposerEEEEE10hipError_tT0_T1_T2_jT3_P12ihipStream_tbPNSt15iterator_traitsISK_E10value_typeEPNSQ_ISL_E10value_typeEPSM_NS1_7vsmem_tEENKUlT_SK_SL_SM_E_clISE_PfSF_SF_EESJ_SZ_SK_SL_SM_EUlSZ_E0_NS1_11comp_targetILNS1_3genE0ELNS1_11target_archE4294967295ELNS1_3gpuE0ELNS1_3repE0EEENS1_38merge_mergepath_config_static_selectorELNS0_4arch9wavefront6targetE0EEEvSL_.has_indirect_call, 0
	.section	.AMDGPU.csdata,"",@progbits
; Kernel info:
; codeLenInByte = 0
; TotalNumSgprs: 0
; NumVgprs: 0
; ScratchSize: 0
; MemoryBound: 0
; FloatMode: 240
; IeeeMode: 1
; LDSByteSize: 0 bytes/workgroup (compile time only)
; SGPRBlocks: 0
; VGPRBlocks: 0
; NumSGPRsForWavesPerEU: 1
; NumVGPRsForWavesPerEU: 1
; Occupancy: 16
; WaveLimiterHint : 0
; COMPUTE_PGM_RSRC2:SCRATCH_EN: 0
; COMPUTE_PGM_RSRC2:USER_SGPR: 6
; COMPUTE_PGM_RSRC2:TRAP_HANDLER: 0
; COMPUTE_PGM_RSRC2:TGID_X_EN: 1
; COMPUTE_PGM_RSRC2:TGID_Y_EN: 0
; COMPUTE_PGM_RSRC2:TGID_Z_EN: 0
; COMPUTE_PGM_RSRC2:TIDIG_COMP_CNT: 0
	.section	.text._ZN7rocprim17ROCPRIM_400000_NS6detail17trampoline_kernelINS0_14default_configENS1_38merge_sort_block_merge_config_selectorIfNS0_10empty_typeEEEZZNS1_27merge_sort_block_merge_implIS3_N6thrust23THRUST_200600_302600_NS6detail15normal_iteratorINS9_10device_ptrIfEEEEPS5_jNS1_19radix_merge_compareILb0ELb0EfNS0_19identity_decomposerEEEEE10hipError_tT0_T1_T2_jT3_P12ihipStream_tbPNSt15iterator_traitsISK_E10value_typeEPNSQ_ISL_E10value_typeEPSM_NS1_7vsmem_tEENKUlT_SK_SL_SM_E_clISE_PfSF_SF_EESJ_SZ_SK_SL_SM_EUlSZ_E0_NS1_11comp_targetILNS1_3genE10ELNS1_11target_archE1201ELNS1_3gpuE5ELNS1_3repE0EEENS1_38merge_mergepath_config_static_selectorELNS0_4arch9wavefront6targetE0EEEvSL_,"axG",@progbits,_ZN7rocprim17ROCPRIM_400000_NS6detail17trampoline_kernelINS0_14default_configENS1_38merge_sort_block_merge_config_selectorIfNS0_10empty_typeEEEZZNS1_27merge_sort_block_merge_implIS3_N6thrust23THRUST_200600_302600_NS6detail15normal_iteratorINS9_10device_ptrIfEEEEPS5_jNS1_19radix_merge_compareILb0ELb0EfNS0_19identity_decomposerEEEEE10hipError_tT0_T1_T2_jT3_P12ihipStream_tbPNSt15iterator_traitsISK_E10value_typeEPNSQ_ISL_E10value_typeEPSM_NS1_7vsmem_tEENKUlT_SK_SL_SM_E_clISE_PfSF_SF_EESJ_SZ_SK_SL_SM_EUlSZ_E0_NS1_11comp_targetILNS1_3genE10ELNS1_11target_archE1201ELNS1_3gpuE5ELNS1_3repE0EEENS1_38merge_mergepath_config_static_selectorELNS0_4arch9wavefront6targetE0EEEvSL_,comdat
	.protected	_ZN7rocprim17ROCPRIM_400000_NS6detail17trampoline_kernelINS0_14default_configENS1_38merge_sort_block_merge_config_selectorIfNS0_10empty_typeEEEZZNS1_27merge_sort_block_merge_implIS3_N6thrust23THRUST_200600_302600_NS6detail15normal_iteratorINS9_10device_ptrIfEEEEPS5_jNS1_19radix_merge_compareILb0ELb0EfNS0_19identity_decomposerEEEEE10hipError_tT0_T1_T2_jT3_P12ihipStream_tbPNSt15iterator_traitsISK_E10value_typeEPNSQ_ISL_E10value_typeEPSM_NS1_7vsmem_tEENKUlT_SK_SL_SM_E_clISE_PfSF_SF_EESJ_SZ_SK_SL_SM_EUlSZ_E0_NS1_11comp_targetILNS1_3genE10ELNS1_11target_archE1201ELNS1_3gpuE5ELNS1_3repE0EEENS1_38merge_mergepath_config_static_selectorELNS0_4arch9wavefront6targetE0EEEvSL_ ; -- Begin function _ZN7rocprim17ROCPRIM_400000_NS6detail17trampoline_kernelINS0_14default_configENS1_38merge_sort_block_merge_config_selectorIfNS0_10empty_typeEEEZZNS1_27merge_sort_block_merge_implIS3_N6thrust23THRUST_200600_302600_NS6detail15normal_iteratorINS9_10device_ptrIfEEEEPS5_jNS1_19radix_merge_compareILb0ELb0EfNS0_19identity_decomposerEEEEE10hipError_tT0_T1_T2_jT3_P12ihipStream_tbPNSt15iterator_traitsISK_E10value_typeEPNSQ_ISL_E10value_typeEPSM_NS1_7vsmem_tEENKUlT_SK_SL_SM_E_clISE_PfSF_SF_EESJ_SZ_SK_SL_SM_EUlSZ_E0_NS1_11comp_targetILNS1_3genE10ELNS1_11target_archE1201ELNS1_3gpuE5ELNS1_3repE0EEENS1_38merge_mergepath_config_static_selectorELNS0_4arch9wavefront6targetE0EEEvSL_
	.globl	_ZN7rocprim17ROCPRIM_400000_NS6detail17trampoline_kernelINS0_14default_configENS1_38merge_sort_block_merge_config_selectorIfNS0_10empty_typeEEEZZNS1_27merge_sort_block_merge_implIS3_N6thrust23THRUST_200600_302600_NS6detail15normal_iteratorINS9_10device_ptrIfEEEEPS5_jNS1_19radix_merge_compareILb0ELb0EfNS0_19identity_decomposerEEEEE10hipError_tT0_T1_T2_jT3_P12ihipStream_tbPNSt15iterator_traitsISK_E10value_typeEPNSQ_ISL_E10value_typeEPSM_NS1_7vsmem_tEENKUlT_SK_SL_SM_E_clISE_PfSF_SF_EESJ_SZ_SK_SL_SM_EUlSZ_E0_NS1_11comp_targetILNS1_3genE10ELNS1_11target_archE1201ELNS1_3gpuE5ELNS1_3repE0EEENS1_38merge_mergepath_config_static_selectorELNS0_4arch9wavefront6targetE0EEEvSL_
	.p2align	8
	.type	_ZN7rocprim17ROCPRIM_400000_NS6detail17trampoline_kernelINS0_14default_configENS1_38merge_sort_block_merge_config_selectorIfNS0_10empty_typeEEEZZNS1_27merge_sort_block_merge_implIS3_N6thrust23THRUST_200600_302600_NS6detail15normal_iteratorINS9_10device_ptrIfEEEEPS5_jNS1_19radix_merge_compareILb0ELb0EfNS0_19identity_decomposerEEEEE10hipError_tT0_T1_T2_jT3_P12ihipStream_tbPNSt15iterator_traitsISK_E10value_typeEPNSQ_ISL_E10value_typeEPSM_NS1_7vsmem_tEENKUlT_SK_SL_SM_E_clISE_PfSF_SF_EESJ_SZ_SK_SL_SM_EUlSZ_E0_NS1_11comp_targetILNS1_3genE10ELNS1_11target_archE1201ELNS1_3gpuE5ELNS1_3repE0EEENS1_38merge_mergepath_config_static_selectorELNS0_4arch9wavefront6targetE0EEEvSL_,@function
_ZN7rocprim17ROCPRIM_400000_NS6detail17trampoline_kernelINS0_14default_configENS1_38merge_sort_block_merge_config_selectorIfNS0_10empty_typeEEEZZNS1_27merge_sort_block_merge_implIS3_N6thrust23THRUST_200600_302600_NS6detail15normal_iteratorINS9_10device_ptrIfEEEEPS5_jNS1_19radix_merge_compareILb0ELb0EfNS0_19identity_decomposerEEEEE10hipError_tT0_T1_T2_jT3_P12ihipStream_tbPNSt15iterator_traitsISK_E10value_typeEPNSQ_ISL_E10value_typeEPSM_NS1_7vsmem_tEENKUlT_SK_SL_SM_E_clISE_PfSF_SF_EESJ_SZ_SK_SL_SM_EUlSZ_E0_NS1_11comp_targetILNS1_3genE10ELNS1_11target_archE1201ELNS1_3gpuE5ELNS1_3repE0EEENS1_38merge_mergepath_config_static_selectorELNS0_4arch9wavefront6targetE0EEEvSL_: ; @_ZN7rocprim17ROCPRIM_400000_NS6detail17trampoline_kernelINS0_14default_configENS1_38merge_sort_block_merge_config_selectorIfNS0_10empty_typeEEEZZNS1_27merge_sort_block_merge_implIS3_N6thrust23THRUST_200600_302600_NS6detail15normal_iteratorINS9_10device_ptrIfEEEEPS5_jNS1_19radix_merge_compareILb0ELb0EfNS0_19identity_decomposerEEEEE10hipError_tT0_T1_T2_jT3_P12ihipStream_tbPNSt15iterator_traitsISK_E10value_typeEPNSQ_ISL_E10value_typeEPSM_NS1_7vsmem_tEENKUlT_SK_SL_SM_E_clISE_PfSF_SF_EESJ_SZ_SK_SL_SM_EUlSZ_E0_NS1_11comp_targetILNS1_3genE10ELNS1_11target_archE1201ELNS1_3gpuE5ELNS1_3repE0EEENS1_38merge_mergepath_config_static_selectorELNS0_4arch9wavefront6targetE0EEEvSL_
; %bb.0:
	.section	.rodata,"a",@progbits
	.p2align	6, 0x0
	.amdhsa_kernel _ZN7rocprim17ROCPRIM_400000_NS6detail17trampoline_kernelINS0_14default_configENS1_38merge_sort_block_merge_config_selectorIfNS0_10empty_typeEEEZZNS1_27merge_sort_block_merge_implIS3_N6thrust23THRUST_200600_302600_NS6detail15normal_iteratorINS9_10device_ptrIfEEEEPS5_jNS1_19radix_merge_compareILb0ELb0EfNS0_19identity_decomposerEEEEE10hipError_tT0_T1_T2_jT3_P12ihipStream_tbPNSt15iterator_traitsISK_E10value_typeEPNSQ_ISL_E10value_typeEPSM_NS1_7vsmem_tEENKUlT_SK_SL_SM_E_clISE_PfSF_SF_EESJ_SZ_SK_SL_SM_EUlSZ_E0_NS1_11comp_targetILNS1_3genE10ELNS1_11target_archE1201ELNS1_3gpuE5ELNS1_3repE0EEENS1_38merge_mergepath_config_static_selectorELNS0_4arch9wavefront6targetE0EEEvSL_
		.amdhsa_group_segment_fixed_size 0
		.amdhsa_private_segment_fixed_size 0
		.amdhsa_kernarg_size 64
		.amdhsa_user_sgpr_count 6
		.amdhsa_user_sgpr_private_segment_buffer 1
		.amdhsa_user_sgpr_dispatch_ptr 0
		.amdhsa_user_sgpr_queue_ptr 0
		.amdhsa_user_sgpr_kernarg_segment_ptr 1
		.amdhsa_user_sgpr_dispatch_id 0
		.amdhsa_user_sgpr_flat_scratch_init 0
		.amdhsa_user_sgpr_private_segment_size 0
		.amdhsa_wavefront_size32 1
		.amdhsa_uses_dynamic_stack 0
		.amdhsa_system_sgpr_private_segment_wavefront_offset 0
		.amdhsa_system_sgpr_workgroup_id_x 1
		.amdhsa_system_sgpr_workgroup_id_y 0
		.amdhsa_system_sgpr_workgroup_id_z 0
		.amdhsa_system_sgpr_workgroup_info 0
		.amdhsa_system_vgpr_workitem_id 0
		.amdhsa_next_free_vgpr 1
		.amdhsa_next_free_sgpr 1
		.amdhsa_reserve_vcc 0
		.amdhsa_reserve_flat_scratch 0
		.amdhsa_float_round_mode_32 0
		.amdhsa_float_round_mode_16_64 0
		.amdhsa_float_denorm_mode_32 3
		.amdhsa_float_denorm_mode_16_64 3
		.amdhsa_dx10_clamp 1
		.amdhsa_ieee_mode 1
		.amdhsa_fp16_overflow 0
		.amdhsa_workgroup_processor_mode 1
		.amdhsa_memory_ordered 1
		.amdhsa_forward_progress 1
		.amdhsa_shared_vgpr_count 0
		.amdhsa_exception_fp_ieee_invalid_op 0
		.amdhsa_exception_fp_denorm_src 0
		.amdhsa_exception_fp_ieee_div_zero 0
		.amdhsa_exception_fp_ieee_overflow 0
		.amdhsa_exception_fp_ieee_underflow 0
		.amdhsa_exception_fp_ieee_inexact 0
		.amdhsa_exception_int_div_zero 0
	.end_amdhsa_kernel
	.section	.text._ZN7rocprim17ROCPRIM_400000_NS6detail17trampoline_kernelINS0_14default_configENS1_38merge_sort_block_merge_config_selectorIfNS0_10empty_typeEEEZZNS1_27merge_sort_block_merge_implIS3_N6thrust23THRUST_200600_302600_NS6detail15normal_iteratorINS9_10device_ptrIfEEEEPS5_jNS1_19radix_merge_compareILb0ELb0EfNS0_19identity_decomposerEEEEE10hipError_tT0_T1_T2_jT3_P12ihipStream_tbPNSt15iterator_traitsISK_E10value_typeEPNSQ_ISL_E10value_typeEPSM_NS1_7vsmem_tEENKUlT_SK_SL_SM_E_clISE_PfSF_SF_EESJ_SZ_SK_SL_SM_EUlSZ_E0_NS1_11comp_targetILNS1_3genE10ELNS1_11target_archE1201ELNS1_3gpuE5ELNS1_3repE0EEENS1_38merge_mergepath_config_static_selectorELNS0_4arch9wavefront6targetE0EEEvSL_,"axG",@progbits,_ZN7rocprim17ROCPRIM_400000_NS6detail17trampoline_kernelINS0_14default_configENS1_38merge_sort_block_merge_config_selectorIfNS0_10empty_typeEEEZZNS1_27merge_sort_block_merge_implIS3_N6thrust23THRUST_200600_302600_NS6detail15normal_iteratorINS9_10device_ptrIfEEEEPS5_jNS1_19radix_merge_compareILb0ELb0EfNS0_19identity_decomposerEEEEE10hipError_tT0_T1_T2_jT3_P12ihipStream_tbPNSt15iterator_traitsISK_E10value_typeEPNSQ_ISL_E10value_typeEPSM_NS1_7vsmem_tEENKUlT_SK_SL_SM_E_clISE_PfSF_SF_EESJ_SZ_SK_SL_SM_EUlSZ_E0_NS1_11comp_targetILNS1_3genE10ELNS1_11target_archE1201ELNS1_3gpuE5ELNS1_3repE0EEENS1_38merge_mergepath_config_static_selectorELNS0_4arch9wavefront6targetE0EEEvSL_,comdat
.Lfunc_end508:
	.size	_ZN7rocprim17ROCPRIM_400000_NS6detail17trampoline_kernelINS0_14default_configENS1_38merge_sort_block_merge_config_selectorIfNS0_10empty_typeEEEZZNS1_27merge_sort_block_merge_implIS3_N6thrust23THRUST_200600_302600_NS6detail15normal_iteratorINS9_10device_ptrIfEEEEPS5_jNS1_19radix_merge_compareILb0ELb0EfNS0_19identity_decomposerEEEEE10hipError_tT0_T1_T2_jT3_P12ihipStream_tbPNSt15iterator_traitsISK_E10value_typeEPNSQ_ISL_E10value_typeEPSM_NS1_7vsmem_tEENKUlT_SK_SL_SM_E_clISE_PfSF_SF_EESJ_SZ_SK_SL_SM_EUlSZ_E0_NS1_11comp_targetILNS1_3genE10ELNS1_11target_archE1201ELNS1_3gpuE5ELNS1_3repE0EEENS1_38merge_mergepath_config_static_selectorELNS0_4arch9wavefront6targetE0EEEvSL_, .Lfunc_end508-_ZN7rocprim17ROCPRIM_400000_NS6detail17trampoline_kernelINS0_14default_configENS1_38merge_sort_block_merge_config_selectorIfNS0_10empty_typeEEEZZNS1_27merge_sort_block_merge_implIS3_N6thrust23THRUST_200600_302600_NS6detail15normal_iteratorINS9_10device_ptrIfEEEEPS5_jNS1_19radix_merge_compareILb0ELb0EfNS0_19identity_decomposerEEEEE10hipError_tT0_T1_T2_jT3_P12ihipStream_tbPNSt15iterator_traitsISK_E10value_typeEPNSQ_ISL_E10value_typeEPSM_NS1_7vsmem_tEENKUlT_SK_SL_SM_E_clISE_PfSF_SF_EESJ_SZ_SK_SL_SM_EUlSZ_E0_NS1_11comp_targetILNS1_3genE10ELNS1_11target_archE1201ELNS1_3gpuE5ELNS1_3repE0EEENS1_38merge_mergepath_config_static_selectorELNS0_4arch9wavefront6targetE0EEEvSL_
                                        ; -- End function
	.set _ZN7rocprim17ROCPRIM_400000_NS6detail17trampoline_kernelINS0_14default_configENS1_38merge_sort_block_merge_config_selectorIfNS0_10empty_typeEEEZZNS1_27merge_sort_block_merge_implIS3_N6thrust23THRUST_200600_302600_NS6detail15normal_iteratorINS9_10device_ptrIfEEEEPS5_jNS1_19radix_merge_compareILb0ELb0EfNS0_19identity_decomposerEEEEE10hipError_tT0_T1_T2_jT3_P12ihipStream_tbPNSt15iterator_traitsISK_E10value_typeEPNSQ_ISL_E10value_typeEPSM_NS1_7vsmem_tEENKUlT_SK_SL_SM_E_clISE_PfSF_SF_EESJ_SZ_SK_SL_SM_EUlSZ_E0_NS1_11comp_targetILNS1_3genE10ELNS1_11target_archE1201ELNS1_3gpuE5ELNS1_3repE0EEENS1_38merge_mergepath_config_static_selectorELNS0_4arch9wavefront6targetE0EEEvSL_.num_vgpr, 0
	.set _ZN7rocprim17ROCPRIM_400000_NS6detail17trampoline_kernelINS0_14default_configENS1_38merge_sort_block_merge_config_selectorIfNS0_10empty_typeEEEZZNS1_27merge_sort_block_merge_implIS3_N6thrust23THRUST_200600_302600_NS6detail15normal_iteratorINS9_10device_ptrIfEEEEPS5_jNS1_19radix_merge_compareILb0ELb0EfNS0_19identity_decomposerEEEEE10hipError_tT0_T1_T2_jT3_P12ihipStream_tbPNSt15iterator_traitsISK_E10value_typeEPNSQ_ISL_E10value_typeEPSM_NS1_7vsmem_tEENKUlT_SK_SL_SM_E_clISE_PfSF_SF_EESJ_SZ_SK_SL_SM_EUlSZ_E0_NS1_11comp_targetILNS1_3genE10ELNS1_11target_archE1201ELNS1_3gpuE5ELNS1_3repE0EEENS1_38merge_mergepath_config_static_selectorELNS0_4arch9wavefront6targetE0EEEvSL_.num_agpr, 0
	.set _ZN7rocprim17ROCPRIM_400000_NS6detail17trampoline_kernelINS0_14default_configENS1_38merge_sort_block_merge_config_selectorIfNS0_10empty_typeEEEZZNS1_27merge_sort_block_merge_implIS3_N6thrust23THRUST_200600_302600_NS6detail15normal_iteratorINS9_10device_ptrIfEEEEPS5_jNS1_19radix_merge_compareILb0ELb0EfNS0_19identity_decomposerEEEEE10hipError_tT0_T1_T2_jT3_P12ihipStream_tbPNSt15iterator_traitsISK_E10value_typeEPNSQ_ISL_E10value_typeEPSM_NS1_7vsmem_tEENKUlT_SK_SL_SM_E_clISE_PfSF_SF_EESJ_SZ_SK_SL_SM_EUlSZ_E0_NS1_11comp_targetILNS1_3genE10ELNS1_11target_archE1201ELNS1_3gpuE5ELNS1_3repE0EEENS1_38merge_mergepath_config_static_selectorELNS0_4arch9wavefront6targetE0EEEvSL_.numbered_sgpr, 0
	.set _ZN7rocprim17ROCPRIM_400000_NS6detail17trampoline_kernelINS0_14default_configENS1_38merge_sort_block_merge_config_selectorIfNS0_10empty_typeEEEZZNS1_27merge_sort_block_merge_implIS3_N6thrust23THRUST_200600_302600_NS6detail15normal_iteratorINS9_10device_ptrIfEEEEPS5_jNS1_19radix_merge_compareILb0ELb0EfNS0_19identity_decomposerEEEEE10hipError_tT0_T1_T2_jT3_P12ihipStream_tbPNSt15iterator_traitsISK_E10value_typeEPNSQ_ISL_E10value_typeEPSM_NS1_7vsmem_tEENKUlT_SK_SL_SM_E_clISE_PfSF_SF_EESJ_SZ_SK_SL_SM_EUlSZ_E0_NS1_11comp_targetILNS1_3genE10ELNS1_11target_archE1201ELNS1_3gpuE5ELNS1_3repE0EEENS1_38merge_mergepath_config_static_selectorELNS0_4arch9wavefront6targetE0EEEvSL_.num_named_barrier, 0
	.set _ZN7rocprim17ROCPRIM_400000_NS6detail17trampoline_kernelINS0_14default_configENS1_38merge_sort_block_merge_config_selectorIfNS0_10empty_typeEEEZZNS1_27merge_sort_block_merge_implIS3_N6thrust23THRUST_200600_302600_NS6detail15normal_iteratorINS9_10device_ptrIfEEEEPS5_jNS1_19radix_merge_compareILb0ELb0EfNS0_19identity_decomposerEEEEE10hipError_tT0_T1_T2_jT3_P12ihipStream_tbPNSt15iterator_traitsISK_E10value_typeEPNSQ_ISL_E10value_typeEPSM_NS1_7vsmem_tEENKUlT_SK_SL_SM_E_clISE_PfSF_SF_EESJ_SZ_SK_SL_SM_EUlSZ_E0_NS1_11comp_targetILNS1_3genE10ELNS1_11target_archE1201ELNS1_3gpuE5ELNS1_3repE0EEENS1_38merge_mergepath_config_static_selectorELNS0_4arch9wavefront6targetE0EEEvSL_.private_seg_size, 0
	.set _ZN7rocprim17ROCPRIM_400000_NS6detail17trampoline_kernelINS0_14default_configENS1_38merge_sort_block_merge_config_selectorIfNS0_10empty_typeEEEZZNS1_27merge_sort_block_merge_implIS3_N6thrust23THRUST_200600_302600_NS6detail15normal_iteratorINS9_10device_ptrIfEEEEPS5_jNS1_19radix_merge_compareILb0ELb0EfNS0_19identity_decomposerEEEEE10hipError_tT0_T1_T2_jT3_P12ihipStream_tbPNSt15iterator_traitsISK_E10value_typeEPNSQ_ISL_E10value_typeEPSM_NS1_7vsmem_tEENKUlT_SK_SL_SM_E_clISE_PfSF_SF_EESJ_SZ_SK_SL_SM_EUlSZ_E0_NS1_11comp_targetILNS1_3genE10ELNS1_11target_archE1201ELNS1_3gpuE5ELNS1_3repE0EEENS1_38merge_mergepath_config_static_selectorELNS0_4arch9wavefront6targetE0EEEvSL_.uses_vcc, 0
	.set _ZN7rocprim17ROCPRIM_400000_NS6detail17trampoline_kernelINS0_14default_configENS1_38merge_sort_block_merge_config_selectorIfNS0_10empty_typeEEEZZNS1_27merge_sort_block_merge_implIS3_N6thrust23THRUST_200600_302600_NS6detail15normal_iteratorINS9_10device_ptrIfEEEEPS5_jNS1_19radix_merge_compareILb0ELb0EfNS0_19identity_decomposerEEEEE10hipError_tT0_T1_T2_jT3_P12ihipStream_tbPNSt15iterator_traitsISK_E10value_typeEPNSQ_ISL_E10value_typeEPSM_NS1_7vsmem_tEENKUlT_SK_SL_SM_E_clISE_PfSF_SF_EESJ_SZ_SK_SL_SM_EUlSZ_E0_NS1_11comp_targetILNS1_3genE10ELNS1_11target_archE1201ELNS1_3gpuE5ELNS1_3repE0EEENS1_38merge_mergepath_config_static_selectorELNS0_4arch9wavefront6targetE0EEEvSL_.uses_flat_scratch, 0
	.set _ZN7rocprim17ROCPRIM_400000_NS6detail17trampoline_kernelINS0_14default_configENS1_38merge_sort_block_merge_config_selectorIfNS0_10empty_typeEEEZZNS1_27merge_sort_block_merge_implIS3_N6thrust23THRUST_200600_302600_NS6detail15normal_iteratorINS9_10device_ptrIfEEEEPS5_jNS1_19radix_merge_compareILb0ELb0EfNS0_19identity_decomposerEEEEE10hipError_tT0_T1_T2_jT3_P12ihipStream_tbPNSt15iterator_traitsISK_E10value_typeEPNSQ_ISL_E10value_typeEPSM_NS1_7vsmem_tEENKUlT_SK_SL_SM_E_clISE_PfSF_SF_EESJ_SZ_SK_SL_SM_EUlSZ_E0_NS1_11comp_targetILNS1_3genE10ELNS1_11target_archE1201ELNS1_3gpuE5ELNS1_3repE0EEENS1_38merge_mergepath_config_static_selectorELNS0_4arch9wavefront6targetE0EEEvSL_.has_dyn_sized_stack, 0
	.set _ZN7rocprim17ROCPRIM_400000_NS6detail17trampoline_kernelINS0_14default_configENS1_38merge_sort_block_merge_config_selectorIfNS0_10empty_typeEEEZZNS1_27merge_sort_block_merge_implIS3_N6thrust23THRUST_200600_302600_NS6detail15normal_iteratorINS9_10device_ptrIfEEEEPS5_jNS1_19radix_merge_compareILb0ELb0EfNS0_19identity_decomposerEEEEE10hipError_tT0_T1_T2_jT3_P12ihipStream_tbPNSt15iterator_traitsISK_E10value_typeEPNSQ_ISL_E10value_typeEPSM_NS1_7vsmem_tEENKUlT_SK_SL_SM_E_clISE_PfSF_SF_EESJ_SZ_SK_SL_SM_EUlSZ_E0_NS1_11comp_targetILNS1_3genE10ELNS1_11target_archE1201ELNS1_3gpuE5ELNS1_3repE0EEENS1_38merge_mergepath_config_static_selectorELNS0_4arch9wavefront6targetE0EEEvSL_.has_recursion, 0
	.set _ZN7rocprim17ROCPRIM_400000_NS6detail17trampoline_kernelINS0_14default_configENS1_38merge_sort_block_merge_config_selectorIfNS0_10empty_typeEEEZZNS1_27merge_sort_block_merge_implIS3_N6thrust23THRUST_200600_302600_NS6detail15normal_iteratorINS9_10device_ptrIfEEEEPS5_jNS1_19radix_merge_compareILb0ELb0EfNS0_19identity_decomposerEEEEE10hipError_tT0_T1_T2_jT3_P12ihipStream_tbPNSt15iterator_traitsISK_E10value_typeEPNSQ_ISL_E10value_typeEPSM_NS1_7vsmem_tEENKUlT_SK_SL_SM_E_clISE_PfSF_SF_EESJ_SZ_SK_SL_SM_EUlSZ_E0_NS1_11comp_targetILNS1_3genE10ELNS1_11target_archE1201ELNS1_3gpuE5ELNS1_3repE0EEENS1_38merge_mergepath_config_static_selectorELNS0_4arch9wavefront6targetE0EEEvSL_.has_indirect_call, 0
	.section	.AMDGPU.csdata,"",@progbits
; Kernel info:
; codeLenInByte = 0
; TotalNumSgprs: 0
; NumVgprs: 0
; ScratchSize: 0
; MemoryBound: 0
; FloatMode: 240
; IeeeMode: 1
; LDSByteSize: 0 bytes/workgroup (compile time only)
; SGPRBlocks: 0
; VGPRBlocks: 0
; NumSGPRsForWavesPerEU: 1
; NumVGPRsForWavesPerEU: 1
; Occupancy: 16
; WaveLimiterHint : 0
; COMPUTE_PGM_RSRC2:SCRATCH_EN: 0
; COMPUTE_PGM_RSRC2:USER_SGPR: 6
; COMPUTE_PGM_RSRC2:TRAP_HANDLER: 0
; COMPUTE_PGM_RSRC2:TGID_X_EN: 1
; COMPUTE_PGM_RSRC2:TGID_Y_EN: 0
; COMPUTE_PGM_RSRC2:TGID_Z_EN: 0
; COMPUTE_PGM_RSRC2:TIDIG_COMP_CNT: 0
	.section	.text._ZN7rocprim17ROCPRIM_400000_NS6detail17trampoline_kernelINS0_14default_configENS1_38merge_sort_block_merge_config_selectorIfNS0_10empty_typeEEEZZNS1_27merge_sort_block_merge_implIS3_N6thrust23THRUST_200600_302600_NS6detail15normal_iteratorINS9_10device_ptrIfEEEEPS5_jNS1_19radix_merge_compareILb0ELb0EfNS0_19identity_decomposerEEEEE10hipError_tT0_T1_T2_jT3_P12ihipStream_tbPNSt15iterator_traitsISK_E10value_typeEPNSQ_ISL_E10value_typeEPSM_NS1_7vsmem_tEENKUlT_SK_SL_SM_E_clISE_PfSF_SF_EESJ_SZ_SK_SL_SM_EUlSZ_E0_NS1_11comp_targetILNS1_3genE5ELNS1_11target_archE942ELNS1_3gpuE9ELNS1_3repE0EEENS1_38merge_mergepath_config_static_selectorELNS0_4arch9wavefront6targetE0EEEvSL_,"axG",@progbits,_ZN7rocprim17ROCPRIM_400000_NS6detail17trampoline_kernelINS0_14default_configENS1_38merge_sort_block_merge_config_selectorIfNS0_10empty_typeEEEZZNS1_27merge_sort_block_merge_implIS3_N6thrust23THRUST_200600_302600_NS6detail15normal_iteratorINS9_10device_ptrIfEEEEPS5_jNS1_19radix_merge_compareILb0ELb0EfNS0_19identity_decomposerEEEEE10hipError_tT0_T1_T2_jT3_P12ihipStream_tbPNSt15iterator_traitsISK_E10value_typeEPNSQ_ISL_E10value_typeEPSM_NS1_7vsmem_tEENKUlT_SK_SL_SM_E_clISE_PfSF_SF_EESJ_SZ_SK_SL_SM_EUlSZ_E0_NS1_11comp_targetILNS1_3genE5ELNS1_11target_archE942ELNS1_3gpuE9ELNS1_3repE0EEENS1_38merge_mergepath_config_static_selectorELNS0_4arch9wavefront6targetE0EEEvSL_,comdat
	.protected	_ZN7rocprim17ROCPRIM_400000_NS6detail17trampoline_kernelINS0_14default_configENS1_38merge_sort_block_merge_config_selectorIfNS0_10empty_typeEEEZZNS1_27merge_sort_block_merge_implIS3_N6thrust23THRUST_200600_302600_NS6detail15normal_iteratorINS9_10device_ptrIfEEEEPS5_jNS1_19radix_merge_compareILb0ELb0EfNS0_19identity_decomposerEEEEE10hipError_tT0_T1_T2_jT3_P12ihipStream_tbPNSt15iterator_traitsISK_E10value_typeEPNSQ_ISL_E10value_typeEPSM_NS1_7vsmem_tEENKUlT_SK_SL_SM_E_clISE_PfSF_SF_EESJ_SZ_SK_SL_SM_EUlSZ_E0_NS1_11comp_targetILNS1_3genE5ELNS1_11target_archE942ELNS1_3gpuE9ELNS1_3repE0EEENS1_38merge_mergepath_config_static_selectorELNS0_4arch9wavefront6targetE0EEEvSL_ ; -- Begin function _ZN7rocprim17ROCPRIM_400000_NS6detail17trampoline_kernelINS0_14default_configENS1_38merge_sort_block_merge_config_selectorIfNS0_10empty_typeEEEZZNS1_27merge_sort_block_merge_implIS3_N6thrust23THRUST_200600_302600_NS6detail15normal_iteratorINS9_10device_ptrIfEEEEPS5_jNS1_19radix_merge_compareILb0ELb0EfNS0_19identity_decomposerEEEEE10hipError_tT0_T1_T2_jT3_P12ihipStream_tbPNSt15iterator_traitsISK_E10value_typeEPNSQ_ISL_E10value_typeEPSM_NS1_7vsmem_tEENKUlT_SK_SL_SM_E_clISE_PfSF_SF_EESJ_SZ_SK_SL_SM_EUlSZ_E0_NS1_11comp_targetILNS1_3genE5ELNS1_11target_archE942ELNS1_3gpuE9ELNS1_3repE0EEENS1_38merge_mergepath_config_static_selectorELNS0_4arch9wavefront6targetE0EEEvSL_
	.globl	_ZN7rocprim17ROCPRIM_400000_NS6detail17trampoline_kernelINS0_14default_configENS1_38merge_sort_block_merge_config_selectorIfNS0_10empty_typeEEEZZNS1_27merge_sort_block_merge_implIS3_N6thrust23THRUST_200600_302600_NS6detail15normal_iteratorINS9_10device_ptrIfEEEEPS5_jNS1_19radix_merge_compareILb0ELb0EfNS0_19identity_decomposerEEEEE10hipError_tT0_T1_T2_jT3_P12ihipStream_tbPNSt15iterator_traitsISK_E10value_typeEPNSQ_ISL_E10value_typeEPSM_NS1_7vsmem_tEENKUlT_SK_SL_SM_E_clISE_PfSF_SF_EESJ_SZ_SK_SL_SM_EUlSZ_E0_NS1_11comp_targetILNS1_3genE5ELNS1_11target_archE942ELNS1_3gpuE9ELNS1_3repE0EEENS1_38merge_mergepath_config_static_selectorELNS0_4arch9wavefront6targetE0EEEvSL_
	.p2align	8
	.type	_ZN7rocprim17ROCPRIM_400000_NS6detail17trampoline_kernelINS0_14default_configENS1_38merge_sort_block_merge_config_selectorIfNS0_10empty_typeEEEZZNS1_27merge_sort_block_merge_implIS3_N6thrust23THRUST_200600_302600_NS6detail15normal_iteratorINS9_10device_ptrIfEEEEPS5_jNS1_19radix_merge_compareILb0ELb0EfNS0_19identity_decomposerEEEEE10hipError_tT0_T1_T2_jT3_P12ihipStream_tbPNSt15iterator_traitsISK_E10value_typeEPNSQ_ISL_E10value_typeEPSM_NS1_7vsmem_tEENKUlT_SK_SL_SM_E_clISE_PfSF_SF_EESJ_SZ_SK_SL_SM_EUlSZ_E0_NS1_11comp_targetILNS1_3genE5ELNS1_11target_archE942ELNS1_3gpuE9ELNS1_3repE0EEENS1_38merge_mergepath_config_static_selectorELNS0_4arch9wavefront6targetE0EEEvSL_,@function
_ZN7rocprim17ROCPRIM_400000_NS6detail17trampoline_kernelINS0_14default_configENS1_38merge_sort_block_merge_config_selectorIfNS0_10empty_typeEEEZZNS1_27merge_sort_block_merge_implIS3_N6thrust23THRUST_200600_302600_NS6detail15normal_iteratorINS9_10device_ptrIfEEEEPS5_jNS1_19radix_merge_compareILb0ELb0EfNS0_19identity_decomposerEEEEE10hipError_tT0_T1_T2_jT3_P12ihipStream_tbPNSt15iterator_traitsISK_E10value_typeEPNSQ_ISL_E10value_typeEPSM_NS1_7vsmem_tEENKUlT_SK_SL_SM_E_clISE_PfSF_SF_EESJ_SZ_SK_SL_SM_EUlSZ_E0_NS1_11comp_targetILNS1_3genE5ELNS1_11target_archE942ELNS1_3gpuE9ELNS1_3repE0EEENS1_38merge_mergepath_config_static_selectorELNS0_4arch9wavefront6targetE0EEEvSL_: ; @_ZN7rocprim17ROCPRIM_400000_NS6detail17trampoline_kernelINS0_14default_configENS1_38merge_sort_block_merge_config_selectorIfNS0_10empty_typeEEEZZNS1_27merge_sort_block_merge_implIS3_N6thrust23THRUST_200600_302600_NS6detail15normal_iteratorINS9_10device_ptrIfEEEEPS5_jNS1_19radix_merge_compareILb0ELb0EfNS0_19identity_decomposerEEEEE10hipError_tT0_T1_T2_jT3_P12ihipStream_tbPNSt15iterator_traitsISK_E10value_typeEPNSQ_ISL_E10value_typeEPSM_NS1_7vsmem_tEENKUlT_SK_SL_SM_E_clISE_PfSF_SF_EESJ_SZ_SK_SL_SM_EUlSZ_E0_NS1_11comp_targetILNS1_3genE5ELNS1_11target_archE942ELNS1_3gpuE9ELNS1_3repE0EEENS1_38merge_mergepath_config_static_selectorELNS0_4arch9wavefront6targetE0EEEvSL_
; %bb.0:
	.section	.rodata,"a",@progbits
	.p2align	6, 0x0
	.amdhsa_kernel _ZN7rocprim17ROCPRIM_400000_NS6detail17trampoline_kernelINS0_14default_configENS1_38merge_sort_block_merge_config_selectorIfNS0_10empty_typeEEEZZNS1_27merge_sort_block_merge_implIS3_N6thrust23THRUST_200600_302600_NS6detail15normal_iteratorINS9_10device_ptrIfEEEEPS5_jNS1_19radix_merge_compareILb0ELb0EfNS0_19identity_decomposerEEEEE10hipError_tT0_T1_T2_jT3_P12ihipStream_tbPNSt15iterator_traitsISK_E10value_typeEPNSQ_ISL_E10value_typeEPSM_NS1_7vsmem_tEENKUlT_SK_SL_SM_E_clISE_PfSF_SF_EESJ_SZ_SK_SL_SM_EUlSZ_E0_NS1_11comp_targetILNS1_3genE5ELNS1_11target_archE942ELNS1_3gpuE9ELNS1_3repE0EEENS1_38merge_mergepath_config_static_selectorELNS0_4arch9wavefront6targetE0EEEvSL_
		.amdhsa_group_segment_fixed_size 0
		.amdhsa_private_segment_fixed_size 0
		.amdhsa_kernarg_size 64
		.amdhsa_user_sgpr_count 6
		.amdhsa_user_sgpr_private_segment_buffer 1
		.amdhsa_user_sgpr_dispatch_ptr 0
		.amdhsa_user_sgpr_queue_ptr 0
		.amdhsa_user_sgpr_kernarg_segment_ptr 1
		.amdhsa_user_sgpr_dispatch_id 0
		.amdhsa_user_sgpr_flat_scratch_init 0
		.amdhsa_user_sgpr_private_segment_size 0
		.amdhsa_wavefront_size32 1
		.amdhsa_uses_dynamic_stack 0
		.amdhsa_system_sgpr_private_segment_wavefront_offset 0
		.amdhsa_system_sgpr_workgroup_id_x 1
		.amdhsa_system_sgpr_workgroup_id_y 0
		.amdhsa_system_sgpr_workgroup_id_z 0
		.amdhsa_system_sgpr_workgroup_info 0
		.amdhsa_system_vgpr_workitem_id 0
		.amdhsa_next_free_vgpr 1
		.amdhsa_next_free_sgpr 1
		.amdhsa_reserve_vcc 0
		.amdhsa_reserve_flat_scratch 0
		.amdhsa_float_round_mode_32 0
		.amdhsa_float_round_mode_16_64 0
		.amdhsa_float_denorm_mode_32 3
		.amdhsa_float_denorm_mode_16_64 3
		.amdhsa_dx10_clamp 1
		.amdhsa_ieee_mode 1
		.amdhsa_fp16_overflow 0
		.amdhsa_workgroup_processor_mode 1
		.amdhsa_memory_ordered 1
		.amdhsa_forward_progress 1
		.amdhsa_shared_vgpr_count 0
		.amdhsa_exception_fp_ieee_invalid_op 0
		.amdhsa_exception_fp_denorm_src 0
		.amdhsa_exception_fp_ieee_div_zero 0
		.amdhsa_exception_fp_ieee_overflow 0
		.amdhsa_exception_fp_ieee_underflow 0
		.amdhsa_exception_fp_ieee_inexact 0
		.amdhsa_exception_int_div_zero 0
	.end_amdhsa_kernel
	.section	.text._ZN7rocprim17ROCPRIM_400000_NS6detail17trampoline_kernelINS0_14default_configENS1_38merge_sort_block_merge_config_selectorIfNS0_10empty_typeEEEZZNS1_27merge_sort_block_merge_implIS3_N6thrust23THRUST_200600_302600_NS6detail15normal_iteratorINS9_10device_ptrIfEEEEPS5_jNS1_19radix_merge_compareILb0ELb0EfNS0_19identity_decomposerEEEEE10hipError_tT0_T1_T2_jT3_P12ihipStream_tbPNSt15iterator_traitsISK_E10value_typeEPNSQ_ISL_E10value_typeEPSM_NS1_7vsmem_tEENKUlT_SK_SL_SM_E_clISE_PfSF_SF_EESJ_SZ_SK_SL_SM_EUlSZ_E0_NS1_11comp_targetILNS1_3genE5ELNS1_11target_archE942ELNS1_3gpuE9ELNS1_3repE0EEENS1_38merge_mergepath_config_static_selectorELNS0_4arch9wavefront6targetE0EEEvSL_,"axG",@progbits,_ZN7rocprim17ROCPRIM_400000_NS6detail17trampoline_kernelINS0_14default_configENS1_38merge_sort_block_merge_config_selectorIfNS0_10empty_typeEEEZZNS1_27merge_sort_block_merge_implIS3_N6thrust23THRUST_200600_302600_NS6detail15normal_iteratorINS9_10device_ptrIfEEEEPS5_jNS1_19radix_merge_compareILb0ELb0EfNS0_19identity_decomposerEEEEE10hipError_tT0_T1_T2_jT3_P12ihipStream_tbPNSt15iterator_traitsISK_E10value_typeEPNSQ_ISL_E10value_typeEPSM_NS1_7vsmem_tEENKUlT_SK_SL_SM_E_clISE_PfSF_SF_EESJ_SZ_SK_SL_SM_EUlSZ_E0_NS1_11comp_targetILNS1_3genE5ELNS1_11target_archE942ELNS1_3gpuE9ELNS1_3repE0EEENS1_38merge_mergepath_config_static_selectorELNS0_4arch9wavefront6targetE0EEEvSL_,comdat
.Lfunc_end509:
	.size	_ZN7rocprim17ROCPRIM_400000_NS6detail17trampoline_kernelINS0_14default_configENS1_38merge_sort_block_merge_config_selectorIfNS0_10empty_typeEEEZZNS1_27merge_sort_block_merge_implIS3_N6thrust23THRUST_200600_302600_NS6detail15normal_iteratorINS9_10device_ptrIfEEEEPS5_jNS1_19radix_merge_compareILb0ELb0EfNS0_19identity_decomposerEEEEE10hipError_tT0_T1_T2_jT3_P12ihipStream_tbPNSt15iterator_traitsISK_E10value_typeEPNSQ_ISL_E10value_typeEPSM_NS1_7vsmem_tEENKUlT_SK_SL_SM_E_clISE_PfSF_SF_EESJ_SZ_SK_SL_SM_EUlSZ_E0_NS1_11comp_targetILNS1_3genE5ELNS1_11target_archE942ELNS1_3gpuE9ELNS1_3repE0EEENS1_38merge_mergepath_config_static_selectorELNS0_4arch9wavefront6targetE0EEEvSL_, .Lfunc_end509-_ZN7rocprim17ROCPRIM_400000_NS6detail17trampoline_kernelINS0_14default_configENS1_38merge_sort_block_merge_config_selectorIfNS0_10empty_typeEEEZZNS1_27merge_sort_block_merge_implIS3_N6thrust23THRUST_200600_302600_NS6detail15normal_iteratorINS9_10device_ptrIfEEEEPS5_jNS1_19radix_merge_compareILb0ELb0EfNS0_19identity_decomposerEEEEE10hipError_tT0_T1_T2_jT3_P12ihipStream_tbPNSt15iterator_traitsISK_E10value_typeEPNSQ_ISL_E10value_typeEPSM_NS1_7vsmem_tEENKUlT_SK_SL_SM_E_clISE_PfSF_SF_EESJ_SZ_SK_SL_SM_EUlSZ_E0_NS1_11comp_targetILNS1_3genE5ELNS1_11target_archE942ELNS1_3gpuE9ELNS1_3repE0EEENS1_38merge_mergepath_config_static_selectorELNS0_4arch9wavefront6targetE0EEEvSL_
                                        ; -- End function
	.set _ZN7rocprim17ROCPRIM_400000_NS6detail17trampoline_kernelINS0_14default_configENS1_38merge_sort_block_merge_config_selectorIfNS0_10empty_typeEEEZZNS1_27merge_sort_block_merge_implIS3_N6thrust23THRUST_200600_302600_NS6detail15normal_iteratorINS9_10device_ptrIfEEEEPS5_jNS1_19radix_merge_compareILb0ELb0EfNS0_19identity_decomposerEEEEE10hipError_tT0_T1_T2_jT3_P12ihipStream_tbPNSt15iterator_traitsISK_E10value_typeEPNSQ_ISL_E10value_typeEPSM_NS1_7vsmem_tEENKUlT_SK_SL_SM_E_clISE_PfSF_SF_EESJ_SZ_SK_SL_SM_EUlSZ_E0_NS1_11comp_targetILNS1_3genE5ELNS1_11target_archE942ELNS1_3gpuE9ELNS1_3repE0EEENS1_38merge_mergepath_config_static_selectorELNS0_4arch9wavefront6targetE0EEEvSL_.num_vgpr, 0
	.set _ZN7rocprim17ROCPRIM_400000_NS6detail17trampoline_kernelINS0_14default_configENS1_38merge_sort_block_merge_config_selectorIfNS0_10empty_typeEEEZZNS1_27merge_sort_block_merge_implIS3_N6thrust23THRUST_200600_302600_NS6detail15normal_iteratorINS9_10device_ptrIfEEEEPS5_jNS1_19radix_merge_compareILb0ELb0EfNS0_19identity_decomposerEEEEE10hipError_tT0_T1_T2_jT3_P12ihipStream_tbPNSt15iterator_traitsISK_E10value_typeEPNSQ_ISL_E10value_typeEPSM_NS1_7vsmem_tEENKUlT_SK_SL_SM_E_clISE_PfSF_SF_EESJ_SZ_SK_SL_SM_EUlSZ_E0_NS1_11comp_targetILNS1_3genE5ELNS1_11target_archE942ELNS1_3gpuE9ELNS1_3repE0EEENS1_38merge_mergepath_config_static_selectorELNS0_4arch9wavefront6targetE0EEEvSL_.num_agpr, 0
	.set _ZN7rocprim17ROCPRIM_400000_NS6detail17trampoline_kernelINS0_14default_configENS1_38merge_sort_block_merge_config_selectorIfNS0_10empty_typeEEEZZNS1_27merge_sort_block_merge_implIS3_N6thrust23THRUST_200600_302600_NS6detail15normal_iteratorINS9_10device_ptrIfEEEEPS5_jNS1_19radix_merge_compareILb0ELb0EfNS0_19identity_decomposerEEEEE10hipError_tT0_T1_T2_jT3_P12ihipStream_tbPNSt15iterator_traitsISK_E10value_typeEPNSQ_ISL_E10value_typeEPSM_NS1_7vsmem_tEENKUlT_SK_SL_SM_E_clISE_PfSF_SF_EESJ_SZ_SK_SL_SM_EUlSZ_E0_NS1_11comp_targetILNS1_3genE5ELNS1_11target_archE942ELNS1_3gpuE9ELNS1_3repE0EEENS1_38merge_mergepath_config_static_selectorELNS0_4arch9wavefront6targetE0EEEvSL_.numbered_sgpr, 0
	.set _ZN7rocprim17ROCPRIM_400000_NS6detail17trampoline_kernelINS0_14default_configENS1_38merge_sort_block_merge_config_selectorIfNS0_10empty_typeEEEZZNS1_27merge_sort_block_merge_implIS3_N6thrust23THRUST_200600_302600_NS6detail15normal_iteratorINS9_10device_ptrIfEEEEPS5_jNS1_19radix_merge_compareILb0ELb0EfNS0_19identity_decomposerEEEEE10hipError_tT0_T1_T2_jT3_P12ihipStream_tbPNSt15iterator_traitsISK_E10value_typeEPNSQ_ISL_E10value_typeEPSM_NS1_7vsmem_tEENKUlT_SK_SL_SM_E_clISE_PfSF_SF_EESJ_SZ_SK_SL_SM_EUlSZ_E0_NS1_11comp_targetILNS1_3genE5ELNS1_11target_archE942ELNS1_3gpuE9ELNS1_3repE0EEENS1_38merge_mergepath_config_static_selectorELNS0_4arch9wavefront6targetE0EEEvSL_.num_named_barrier, 0
	.set _ZN7rocprim17ROCPRIM_400000_NS6detail17trampoline_kernelINS0_14default_configENS1_38merge_sort_block_merge_config_selectorIfNS0_10empty_typeEEEZZNS1_27merge_sort_block_merge_implIS3_N6thrust23THRUST_200600_302600_NS6detail15normal_iteratorINS9_10device_ptrIfEEEEPS5_jNS1_19radix_merge_compareILb0ELb0EfNS0_19identity_decomposerEEEEE10hipError_tT0_T1_T2_jT3_P12ihipStream_tbPNSt15iterator_traitsISK_E10value_typeEPNSQ_ISL_E10value_typeEPSM_NS1_7vsmem_tEENKUlT_SK_SL_SM_E_clISE_PfSF_SF_EESJ_SZ_SK_SL_SM_EUlSZ_E0_NS1_11comp_targetILNS1_3genE5ELNS1_11target_archE942ELNS1_3gpuE9ELNS1_3repE0EEENS1_38merge_mergepath_config_static_selectorELNS0_4arch9wavefront6targetE0EEEvSL_.private_seg_size, 0
	.set _ZN7rocprim17ROCPRIM_400000_NS6detail17trampoline_kernelINS0_14default_configENS1_38merge_sort_block_merge_config_selectorIfNS0_10empty_typeEEEZZNS1_27merge_sort_block_merge_implIS3_N6thrust23THRUST_200600_302600_NS6detail15normal_iteratorINS9_10device_ptrIfEEEEPS5_jNS1_19radix_merge_compareILb0ELb0EfNS0_19identity_decomposerEEEEE10hipError_tT0_T1_T2_jT3_P12ihipStream_tbPNSt15iterator_traitsISK_E10value_typeEPNSQ_ISL_E10value_typeEPSM_NS1_7vsmem_tEENKUlT_SK_SL_SM_E_clISE_PfSF_SF_EESJ_SZ_SK_SL_SM_EUlSZ_E0_NS1_11comp_targetILNS1_3genE5ELNS1_11target_archE942ELNS1_3gpuE9ELNS1_3repE0EEENS1_38merge_mergepath_config_static_selectorELNS0_4arch9wavefront6targetE0EEEvSL_.uses_vcc, 0
	.set _ZN7rocprim17ROCPRIM_400000_NS6detail17trampoline_kernelINS0_14default_configENS1_38merge_sort_block_merge_config_selectorIfNS0_10empty_typeEEEZZNS1_27merge_sort_block_merge_implIS3_N6thrust23THRUST_200600_302600_NS6detail15normal_iteratorINS9_10device_ptrIfEEEEPS5_jNS1_19radix_merge_compareILb0ELb0EfNS0_19identity_decomposerEEEEE10hipError_tT0_T1_T2_jT3_P12ihipStream_tbPNSt15iterator_traitsISK_E10value_typeEPNSQ_ISL_E10value_typeEPSM_NS1_7vsmem_tEENKUlT_SK_SL_SM_E_clISE_PfSF_SF_EESJ_SZ_SK_SL_SM_EUlSZ_E0_NS1_11comp_targetILNS1_3genE5ELNS1_11target_archE942ELNS1_3gpuE9ELNS1_3repE0EEENS1_38merge_mergepath_config_static_selectorELNS0_4arch9wavefront6targetE0EEEvSL_.uses_flat_scratch, 0
	.set _ZN7rocprim17ROCPRIM_400000_NS6detail17trampoline_kernelINS0_14default_configENS1_38merge_sort_block_merge_config_selectorIfNS0_10empty_typeEEEZZNS1_27merge_sort_block_merge_implIS3_N6thrust23THRUST_200600_302600_NS6detail15normal_iteratorINS9_10device_ptrIfEEEEPS5_jNS1_19radix_merge_compareILb0ELb0EfNS0_19identity_decomposerEEEEE10hipError_tT0_T1_T2_jT3_P12ihipStream_tbPNSt15iterator_traitsISK_E10value_typeEPNSQ_ISL_E10value_typeEPSM_NS1_7vsmem_tEENKUlT_SK_SL_SM_E_clISE_PfSF_SF_EESJ_SZ_SK_SL_SM_EUlSZ_E0_NS1_11comp_targetILNS1_3genE5ELNS1_11target_archE942ELNS1_3gpuE9ELNS1_3repE0EEENS1_38merge_mergepath_config_static_selectorELNS0_4arch9wavefront6targetE0EEEvSL_.has_dyn_sized_stack, 0
	.set _ZN7rocprim17ROCPRIM_400000_NS6detail17trampoline_kernelINS0_14default_configENS1_38merge_sort_block_merge_config_selectorIfNS0_10empty_typeEEEZZNS1_27merge_sort_block_merge_implIS3_N6thrust23THRUST_200600_302600_NS6detail15normal_iteratorINS9_10device_ptrIfEEEEPS5_jNS1_19radix_merge_compareILb0ELb0EfNS0_19identity_decomposerEEEEE10hipError_tT0_T1_T2_jT3_P12ihipStream_tbPNSt15iterator_traitsISK_E10value_typeEPNSQ_ISL_E10value_typeEPSM_NS1_7vsmem_tEENKUlT_SK_SL_SM_E_clISE_PfSF_SF_EESJ_SZ_SK_SL_SM_EUlSZ_E0_NS1_11comp_targetILNS1_3genE5ELNS1_11target_archE942ELNS1_3gpuE9ELNS1_3repE0EEENS1_38merge_mergepath_config_static_selectorELNS0_4arch9wavefront6targetE0EEEvSL_.has_recursion, 0
	.set _ZN7rocprim17ROCPRIM_400000_NS6detail17trampoline_kernelINS0_14default_configENS1_38merge_sort_block_merge_config_selectorIfNS0_10empty_typeEEEZZNS1_27merge_sort_block_merge_implIS3_N6thrust23THRUST_200600_302600_NS6detail15normal_iteratorINS9_10device_ptrIfEEEEPS5_jNS1_19radix_merge_compareILb0ELb0EfNS0_19identity_decomposerEEEEE10hipError_tT0_T1_T2_jT3_P12ihipStream_tbPNSt15iterator_traitsISK_E10value_typeEPNSQ_ISL_E10value_typeEPSM_NS1_7vsmem_tEENKUlT_SK_SL_SM_E_clISE_PfSF_SF_EESJ_SZ_SK_SL_SM_EUlSZ_E0_NS1_11comp_targetILNS1_3genE5ELNS1_11target_archE942ELNS1_3gpuE9ELNS1_3repE0EEENS1_38merge_mergepath_config_static_selectorELNS0_4arch9wavefront6targetE0EEEvSL_.has_indirect_call, 0
	.section	.AMDGPU.csdata,"",@progbits
; Kernel info:
; codeLenInByte = 0
; TotalNumSgprs: 0
; NumVgprs: 0
; ScratchSize: 0
; MemoryBound: 0
; FloatMode: 240
; IeeeMode: 1
; LDSByteSize: 0 bytes/workgroup (compile time only)
; SGPRBlocks: 0
; VGPRBlocks: 0
; NumSGPRsForWavesPerEU: 1
; NumVGPRsForWavesPerEU: 1
; Occupancy: 16
; WaveLimiterHint : 0
; COMPUTE_PGM_RSRC2:SCRATCH_EN: 0
; COMPUTE_PGM_RSRC2:USER_SGPR: 6
; COMPUTE_PGM_RSRC2:TRAP_HANDLER: 0
; COMPUTE_PGM_RSRC2:TGID_X_EN: 1
; COMPUTE_PGM_RSRC2:TGID_Y_EN: 0
; COMPUTE_PGM_RSRC2:TGID_Z_EN: 0
; COMPUTE_PGM_RSRC2:TIDIG_COMP_CNT: 0
	.section	.text._ZN7rocprim17ROCPRIM_400000_NS6detail17trampoline_kernelINS0_14default_configENS1_38merge_sort_block_merge_config_selectorIfNS0_10empty_typeEEEZZNS1_27merge_sort_block_merge_implIS3_N6thrust23THRUST_200600_302600_NS6detail15normal_iteratorINS9_10device_ptrIfEEEEPS5_jNS1_19radix_merge_compareILb0ELb0EfNS0_19identity_decomposerEEEEE10hipError_tT0_T1_T2_jT3_P12ihipStream_tbPNSt15iterator_traitsISK_E10value_typeEPNSQ_ISL_E10value_typeEPSM_NS1_7vsmem_tEENKUlT_SK_SL_SM_E_clISE_PfSF_SF_EESJ_SZ_SK_SL_SM_EUlSZ_E0_NS1_11comp_targetILNS1_3genE4ELNS1_11target_archE910ELNS1_3gpuE8ELNS1_3repE0EEENS1_38merge_mergepath_config_static_selectorELNS0_4arch9wavefront6targetE0EEEvSL_,"axG",@progbits,_ZN7rocprim17ROCPRIM_400000_NS6detail17trampoline_kernelINS0_14default_configENS1_38merge_sort_block_merge_config_selectorIfNS0_10empty_typeEEEZZNS1_27merge_sort_block_merge_implIS3_N6thrust23THRUST_200600_302600_NS6detail15normal_iteratorINS9_10device_ptrIfEEEEPS5_jNS1_19radix_merge_compareILb0ELb0EfNS0_19identity_decomposerEEEEE10hipError_tT0_T1_T2_jT3_P12ihipStream_tbPNSt15iterator_traitsISK_E10value_typeEPNSQ_ISL_E10value_typeEPSM_NS1_7vsmem_tEENKUlT_SK_SL_SM_E_clISE_PfSF_SF_EESJ_SZ_SK_SL_SM_EUlSZ_E0_NS1_11comp_targetILNS1_3genE4ELNS1_11target_archE910ELNS1_3gpuE8ELNS1_3repE0EEENS1_38merge_mergepath_config_static_selectorELNS0_4arch9wavefront6targetE0EEEvSL_,comdat
	.protected	_ZN7rocprim17ROCPRIM_400000_NS6detail17trampoline_kernelINS0_14default_configENS1_38merge_sort_block_merge_config_selectorIfNS0_10empty_typeEEEZZNS1_27merge_sort_block_merge_implIS3_N6thrust23THRUST_200600_302600_NS6detail15normal_iteratorINS9_10device_ptrIfEEEEPS5_jNS1_19radix_merge_compareILb0ELb0EfNS0_19identity_decomposerEEEEE10hipError_tT0_T1_T2_jT3_P12ihipStream_tbPNSt15iterator_traitsISK_E10value_typeEPNSQ_ISL_E10value_typeEPSM_NS1_7vsmem_tEENKUlT_SK_SL_SM_E_clISE_PfSF_SF_EESJ_SZ_SK_SL_SM_EUlSZ_E0_NS1_11comp_targetILNS1_3genE4ELNS1_11target_archE910ELNS1_3gpuE8ELNS1_3repE0EEENS1_38merge_mergepath_config_static_selectorELNS0_4arch9wavefront6targetE0EEEvSL_ ; -- Begin function _ZN7rocprim17ROCPRIM_400000_NS6detail17trampoline_kernelINS0_14default_configENS1_38merge_sort_block_merge_config_selectorIfNS0_10empty_typeEEEZZNS1_27merge_sort_block_merge_implIS3_N6thrust23THRUST_200600_302600_NS6detail15normal_iteratorINS9_10device_ptrIfEEEEPS5_jNS1_19radix_merge_compareILb0ELb0EfNS0_19identity_decomposerEEEEE10hipError_tT0_T1_T2_jT3_P12ihipStream_tbPNSt15iterator_traitsISK_E10value_typeEPNSQ_ISL_E10value_typeEPSM_NS1_7vsmem_tEENKUlT_SK_SL_SM_E_clISE_PfSF_SF_EESJ_SZ_SK_SL_SM_EUlSZ_E0_NS1_11comp_targetILNS1_3genE4ELNS1_11target_archE910ELNS1_3gpuE8ELNS1_3repE0EEENS1_38merge_mergepath_config_static_selectorELNS0_4arch9wavefront6targetE0EEEvSL_
	.globl	_ZN7rocprim17ROCPRIM_400000_NS6detail17trampoline_kernelINS0_14default_configENS1_38merge_sort_block_merge_config_selectorIfNS0_10empty_typeEEEZZNS1_27merge_sort_block_merge_implIS3_N6thrust23THRUST_200600_302600_NS6detail15normal_iteratorINS9_10device_ptrIfEEEEPS5_jNS1_19radix_merge_compareILb0ELb0EfNS0_19identity_decomposerEEEEE10hipError_tT0_T1_T2_jT3_P12ihipStream_tbPNSt15iterator_traitsISK_E10value_typeEPNSQ_ISL_E10value_typeEPSM_NS1_7vsmem_tEENKUlT_SK_SL_SM_E_clISE_PfSF_SF_EESJ_SZ_SK_SL_SM_EUlSZ_E0_NS1_11comp_targetILNS1_3genE4ELNS1_11target_archE910ELNS1_3gpuE8ELNS1_3repE0EEENS1_38merge_mergepath_config_static_selectorELNS0_4arch9wavefront6targetE0EEEvSL_
	.p2align	8
	.type	_ZN7rocprim17ROCPRIM_400000_NS6detail17trampoline_kernelINS0_14default_configENS1_38merge_sort_block_merge_config_selectorIfNS0_10empty_typeEEEZZNS1_27merge_sort_block_merge_implIS3_N6thrust23THRUST_200600_302600_NS6detail15normal_iteratorINS9_10device_ptrIfEEEEPS5_jNS1_19radix_merge_compareILb0ELb0EfNS0_19identity_decomposerEEEEE10hipError_tT0_T1_T2_jT3_P12ihipStream_tbPNSt15iterator_traitsISK_E10value_typeEPNSQ_ISL_E10value_typeEPSM_NS1_7vsmem_tEENKUlT_SK_SL_SM_E_clISE_PfSF_SF_EESJ_SZ_SK_SL_SM_EUlSZ_E0_NS1_11comp_targetILNS1_3genE4ELNS1_11target_archE910ELNS1_3gpuE8ELNS1_3repE0EEENS1_38merge_mergepath_config_static_selectorELNS0_4arch9wavefront6targetE0EEEvSL_,@function
_ZN7rocprim17ROCPRIM_400000_NS6detail17trampoline_kernelINS0_14default_configENS1_38merge_sort_block_merge_config_selectorIfNS0_10empty_typeEEEZZNS1_27merge_sort_block_merge_implIS3_N6thrust23THRUST_200600_302600_NS6detail15normal_iteratorINS9_10device_ptrIfEEEEPS5_jNS1_19radix_merge_compareILb0ELb0EfNS0_19identity_decomposerEEEEE10hipError_tT0_T1_T2_jT3_P12ihipStream_tbPNSt15iterator_traitsISK_E10value_typeEPNSQ_ISL_E10value_typeEPSM_NS1_7vsmem_tEENKUlT_SK_SL_SM_E_clISE_PfSF_SF_EESJ_SZ_SK_SL_SM_EUlSZ_E0_NS1_11comp_targetILNS1_3genE4ELNS1_11target_archE910ELNS1_3gpuE8ELNS1_3repE0EEENS1_38merge_mergepath_config_static_selectorELNS0_4arch9wavefront6targetE0EEEvSL_: ; @_ZN7rocprim17ROCPRIM_400000_NS6detail17trampoline_kernelINS0_14default_configENS1_38merge_sort_block_merge_config_selectorIfNS0_10empty_typeEEEZZNS1_27merge_sort_block_merge_implIS3_N6thrust23THRUST_200600_302600_NS6detail15normal_iteratorINS9_10device_ptrIfEEEEPS5_jNS1_19radix_merge_compareILb0ELb0EfNS0_19identity_decomposerEEEEE10hipError_tT0_T1_T2_jT3_P12ihipStream_tbPNSt15iterator_traitsISK_E10value_typeEPNSQ_ISL_E10value_typeEPSM_NS1_7vsmem_tEENKUlT_SK_SL_SM_E_clISE_PfSF_SF_EESJ_SZ_SK_SL_SM_EUlSZ_E0_NS1_11comp_targetILNS1_3genE4ELNS1_11target_archE910ELNS1_3gpuE8ELNS1_3repE0EEENS1_38merge_mergepath_config_static_selectorELNS0_4arch9wavefront6targetE0EEEvSL_
; %bb.0:
	.section	.rodata,"a",@progbits
	.p2align	6, 0x0
	.amdhsa_kernel _ZN7rocprim17ROCPRIM_400000_NS6detail17trampoline_kernelINS0_14default_configENS1_38merge_sort_block_merge_config_selectorIfNS0_10empty_typeEEEZZNS1_27merge_sort_block_merge_implIS3_N6thrust23THRUST_200600_302600_NS6detail15normal_iteratorINS9_10device_ptrIfEEEEPS5_jNS1_19radix_merge_compareILb0ELb0EfNS0_19identity_decomposerEEEEE10hipError_tT0_T1_T2_jT3_P12ihipStream_tbPNSt15iterator_traitsISK_E10value_typeEPNSQ_ISL_E10value_typeEPSM_NS1_7vsmem_tEENKUlT_SK_SL_SM_E_clISE_PfSF_SF_EESJ_SZ_SK_SL_SM_EUlSZ_E0_NS1_11comp_targetILNS1_3genE4ELNS1_11target_archE910ELNS1_3gpuE8ELNS1_3repE0EEENS1_38merge_mergepath_config_static_selectorELNS0_4arch9wavefront6targetE0EEEvSL_
		.amdhsa_group_segment_fixed_size 0
		.amdhsa_private_segment_fixed_size 0
		.amdhsa_kernarg_size 64
		.amdhsa_user_sgpr_count 6
		.amdhsa_user_sgpr_private_segment_buffer 1
		.amdhsa_user_sgpr_dispatch_ptr 0
		.amdhsa_user_sgpr_queue_ptr 0
		.amdhsa_user_sgpr_kernarg_segment_ptr 1
		.amdhsa_user_sgpr_dispatch_id 0
		.amdhsa_user_sgpr_flat_scratch_init 0
		.amdhsa_user_sgpr_private_segment_size 0
		.amdhsa_wavefront_size32 1
		.amdhsa_uses_dynamic_stack 0
		.amdhsa_system_sgpr_private_segment_wavefront_offset 0
		.amdhsa_system_sgpr_workgroup_id_x 1
		.amdhsa_system_sgpr_workgroup_id_y 0
		.amdhsa_system_sgpr_workgroup_id_z 0
		.amdhsa_system_sgpr_workgroup_info 0
		.amdhsa_system_vgpr_workitem_id 0
		.amdhsa_next_free_vgpr 1
		.amdhsa_next_free_sgpr 1
		.amdhsa_reserve_vcc 0
		.amdhsa_reserve_flat_scratch 0
		.amdhsa_float_round_mode_32 0
		.amdhsa_float_round_mode_16_64 0
		.amdhsa_float_denorm_mode_32 3
		.amdhsa_float_denorm_mode_16_64 3
		.amdhsa_dx10_clamp 1
		.amdhsa_ieee_mode 1
		.amdhsa_fp16_overflow 0
		.amdhsa_workgroup_processor_mode 1
		.amdhsa_memory_ordered 1
		.amdhsa_forward_progress 1
		.amdhsa_shared_vgpr_count 0
		.amdhsa_exception_fp_ieee_invalid_op 0
		.amdhsa_exception_fp_denorm_src 0
		.amdhsa_exception_fp_ieee_div_zero 0
		.amdhsa_exception_fp_ieee_overflow 0
		.amdhsa_exception_fp_ieee_underflow 0
		.amdhsa_exception_fp_ieee_inexact 0
		.amdhsa_exception_int_div_zero 0
	.end_amdhsa_kernel
	.section	.text._ZN7rocprim17ROCPRIM_400000_NS6detail17trampoline_kernelINS0_14default_configENS1_38merge_sort_block_merge_config_selectorIfNS0_10empty_typeEEEZZNS1_27merge_sort_block_merge_implIS3_N6thrust23THRUST_200600_302600_NS6detail15normal_iteratorINS9_10device_ptrIfEEEEPS5_jNS1_19radix_merge_compareILb0ELb0EfNS0_19identity_decomposerEEEEE10hipError_tT0_T1_T2_jT3_P12ihipStream_tbPNSt15iterator_traitsISK_E10value_typeEPNSQ_ISL_E10value_typeEPSM_NS1_7vsmem_tEENKUlT_SK_SL_SM_E_clISE_PfSF_SF_EESJ_SZ_SK_SL_SM_EUlSZ_E0_NS1_11comp_targetILNS1_3genE4ELNS1_11target_archE910ELNS1_3gpuE8ELNS1_3repE0EEENS1_38merge_mergepath_config_static_selectorELNS0_4arch9wavefront6targetE0EEEvSL_,"axG",@progbits,_ZN7rocprim17ROCPRIM_400000_NS6detail17trampoline_kernelINS0_14default_configENS1_38merge_sort_block_merge_config_selectorIfNS0_10empty_typeEEEZZNS1_27merge_sort_block_merge_implIS3_N6thrust23THRUST_200600_302600_NS6detail15normal_iteratorINS9_10device_ptrIfEEEEPS5_jNS1_19radix_merge_compareILb0ELb0EfNS0_19identity_decomposerEEEEE10hipError_tT0_T1_T2_jT3_P12ihipStream_tbPNSt15iterator_traitsISK_E10value_typeEPNSQ_ISL_E10value_typeEPSM_NS1_7vsmem_tEENKUlT_SK_SL_SM_E_clISE_PfSF_SF_EESJ_SZ_SK_SL_SM_EUlSZ_E0_NS1_11comp_targetILNS1_3genE4ELNS1_11target_archE910ELNS1_3gpuE8ELNS1_3repE0EEENS1_38merge_mergepath_config_static_selectorELNS0_4arch9wavefront6targetE0EEEvSL_,comdat
.Lfunc_end510:
	.size	_ZN7rocprim17ROCPRIM_400000_NS6detail17trampoline_kernelINS0_14default_configENS1_38merge_sort_block_merge_config_selectorIfNS0_10empty_typeEEEZZNS1_27merge_sort_block_merge_implIS3_N6thrust23THRUST_200600_302600_NS6detail15normal_iteratorINS9_10device_ptrIfEEEEPS5_jNS1_19radix_merge_compareILb0ELb0EfNS0_19identity_decomposerEEEEE10hipError_tT0_T1_T2_jT3_P12ihipStream_tbPNSt15iterator_traitsISK_E10value_typeEPNSQ_ISL_E10value_typeEPSM_NS1_7vsmem_tEENKUlT_SK_SL_SM_E_clISE_PfSF_SF_EESJ_SZ_SK_SL_SM_EUlSZ_E0_NS1_11comp_targetILNS1_3genE4ELNS1_11target_archE910ELNS1_3gpuE8ELNS1_3repE0EEENS1_38merge_mergepath_config_static_selectorELNS0_4arch9wavefront6targetE0EEEvSL_, .Lfunc_end510-_ZN7rocprim17ROCPRIM_400000_NS6detail17trampoline_kernelINS0_14default_configENS1_38merge_sort_block_merge_config_selectorIfNS0_10empty_typeEEEZZNS1_27merge_sort_block_merge_implIS3_N6thrust23THRUST_200600_302600_NS6detail15normal_iteratorINS9_10device_ptrIfEEEEPS5_jNS1_19radix_merge_compareILb0ELb0EfNS0_19identity_decomposerEEEEE10hipError_tT0_T1_T2_jT3_P12ihipStream_tbPNSt15iterator_traitsISK_E10value_typeEPNSQ_ISL_E10value_typeEPSM_NS1_7vsmem_tEENKUlT_SK_SL_SM_E_clISE_PfSF_SF_EESJ_SZ_SK_SL_SM_EUlSZ_E0_NS1_11comp_targetILNS1_3genE4ELNS1_11target_archE910ELNS1_3gpuE8ELNS1_3repE0EEENS1_38merge_mergepath_config_static_selectorELNS0_4arch9wavefront6targetE0EEEvSL_
                                        ; -- End function
	.set _ZN7rocprim17ROCPRIM_400000_NS6detail17trampoline_kernelINS0_14default_configENS1_38merge_sort_block_merge_config_selectorIfNS0_10empty_typeEEEZZNS1_27merge_sort_block_merge_implIS3_N6thrust23THRUST_200600_302600_NS6detail15normal_iteratorINS9_10device_ptrIfEEEEPS5_jNS1_19radix_merge_compareILb0ELb0EfNS0_19identity_decomposerEEEEE10hipError_tT0_T1_T2_jT3_P12ihipStream_tbPNSt15iterator_traitsISK_E10value_typeEPNSQ_ISL_E10value_typeEPSM_NS1_7vsmem_tEENKUlT_SK_SL_SM_E_clISE_PfSF_SF_EESJ_SZ_SK_SL_SM_EUlSZ_E0_NS1_11comp_targetILNS1_3genE4ELNS1_11target_archE910ELNS1_3gpuE8ELNS1_3repE0EEENS1_38merge_mergepath_config_static_selectorELNS0_4arch9wavefront6targetE0EEEvSL_.num_vgpr, 0
	.set _ZN7rocprim17ROCPRIM_400000_NS6detail17trampoline_kernelINS0_14default_configENS1_38merge_sort_block_merge_config_selectorIfNS0_10empty_typeEEEZZNS1_27merge_sort_block_merge_implIS3_N6thrust23THRUST_200600_302600_NS6detail15normal_iteratorINS9_10device_ptrIfEEEEPS5_jNS1_19radix_merge_compareILb0ELb0EfNS0_19identity_decomposerEEEEE10hipError_tT0_T1_T2_jT3_P12ihipStream_tbPNSt15iterator_traitsISK_E10value_typeEPNSQ_ISL_E10value_typeEPSM_NS1_7vsmem_tEENKUlT_SK_SL_SM_E_clISE_PfSF_SF_EESJ_SZ_SK_SL_SM_EUlSZ_E0_NS1_11comp_targetILNS1_3genE4ELNS1_11target_archE910ELNS1_3gpuE8ELNS1_3repE0EEENS1_38merge_mergepath_config_static_selectorELNS0_4arch9wavefront6targetE0EEEvSL_.num_agpr, 0
	.set _ZN7rocprim17ROCPRIM_400000_NS6detail17trampoline_kernelINS0_14default_configENS1_38merge_sort_block_merge_config_selectorIfNS0_10empty_typeEEEZZNS1_27merge_sort_block_merge_implIS3_N6thrust23THRUST_200600_302600_NS6detail15normal_iteratorINS9_10device_ptrIfEEEEPS5_jNS1_19radix_merge_compareILb0ELb0EfNS0_19identity_decomposerEEEEE10hipError_tT0_T1_T2_jT3_P12ihipStream_tbPNSt15iterator_traitsISK_E10value_typeEPNSQ_ISL_E10value_typeEPSM_NS1_7vsmem_tEENKUlT_SK_SL_SM_E_clISE_PfSF_SF_EESJ_SZ_SK_SL_SM_EUlSZ_E0_NS1_11comp_targetILNS1_3genE4ELNS1_11target_archE910ELNS1_3gpuE8ELNS1_3repE0EEENS1_38merge_mergepath_config_static_selectorELNS0_4arch9wavefront6targetE0EEEvSL_.numbered_sgpr, 0
	.set _ZN7rocprim17ROCPRIM_400000_NS6detail17trampoline_kernelINS0_14default_configENS1_38merge_sort_block_merge_config_selectorIfNS0_10empty_typeEEEZZNS1_27merge_sort_block_merge_implIS3_N6thrust23THRUST_200600_302600_NS6detail15normal_iteratorINS9_10device_ptrIfEEEEPS5_jNS1_19radix_merge_compareILb0ELb0EfNS0_19identity_decomposerEEEEE10hipError_tT0_T1_T2_jT3_P12ihipStream_tbPNSt15iterator_traitsISK_E10value_typeEPNSQ_ISL_E10value_typeEPSM_NS1_7vsmem_tEENKUlT_SK_SL_SM_E_clISE_PfSF_SF_EESJ_SZ_SK_SL_SM_EUlSZ_E0_NS1_11comp_targetILNS1_3genE4ELNS1_11target_archE910ELNS1_3gpuE8ELNS1_3repE0EEENS1_38merge_mergepath_config_static_selectorELNS0_4arch9wavefront6targetE0EEEvSL_.num_named_barrier, 0
	.set _ZN7rocprim17ROCPRIM_400000_NS6detail17trampoline_kernelINS0_14default_configENS1_38merge_sort_block_merge_config_selectorIfNS0_10empty_typeEEEZZNS1_27merge_sort_block_merge_implIS3_N6thrust23THRUST_200600_302600_NS6detail15normal_iteratorINS9_10device_ptrIfEEEEPS5_jNS1_19radix_merge_compareILb0ELb0EfNS0_19identity_decomposerEEEEE10hipError_tT0_T1_T2_jT3_P12ihipStream_tbPNSt15iterator_traitsISK_E10value_typeEPNSQ_ISL_E10value_typeEPSM_NS1_7vsmem_tEENKUlT_SK_SL_SM_E_clISE_PfSF_SF_EESJ_SZ_SK_SL_SM_EUlSZ_E0_NS1_11comp_targetILNS1_3genE4ELNS1_11target_archE910ELNS1_3gpuE8ELNS1_3repE0EEENS1_38merge_mergepath_config_static_selectorELNS0_4arch9wavefront6targetE0EEEvSL_.private_seg_size, 0
	.set _ZN7rocprim17ROCPRIM_400000_NS6detail17trampoline_kernelINS0_14default_configENS1_38merge_sort_block_merge_config_selectorIfNS0_10empty_typeEEEZZNS1_27merge_sort_block_merge_implIS3_N6thrust23THRUST_200600_302600_NS6detail15normal_iteratorINS9_10device_ptrIfEEEEPS5_jNS1_19radix_merge_compareILb0ELb0EfNS0_19identity_decomposerEEEEE10hipError_tT0_T1_T2_jT3_P12ihipStream_tbPNSt15iterator_traitsISK_E10value_typeEPNSQ_ISL_E10value_typeEPSM_NS1_7vsmem_tEENKUlT_SK_SL_SM_E_clISE_PfSF_SF_EESJ_SZ_SK_SL_SM_EUlSZ_E0_NS1_11comp_targetILNS1_3genE4ELNS1_11target_archE910ELNS1_3gpuE8ELNS1_3repE0EEENS1_38merge_mergepath_config_static_selectorELNS0_4arch9wavefront6targetE0EEEvSL_.uses_vcc, 0
	.set _ZN7rocprim17ROCPRIM_400000_NS6detail17trampoline_kernelINS0_14default_configENS1_38merge_sort_block_merge_config_selectorIfNS0_10empty_typeEEEZZNS1_27merge_sort_block_merge_implIS3_N6thrust23THRUST_200600_302600_NS6detail15normal_iteratorINS9_10device_ptrIfEEEEPS5_jNS1_19radix_merge_compareILb0ELb0EfNS0_19identity_decomposerEEEEE10hipError_tT0_T1_T2_jT3_P12ihipStream_tbPNSt15iterator_traitsISK_E10value_typeEPNSQ_ISL_E10value_typeEPSM_NS1_7vsmem_tEENKUlT_SK_SL_SM_E_clISE_PfSF_SF_EESJ_SZ_SK_SL_SM_EUlSZ_E0_NS1_11comp_targetILNS1_3genE4ELNS1_11target_archE910ELNS1_3gpuE8ELNS1_3repE0EEENS1_38merge_mergepath_config_static_selectorELNS0_4arch9wavefront6targetE0EEEvSL_.uses_flat_scratch, 0
	.set _ZN7rocprim17ROCPRIM_400000_NS6detail17trampoline_kernelINS0_14default_configENS1_38merge_sort_block_merge_config_selectorIfNS0_10empty_typeEEEZZNS1_27merge_sort_block_merge_implIS3_N6thrust23THRUST_200600_302600_NS6detail15normal_iteratorINS9_10device_ptrIfEEEEPS5_jNS1_19radix_merge_compareILb0ELb0EfNS0_19identity_decomposerEEEEE10hipError_tT0_T1_T2_jT3_P12ihipStream_tbPNSt15iterator_traitsISK_E10value_typeEPNSQ_ISL_E10value_typeEPSM_NS1_7vsmem_tEENKUlT_SK_SL_SM_E_clISE_PfSF_SF_EESJ_SZ_SK_SL_SM_EUlSZ_E0_NS1_11comp_targetILNS1_3genE4ELNS1_11target_archE910ELNS1_3gpuE8ELNS1_3repE0EEENS1_38merge_mergepath_config_static_selectorELNS0_4arch9wavefront6targetE0EEEvSL_.has_dyn_sized_stack, 0
	.set _ZN7rocprim17ROCPRIM_400000_NS6detail17trampoline_kernelINS0_14default_configENS1_38merge_sort_block_merge_config_selectorIfNS0_10empty_typeEEEZZNS1_27merge_sort_block_merge_implIS3_N6thrust23THRUST_200600_302600_NS6detail15normal_iteratorINS9_10device_ptrIfEEEEPS5_jNS1_19radix_merge_compareILb0ELb0EfNS0_19identity_decomposerEEEEE10hipError_tT0_T1_T2_jT3_P12ihipStream_tbPNSt15iterator_traitsISK_E10value_typeEPNSQ_ISL_E10value_typeEPSM_NS1_7vsmem_tEENKUlT_SK_SL_SM_E_clISE_PfSF_SF_EESJ_SZ_SK_SL_SM_EUlSZ_E0_NS1_11comp_targetILNS1_3genE4ELNS1_11target_archE910ELNS1_3gpuE8ELNS1_3repE0EEENS1_38merge_mergepath_config_static_selectorELNS0_4arch9wavefront6targetE0EEEvSL_.has_recursion, 0
	.set _ZN7rocprim17ROCPRIM_400000_NS6detail17trampoline_kernelINS0_14default_configENS1_38merge_sort_block_merge_config_selectorIfNS0_10empty_typeEEEZZNS1_27merge_sort_block_merge_implIS3_N6thrust23THRUST_200600_302600_NS6detail15normal_iteratorINS9_10device_ptrIfEEEEPS5_jNS1_19radix_merge_compareILb0ELb0EfNS0_19identity_decomposerEEEEE10hipError_tT0_T1_T2_jT3_P12ihipStream_tbPNSt15iterator_traitsISK_E10value_typeEPNSQ_ISL_E10value_typeEPSM_NS1_7vsmem_tEENKUlT_SK_SL_SM_E_clISE_PfSF_SF_EESJ_SZ_SK_SL_SM_EUlSZ_E0_NS1_11comp_targetILNS1_3genE4ELNS1_11target_archE910ELNS1_3gpuE8ELNS1_3repE0EEENS1_38merge_mergepath_config_static_selectorELNS0_4arch9wavefront6targetE0EEEvSL_.has_indirect_call, 0
	.section	.AMDGPU.csdata,"",@progbits
; Kernel info:
; codeLenInByte = 0
; TotalNumSgprs: 0
; NumVgprs: 0
; ScratchSize: 0
; MemoryBound: 0
; FloatMode: 240
; IeeeMode: 1
; LDSByteSize: 0 bytes/workgroup (compile time only)
; SGPRBlocks: 0
; VGPRBlocks: 0
; NumSGPRsForWavesPerEU: 1
; NumVGPRsForWavesPerEU: 1
; Occupancy: 16
; WaveLimiterHint : 0
; COMPUTE_PGM_RSRC2:SCRATCH_EN: 0
; COMPUTE_PGM_RSRC2:USER_SGPR: 6
; COMPUTE_PGM_RSRC2:TRAP_HANDLER: 0
; COMPUTE_PGM_RSRC2:TGID_X_EN: 1
; COMPUTE_PGM_RSRC2:TGID_Y_EN: 0
; COMPUTE_PGM_RSRC2:TGID_Z_EN: 0
; COMPUTE_PGM_RSRC2:TIDIG_COMP_CNT: 0
	.section	.text._ZN7rocprim17ROCPRIM_400000_NS6detail17trampoline_kernelINS0_14default_configENS1_38merge_sort_block_merge_config_selectorIfNS0_10empty_typeEEEZZNS1_27merge_sort_block_merge_implIS3_N6thrust23THRUST_200600_302600_NS6detail15normal_iteratorINS9_10device_ptrIfEEEEPS5_jNS1_19radix_merge_compareILb0ELb0EfNS0_19identity_decomposerEEEEE10hipError_tT0_T1_T2_jT3_P12ihipStream_tbPNSt15iterator_traitsISK_E10value_typeEPNSQ_ISL_E10value_typeEPSM_NS1_7vsmem_tEENKUlT_SK_SL_SM_E_clISE_PfSF_SF_EESJ_SZ_SK_SL_SM_EUlSZ_E0_NS1_11comp_targetILNS1_3genE3ELNS1_11target_archE908ELNS1_3gpuE7ELNS1_3repE0EEENS1_38merge_mergepath_config_static_selectorELNS0_4arch9wavefront6targetE0EEEvSL_,"axG",@progbits,_ZN7rocprim17ROCPRIM_400000_NS6detail17trampoline_kernelINS0_14default_configENS1_38merge_sort_block_merge_config_selectorIfNS0_10empty_typeEEEZZNS1_27merge_sort_block_merge_implIS3_N6thrust23THRUST_200600_302600_NS6detail15normal_iteratorINS9_10device_ptrIfEEEEPS5_jNS1_19radix_merge_compareILb0ELb0EfNS0_19identity_decomposerEEEEE10hipError_tT0_T1_T2_jT3_P12ihipStream_tbPNSt15iterator_traitsISK_E10value_typeEPNSQ_ISL_E10value_typeEPSM_NS1_7vsmem_tEENKUlT_SK_SL_SM_E_clISE_PfSF_SF_EESJ_SZ_SK_SL_SM_EUlSZ_E0_NS1_11comp_targetILNS1_3genE3ELNS1_11target_archE908ELNS1_3gpuE7ELNS1_3repE0EEENS1_38merge_mergepath_config_static_selectorELNS0_4arch9wavefront6targetE0EEEvSL_,comdat
	.protected	_ZN7rocprim17ROCPRIM_400000_NS6detail17trampoline_kernelINS0_14default_configENS1_38merge_sort_block_merge_config_selectorIfNS0_10empty_typeEEEZZNS1_27merge_sort_block_merge_implIS3_N6thrust23THRUST_200600_302600_NS6detail15normal_iteratorINS9_10device_ptrIfEEEEPS5_jNS1_19radix_merge_compareILb0ELb0EfNS0_19identity_decomposerEEEEE10hipError_tT0_T1_T2_jT3_P12ihipStream_tbPNSt15iterator_traitsISK_E10value_typeEPNSQ_ISL_E10value_typeEPSM_NS1_7vsmem_tEENKUlT_SK_SL_SM_E_clISE_PfSF_SF_EESJ_SZ_SK_SL_SM_EUlSZ_E0_NS1_11comp_targetILNS1_3genE3ELNS1_11target_archE908ELNS1_3gpuE7ELNS1_3repE0EEENS1_38merge_mergepath_config_static_selectorELNS0_4arch9wavefront6targetE0EEEvSL_ ; -- Begin function _ZN7rocprim17ROCPRIM_400000_NS6detail17trampoline_kernelINS0_14default_configENS1_38merge_sort_block_merge_config_selectorIfNS0_10empty_typeEEEZZNS1_27merge_sort_block_merge_implIS3_N6thrust23THRUST_200600_302600_NS6detail15normal_iteratorINS9_10device_ptrIfEEEEPS5_jNS1_19radix_merge_compareILb0ELb0EfNS0_19identity_decomposerEEEEE10hipError_tT0_T1_T2_jT3_P12ihipStream_tbPNSt15iterator_traitsISK_E10value_typeEPNSQ_ISL_E10value_typeEPSM_NS1_7vsmem_tEENKUlT_SK_SL_SM_E_clISE_PfSF_SF_EESJ_SZ_SK_SL_SM_EUlSZ_E0_NS1_11comp_targetILNS1_3genE3ELNS1_11target_archE908ELNS1_3gpuE7ELNS1_3repE0EEENS1_38merge_mergepath_config_static_selectorELNS0_4arch9wavefront6targetE0EEEvSL_
	.globl	_ZN7rocprim17ROCPRIM_400000_NS6detail17trampoline_kernelINS0_14default_configENS1_38merge_sort_block_merge_config_selectorIfNS0_10empty_typeEEEZZNS1_27merge_sort_block_merge_implIS3_N6thrust23THRUST_200600_302600_NS6detail15normal_iteratorINS9_10device_ptrIfEEEEPS5_jNS1_19radix_merge_compareILb0ELb0EfNS0_19identity_decomposerEEEEE10hipError_tT0_T1_T2_jT3_P12ihipStream_tbPNSt15iterator_traitsISK_E10value_typeEPNSQ_ISL_E10value_typeEPSM_NS1_7vsmem_tEENKUlT_SK_SL_SM_E_clISE_PfSF_SF_EESJ_SZ_SK_SL_SM_EUlSZ_E0_NS1_11comp_targetILNS1_3genE3ELNS1_11target_archE908ELNS1_3gpuE7ELNS1_3repE0EEENS1_38merge_mergepath_config_static_selectorELNS0_4arch9wavefront6targetE0EEEvSL_
	.p2align	8
	.type	_ZN7rocprim17ROCPRIM_400000_NS6detail17trampoline_kernelINS0_14default_configENS1_38merge_sort_block_merge_config_selectorIfNS0_10empty_typeEEEZZNS1_27merge_sort_block_merge_implIS3_N6thrust23THRUST_200600_302600_NS6detail15normal_iteratorINS9_10device_ptrIfEEEEPS5_jNS1_19radix_merge_compareILb0ELb0EfNS0_19identity_decomposerEEEEE10hipError_tT0_T1_T2_jT3_P12ihipStream_tbPNSt15iterator_traitsISK_E10value_typeEPNSQ_ISL_E10value_typeEPSM_NS1_7vsmem_tEENKUlT_SK_SL_SM_E_clISE_PfSF_SF_EESJ_SZ_SK_SL_SM_EUlSZ_E0_NS1_11comp_targetILNS1_3genE3ELNS1_11target_archE908ELNS1_3gpuE7ELNS1_3repE0EEENS1_38merge_mergepath_config_static_selectorELNS0_4arch9wavefront6targetE0EEEvSL_,@function
_ZN7rocprim17ROCPRIM_400000_NS6detail17trampoline_kernelINS0_14default_configENS1_38merge_sort_block_merge_config_selectorIfNS0_10empty_typeEEEZZNS1_27merge_sort_block_merge_implIS3_N6thrust23THRUST_200600_302600_NS6detail15normal_iteratorINS9_10device_ptrIfEEEEPS5_jNS1_19radix_merge_compareILb0ELb0EfNS0_19identity_decomposerEEEEE10hipError_tT0_T1_T2_jT3_P12ihipStream_tbPNSt15iterator_traitsISK_E10value_typeEPNSQ_ISL_E10value_typeEPSM_NS1_7vsmem_tEENKUlT_SK_SL_SM_E_clISE_PfSF_SF_EESJ_SZ_SK_SL_SM_EUlSZ_E0_NS1_11comp_targetILNS1_3genE3ELNS1_11target_archE908ELNS1_3gpuE7ELNS1_3repE0EEENS1_38merge_mergepath_config_static_selectorELNS0_4arch9wavefront6targetE0EEEvSL_: ; @_ZN7rocprim17ROCPRIM_400000_NS6detail17trampoline_kernelINS0_14default_configENS1_38merge_sort_block_merge_config_selectorIfNS0_10empty_typeEEEZZNS1_27merge_sort_block_merge_implIS3_N6thrust23THRUST_200600_302600_NS6detail15normal_iteratorINS9_10device_ptrIfEEEEPS5_jNS1_19radix_merge_compareILb0ELb0EfNS0_19identity_decomposerEEEEE10hipError_tT0_T1_T2_jT3_P12ihipStream_tbPNSt15iterator_traitsISK_E10value_typeEPNSQ_ISL_E10value_typeEPSM_NS1_7vsmem_tEENKUlT_SK_SL_SM_E_clISE_PfSF_SF_EESJ_SZ_SK_SL_SM_EUlSZ_E0_NS1_11comp_targetILNS1_3genE3ELNS1_11target_archE908ELNS1_3gpuE7ELNS1_3repE0EEENS1_38merge_mergepath_config_static_selectorELNS0_4arch9wavefront6targetE0EEEvSL_
; %bb.0:
	.section	.rodata,"a",@progbits
	.p2align	6, 0x0
	.amdhsa_kernel _ZN7rocprim17ROCPRIM_400000_NS6detail17trampoline_kernelINS0_14default_configENS1_38merge_sort_block_merge_config_selectorIfNS0_10empty_typeEEEZZNS1_27merge_sort_block_merge_implIS3_N6thrust23THRUST_200600_302600_NS6detail15normal_iteratorINS9_10device_ptrIfEEEEPS5_jNS1_19radix_merge_compareILb0ELb0EfNS0_19identity_decomposerEEEEE10hipError_tT0_T1_T2_jT3_P12ihipStream_tbPNSt15iterator_traitsISK_E10value_typeEPNSQ_ISL_E10value_typeEPSM_NS1_7vsmem_tEENKUlT_SK_SL_SM_E_clISE_PfSF_SF_EESJ_SZ_SK_SL_SM_EUlSZ_E0_NS1_11comp_targetILNS1_3genE3ELNS1_11target_archE908ELNS1_3gpuE7ELNS1_3repE0EEENS1_38merge_mergepath_config_static_selectorELNS0_4arch9wavefront6targetE0EEEvSL_
		.amdhsa_group_segment_fixed_size 0
		.amdhsa_private_segment_fixed_size 0
		.amdhsa_kernarg_size 64
		.amdhsa_user_sgpr_count 6
		.amdhsa_user_sgpr_private_segment_buffer 1
		.amdhsa_user_sgpr_dispatch_ptr 0
		.amdhsa_user_sgpr_queue_ptr 0
		.amdhsa_user_sgpr_kernarg_segment_ptr 1
		.amdhsa_user_sgpr_dispatch_id 0
		.amdhsa_user_sgpr_flat_scratch_init 0
		.amdhsa_user_sgpr_private_segment_size 0
		.amdhsa_wavefront_size32 1
		.amdhsa_uses_dynamic_stack 0
		.amdhsa_system_sgpr_private_segment_wavefront_offset 0
		.amdhsa_system_sgpr_workgroup_id_x 1
		.amdhsa_system_sgpr_workgroup_id_y 0
		.amdhsa_system_sgpr_workgroup_id_z 0
		.amdhsa_system_sgpr_workgroup_info 0
		.amdhsa_system_vgpr_workitem_id 0
		.amdhsa_next_free_vgpr 1
		.amdhsa_next_free_sgpr 1
		.amdhsa_reserve_vcc 0
		.amdhsa_reserve_flat_scratch 0
		.amdhsa_float_round_mode_32 0
		.amdhsa_float_round_mode_16_64 0
		.amdhsa_float_denorm_mode_32 3
		.amdhsa_float_denorm_mode_16_64 3
		.amdhsa_dx10_clamp 1
		.amdhsa_ieee_mode 1
		.amdhsa_fp16_overflow 0
		.amdhsa_workgroup_processor_mode 1
		.amdhsa_memory_ordered 1
		.amdhsa_forward_progress 1
		.amdhsa_shared_vgpr_count 0
		.amdhsa_exception_fp_ieee_invalid_op 0
		.amdhsa_exception_fp_denorm_src 0
		.amdhsa_exception_fp_ieee_div_zero 0
		.amdhsa_exception_fp_ieee_overflow 0
		.amdhsa_exception_fp_ieee_underflow 0
		.amdhsa_exception_fp_ieee_inexact 0
		.amdhsa_exception_int_div_zero 0
	.end_amdhsa_kernel
	.section	.text._ZN7rocprim17ROCPRIM_400000_NS6detail17trampoline_kernelINS0_14default_configENS1_38merge_sort_block_merge_config_selectorIfNS0_10empty_typeEEEZZNS1_27merge_sort_block_merge_implIS3_N6thrust23THRUST_200600_302600_NS6detail15normal_iteratorINS9_10device_ptrIfEEEEPS5_jNS1_19radix_merge_compareILb0ELb0EfNS0_19identity_decomposerEEEEE10hipError_tT0_T1_T2_jT3_P12ihipStream_tbPNSt15iterator_traitsISK_E10value_typeEPNSQ_ISL_E10value_typeEPSM_NS1_7vsmem_tEENKUlT_SK_SL_SM_E_clISE_PfSF_SF_EESJ_SZ_SK_SL_SM_EUlSZ_E0_NS1_11comp_targetILNS1_3genE3ELNS1_11target_archE908ELNS1_3gpuE7ELNS1_3repE0EEENS1_38merge_mergepath_config_static_selectorELNS0_4arch9wavefront6targetE0EEEvSL_,"axG",@progbits,_ZN7rocprim17ROCPRIM_400000_NS6detail17trampoline_kernelINS0_14default_configENS1_38merge_sort_block_merge_config_selectorIfNS0_10empty_typeEEEZZNS1_27merge_sort_block_merge_implIS3_N6thrust23THRUST_200600_302600_NS6detail15normal_iteratorINS9_10device_ptrIfEEEEPS5_jNS1_19radix_merge_compareILb0ELb0EfNS0_19identity_decomposerEEEEE10hipError_tT0_T1_T2_jT3_P12ihipStream_tbPNSt15iterator_traitsISK_E10value_typeEPNSQ_ISL_E10value_typeEPSM_NS1_7vsmem_tEENKUlT_SK_SL_SM_E_clISE_PfSF_SF_EESJ_SZ_SK_SL_SM_EUlSZ_E0_NS1_11comp_targetILNS1_3genE3ELNS1_11target_archE908ELNS1_3gpuE7ELNS1_3repE0EEENS1_38merge_mergepath_config_static_selectorELNS0_4arch9wavefront6targetE0EEEvSL_,comdat
.Lfunc_end511:
	.size	_ZN7rocprim17ROCPRIM_400000_NS6detail17trampoline_kernelINS0_14default_configENS1_38merge_sort_block_merge_config_selectorIfNS0_10empty_typeEEEZZNS1_27merge_sort_block_merge_implIS3_N6thrust23THRUST_200600_302600_NS6detail15normal_iteratorINS9_10device_ptrIfEEEEPS5_jNS1_19radix_merge_compareILb0ELb0EfNS0_19identity_decomposerEEEEE10hipError_tT0_T1_T2_jT3_P12ihipStream_tbPNSt15iterator_traitsISK_E10value_typeEPNSQ_ISL_E10value_typeEPSM_NS1_7vsmem_tEENKUlT_SK_SL_SM_E_clISE_PfSF_SF_EESJ_SZ_SK_SL_SM_EUlSZ_E0_NS1_11comp_targetILNS1_3genE3ELNS1_11target_archE908ELNS1_3gpuE7ELNS1_3repE0EEENS1_38merge_mergepath_config_static_selectorELNS0_4arch9wavefront6targetE0EEEvSL_, .Lfunc_end511-_ZN7rocprim17ROCPRIM_400000_NS6detail17trampoline_kernelINS0_14default_configENS1_38merge_sort_block_merge_config_selectorIfNS0_10empty_typeEEEZZNS1_27merge_sort_block_merge_implIS3_N6thrust23THRUST_200600_302600_NS6detail15normal_iteratorINS9_10device_ptrIfEEEEPS5_jNS1_19radix_merge_compareILb0ELb0EfNS0_19identity_decomposerEEEEE10hipError_tT0_T1_T2_jT3_P12ihipStream_tbPNSt15iterator_traitsISK_E10value_typeEPNSQ_ISL_E10value_typeEPSM_NS1_7vsmem_tEENKUlT_SK_SL_SM_E_clISE_PfSF_SF_EESJ_SZ_SK_SL_SM_EUlSZ_E0_NS1_11comp_targetILNS1_3genE3ELNS1_11target_archE908ELNS1_3gpuE7ELNS1_3repE0EEENS1_38merge_mergepath_config_static_selectorELNS0_4arch9wavefront6targetE0EEEvSL_
                                        ; -- End function
	.set _ZN7rocprim17ROCPRIM_400000_NS6detail17trampoline_kernelINS0_14default_configENS1_38merge_sort_block_merge_config_selectorIfNS0_10empty_typeEEEZZNS1_27merge_sort_block_merge_implIS3_N6thrust23THRUST_200600_302600_NS6detail15normal_iteratorINS9_10device_ptrIfEEEEPS5_jNS1_19radix_merge_compareILb0ELb0EfNS0_19identity_decomposerEEEEE10hipError_tT0_T1_T2_jT3_P12ihipStream_tbPNSt15iterator_traitsISK_E10value_typeEPNSQ_ISL_E10value_typeEPSM_NS1_7vsmem_tEENKUlT_SK_SL_SM_E_clISE_PfSF_SF_EESJ_SZ_SK_SL_SM_EUlSZ_E0_NS1_11comp_targetILNS1_3genE3ELNS1_11target_archE908ELNS1_3gpuE7ELNS1_3repE0EEENS1_38merge_mergepath_config_static_selectorELNS0_4arch9wavefront6targetE0EEEvSL_.num_vgpr, 0
	.set _ZN7rocprim17ROCPRIM_400000_NS6detail17trampoline_kernelINS0_14default_configENS1_38merge_sort_block_merge_config_selectorIfNS0_10empty_typeEEEZZNS1_27merge_sort_block_merge_implIS3_N6thrust23THRUST_200600_302600_NS6detail15normal_iteratorINS9_10device_ptrIfEEEEPS5_jNS1_19radix_merge_compareILb0ELb0EfNS0_19identity_decomposerEEEEE10hipError_tT0_T1_T2_jT3_P12ihipStream_tbPNSt15iterator_traitsISK_E10value_typeEPNSQ_ISL_E10value_typeEPSM_NS1_7vsmem_tEENKUlT_SK_SL_SM_E_clISE_PfSF_SF_EESJ_SZ_SK_SL_SM_EUlSZ_E0_NS1_11comp_targetILNS1_3genE3ELNS1_11target_archE908ELNS1_3gpuE7ELNS1_3repE0EEENS1_38merge_mergepath_config_static_selectorELNS0_4arch9wavefront6targetE0EEEvSL_.num_agpr, 0
	.set _ZN7rocprim17ROCPRIM_400000_NS6detail17trampoline_kernelINS0_14default_configENS1_38merge_sort_block_merge_config_selectorIfNS0_10empty_typeEEEZZNS1_27merge_sort_block_merge_implIS3_N6thrust23THRUST_200600_302600_NS6detail15normal_iteratorINS9_10device_ptrIfEEEEPS5_jNS1_19radix_merge_compareILb0ELb0EfNS0_19identity_decomposerEEEEE10hipError_tT0_T1_T2_jT3_P12ihipStream_tbPNSt15iterator_traitsISK_E10value_typeEPNSQ_ISL_E10value_typeEPSM_NS1_7vsmem_tEENKUlT_SK_SL_SM_E_clISE_PfSF_SF_EESJ_SZ_SK_SL_SM_EUlSZ_E0_NS1_11comp_targetILNS1_3genE3ELNS1_11target_archE908ELNS1_3gpuE7ELNS1_3repE0EEENS1_38merge_mergepath_config_static_selectorELNS0_4arch9wavefront6targetE0EEEvSL_.numbered_sgpr, 0
	.set _ZN7rocprim17ROCPRIM_400000_NS6detail17trampoline_kernelINS0_14default_configENS1_38merge_sort_block_merge_config_selectorIfNS0_10empty_typeEEEZZNS1_27merge_sort_block_merge_implIS3_N6thrust23THRUST_200600_302600_NS6detail15normal_iteratorINS9_10device_ptrIfEEEEPS5_jNS1_19radix_merge_compareILb0ELb0EfNS0_19identity_decomposerEEEEE10hipError_tT0_T1_T2_jT3_P12ihipStream_tbPNSt15iterator_traitsISK_E10value_typeEPNSQ_ISL_E10value_typeEPSM_NS1_7vsmem_tEENKUlT_SK_SL_SM_E_clISE_PfSF_SF_EESJ_SZ_SK_SL_SM_EUlSZ_E0_NS1_11comp_targetILNS1_3genE3ELNS1_11target_archE908ELNS1_3gpuE7ELNS1_3repE0EEENS1_38merge_mergepath_config_static_selectorELNS0_4arch9wavefront6targetE0EEEvSL_.num_named_barrier, 0
	.set _ZN7rocprim17ROCPRIM_400000_NS6detail17trampoline_kernelINS0_14default_configENS1_38merge_sort_block_merge_config_selectorIfNS0_10empty_typeEEEZZNS1_27merge_sort_block_merge_implIS3_N6thrust23THRUST_200600_302600_NS6detail15normal_iteratorINS9_10device_ptrIfEEEEPS5_jNS1_19radix_merge_compareILb0ELb0EfNS0_19identity_decomposerEEEEE10hipError_tT0_T1_T2_jT3_P12ihipStream_tbPNSt15iterator_traitsISK_E10value_typeEPNSQ_ISL_E10value_typeEPSM_NS1_7vsmem_tEENKUlT_SK_SL_SM_E_clISE_PfSF_SF_EESJ_SZ_SK_SL_SM_EUlSZ_E0_NS1_11comp_targetILNS1_3genE3ELNS1_11target_archE908ELNS1_3gpuE7ELNS1_3repE0EEENS1_38merge_mergepath_config_static_selectorELNS0_4arch9wavefront6targetE0EEEvSL_.private_seg_size, 0
	.set _ZN7rocprim17ROCPRIM_400000_NS6detail17trampoline_kernelINS0_14default_configENS1_38merge_sort_block_merge_config_selectorIfNS0_10empty_typeEEEZZNS1_27merge_sort_block_merge_implIS3_N6thrust23THRUST_200600_302600_NS6detail15normal_iteratorINS9_10device_ptrIfEEEEPS5_jNS1_19radix_merge_compareILb0ELb0EfNS0_19identity_decomposerEEEEE10hipError_tT0_T1_T2_jT3_P12ihipStream_tbPNSt15iterator_traitsISK_E10value_typeEPNSQ_ISL_E10value_typeEPSM_NS1_7vsmem_tEENKUlT_SK_SL_SM_E_clISE_PfSF_SF_EESJ_SZ_SK_SL_SM_EUlSZ_E0_NS1_11comp_targetILNS1_3genE3ELNS1_11target_archE908ELNS1_3gpuE7ELNS1_3repE0EEENS1_38merge_mergepath_config_static_selectorELNS0_4arch9wavefront6targetE0EEEvSL_.uses_vcc, 0
	.set _ZN7rocprim17ROCPRIM_400000_NS6detail17trampoline_kernelINS0_14default_configENS1_38merge_sort_block_merge_config_selectorIfNS0_10empty_typeEEEZZNS1_27merge_sort_block_merge_implIS3_N6thrust23THRUST_200600_302600_NS6detail15normal_iteratorINS9_10device_ptrIfEEEEPS5_jNS1_19radix_merge_compareILb0ELb0EfNS0_19identity_decomposerEEEEE10hipError_tT0_T1_T2_jT3_P12ihipStream_tbPNSt15iterator_traitsISK_E10value_typeEPNSQ_ISL_E10value_typeEPSM_NS1_7vsmem_tEENKUlT_SK_SL_SM_E_clISE_PfSF_SF_EESJ_SZ_SK_SL_SM_EUlSZ_E0_NS1_11comp_targetILNS1_3genE3ELNS1_11target_archE908ELNS1_3gpuE7ELNS1_3repE0EEENS1_38merge_mergepath_config_static_selectorELNS0_4arch9wavefront6targetE0EEEvSL_.uses_flat_scratch, 0
	.set _ZN7rocprim17ROCPRIM_400000_NS6detail17trampoline_kernelINS0_14default_configENS1_38merge_sort_block_merge_config_selectorIfNS0_10empty_typeEEEZZNS1_27merge_sort_block_merge_implIS3_N6thrust23THRUST_200600_302600_NS6detail15normal_iteratorINS9_10device_ptrIfEEEEPS5_jNS1_19radix_merge_compareILb0ELb0EfNS0_19identity_decomposerEEEEE10hipError_tT0_T1_T2_jT3_P12ihipStream_tbPNSt15iterator_traitsISK_E10value_typeEPNSQ_ISL_E10value_typeEPSM_NS1_7vsmem_tEENKUlT_SK_SL_SM_E_clISE_PfSF_SF_EESJ_SZ_SK_SL_SM_EUlSZ_E0_NS1_11comp_targetILNS1_3genE3ELNS1_11target_archE908ELNS1_3gpuE7ELNS1_3repE0EEENS1_38merge_mergepath_config_static_selectorELNS0_4arch9wavefront6targetE0EEEvSL_.has_dyn_sized_stack, 0
	.set _ZN7rocprim17ROCPRIM_400000_NS6detail17trampoline_kernelINS0_14default_configENS1_38merge_sort_block_merge_config_selectorIfNS0_10empty_typeEEEZZNS1_27merge_sort_block_merge_implIS3_N6thrust23THRUST_200600_302600_NS6detail15normal_iteratorINS9_10device_ptrIfEEEEPS5_jNS1_19radix_merge_compareILb0ELb0EfNS0_19identity_decomposerEEEEE10hipError_tT0_T1_T2_jT3_P12ihipStream_tbPNSt15iterator_traitsISK_E10value_typeEPNSQ_ISL_E10value_typeEPSM_NS1_7vsmem_tEENKUlT_SK_SL_SM_E_clISE_PfSF_SF_EESJ_SZ_SK_SL_SM_EUlSZ_E0_NS1_11comp_targetILNS1_3genE3ELNS1_11target_archE908ELNS1_3gpuE7ELNS1_3repE0EEENS1_38merge_mergepath_config_static_selectorELNS0_4arch9wavefront6targetE0EEEvSL_.has_recursion, 0
	.set _ZN7rocprim17ROCPRIM_400000_NS6detail17trampoline_kernelINS0_14default_configENS1_38merge_sort_block_merge_config_selectorIfNS0_10empty_typeEEEZZNS1_27merge_sort_block_merge_implIS3_N6thrust23THRUST_200600_302600_NS6detail15normal_iteratorINS9_10device_ptrIfEEEEPS5_jNS1_19radix_merge_compareILb0ELb0EfNS0_19identity_decomposerEEEEE10hipError_tT0_T1_T2_jT3_P12ihipStream_tbPNSt15iterator_traitsISK_E10value_typeEPNSQ_ISL_E10value_typeEPSM_NS1_7vsmem_tEENKUlT_SK_SL_SM_E_clISE_PfSF_SF_EESJ_SZ_SK_SL_SM_EUlSZ_E0_NS1_11comp_targetILNS1_3genE3ELNS1_11target_archE908ELNS1_3gpuE7ELNS1_3repE0EEENS1_38merge_mergepath_config_static_selectorELNS0_4arch9wavefront6targetE0EEEvSL_.has_indirect_call, 0
	.section	.AMDGPU.csdata,"",@progbits
; Kernel info:
; codeLenInByte = 0
; TotalNumSgprs: 0
; NumVgprs: 0
; ScratchSize: 0
; MemoryBound: 0
; FloatMode: 240
; IeeeMode: 1
; LDSByteSize: 0 bytes/workgroup (compile time only)
; SGPRBlocks: 0
; VGPRBlocks: 0
; NumSGPRsForWavesPerEU: 1
; NumVGPRsForWavesPerEU: 1
; Occupancy: 16
; WaveLimiterHint : 0
; COMPUTE_PGM_RSRC2:SCRATCH_EN: 0
; COMPUTE_PGM_RSRC2:USER_SGPR: 6
; COMPUTE_PGM_RSRC2:TRAP_HANDLER: 0
; COMPUTE_PGM_RSRC2:TGID_X_EN: 1
; COMPUTE_PGM_RSRC2:TGID_Y_EN: 0
; COMPUTE_PGM_RSRC2:TGID_Z_EN: 0
; COMPUTE_PGM_RSRC2:TIDIG_COMP_CNT: 0
	.section	.text._ZN7rocprim17ROCPRIM_400000_NS6detail17trampoline_kernelINS0_14default_configENS1_38merge_sort_block_merge_config_selectorIfNS0_10empty_typeEEEZZNS1_27merge_sort_block_merge_implIS3_N6thrust23THRUST_200600_302600_NS6detail15normal_iteratorINS9_10device_ptrIfEEEEPS5_jNS1_19radix_merge_compareILb0ELb0EfNS0_19identity_decomposerEEEEE10hipError_tT0_T1_T2_jT3_P12ihipStream_tbPNSt15iterator_traitsISK_E10value_typeEPNSQ_ISL_E10value_typeEPSM_NS1_7vsmem_tEENKUlT_SK_SL_SM_E_clISE_PfSF_SF_EESJ_SZ_SK_SL_SM_EUlSZ_E0_NS1_11comp_targetILNS1_3genE2ELNS1_11target_archE906ELNS1_3gpuE6ELNS1_3repE0EEENS1_38merge_mergepath_config_static_selectorELNS0_4arch9wavefront6targetE0EEEvSL_,"axG",@progbits,_ZN7rocprim17ROCPRIM_400000_NS6detail17trampoline_kernelINS0_14default_configENS1_38merge_sort_block_merge_config_selectorIfNS0_10empty_typeEEEZZNS1_27merge_sort_block_merge_implIS3_N6thrust23THRUST_200600_302600_NS6detail15normal_iteratorINS9_10device_ptrIfEEEEPS5_jNS1_19radix_merge_compareILb0ELb0EfNS0_19identity_decomposerEEEEE10hipError_tT0_T1_T2_jT3_P12ihipStream_tbPNSt15iterator_traitsISK_E10value_typeEPNSQ_ISL_E10value_typeEPSM_NS1_7vsmem_tEENKUlT_SK_SL_SM_E_clISE_PfSF_SF_EESJ_SZ_SK_SL_SM_EUlSZ_E0_NS1_11comp_targetILNS1_3genE2ELNS1_11target_archE906ELNS1_3gpuE6ELNS1_3repE0EEENS1_38merge_mergepath_config_static_selectorELNS0_4arch9wavefront6targetE0EEEvSL_,comdat
	.protected	_ZN7rocprim17ROCPRIM_400000_NS6detail17trampoline_kernelINS0_14default_configENS1_38merge_sort_block_merge_config_selectorIfNS0_10empty_typeEEEZZNS1_27merge_sort_block_merge_implIS3_N6thrust23THRUST_200600_302600_NS6detail15normal_iteratorINS9_10device_ptrIfEEEEPS5_jNS1_19radix_merge_compareILb0ELb0EfNS0_19identity_decomposerEEEEE10hipError_tT0_T1_T2_jT3_P12ihipStream_tbPNSt15iterator_traitsISK_E10value_typeEPNSQ_ISL_E10value_typeEPSM_NS1_7vsmem_tEENKUlT_SK_SL_SM_E_clISE_PfSF_SF_EESJ_SZ_SK_SL_SM_EUlSZ_E0_NS1_11comp_targetILNS1_3genE2ELNS1_11target_archE906ELNS1_3gpuE6ELNS1_3repE0EEENS1_38merge_mergepath_config_static_selectorELNS0_4arch9wavefront6targetE0EEEvSL_ ; -- Begin function _ZN7rocprim17ROCPRIM_400000_NS6detail17trampoline_kernelINS0_14default_configENS1_38merge_sort_block_merge_config_selectorIfNS0_10empty_typeEEEZZNS1_27merge_sort_block_merge_implIS3_N6thrust23THRUST_200600_302600_NS6detail15normal_iteratorINS9_10device_ptrIfEEEEPS5_jNS1_19radix_merge_compareILb0ELb0EfNS0_19identity_decomposerEEEEE10hipError_tT0_T1_T2_jT3_P12ihipStream_tbPNSt15iterator_traitsISK_E10value_typeEPNSQ_ISL_E10value_typeEPSM_NS1_7vsmem_tEENKUlT_SK_SL_SM_E_clISE_PfSF_SF_EESJ_SZ_SK_SL_SM_EUlSZ_E0_NS1_11comp_targetILNS1_3genE2ELNS1_11target_archE906ELNS1_3gpuE6ELNS1_3repE0EEENS1_38merge_mergepath_config_static_selectorELNS0_4arch9wavefront6targetE0EEEvSL_
	.globl	_ZN7rocprim17ROCPRIM_400000_NS6detail17trampoline_kernelINS0_14default_configENS1_38merge_sort_block_merge_config_selectorIfNS0_10empty_typeEEEZZNS1_27merge_sort_block_merge_implIS3_N6thrust23THRUST_200600_302600_NS6detail15normal_iteratorINS9_10device_ptrIfEEEEPS5_jNS1_19radix_merge_compareILb0ELb0EfNS0_19identity_decomposerEEEEE10hipError_tT0_T1_T2_jT3_P12ihipStream_tbPNSt15iterator_traitsISK_E10value_typeEPNSQ_ISL_E10value_typeEPSM_NS1_7vsmem_tEENKUlT_SK_SL_SM_E_clISE_PfSF_SF_EESJ_SZ_SK_SL_SM_EUlSZ_E0_NS1_11comp_targetILNS1_3genE2ELNS1_11target_archE906ELNS1_3gpuE6ELNS1_3repE0EEENS1_38merge_mergepath_config_static_selectorELNS0_4arch9wavefront6targetE0EEEvSL_
	.p2align	8
	.type	_ZN7rocprim17ROCPRIM_400000_NS6detail17trampoline_kernelINS0_14default_configENS1_38merge_sort_block_merge_config_selectorIfNS0_10empty_typeEEEZZNS1_27merge_sort_block_merge_implIS3_N6thrust23THRUST_200600_302600_NS6detail15normal_iteratorINS9_10device_ptrIfEEEEPS5_jNS1_19radix_merge_compareILb0ELb0EfNS0_19identity_decomposerEEEEE10hipError_tT0_T1_T2_jT3_P12ihipStream_tbPNSt15iterator_traitsISK_E10value_typeEPNSQ_ISL_E10value_typeEPSM_NS1_7vsmem_tEENKUlT_SK_SL_SM_E_clISE_PfSF_SF_EESJ_SZ_SK_SL_SM_EUlSZ_E0_NS1_11comp_targetILNS1_3genE2ELNS1_11target_archE906ELNS1_3gpuE6ELNS1_3repE0EEENS1_38merge_mergepath_config_static_selectorELNS0_4arch9wavefront6targetE0EEEvSL_,@function
_ZN7rocprim17ROCPRIM_400000_NS6detail17trampoline_kernelINS0_14default_configENS1_38merge_sort_block_merge_config_selectorIfNS0_10empty_typeEEEZZNS1_27merge_sort_block_merge_implIS3_N6thrust23THRUST_200600_302600_NS6detail15normal_iteratorINS9_10device_ptrIfEEEEPS5_jNS1_19radix_merge_compareILb0ELb0EfNS0_19identity_decomposerEEEEE10hipError_tT0_T1_T2_jT3_P12ihipStream_tbPNSt15iterator_traitsISK_E10value_typeEPNSQ_ISL_E10value_typeEPSM_NS1_7vsmem_tEENKUlT_SK_SL_SM_E_clISE_PfSF_SF_EESJ_SZ_SK_SL_SM_EUlSZ_E0_NS1_11comp_targetILNS1_3genE2ELNS1_11target_archE906ELNS1_3gpuE6ELNS1_3repE0EEENS1_38merge_mergepath_config_static_selectorELNS0_4arch9wavefront6targetE0EEEvSL_: ; @_ZN7rocprim17ROCPRIM_400000_NS6detail17trampoline_kernelINS0_14default_configENS1_38merge_sort_block_merge_config_selectorIfNS0_10empty_typeEEEZZNS1_27merge_sort_block_merge_implIS3_N6thrust23THRUST_200600_302600_NS6detail15normal_iteratorINS9_10device_ptrIfEEEEPS5_jNS1_19radix_merge_compareILb0ELb0EfNS0_19identity_decomposerEEEEE10hipError_tT0_T1_T2_jT3_P12ihipStream_tbPNSt15iterator_traitsISK_E10value_typeEPNSQ_ISL_E10value_typeEPSM_NS1_7vsmem_tEENKUlT_SK_SL_SM_E_clISE_PfSF_SF_EESJ_SZ_SK_SL_SM_EUlSZ_E0_NS1_11comp_targetILNS1_3genE2ELNS1_11target_archE906ELNS1_3gpuE6ELNS1_3repE0EEENS1_38merge_mergepath_config_static_selectorELNS0_4arch9wavefront6targetE0EEEvSL_
; %bb.0:
	.section	.rodata,"a",@progbits
	.p2align	6, 0x0
	.amdhsa_kernel _ZN7rocprim17ROCPRIM_400000_NS6detail17trampoline_kernelINS0_14default_configENS1_38merge_sort_block_merge_config_selectorIfNS0_10empty_typeEEEZZNS1_27merge_sort_block_merge_implIS3_N6thrust23THRUST_200600_302600_NS6detail15normal_iteratorINS9_10device_ptrIfEEEEPS5_jNS1_19radix_merge_compareILb0ELb0EfNS0_19identity_decomposerEEEEE10hipError_tT0_T1_T2_jT3_P12ihipStream_tbPNSt15iterator_traitsISK_E10value_typeEPNSQ_ISL_E10value_typeEPSM_NS1_7vsmem_tEENKUlT_SK_SL_SM_E_clISE_PfSF_SF_EESJ_SZ_SK_SL_SM_EUlSZ_E0_NS1_11comp_targetILNS1_3genE2ELNS1_11target_archE906ELNS1_3gpuE6ELNS1_3repE0EEENS1_38merge_mergepath_config_static_selectorELNS0_4arch9wavefront6targetE0EEEvSL_
		.amdhsa_group_segment_fixed_size 0
		.amdhsa_private_segment_fixed_size 0
		.amdhsa_kernarg_size 64
		.amdhsa_user_sgpr_count 6
		.amdhsa_user_sgpr_private_segment_buffer 1
		.amdhsa_user_sgpr_dispatch_ptr 0
		.amdhsa_user_sgpr_queue_ptr 0
		.amdhsa_user_sgpr_kernarg_segment_ptr 1
		.amdhsa_user_sgpr_dispatch_id 0
		.amdhsa_user_sgpr_flat_scratch_init 0
		.amdhsa_user_sgpr_private_segment_size 0
		.amdhsa_wavefront_size32 1
		.amdhsa_uses_dynamic_stack 0
		.amdhsa_system_sgpr_private_segment_wavefront_offset 0
		.amdhsa_system_sgpr_workgroup_id_x 1
		.amdhsa_system_sgpr_workgroup_id_y 0
		.amdhsa_system_sgpr_workgroup_id_z 0
		.amdhsa_system_sgpr_workgroup_info 0
		.amdhsa_system_vgpr_workitem_id 0
		.amdhsa_next_free_vgpr 1
		.amdhsa_next_free_sgpr 1
		.amdhsa_reserve_vcc 0
		.amdhsa_reserve_flat_scratch 0
		.amdhsa_float_round_mode_32 0
		.amdhsa_float_round_mode_16_64 0
		.amdhsa_float_denorm_mode_32 3
		.amdhsa_float_denorm_mode_16_64 3
		.amdhsa_dx10_clamp 1
		.amdhsa_ieee_mode 1
		.amdhsa_fp16_overflow 0
		.amdhsa_workgroup_processor_mode 1
		.amdhsa_memory_ordered 1
		.amdhsa_forward_progress 1
		.amdhsa_shared_vgpr_count 0
		.amdhsa_exception_fp_ieee_invalid_op 0
		.amdhsa_exception_fp_denorm_src 0
		.amdhsa_exception_fp_ieee_div_zero 0
		.amdhsa_exception_fp_ieee_overflow 0
		.amdhsa_exception_fp_ieee_underflow 0
		.amdhsa_exception_fp_ieee_inexact 0
		.amdhsa_exception_int_div_zero 0
	.end_amdhsa_kernel
	.section	.text._ZN7rocprim17ROCPRIM_400000_NS6detail17trampoline_kernelINS0_14default_configENS1_38merge_sort_block_merge_config_selectorIfNS0_10empty_typeEEEZZNS1_27merge_sort_block_merge_implIS3_N6thrust23THRUST_200600_302600_NS6detail15normal_iteratorINS9_10device_ptrIfEEEEPS5_jNS1_19radix_merge_compareILb0ELb0EfNS0_19identity_decomposerEEEEE10hipError_tT0_T1_T2_jT3_P12ihipStream_tbPNSt15iterator_traitsISK_E10value_typeEPNSQ_ISL_E10value_typeEPSM_NS1_7vsmem_tEENKUlT_SK_SL_SM_E_clISE_PfSF_SF_EESJ_SZ_SK_SL_SM_EUlSZ_E0_NS1_11comp_targetILNS1_3genE2ELNS1_11target_archE906ELNS1_3gpuE6ELNS1_3repE0EEENS1_38merge_mergepath_config_static_selectorELNS0_4arch9wavefront6targetE0EEEvSL_,"axG",@progbits,_ZN7rocprim17ROCPRIM_400000_NS6detail17trampoline_kernelINS0_14default_configENS1_38merge_sort_block_merge_config_selectorIfNS0_10empty_typeEEEZZNS1_27merge_sort_block_merge_implIS3_N6thrust23THRUST_200600_302600_NS6detail15normal_iteratorINS9_10device_ptrIfEEEEPS5_jNS1_19radix_merge_compareILb0ELb0EfNS0_19identity_decomposerEEEEE10hipError_tT0_T1_T2_jT3_P12ihipStream_tbPNSt15iterator_traitsISK_E10value_typeEPNSQ_ISL_E10value_typeEPSM_NS1_7vsmem_tEENKUlT_SK_SL_SM_E_clISE_PfSF_SF_EESJ_SZ_SK_SL_SM_EUlSZ_E0_NS1_11comp_targetILNS1_3genE2ELNS1_11target_archE906ELNS1_3gpuE6ELNS1_3repE0EEENS1_38merge_mergepath_config_static_selectorELNS0_4arch9wavefront6targetE0EEEvSL_,comdat
.Lfunc_end512:
	.size	_ZN7rocprim17ROCPRIM_400000_NS6detail17trampoline_kernelINS0_14default_configENS1_38merge_sort_block_merge_config_selectorIfNS0_10empty_typeEEEZZNS1_27merge_sort_block_merge_implIS3_N6thrust23THRUST_200600_302600_NS6detail15normal_iteratorINS9_10device_ptrIfEEEEPS5_jNS1_19radix_merge_compareILb0ELb0EfNS0_19identity_decomposerEEEEE10hipError_tT0_T1_T2_jT3_P12ihipStream_tbPNSt15iterator_traitsISK_E10value_typeEPNSQ_ISL_E10value_typeEPSM_NS1_7vsmem_tEENKUlT_SK_SL_SM_E_clISE_PfSF_SF_EESJ_SZ_SK_SL_SM_EUlSZ_E0_NS1_11comp_targetILNS1_3genE2ELNS1_11target_archE906ELNS1_3gpuE6ELNS1_3repE0EEENS1_38merge_mergepath_config_static_selectorELNS0_4arch9wavefront6targetE0EEEvSL_, .Lfunc_end512-_ZN7rocprim17ROCPRIM_400000_NS6detail17trampoline_kernelINS0_14default_configENS1_38merge_sort_block_merge_config_selectorIfNS0_10empty_typeEEEZZNS1_27merge_sort_block_merge_implIS3_N6thrust23THRUST_200600_302600_NS6detail15normal_iteratorINS9_10device_ptrIfEEEEPS5_jNS1_19radix_merge_compareILb0ELb0EfNS0_19identity_decomposerEEEEE10hipError_tT0_T1_T2_jT3_P12ihipStream_tbPNSt15iterator_traitsISK_E10value_typeEPNSQ_ISL_E10value_typeEPSM_NS1_7vsmem_tEENKUlT_SK_SL_SM_E_clISE_PfSF_SF_EESJ_SZ_SK_SL_SM_EUlSZ_E0_NS1_11comp_targetILNS1_3genE2ELNS1_11target_archE906ELNS1_3gpuE6ELNS1_3repE0EEENS1_38merge_mergepath_config_static_selectorELNS0_4arch9wavefront6targetE0EEEvSL_
                                        ; -- End function
	.set _ZN7rocprim17ROCPRIM_400000_NS6detail17trampoline_kernelINS0_14default_configENS1_38merge_sort_block_merge_config_selectorIfNS0_10empty_typeEEEZZNS1_27merge_sort_block_merge_implIS3_N6thrust23THRUST_200600_302600_NS6detail15normal_iteratorINS9_10device_ptrIfEEEEPS5_jNS1_19radix_merge_compareILb0ELb0EfNS0_19identity_decomposerEEEEE10hipError_tT0_T1_T2_jT3_P12ihipStream_tbPNSt15iterator_traitsISK_E10value_typeEPNSQ_ISL_E10value_typeEPSM_NS1_7vsmem_tEENKUlT_SK_SL_SM_E_clISE_PfSF_SF_EESJ_SZ_SK_SL_SM_EUlSZ_E0_NS1_11comp_targetILNS1_3genE2ELNS1_11target_archE906ELNS1_3gpuE6ELNS1_3repE0EEENS1_38merge_mergepath_config_static_selectorELNS0_4arch9wavefront6targetE0EEEvSL_.num_vgpr, 0
	.set _ZN7rocprim17ROCPRIM_400000_NS6detail17trampoline_kernelINS0_14default_configENS1_38merge_sort_block_merge_config_selectorIfNS0_10empty_typeEEEZZNS1_27merge_sort_block_merge_implIS3_N6thrust23THRUST_200600_302600_NS6detail15normal_iteratorINS9_10device_ptrIfEEEEPS5_jNS1_19radix_merge_compareILb0ELb0EfNS0_19identity_decomposerEEEEE10hipError_tT0_T1_T2_jT3_P12ihipStream_tbPNSt15iterator_traitsISK_E10value_typeEPNSQ_ISL_E10value_typeEPSM_NS1_7vsmem_tEENKUlT_SK_SL_SM_E_clISE_PfSF_SF_EESJ_SZ_SK_SL_SM_EUlSZ_E0_NS1_11comp_targetILNS1_3genE2ELNS1_11target_archE906ELNS1_3gpuE6ELNS1_3repE0EEENS1_38merge_mergepath_config_static_selectorELNS0_4arch9wavefront6targetE0EEEvSL_.num_agpr, 0
	.set _ZN7rocprim17ROCPRIM_400000_NS6detail17trampoline_kernelINS0_14default_configENS1_38merge_sort_block_merge_config_selectorIfNS0_10empty_typeEEEZZNS1_27merge_sort_block_merge_implIS3_N6thrust23THRUST_200600_302600_NS6detail15normal_iteratorINS9_10device_ptrIfEEEEPS5_jNS1_19radix_merge_compareILb0ELb0EfNS0_19identity_decomposerEEEEE10hipError_tT0_T1_T2_jT3_P12ihipStream_tbPNSt15iterator_traitsISK_E10value_typeEPNSQ_ISL_E10value_typeEPSM_NS1_7vsmem_tEENKUlT_SK_SL_SM_E_clISE_PfSF_SF_EESJ_SZ_SK_SL_SM_EUlSZ_E0_NS1_11comp_targetILNS1_3genE2ELNS1_11target_archE906ELNS1_3gpuE6ELNS1_3repE0EEENS1_38merge_mergepath_config_static_selectorELNS0_4arch9wavefront6targetE0EEEvSL_.numbered_sgpr, 0
	.set _ZN7rocprim17ROCPRIM_400000_NS6detail17trampoline_kernelINS0_14default_configENS1_38merge_sort_block_merge_config_selectorIfNS0_10empty_typeEEEZZNS1_27merge_sort_block_merge_implIS3_N6thrust23THRUST_200600_302600_NS6detail15normal_iteratorINS9_10device_ptrIfEEEEPS5_jNS1_19radix_merge_compareILb0ELb0EfNS0_19identity_decomposerEEEEE10hipError_tT0_T1_T2_jT3_P12ihipStream_tbPNSt15iterator_traitsISK_E10value_typeEPNSQ_ISL_E10value_typeEPSM_NS1_7vsmem_tEENKUlT_SK_SL_SM_E_clISE_PfSF_SF_EESJ_SZ_SK_SL_SM_EUlSZ_E0_NS1_11comp_targetILNS1_3genE2ELNS1_11target_archE906ELNS1_3gpuE6ELNS1_3repE0EEENS1_38merge_mergepath_config_static_selectorELNS0_4arch9wavefront6targetE0EEEvSL_.num_named_barrier, 0
	.set _ZN7rocprim17ROCPRIM_400000_NS6detail17trampoline_kernelINS0_14default_configENS1_38merge_sort_block_merge_config_selectorIfNS0_10empty_typeEEEZZNS1_27merge_sort_block_merge_implIS3_N6thrust23THRUST_200600_302600_NS6detail15normal_iteratorINS9_10device_ptrIfEEEEPS5_jNS1_19radix_merge_compareILb0ELb0EfNS0_19identity_decomposerEEEEE10hipError_tT0_T1_T2_jT3_P12ihipStream_tbPNSt15iterator_traitsISK_E10value_typeEPNSQ_ISL_E10value_typeEPSM_NS1_7vsmem_tEENKUlT_SK_SL_SM_E_clISE_PfSF_SF_EESJ_SZ_SK_SL_SM_EUlSZ_E0_NS1_11comp_targetILNS1_3genE2ELNS1_11target_archE906ELNS1_3gpuE6ELNS1_3repE0EEENS1_38merge_mergepath_config_static_selectorELNS0_4arch9wavefront6targetE0EEEvSL_.private_seg_size, 0
	.set _ZN7rocprim17ROCPRIM_400000_NS6detail17trampoline_kernelINS0_14default_configENS1_38merge_sort_block_merge_config_selectorIfNS0_10empty_typeEEEZZNS1_27merge_sort_block_merge_implIS3_N6thrust23THRUST_200600_302600_NS6detail15normal_iteratorINS9_10device_ptrIfEEEEPS5_jNS1_19radix_merge_compareILb0ELb0EfNS0_19identity_decomposerEEEEE10hipError_tT0_T1_T2_jT3_P12ihipStream_tbPNSt15iterator_traitsISK_E10value_typeEPNSQ_ISL_E10value_typeEPSM_NS1_7vsmem_tEENKUlT_SK_SL_SM_E_clISE_PfSF_SF_EESJ_SZ_SK_SL_SM_EUlSZ_E0_NS1_11comp_targetILNS1_3genE2ELNS1_11target_archE906ELNS1_3gpuE6ELNS1_3repE0EEENS1_38merge_mergepath_config_static_selectorELNS0_4arch9wavefront6targetE0EEEvSL_.uses_vcc, 0
	.set _ZN7rocprim17ROCPRIM_400000_NS6detail17trampoline_kernelINS0_14default_configENS1_38merge_sort_block_merge_config_selectorIfNS0_10empty_typeEEEZZNS1_27merge_sort_block_merge_implIS3_N6thrust23THRUST_200600_302600_NS6detail15normal_iteratorINS9_10device_ptrIfEEEEPS5_jNS1_19radix_merge_compareILb0ELb0EfNS0_19identity_decomposerEEEEE10hipError_tT0_T1_T2_jT3_P12ihipStream_tbPNSt15iterator_traitsISK_E10value_typeEPNSQ_ISL_E10value_typeEPSM_NS1_7vsmem_tEENKUlT_SK_SL_SM_E_clISE_PfSF_SF_EESJ_SZ_SK_SL_SM_EUlSZ_E0_NS1_11comp_targetILNS1_3genE2ELNS1_11target_archE906ELNS1_3gpuE6ELNS1_3repE0EEENS1_38merge_mergepath_config_static_selectorELNS0_4arch9wavefront6targetE0EEEvSL_.uses_flat_scratch, 0
	.set _ZN7rocprim17ROCPRIM_400000_NS6detail17trampoline_kernelINS0_14default_configENS1_38merge_sort_block_merge_config_selectorIfNS0_10empty_typeEEEZZNS1_27merge_sort_block_merge_implIS3_N6thrust23THRUST_200600_302600_NS6detail15normal_iteratorINS9_10device_ptrIfEEEEPS5_jNS1_19radix_merge_compareILb0ELb0EfNS0_19identity_decomposerEEEEE10hipError_tT0_T1_T2_jT3_P12ihipStream_tbPNSt15iterator_traitsISK_E10value_typeEPNSQ_ISL_E10value_typeEPSM_NS1_7vsmem_tEENKUlT_SK_SL_SM_E_clISE_PfSF_SF_EESJ_SZ_SK_SL_SM_EUlSZ_E0_NS1_11comp_targetILNS1_3genE2ELNS1_11target_archE906ELNS1_3gpuE6ELNS1_3repE0EEENS1_38merge_mergepath_config_static_selectorELNS0_4arch9wavefront6targetE0EEEvSL_.has_dyn_sized_stack, 0
	.set _ZN7rocprim17ROCPRIM_400000_NS6detail17trampoline_kernelINS0_14default_configENS1_38merge_sort_block_merge_config_selectorIfNS0_10empty_typeEEEZZNS1_27merge_sort_block_merge_implIS3_N6thrust23THRUST_200600_302600_NS6detail15normal_iteratorINS9_10device_ptrIfEEEEPS5_jNS1_19radix_merge_compareILb0ELb0EfNS0_19identity_decomposerEEEEE10hipError_tT0_T1_T2_jT3_P12ihipStream_tbPNSt15iterator_traitsISK_E10value_typeEPNSQ_ISL_E10value_typeEPSM_NS1_7vsmem_tEENKUlT_SK_SL_SM_E_clISE_PfSF_SF_EESJ_SZ_SK_SL_SM_EUlSZ_E0_NS1_11comp_targetILNS1_3genE2ELNS1_11target_archE906ELNS1_3gpuE6ELNS1_3repE0EEENS1_38merge_mergepath_config_static_selectorELNS0_4arch9wavefront6targetE0EEEvSL_.has_recursion, 0
	.set _ZN7rocprim17ROCPRIM_400000_NS6detail17trampoline_kernelINS0_14default_configENS1_38merge_sort_block_merge_config_selectorIfNS0_10empty_typeEEEZZNS1_27merge_sort_block_merge_implIS3_N6thrust23THRUST_200600_302600_NS6detail15normal_iteratorINS9_10device_ptrIfEEEEPS5_jNS1_19radix_merge_compareILb0ELb0EfNS0_19identity_decomposerEEEEE10hipError_tT0_T1_T2_jT3_P12ihipStream_tbPNSt15iterator_traitsISK_E10value_typeEPNSQ_ISL_E10value_typeEPSM_NS1_7vsmem_tEENKUlT_SK_SL_SM_E_clISE_PfSF_SF_EESJ_SZ_SK_SL_SM_EUlSZ_E0_NS1_11comp_targetILNS1_3genE2ELNS1_11target_archE906ELNS1_3gpuE6ELNS1_3repE0EEENS1_38merge_mergepath_config_static_selectorELNS0_4arch9wavefront6targetE0EEEvSL_.has_indirect_call, 0
	.section	.AMDGPU.csdata,"",@progbits
; Kernel info:
; codeLenInByte = 0
; TotalNumSgprs: 0
; NumVgprs: 0
; ScratchSize: 0
; MemoryBound: 0
; FloatMode: 240
; IeeeMode: 1
; LDSByteSize: 0 bytes/workgroup (compile time only)
; SGPRBlocks: 0
; VGPRBlocks: 0
; NumSGPRsForWavesPerEU: 1
; NumVGPRsForWavesPerEU: 1
; Occupancy: 16
; WaveLimiterHint : 0
; COMPUTE_PGM_RSRC2:SCRATCH_EN: 0
; COMPUTE_PGM_RSRC2:USER_SGPR: 6
; COMPUTE_PGM_RSRC2:TRAP_HANDLER: 0
; COMPUTE_PGM_RSRC2:TGID_X_EN: 1
; COMPUTE_PGM_RSRC2:TGID_Y_EN: 0
; COMPUTE_PGM_RSRC2:TGID_Z_EN: 0
; COMPUTE_PGM_RSRC2:TIDIG_COMP_CNT: 0
	.section	.text._ZN7rocprim17ROCPRIM_400000_NS6detail17trampoline_kernelINS0_14default_configENS1_38merge_sort_block_merge_config_selectorIfNS0_10empty_typeEEEZZNS1_27merge_sort_block_merge_implIS3_N6thrust23THRUST_200600_302600_NS6detail15normal_iteratorINS9_10device_ptrIfEEEEPS5_jNS1_19radix_merge_compareILb0ELb0EfNS0_19identity_decomposerEEEEE10hipError_tT0_T1_T2_jT3_P12ihipStream_tbPNSt15iterator_traitsISK_E10value_typeEPNSQ_ISL_E10value_typeEPSM_NS1_7vsmem_tEENKUlT_SK_SL_SM_E_clISE_PfSF_SF_EESJ_SZ_SK_SL_SM_EUlSZ_E0_NS1_11comp_targetILNS1_3genE9ELNS1_11target_archE1100ELNS1_3gpuE3ELNS1_3repE0EEENS1_38merge_mergepath_config_static_selectorELNS0_4arch9wavefront6targetE0EEEvSL_,"axG",@progbits,_ZN7rocprim17ROCPRIM_400000_NS6detail17trampoline_kernelINS0_14default_configENS1_38merge_sort_block_merge_config_selectorIfNS0_10empty_typeEEEZZNS1_27merge_sort_block_merge_implIS3_N6thrust23THRUST_200600_302600_NS6detail15normal_iteratorINS9_10device_ptrIfEEEEPS5_jNS1_19radix_merge_compareILb0ELb0EfNS0_19identity_decomposerEEEEE10hipError_tT0_T1_T2_jT3_P12ihipStream_tbPNSt15iterator_traitsISK_E10value_typeEPNSQ_ISL_E10value_typeEPSM_NS1_7vsmem_tEENKUlT_SK_SL_SM_E_clISE_PfSF_SF_EESJ_SZ_SK_SL_SM_EUlSZ_E0_NS1_11comp_targetILNS1_3genE9ELNS1_11target_archE1100ELNS1_3gpuE3ELNS1_3repE0EEENS1_38merge_mergepath_config_static_selectorELNS0_4arch9wavefront6targetE0EEEvSL_,comdat
	.protected	_ZN7rocprim17ROCPRIM_400000_NS6detail17trampoline_kernelINS0_14default_configENS1_38merge_sort_block_merge_config_selectorIfNS0_10empty_typeEEEZZNS1_27merge_sort_block_merge_implIS3_N6thrust23THRUST_200600_302600_NS6detail15normal_iteratorINS9_10device_ptrIfEEEEPS5_jNS1_19radix_merge_compareILb0ELb0EfNS0_19identity_decomposerEEEEE10hipError_tT0_T1_T2_jT3_P12ihipStream_tbPNSt15iterator_traitsISK_E10value_typeEPNSQ_ISL_E10value_typeEPSM_NS1_7vsmem_tEENKUlT_SK_SL_SM_E_clISE_PfSF_SF_EESJ_SZ_SK_SL_SM_EUlSZ_E0_NS1_11comp_targetILNS1_3genE9ELNS1_11target_archE1100ELNS1_3gpuE3ELNS1_3repE0EEENS1_38merge_mergepath_config_static_selectorELNS0_4arch9wavefront6targetE0EEEvSL_ ; -- Begin function _ZN7rocprim17ROCPRIM_400000_NS6detail17trampoline_kernelINS0_14default_configENS1_38merge_sort_block_merge_config_selectorIfNS0_10empty_typeEEEZZNS1_27merge_sort_block_merge_implIS3_N6thrust23THRUST_200600_302600_NS6detail15normal_iteratorINS9_10device_ptrIfEEEEPS5_jNS1_19radix_merge_compareILb0ELb0EfNS0_19identity_decomposerEEEEE10hipError_tT0_T1_T2_jT3_P12ihipStream_tbPNSt15iterator_traitsISK_E10value_typeEPNSQ_ISL_E10value_typeEPSM_NS1_7vsmem_tEENKUlT_SK_SL_SM_E_clISE_PfSF_SF_EESJ_SZ_SK_SL_SM_EUlSZ_E0_NS1_11comp_targetILNS1_3genE9ELNS1_11target_archE1100ELNS1_3gpuE3ELNS1_3repE0EEENS1_38merge_mergepath_config_static_selectorELNS0_4arch9wavefront6targetE0EEEvSL_
	.globl	_ZN7rocprim17ROCPRIM_400000_NS6detail17trampoline_kernelINS0_14default_configENS1_38merge_sort_block_merge_config_selectorIfNS0_10empty_typeEEEZZNS1_27merge_sort_block_merge_implIS3_N6thrust23THRUST_200600_302600_NS6detail15normal_iteratorINS9_10device_ptrIfEEEEPS5_jNS1_19radix_merge_compareILb0ELb0EfNS0_19identity_decomposerEEEEE10hipError_tT0_T1_T2_jT3_P12ihipStream_tbPNSt15iterator_traitsISK_E10value_typeEPNSQ_ISL_E10value_typeEPSM_NS1_7vsmem_tEENKUlT_SK_SL_SM_E_clISE_PfSF_SF_EESJ_SZ_SK_SL_SM_EUlSZ_E0_NS1_11comp_targetILNS1_3genE9ELNS1_11target_archE1100ELNS1_3gpuE3ELNS1_3repE0EEENS1_38merge_mergepath_config_static_selectorELNS0_4arch9wavefront6targetE0EEEvSL_
	.p2align	8
	.type	_ZN7rocprim17ROCPRIM_400000_NS6detail17trampoline_kernelINS0_14default_configENS1_38merge_sort_block_merge_config_selectorIfNS0_10empty_typeEEEZZNS1_27merge_sort_block_merge_implIS3_N6thrust23THRUST_200600_302600_NS6detail15normal_iteratorINS9_10device_ptrIfEEEEPS5_jNS1_19radix_merge_compareILb0ELb0EfNS0_19identity_decomposerEEEEE10hipError_tT0_T1_T2_jT3_P12ihipStream_tbPNSt15iterator_traitsISK_E10value_typeEPNSQ_ISL_E10value_typeEPSM_NS1_7vsmem_tEENKUlT_SK_SL_SM_E_clISE_PfSF_SF_EESJ_SZ_SK_SL_SM_EUlSZ_E0_NS1_11comp_targetILNS1_3genE9ELNS1_11target_archE1100ELNS1_3gpuE3ELNS1_3repE0EEENS1_38merge_mergepath_config_static_selectorELNS0_4arch9wavefront6targetE0EEEvSL_,@function
_ZN7rocprim17ROCPRIM_400000_NS6detail17trampoline_kernelINS0_14default_configENS1_38merge_sort_block_merge_config_selectorIfNS0_10empty_typeEEEZZNS1_27merge_sort_block_merge_implIS3_N6thrust23THRUST_200600_302600_NS6detail15normal_iteratorINS9_10device_ptrIfEEEEPS5_jNS1_19radix_merge_compareILb0ELb0EfNS0_19identity_decomposerEEEEE10hipError_tT0_T1_T2_jT3_P12ihipStream_tbPNSt15iterator_traitsISK_E10value_typeEPNSQ_ISL_E10value_typeEPSM_NS1_7vsmem_tEENKUlT_SK_SL_SM_E_clISE_PfSF_SF_EESJ_SZ_SK_SL_SM_EUlSZ_E0_NS1_11comp_targetILNS1_3genE9ELNS1_11target_archE1100ELNS1_3gpuE3ELNS1_3repE0EEENS1_38merge_mergepath_config_static_selectorELNS0_4arch9wavefront6targetE0EEEvSL_: ; @_ZN7rocprim17ROCPRIM_400000_NS6detail17trampoline_kernelINS0_14default_configENS1_38merge_sort_block_merge_config_selectorIfNS0_10empty_typeEEEZZNS1_27merge_sort_block_merge_implIS3_N6thrust23THRUST_200600_302600_NS6detail15normal_iteratorINS9_10device_ptrIfEEEEPS5_jNS1_19radix_merge_compareILb0ELb0EfNS0_19identity_decomposerEEEEE10hipError_tT0_T1_T2_jT3_P12ihipStream_tbPNSt15iterator_traitsISK_E10value_typeEPNSQ_ISL_E10value_typeEPSM_NS1_7vsmem_tEENKUlT_SK_SL_SM_E_clISE_PfSF_SF_EESJ_SZ_SK_SL_SM_EUlSZ_E0_NS1_11comp_targetILNS1_3genE9ELNS1_11target_archE1100ELNS1_3gpuE3ELNS1_3repE0EEENS1_38merge_mergepath_config_static_selectorELNS0_4arch9wavefront6targetE0EEEvSL_
; %bb.0:
	.section	.rodata,"a",@progbits
	.p2align	6, 0x0
	.amdhsa_kernel _ZN7rocprim17ROCPRIM_400000_NS6detail17trampoline_kernelINS0_14default_configENS1_38merge_sort_block_merge_config_selectorIfNS0_10empty_typeEEEZZNS1_27merge_sort_block_merge_implIS3_N6thrust23THRUST_200600_302600_NS6detail15normal_iteratorINS9_10device_ptrIfEEEEPS5_jNS1_19radix_merge_compareILb0ELb0EfNS0_19identity_decomposerEEEEE10hipError_tT0_T1_T2_jT3_P12ihipStream_tbPNSt15iterator_traitsISK_E10value_typeEPNSQ_ISL_E10value_typeEPSM_NS1_7vsmem_tEENKUlT_SK_SL_SM_E_clISE_PfSF_SF_EESJ_SZ_SK_SL_SM_EUlSZ_E0_NS1_11comp_targetILNS1_3genE9ELNS1_11target_archE1100ELNS1_3gpuE3ELNS1_3repE0EEENS1_38merge_mergepath_config_static_selectorELNS0_4arch9wavefront6targetE0EEEvSL_
		.amdhsa_group_segment_fixed_size 0
		.amdhsa_private_segment_fixed_size 0
		.amdhsa_kernarg_size 64
		.amdhsa_user_sgpr_count 6
		.amdhsa_user_sgpr_private_segment_buffer 1
		.amdhsa_user_sgpr_dispatch_ptr 0
		.amdhsa_user_sgpr_queue_ptr 0
		.amdhsa_user_sgpr_kernarg_segment_ptr 1
		.amdhsa_user_sgpr_dispatch_id 0
		.amdhsa_user_sgpr_flat_scratch_init 0
		.amdhsa_user_sgpr_private_segment_size 0
		.amdhsa_wavefront_size32 1
		.amdhsa_uses_dynamic_stack 0
		.amdhsa_system_sgpr_private_segment_wavefront_offset 0
		.amdhsa_system_sgpr_workgroup_id_x 1
		.amdhsa_system_sgpr_workgroup_id_y 0
		.amdhsa_system_sgpr_workgroup_id_z 0
		.amdhsa_system_sgpr_workgroup_info 0
		.amdhsa_system_vgpr_workitem_id 0
		.amdhsa_next_free_vgpr 1
		.amdhsa_next_free_sgpr 1
		.amdhsa_reserve_vcc 0
		.amdhsa_reserve_flat_scratch 0
		.amdhsa_float_round_mode_32 0
		.amdhsa_float_round_mode_16_64 0
		.amdhsa_float_denorm_mode_32 3
		.amdhsa_float_denorm_mode_16_64 3
		.amdhsa_dx10_clamp 1
		.amdhsa_ieee_mode 1
		.amdhsa_fp16_overflow 0
		.amdhsa_workgroup_processor_mode 1
		.amdhsa_memory_ordered 1
		.amdhsa_forward_progress 1
		.amdhsa_shared_vgpr_count 0
		.amdhsa_exception_fp_ieee_invalid_op 0
		.amdhsa_exception_fp_denorm_src 0
		.amdhsa_exception_fp_ieee_div_zero 0
		.amdhsa_exception_fp_ieee_overflow 0
		.amdhsa_exception_fp_ieee_underflow 0
		.amdhsa_exception_fp_ieee_inexact 0
		.amdhsa_exception_int_div_zero 0
	.end_amdhsa_kernel
	.section	.text._ZN7rocprim17ROCPRIM_400000_NS6detail17trampoline_kernelINS0_14default_configENS1_38merge_sort_block_merge_config_selectorIfNS0_10empty_typeEEEZZNS1_27merge_sort_block_merge_implIS3_N6thrust23THRUST_200600_302600_NS6detail15normal_iteratorINS9_10device_ptrIfEEEEPS5_jNS1_19radix_merge_compareILb0ELb0EfNS0_19identity_decomposerEEEEE10hipError_tT0_T1_T2_jT3_P12ihipStream_tbPNSt15iterator_traitsISK_E10value_typeEPNSQ_ISL_E10value_typeEPSM_NS1_7vsmem_tEENKUlT_SK_SL_SM_E_clISE_PfSF_SF_EESJ_SZ_SK_SL_SM_EUlSZ_E0_NS1_11comp_targetILNS1_3genE9ELNS1_11target_archE1100ELNS1_3gpuE3ELNS1_3repE0EEENS1_38merge_mergepath_config_static_selectorELNS0_4arch9wavefront6targetE0EEEvSL_,"axG",@progbits,_ZN7rocprim17ROCPRIM_400000_NS6detail17trampoline_kernelINS0_14default_configENS1_38merge_sort_block_merge_config_selectorIfNS0_10empty_typeEEEZZNS1_27merge_sort_block_merge_implIS3_N6thrust23THRUST_200600_302600_NS6detail15normal_iteratorINS9_10device_ptrIfEEEEPS5_jNS1_19radix_merge_compareILb0ELb0EfNS0_19identity_decomposerEEEEE10hipError_tT0_T1_T2_jT3_P12ihipStream_tbPNSt15iterator_traitsISK_E10value_typeEPNSQ_ISL_E10value_typeEPSM_NS1_7vsmem_tEENKUlT_SK_SL_SM_E_clISE_PfSF_SF_EESJ_SZ_SK_SL_SM_EUlSZ_E0_NS1_11comp_targetILNS1_3genE9ELNS1_11target_archE1100ELNS1_3gpuE3ELNS1_3repE0EEENS1_38merge_mergepath_config_static_selectorELNS0_4arch9wavefront6targetE0EEEvSL_,comdat
.Lfunc_end513:
	.size	_ZN7rocprim17ROCPRIM_400000_NS6detail17trampoline_kernelINS0_14default_configENS1_38merge_sort_block_merge_config_selectorIfNS0_10empty_typeEEEZZNS1_27merge_sort_block_merge_implIS3_N6thrust23THRUST_200600_302600_NS6detail15normal_iteratorINS9_10device_ptrIfEEEEPS5_jNS1_19radix_merge_compareILb0ELb0EfNS0_19identity_decomposerEEEEE10hipError_tT0_T1_T2_jT3_P12ihipStream_tbPNSt15iterator_traitsISK_E10value_typeEPNSQ_ISL_E10value_typeEPSM_NS1_7vsmem_tEENKUlT_SK_SL_SM_E_clISE_PfSF_SF_EESJ_SZ_SK_SL_SM_EUlSZ_E0_NS1_11comp_targetILNS1_3genE9ELNS1_11target_archE1100ELNS1_3gpuE3ELNS1_3repE0EEENS1_38merge_mergepath_config_static_selectorELNS0_4arch9wavefront6targetE0EEEvSL_, .Lfunc_end513-_ZN7rocprim17ROCPRIM_400000_NS6detail17trampoline_kernelINS0_14default_configENS1_38merge_sort_block_merge_config_selectorIfNS0_10empty_typeEEEZZNS1_27merge_sort_block_merge_implIS3_N6thrust23THRUST_200600_302600_NS6detail15normal_iteratorINS9_10device_ptrIfEEEEPS5_jNS1_19radix_merge_compareILb0ELb0EfNS0_19identity_decomposerEEEEE10hipError_tT0_T1_T2_jT3_P12ihipStream_tbPNSt15iterator_traitsISK_E10value_typeEPNSQ_ISL_E10value_typeEPSM_NS1_7vsmem_tEENKUlT_SK_SL_SM_E_clISE_PfSF_SF_EESJ_SZ_SK_SL_SM_EUlSZ_E0_NS1_11comp_targetILNS1_3genE9ELNS1_11target_archE1100ELNS1_3gpuE3ELNS1_3repE0EEENS1_38merge_mergepath_config_static_selectorELNS0_4arch9wavefront6targetE0EEEvSL_
                                        ; -- End function
	.set _ZN7rocprim17ROCPRIM_400000_NS6detail17trampoline_kernelINS0_14default_configENS1_38merge_sort_block_merge_config_selectorIfNS0_10empty_typeEEEZZNS1_27merge_sort_block_merge_implIS3_N6thrust23THRUST_200600_302600_NS6detail15normal_iteratorINS9_10device_ptrIfEEEEPS5_jNS1_19radix_merge_compareILb0ELb0EfNS0_19identity_decomposerEEEEE10hipError_tT0_T1_T2_jT3_P12ihipStream_tbPNSt15iterator_traitsISK_E10value_typeEPNSQ_ISL_E10value_typeEPSM_NS1_7vsmem_tEENKUlT_SK_SL_SM_E_clISE_PfSF_SF_EESJ_SZ_SK_SL_SM_EUlSZ_E0_NS1_11comp_targetILNS1_3genE9ELNS1_11target_archE1100ELNS1_3gpuE3ELNS1_3repE0EEENS1_38merge_mergepath_config_static_selectorELNS0_4arch9wavefront6targetE0EEEvSL_.num_vgpr, 0
	.set _ZN7rocprim17ROCPRIM_400000_NS6detail17trampoline_kernelINS0_14default_configENS1_38merge_sort_block_merge_config_selectorIfNS0_10empty_typeEEEZZNS1_27merge_sort_block_merge_implIS3_N6thrust23THRUST_200600_302600_NS6detail15normal_iteratorINS9_10device_ptrIfEEEEPS5_jNS1_19radix_merge_compareILb0ELb0EfNS0_19identity_decomposerEEEEE10hipError_tT0_T1_T2_jT3_P12ihipStream_tbPNSt15iterator_traitsISK_E10value_typeEPNSQ_ISL_E10value_typeEPSM_NS1_7vsmem_tEENKUlT_SK_SL_SM_E_clISE_PfSF_SF_EESJ_SZ_SK_SL_SM_EUlSZ_E0_NS1_11comp_targetILNS1_3genE9ELNS1_11target_archE1100ELNS1_3gpuE3ELNS1_3repE0EEENS1_38merge_mergepath_config_static_selectorELNS0_4arch9wavefront6targetE0EEEvSL_.num_agpr, 0
	.set _ZN7rocprim17ROCPRIM_400000_NS6detail17trampoline_kernelINS0_14default_configENS1_38merge_sort_block_merge_config_selectorIfNS0_10empty_typeEEEZZNS1_27merge_sort_block_merge_implIS3_N6thrust23THRUST_200600_302600_NS6detail15normal_iteratorINS9_10device_ptrIfEEEEPS5_jNS1_19radix_merge_compareILb0ELb0EfNS0_19identity_decomposerEEEEE10hipError_tT0_T1_T2_jT3_P12ihipStream_tbPNSt15iterator_traitsISK_E10value_typeEPNSQ_ISL_E10value_typeEPSM_NS1_7vsmem_tEENKUlT_SK_SL_SM_E_clISE_PfSF_SF_EESJ_SZ_SK_SL_SM_EUlSZ_E0_NS1_11comp_targetILNS1_3genE9ELNS1_11target_archE1100ELNS1_3gpuE3ELNS1_3repE0EEENS1_38merge_mergepath_config_static_selectorELNS0_4arch9wavefront6targetE0EEEvSL_.numbered_sgpr, 0
	.set _ZN7rocprim17ROCPRIM_400000_NS6detail17trampoline_kernelINS0_14default_configENS1_38merge_sort_block_merge_config_selectorIfNS0_10empty_typeEEEZZNS1_27merge_sort_block_merge_implIS3_N6thrust23THRUST_200600_302600_NS6detail15normal_iteratorINS9_10device_ptrIfEEEEPS5_jNS1_19radix_merge_compareILb0ELb0EfNS0_19identity_decomposerEEEEE10hipError_tT0_T1_T2_jT3_P12ihipStream_tbPNSt15iterator_traitsISK_E10value_typeEPNSQ_ISL_E10value_typeEPSM_NS1_7vsmem_tEENKUlT_SK_SL_SM_E_clISE_PfSF_SF_EESJ_SZ_SK_SL_SM_EUlSZ_E0_NS1_11comp_targetILNS1_3genE9ELNS1_11target_archE1100ELNS1_3gpuE3ELNS1_3repE0EEENS1_38merge_mergepath_config_static_selectorELNS0_4arch9wavefront6targetE0EEEvSL_.num_named_barrier, 0
	.set _ZN7rocprim17ROCPRIM_400000_NS6detail17trampoline_kernelINS0_14default_configENS1_38merge_sort_block_merge_config_selectorIfNS0_10empty_typeEEEZZNS1_27merge_sort_block_merge_implIS3_N6thrust23THRUST_200600_302600_NS6detail15normal_iteratorINS9_10device_ptrIfEEEEPS5_jNS1_19radix_merge_compareILb0ELb0EfNS0_19identity_decomposerEEEEE10hipError_tT0_T1_T2_jT3_P12ihipStream_tbPNSt15iterator_traitsISK_E10value_typeEPNSQ_ISL_E10value_typeEPSM_NS1_7vsmem_tEENKUlT_SK_SL_SM_E_clISE_PfSF_SF_EESJ_SZ_SK_SL_SM_EUlSZ_E0_NS1_11comp_targetILNS1_3genE9ELNS1_11target_archE1100ELNS1_3gpuE3ELNS1_3repE0EEENS1_38merge_mergepath_config_static_selectorELNS0_4arch9wavefront6targetE0EEEvSL_.private_seg_size, 0
	.set _ZN7rocprim17ROCPRIM_400000_NS6detail17trampoline_kernelINS0_14default_configENS1_38merge_sort_block_merge_config_selectorIfNS0_10empty_typeEEEZZNS1_27merge_sort_block_merge_implIS3_N6thrust23THRUST_200600_302600_NS6detail15normal_iteratorINS9_10device_ptrIfEEEEPS5_jNS1_19radix_merge_compareILb0ELb0EfNS0_19identity_decomposerEEEEE10hipError_tT0_T1_T2_jT3_P12ihipStream_tbPNSt15iterator_traitsISK_E10value_typeEPNSQ_ISL_E10value_typeEPSM_NS1_7vsmem_tEENKUlT_SK_SL_SM_E_clISE_PfSF_SF_EESJ_SZ_SK_SL_SM_EUlSZ_E0_NS1_11comp_targetILNS1_3genE9ELNS1_11target_archE1100ELNS1_3gpuE3ELNS1_3repE0EEENS1_38merge_mergepath_config_static_selectorELNS0_4arch9wavefront6targetE0EEEvSL_.uses_vcc, 0
	.set _ZN7rocprim17ROCPRIM_400000_NS6detail17trampoline_kernelINS0_14default_configENS1_38merge_sort_block_merge_config_selectorIfNS0_10empty_typeEEEZZNS1_27merge_sort_block_merge_implIS3_N6thrust23THRUST_200600_302600_NS6detail15normal_iteratorINS9_10device_ptrIfEEEEPS5_jNS1_19radix_merge_compareILb0ELb0EfNS0_19identity_decomposerEEEEE10hipError_tT0_T1_T2_jT3_P12ihipStream_tbPNSt15iterator_traitsISK_E10value_typeEPNSQ_ISL_E10value_typeEPSM_NS1_7vsmem_tEENKUlT_SK_SL_SM_E_clISE_PfSF_SF_EESJ_SZ_SK_SL_SM_EUlSZ_E0_NS1_11comp_targetILNS1_3genE9ELNS1_11target_archE1100ELNS1_3gpuE3ELNS1_3repE0EEENS1_38merge_mergepath_config_static_selectorELNS0_4arch9wavefront6targetE0EEEvSL_.uses_flat_scratch, 0
	.set _ZN7rocprim17ROCPRIM_400000_NS6detail17trampoline_kernelINS0_14default_configENS1_38merge_sort_block_merge_config_selectorIfNS0_10empty_typeEEEZZNS1_27merge_sort_block_merge_implIS3_N6thrust23THRUST_200600_302600_NS6detail15normal_iteratorINS9_10device_ptrIfEEEEPS5_jNS1_19radix_merge_compareILb0ELb0EfNS0_19identity_decomposerEEEEE10hipError_tT0_T1_T2_jT3_P12ihipStream_tbPNSt15iterator_traitsISK_E10value_typeEPNSQ_ISL_E10value_typeEPSM_NS1_7vsmem_tEENKUlT_SK_SL_SM_E_clISE_PfSF_SF_EESJ_SZ_SK_SL_SM_EUlSZ_E0_NS1_11comp_targetILNS1_3genE9ELNS1_11target_archE1100ELNS1_3gpuE3ELNS1_3repE0EEENS1_38merge_mergepath_config_static_selectorELNS0_4arch9wavefront6targetE0EEEvSL_.has_dyn_sized_stack, 0
	.set _ZN7rocprim17ROCPRIM_400000_NS6detail17trampoline_kernelINS0_14default_configENS1_38merge_sort_block_merge_config_selectorIfNS0_10empty_typeEEEZZNS1_27merge_sort_block_merge_implIS3_N6thrust23THRUST_200600_302600_NS6detail15normal_iteratorINS9_10device_ptrIfEEEEPS5_jNS1_19radix_merge_compareILb0ELb0EfNS0_19identity_decomposerEEEEE10hipError_tT0_T1_T2_jT3_P12ihipStream_tbPNSt15iterator_traitsISK_E10value_typeEPNSQ_ISL_E10value_typeEPSM_NS1_7vsmem_tEENKUlT_SK_SL_SM_E_clISE_PfSF_SF_EESJ_SZ_SK_SL_SM_EUlSZ_E0_NS1_11comp_targetILNS1_3genE9ELNS1_11target_archE1100ELNS1_3gpuE3ELNS1_3repE0EEENS1_38merge_mergepath_config_static_selectorELNS0_4arch9wavefront6targetE0EEEvSL_.has_recursion, 0
	.set _ZN7rocprim17ROCPRIM_400000_NS6detail17trampoline_kernelINS0_14default_configENS1_38merge_sort_block_merge_config_selectorIfNS0_10empty_typeEEEZZNS1_27merge_sort_block_merge_implIS3_N6thrust23THRUST_200600_302600_NS6detail15normal_iteratorINS9_10device_ptrIfEEEEPS5_jNS1_19radix_merge_compareILb0ELb0EfNS0_19identity_decomposerEEEEE10hipError_tT0_T1_T2_jT3_P12ihipStream_tbPNSt15iterator_traitsISK_E10value_typeEPNSQ_ISL_E10value_typeEPSM_NS1_7vsmem_tEENKUlT_SK_SL_SM_E_clISE_PfSF_SF_EESJ_SZ_SK_SL_SM_EUlSZ_E0_NS1_11comp_targetILNS1_3genE9ELNS1_11target_archE1100ELNS1_3gpuE3ELNS1_3repE0EEENS1_38merge_mergepath_config_static_selectorELNS0_4arch9wavefront6targetE0EEEvSL_.has_indirect_call, 0
	.section	.AMDGPU.csdata,"",@progbits
; Kernel info:
; codeLenInByte = 0
; TotalNumSgprs: 0
; NumVgprs: 0
; ScratchSize: 0
; MemoryBound: 0
; FloatMode: 240
; IeeeMode: 1
; LDSByteSize: 0 bytes/workgroup (compile time only)
; SGPRBlocks: 0
; VGPRBlocks: 0
; NumSGPRsForWavesPerEU: 1
; NumVGPRsForWavesPerEU: 1
; Occupancy: 16
; WaveLimiterHint : 0
; COMPUTE_PGM_RSRC2:SCRATCH_EN: 0
; COMPUTE_PGM_RSRC2:USER_SGPR: 6
; COMPUTE_PGM_RSRC2:TRAP_HANDLER: 0
; COMPUTE_PGM_RSRC2:TGID_X_EN: 1
; COMPUTE_PGM_RSRC2:TGID_Y_EN: 0
; COMPUTE_PGM_RSRC2:TGID_Z_EN: 0
; COMPUTE_PGM_RSRC2:TIDIG_COMP_CNT: 0
	.section	.text._ZN7rocprim17ROCPRIM_400000_NS6detail17trampoline_kernelINS0_14default_configENS1_38merge_sort_block_merge_config_selectorIfNS0_10empty_typeEEEZZNS1_27merge_sort_block_merge_implIS3_N6thrust23THRUST_200600_302600_NS6detail15normal_iteratorINS9_10device_ptrIfEEEEPS5_jNS1_19radix_merge_compareILb0ELb0EfNS0_19identity_decomposerEEEEE10hipError_tT0_T1_T2_jT3_P12ihipStream_tbPNSt15iterator_traitsISK_E10value_typeEPNSQ_ISL_E10value_typeEPSM_NS1_7vsmem_tEENKUlT_SK_SL_SM_E_clISE_PfSF_SF_EESJ_SZ_SK_SL_SM_EUlSZ_E0_NS1_11comp_targetILNS1_3genE8ELNS1_11target_archE1030ELNS1_3gpuE2ELNS1_3repE0EEENS1_38merge_mergepath_config_static_selectorELNS0_4arch9wavefront6targetE0EEEvSL_,"axG",@progbits,_ZN7rocprim17ROCPRIM_400000_NS6detail17trampoline_kernelINS0_14default_configENS1_38merge_sort_block_merge_config_selectorIfNS0_10empty_typeEEEZZNS1_27merge_sort_block_merge_implIS3_N6thrust23THRUST_200600_302600_NS6detail15normal_iteratorINS9_10device_ptrIfEEEEPS5_jNS1_19radix_merge_compareILb0ELb0EfNS0_19identity_decomposerEEEEE10hipError_tT0_T1_T2_jT3_P12ihipStream_tbPNSt15iterator_traitsISK_E10value_typeEPNSQ_ISL_E10value_typeEPSM_NS1_7vsmem_tEENKUlT_SK_SL_SM_E_clISE_PfSF_SF_EESJ_SZ_SK_SL_SM_EUlSZ_E0_NS1_11comp_targetILNS1_3genE8ELNS1_11target_archE1030ELNS1_3gpuE2ELNS1_3repE0EEENS1_38merge_mergepath_config_static_selectorELNS0_4arch9wavefront6targetE0EEEvSL_,comdat
	.protected	_ZN7rocprim17ROCPRIM_400000_NS6detail17trampoline_kernelINS0_14default_configENS1_38merge_sort_block_merge_config_selectorIfNS0_10empty_typeEEEZZNS1_27merge_sort_block_merge_implIS3_N6thrust23THRUST_200600_302600_NS6detail15normal_iteratorINS9_10device_ptrIfEEEEPS5_jNS1_19radix_merge_compareILb0ELb0EfNS0_19identity_decomposerEEEEE10hipError_tT0_T1_T2_jT3_P12ihipStream_tbPNSt15iterator_traitsISK_E10value_typeEPNSQ_ISL_E10value_typeEPSM_NS1_7vsmem_tEENKUlT_SK_SL_SM_E_clISE_PfSF_SF_EESJ_SZ_SK_SL_SM_EUlSZ_E0_NS1_11comp_targetILNS1_3genE8ELNS1_11target_archE1030ELNS1_3gpuE2ELNS1_3repE0EEENS1_38merge_mergepath_config_static_selectorELNS0_4arch9wavefront6targetE0EEEvSL_ ; -- Begin function _ZN7rocprim17ROCPRIM_400000_NS6detail17trampoline_kernelINS0_14default_configENS1_38merge_sort_block_merge_config_selectorIfNS0_10empty_typeEEEZZNS1_27merge_sort_block_merge_implIS3_N6thrust23THRUST_200600_302600_NS6detail15normal_iteratorINS9_10device_ptrIfEEEEPS5_jNS1_19radix_merge_compareILb0ELb0EfNS0_19identity_decomposerEEEEE10hipError_tT0_T1_T2_jT3_P12ihipStream_tbPNSt15iterator_traitsISK_E10value_typeEPNSQ_ISL_E10value_typeEPSM_NS1_7vsmem_tEENKUlT_SK_SL_SM_E_clISE_PfSF_SF_EESJ_SZ_SK_SL_SM_EUlSZ_E0_NS1_11comp_targetILNS1_3genE8ELNS1_11target_archE1030ELNS1_3gpuE2ELNS1_3repE0EEENS1_38merge_mergepath_config_static_selectorELNS0_4arch9wavefront6targetE0EEEvSL_
	.globl	_ZN7rocprim17ROCPRIM_400000_NS6detail17trampoline_kernelINS0_14default_configENS1_38merge_sort_block_merge_config_selectorIfNS0_10empty_typeEEEZZNS1_27merge_sort_block_merge_implIS3_N6thrust23THRUST_200600_302600_NS6detail15normal_iteratorINS9_10device_ptrIfEEEEPS5_jNS1_19radix_merge_compareILb0ELb0EfNS0_19identity_decomposerEEEEE10hipError_tT0_T1_T2_jT3_P12ihipStream_tbPNSt15iterator_traitsISK_E10value_typeEPNSQ_ISL_E10value_typeEPSM_NS1_7vsmem_tEENKUlT_SK_SL_SM_E_clISE_PfSF_SF_EESJ_SZ_SK_SL_SM_EUlSZ_E0_NS1_11comp_targetILNS1_3genE8ELNS1_11target_archE1030ELNS1_3gpuE2ELNS1_3repE0EEENS1_38merge_mergepath_config_static_selectorELNS0_4arch9wavefront6targetE0EEEvSL_
	.p2align	8
	.type	_ZN7rocprim17ROCPRIM_400000_NS6detail17trampoline_kernelINS0_14default_configENS1_38merge_sort_block_merge_config_selectorIfNS0_10empty_typeEEEZZNS1_27merge_sort_block_merge_implIS3_N6thrust23THRUST_200600_302600_NS6detail15normal_iteratorINS9_10device_ptrIfEEEEPS5_jNS1_19radix_merge_compareILb0ELb0EfNS0_19identity_decomposerEEEEE10hipError_tT0_T1_T2_jT3_P12ihipStream_tbPNSt15iterator_traitsISK_E10value_typeEPNSQ_ISL_E10value_typeEPSM_NS1_7vsmem_tEENKUlT_SK_SL_SM_E_clISE_PfSF_SF_EESJ_SZ_SK_SL_SM_EUlSZ_E0_NS1_11comp_targetILNS1_3genE8ELNS1_11target_archE1030ELNS1_3gpuE2ELNS1_3repE0EEENS1_38merge_mergepath_config_static_selectorELNS0_4arch9wavefront6targetE0EEEvSL_,@function
_ZN7rocprim17ROCPRIM_400000_NS6detail17trampoline_kernelINS0_14default_configENS1_38merge_sort_block_merge_config_selectorIfNS0_10empty_typeEEEZZNS1_27merge_sort_block_merge_implIS3_N6thrust23THRUST_200600_302600_NS6detail15normal_iteratorINS9_10device_ptrIfEEEEPS5_jNS1_19radix_merge_compareILb0ELb0EfNS0_19identity_decomposerEEEEE10hipError_tT0_T1_T2_jT3_P12ihipStream_tbPNSt15iterator_traitsISK_E10value_typeEPNSQ_ISL_E10value_typeEPSM_NS1_7vsmem_tEENKUlT_SK_SL_SM_E_clISE_PfSF_SF_EESJ_SZ_SK_SL_SM_EUlSZ_E0_NS1_11comp_targetILNS1_3genE8ELNS1_11target_archE1030ELNS1_3gpuE2ELNS1_3repE0EEENS1_38merge_mergepath_config_static_selectorELNS0_4arch9wavefront6targetE0EEEvSL_: ; @_ZN7rocprim17ROCPRIM_400000_NS6detail17trampoline_kernelINS0_14default_configENS1_38merge_sort_block_merge_config_selectorIfNS0_10empty_typeEEEZZNS1_27merge_sort_block_merge_implIS3_N6thrust23THRUST_200600_302600_NS6detail15normal_iteratorINS9_10device_ptrIfEEEEPS5_jNS1_19radix_merge_compareILb0ELb0EfNS0_19identity_decomposerEEEEE10hipError_tT0_T1_T2_jT3_P12ihipStream_tbPNSt15iterator_traitsISK_E10value_typeEPNSQ_ISL_E10value_typeEPSM_NS1_7vsmem_tEENKUlT_SK_SL_SM_E_clISE_PfSF_SF_EESJ_SZ_SK_SL_SM_EUlSZ_E0_NS1_11comp_targetILNS1_3genE8ELNS1_11target_archE1030ELNS1_3gpuE2ELNS1_3repE0EEENS1_38merge_mergepath_config_static_selectorELNS0_4arch9wavefront6targetE0EEEvSL_
; %bb.0:
	s_clause 0x1
	s_load_dwordx2 s[12:13], s[4:5], 0x40
	s_load_dword s1, s[4:5], 0x30
	s_add_u32 s10, s4, 64
	s_addc_u32 s11, s5, 0
	s_waitcnt lgkmcnt(0)
	s_mul_i32 s0, s13, s8
	s_add_i32 s0, s0, s7
	s_mul_i32 s0, s0, s12
	s_add_i32 s0, s0, s6
	s_cmp_ge_u32 s0, s1
	s_cbranch_scc1 .LBB514_33
; %bb.1:
	s_clause 0x2
	s_load_dwordx2 s[2:3], s[4:5], 0x28
	s_load_dwordx2 s[8:9], s[4:5], 0x38
	;; [unrolled: 1-line block ×3, first 2 shown]
	s_mov_b32 s1, 0
	v_mov_b32_e32 v2, 0
	s_mov_b32 s21, s1
	global_load_dword v1, v2, s[10:11] offset:14
	s_waitcnt lgkmcnt(0)
	s_lshr_b32 s22, s2, 10
	s_cmp_lg_u32 s0, s22
	s_cselect_b32 s7, -1, 0
	s_lshl_b64 s[14:15], s[0:1], 2
	s_add_u32 s8, s8, s14
	s_addc_u32 s9, s9, s15
	s_load_dwordx2 s[14:15], s[8:9], 0x0
	s_lshr_b32 s8, s3, 9
	s_and_b32 s8, s8, 0x7ffffe
	s_sub_i32 s9, 0, s8
	s_lshl_b32 s8, s0, 10
	s_and_b32 s13, s0, s9
	s_or_b32 s9, s0, s9
	s_lshl_b32 s16, s13, 11
	s_lshl_b32 s13, s13, 10
	s_add_i32 s16, s16, s3
	s_sub_i32 s17, s8, s13
	s_sub_i32 s13, s16, s13
	s_add_i32 s16, s16, s17
	s_min_u32 s17, s2, s13
	s_add_i32 s13, s13, s3
	s_waitcnt lgkmcnt(0)
	s_sub_i32 s3, s16, s14
	s_sub_i32 s16, s16, s15
	s_min_u32 s20, s2, s3
	s_addk_i32 s16, 0x400
	s_cmp_eq_u32 s9, -1
	s_cselect_b32 s3, s13, s16
	s_cselect_b32 s9, s17, s15
	s_mov_b32 s15, s1
	s_min_u32 s13, s3, s2
	s_lshl_b64 s[16:17], s[14:15], 2
	s_sub_i32 s3, s9, s14
	s_sub_i32 s9, s13, s20
	s_add_u32 s15, s18, s16
	s_addc_u32 s16, s19, s17
	s_lshl_b64 s[20:21], s[20:21], 2
	s_add_u32 s13, s18, s20
	s_addc_u32 s14, s19, s21
	s_cmp_lt_u32 s6, s12
	s_cselect_b32 s6, 12, 18
	s_add_u32 s10, s10, s6
	s_addc_u32 s11, s11, 0
	s_cmp_eq_u32 s0, s22
	global_load_ushort v3, v2, s[10:11]
	s_mov_b32 s0, -1
	s_waitcnt vmcnt(1)
	v_lshrrev_b32_e32 v4, 16, v1
	v_and_b32_e32 v1, 0xffff, v1
	v_mul_lo_u32 v1, v1, v4
	s_waitcnt vmcnt(0)
	v_mul_lo_u32 v4, v1, v3
	v_lshlrev_b32_e32 v3, 2, v0
	v_add_nc_u32_e32 v6, v4, v0
	s_cbranch_scc1 .LBB514_3
; %bb.2:
	v_sub_co_u32 v1, vcc_lo, v0, s3
	v_add_co_u32 v5, s0, s15, v3
	v_add_co_ci_u32_e64 v7, null, s16, 0, s0
	v_lshlrev_b64 v[1:2], 2, v[1:2]
	s_mov_b32 s1, -1
	v_add_co_u32 v1, s0, s13, v1
	v_add_co_ci_u32_e64 v2, null, s14, v2, s0
	s_add_i32 s0, s9, s3
	v_cndmask_b32_e32 v1, v1, v5, vcc_lo
	v_cndmask_b32_e32 v2, v2, v7, vcc_lo
	global_load_dword v5, v[1:2], off
	v_add_nc_u32_e32 v1, v4, v0
	v_mov_b32_e32 v4, s0
	s_cbranch_execz .LBB514_4
	s_branch .LBB514_7
.LBB514_3:
                                        ; implicit-def: $vgpr1
                                        ; implicit-def: $vgpr5
                                        ; implicit-def: $vgpr4
	s_andn2_b32 vcc_lo, exec_lo, s0
	s_cbranch_vccnz .LBB514_7
.LBB514_4:
	s_waitcnt vmcnt(0)
	v_mov_b32_e32 v5, 0
	s_add_i32 s6, s9, s3
	s_mov_b32 s1, exec_lo
	v_cmpx_gt_u32_e64 s6, v0
	s_cbranch_execz .LBB514_6
; %bb.5:
	v_sub_co_u32 v1, vcc_lo, v0, s3
	v_mov_b32_e32 v2, 0
	v_add_co_u32 v4, s0, s15, v3
	v_add_co_ci_u32_e64 v5, null, s16, 0, s0
	v_lshlrev_b64 v[1:2], 2, v[1:2]
	v_add_co_u32 v1, s0, s13, v1
	v_add_co_ci_u32_e64 v2, null, s14, v2, s0
	v_cndmask_b32_e32 v1, v1, v4, vcc_lo
	v_cndmask_b32_e32 v2, v2, v5, vcc_lo
	global_load_dword v5, v[1:2], off
.LBB514_6:
	s_or_b32 exec_lo, exec_lo, s1
	v_cmp_gt_u32_e64 s1, s6, v6
	v_mov_b32_e32 v4, s6
	v_mov_b32_e32 v1, v6
.LBB514_7:
	v_mov_b32_e32 v2, 0
	s_and_saveexec_b32 s6, s1
	s_cbranch_execz .LBB514_9
; %bb.8:
	v_mov_b32_e32 v7, 0
	v_mov_b32_e32 v2, v7
	v_lshlrev_b64 v[8:9], 2, v[1:2]
	v_add_co_u32 v8, vcc_lo, s15, v8
	v_add_co_ci_u32_e64 v9, null, s16, v9, vcc_lo
	v_sub_co_u32 v6, vcc_lo, v1, s3
	v_lshlrev_b64 v[1:2], 2, v[6:7]
	v_add_co_u32 v1, s0, s13, v1
	v_add_co_ci_u32_e64 v2, null, s14, v2, s0
	v_cndmask_b32_e32 v1, v1, v8, vcc_lo
	v_cndmask_b32_e32 v2, v2, v9, vcc_lo
	global_load_dword v2, v[1:2], off
.LBB514_9:
	s_or_b32 exec_lo, exec_lo, s6
	s_load_dwordx2 s[4:5], s[4:5], 0x10
	v_lshlrev_b32_e32 v1, 1, v0
	s_mov_b32 s0, exec_lo
	s_waitcnt vmcnt(0)
	ds_write2st64_b32 v3, v5, v2 offset1:8
	s_waitcnt lgkmcnt(0)
	s_barrier
	v_min_u32_e32 v7, v4, v1
	buffer_gl0_inv
	v_sub_nc_u32_e64 v6, v7, s9 clamp
	v_min_u32_e32 v8, s3, v7
	v_cmpx_lt_u32_e64 v6, v8
	s_cbranch_execz .LBB514_13
; %bb.10:
	v_lshlrev_b32_e32 v9, 2, v7
	s_mov_b32 s1, 0
	v_lshl_add_u32 v9, s3, 2, v9
	.p2align	6
.LBB514_11:                             ; =>This Inner Loop Header: Depth=1
	v_add_nc_u32_e32 v10, v8, v6
	v_lshrrev_b32_e32 v10, 1, v10
	v_not_b32_e32 v11, v10
	v_lshlrev_b32_e32 v12, 2, v10
	v_lshl_add_u32 v11, v11, 2, v9
	ds_read_b32 v12, v12
	ds_read_b32 v11, v11
	s_waitcnt lgkmcnt(1)
	v_add_f32_e32 v12, 0, v12
	s_waitcnt lgkmcnt(0)
	v_add_f32_e32 v11, 0, v11
	v_ashrrev_i32_e32 v13, 31, v12
	v_ashrrev_i32_e32 v14, 31, v11
	v_or_b32_e32 v13, 0x80000000, v13
	v_or_b32_e32 v14, 0x80000000, v14
	v_xor_b32_e32 v12, v13, v12
	v_xor_b32_e32 v11, v14, v11
	v_add_nc_u32_e32 v13, 1, v10
	v_cmp_gt_u32_e32 vcc_lo, v12, v11
	v_cndmask_b32_e32 v8, v8, v10, vcc_lo
	v_cndmask_b32_e32 v6, v13, v6, vcc_lo
	v_cmp_ge_u32_e32 vcc_lo, v6, v8
	s_or_b32 s1, vcc_lo, s1
	s_andn2_b32 exec_lo, exec_lo, s1
	s_cbranch_execnz .LBB514_11
; %bb.12:
	s_or_b32 exec_lo, exec_lo, s1
.LBB514_13:
	s_or_b32 exec_lo, exec_lo, s0
	v_sub_nc_u32_e32 v7, v7, v6
	v_cmp_ge_u32_e32 vcc_lo, s3, v6
	v_add_nc_u32_e32 v8, s3, v7
	v_cmp_le_u32_e64 s0, v8, v4
	s_or_b32 s0, vcc_lo, s0
	s_and_saveexec_b32 s1, s0
	s_cbranch_execz .LBB514_25
; %bb.14:
	s_mov_b32 s6, exec_lo
	v_cmp_le_u32_e32 vcc_lo, s3, v6
                                        ; implicit-def: $vgpr5
	v_cmpx_gt_u32_e64 s3, v6
; %bb.15:
	v_lshlrev_b32_e32 v2, 2, v6
	ds_read_b32 v5, v2
; %bb.16:
	s_or_b32 exec_lo, exec_lo, s6
	v_cmp_ge_u32_e64 s6, v8, v4
	s_mov_b32 s9, exec_lo
                                        ; implicit-def: $vgpr7
	v_cmpx_lt_u32_e64 v8, v4
; %bb.17:
	v_lshlrev_b32_e32 v2, 2, v8
	ds_read_b32 v7, v2
; %bb.18:
	s_or_b32 exec_lo, exec_lo, s9
	s_nor_b32 s9, vcc_lo, s6
	s_and_saveexec_b32 s0, s9
	s_cbranch_execz .LBB514_20
; %bb.19:
	s_waitcnt lgkmcnt(0)
	v_add_f32_e32 v2, 0, v5
	v_add_f32_e32 v9, 0, v7
	s_andn2_b32 s6, s6, exec_lo
	v_ashrrev_i32_e32 v10, 31, v2
	v_ashrrev_i32_e32 v11, 31, v9
	v_or_b32_e32 v10, 0x80000000, v10
	v_or_b32_e32 v11, 0x80000000, v11
	v_xor_b32_e32 v2, v10, v2
	v_xor_b32_e32 v9, v11, v9
	v_cmp_le_u32_e32 vcc_lo, v2, v9
	s_and_b32 s9, vcc_lo, exec_lo
	s_or_b32 s6, s6, s9
.LBB514_20:
	s_or_b32 exec_lo, exec_lo, s0
	v_cndmask_b32_e64 v2, v8, v6, s6
	v_cndmask_b32_e64 v10, v4, s3, s6
	s_mov_b32 s0, exec_lo
	v_add_nc_u32_e32 v9, 1, v2
	v_add_nc_u32_e32 v2, -1, v10
	v_cndmask_b32_e64 v8, v9, v8, s6
	v_min_u32_e32 v2, v9, v2
	v_lshlrev_b32_e32 v2, 2, v2
	ds_read_b32 v10, v2
	s_waitcnt lgkmcnt(0)
	v_cndmask_b32_e64 v2, v5, v10, s6
	v_cmpx_lt_u32_e64 v8, v4
	s_cbranch_execz .LBB514_24
; %bb.21:
	v_cndmask_b32_e64 v6, v6, v9, s6
	v_cndmask_b32_e64 v4, v10, v7, s6
	v_cmp_gt_u32_e32 vcc_lo, s3, v6
	s_and_saveexec_b32 s3, vcc_lo
	s_cbranch_execz .LBB514_23
; %bb.22:
	v_add_f32_e32 v6, 0, v2
	v_add_f32_e32 v8, 0, v4
	v_ashrrev_i32_e32 v9, 31, v6
	v_ashrrev_i32_e32 v10, 31, v8
	v_or_b32_e32 v9, 0x80000000, v9
	v_or_b32_e32 v10, 0x80000000, v10
	v_xor_b32_e32 v6, v9, v6
	v_xor_b32_e32 v8, v10, v8
	v_cmp_gt_u32_e32 vcc_lo, v6, v8
	v_cndmask_b32_e32 v4, v2, v4, vcc_lo
.LBB514_23:
	s_or_b32 exec_lo, exec_lo, s3
	v_mov_b32_e32 v2, v4
.LBB514_24:
	s_or_b32 exec_lo, exec_lo, s0
	v_cndmask_b32_e64 v5, v7, v5, s6
.LBB514_25:
	s_or_b32 exec_lo, exec_lo, s1
	v_lshrrev_b32_e32 v6, 2, v0
	v_or_b32_e32 v4, 0x200, v0
	v_lshrrev_b32_e32 v7, 3, v0
	s_mov_b32 s9, 0
	v_and_b32_e32 v6, 0x7c, v6
	v_lshrrev_b32_e32 v8, 3, v4
	s_lshl_b64 s[0:1], s[8:9], 2
	s_barrier
	s_add_u32 s0, s4, s0
	v_lshl_add_u32 v1, v1, 2, v6
	v_and_b32_e32 v6, 60, v7
	v_and_b32_e32 v7, 0x7c, v8
	buffer_gl0_inv
	s_barrier
	buffer_gl0_inv
	s_addc_u32 s1, s5, s1
	ds_write2_b32 v1, v5, v2 offset1:1
	v_add_co_u32 v1, s0, s0, v3
	v_add_nc_u32_e32 v5, v6, v3
	v_add_nc_u32_e32 v6, v7, v3
	v_add_co_ci_u32_e64 v2, null, s1, 0, s0
	s_and_b32 vcc_lo, exec_lo, s7
	s_waitcnt lgkmcnt(0)
	s_cbranch_vccz .LBB514_27
; %bb.26:
	s_barrier
	buffer_gl0_inv
	ds_read_b32 v7, v5
	ds_read_b32 v3, v6 offset:2048
	s_mov_b32 s9, -1
	s_waitcnt lgkmcnt(1)
	global_store_dword v[1:2], v7, off
	s_cbranch_execz .LBB514_28
	s_branch .LBB514_31
.LBB514_27:
                                        ; implicit-def: $vgpr3
.LBB514_28:
	s_barrier
	s_waitcnt lgkmcnt(0)
	s_waitcnt_vscnt null, 0x0
	buffer_gl0_inv
	ds_read_b32 v3, v6 offset:2048
	s_sub_i32 s0, s2, s8
	s_mov_b32 s1, exec_lo
	v_cmpx_gt_u32_e64 s0, v0
	s_cbranch_execz .LBB514_30
; %bb.29:
	ds_read_b32 v0, v5
	s_waitcnt lgkmcnt(0)
	global_store_dword v[1:2], v0, off
.LBB514_30:
	s_or_b32 exec_lo, exec_lo, s1
	v_cmp_gt_u32_e64 s9, s0, v4
.LBB514_31:
	s_and_saveexec_b32 s0, s9
	s_cbranch_execz .LBB514_33
; %bb.32:
	v_add_co_u32 v0, vcc_lo, 0x800, v1
	v_add_co_ci_u32_e64 v1, null, 0, v2, vcc_lo
	s_waitcnt lgkmcnt(0)
	global_store_dword v[0:1], v3, off
.LBB514_33:
	s_endpgm
	.section	.rodata,"a",@progbits
	.p2align	6, 0x0
	.amdhsa_kernel _ZN7rocprim17ROCPRIM_400000_NS6detail17trampoline_kernelINS0_14default_configENS1_38merge_sort_block_merge_config_selectorIfNS0_10empty_typeEEEZZNS1_27merge_sort_block_merge_implIS3_N6thrust23THRUST_200600_302600_NS6detail15normal_iteratorINS9_10device_ptrIfEEEEPS5_jNS1_19radix_merge_compareILb0ELb0EfNS0_19identity_decomposerEEEEE10hipError_tT0_T1_T2_jT3_P12ihipStream_tbPNSt15iterator_traitsISK_E10value_typeEPNSQ_ISL_E10value_typeEPSM_NS1_7vsmem_tEENKUlT_SK_SL_SM_E_clISE_PfSF_SF_EESJ_SZ_SK_SL_SM_EUlSZ_E0_NS1_11comp_targetILNS1_3genE8ELNS1_11target_archE1030ELNS1_3gpuE2ELNS1_3repE0EEENS1_38merge_mergepath_config_static_selectorELNS0_4arch9wavefront6targetE0EEEvSL_
		.amdhsa_group_segment_fixed_size 4224
		.amdhsa_private_segment_fixed_size 0
		.amdhsa_kernarg_size 320
		.amdhsa_user_sgpr_count 6
		.amdhsa_user_sgpr_private_segment_buffer 1
		.amdhsa_user_sgpr_dispatch_ptr 0
		.amdhsa_user_sgpr_queue_ptr 0
		.amdhsa_user_sgpr_kernarg_segment_ptr 1
		.amdhsa_user_sgpr_dispatch_id 0
		.amdhsa_user_sgpr_flat_scratch_init 0
		.amdhsa_user_sgpr_private_segment_size 0
		.amdhsa_wavefront_size32 1
		.amdhsa_uses_dynamic_stack 0
		.amdhsa_system_sgpr_private_segment_wavefront_offset 0
		.amdhsa_system_sgpr_workgroup_id_x 1
		.amdhsa_system_sgpr_workgroup_id_y 1
		.amdhsa_system_sgpr_workgroup_id_z 1
		.amdhsa_system_sgpr_workgroup_info 0
		.amdhsa_system_vgpr_workitem_id 0
		.amdhsa_next_free_vgpr 15
		.amdhsa_next_free_sgpr 23
		.amdhsa_reserve_vcc 1
		.amdhsa_reserve_flat_scratch 0
		.amdhsa_float_round_mode_32 0
		.amdhsa_float_round_mode_16_64 0
		.amdhsa_float_denorm_mode_32 3
		.amdhsa_float_denorm_mode_16_64 3
		.amdhsa_dx10_clamp 1
		.amdhsa_ieee_mode 1
		.amdhsa_fp16_overflow 0
		.amdhsa_workgroup_processor_mode 1
		.amdhsa_memory_ordered 1
		.amdhsa_forward_progress 1
		.amdhsa_shared_vgpr_count 0
		.amdhsa_exception_fp_ieee_invalid_op 0
		.amdhsa_exception_fp_denorm_src 0
		.amdhsa_exception_fp_ieee_div_zero 0
		.amdhsa_exception_fp_ieee_overflow 0
		.amdhsa_exception_fp_ieee_underflow 0
		.amdhsa_exception_fp_ieee_inexact 0
		.amdhsa_exception_int_div_zero 0
	.end_amdhsa_kernel
	.section	.text._ZN7rocprim17ROCPRIM_400000_NS6detail17trampoline_kernelINS0_14default_configENS1_38merge_sort_block_merge_config_selectorIfNS0_10empty_typeEEEZZNS1_27merge_sort_block_merge_implIS3_N6thrust23THRUST_200600_302600_NS6detail15normal_iteratorINS9_10device_ptrIfEEEEPS5_jNS1_19radix_merge_compareILb0ELb0EfNS0_19identity_decomposerEEEEE10hipError_tT0_T1_T2_jT3_P12ihipStream_tbPNSt15iterator_traitsISK_E10value_typeEPNSQ_ISL_E10value_typeEPSM_NS1_7vsmem_tEENKUlT_SK_SL_SM_E_clISE_PfSF_SF_EESJ_SZ_SK_SL_SM_EUlSZ_E0_NS1_11comp_targetILNS1_3genE8ELNS1_11target_archE1030ELNS1_3gpuE2ELNS1_3repE0EEENS1_38merge_mergepath_config_static_selectorELNS0_4arch9wavefront6targetE0EEEvSL_,"axG",@progbits,_ZN7rocprim17ROCPRIM_400000_NS6detail17trampoline_kernelINS0_14default_configENS1_38merge_sort_block_merge_config_selectorIfNS0_10empty_typeEEEZZNS1_27merge_sort_block_merge_implIS3_N6thrust23THRUST_200600_302600_NS6detail15normal_iteratorINS9_10device_ptrIfEEEEPS5_jNS1_19radix_merge_compareILb0ELb0EfNS0_19identity_decomposerEEEEE10hipError_tT0_T1_T2_jT3_P12ihipStream_tbPNSt15iterator_traitsISK_E10value_typeEPNSQ_ISL_E10value_typeEPSM_NS1_7vsmem_tEENKUlT_SK_SL_SM_E_clISE_PfSF_SF_EESJ_SZ_SK_SL_SM_EUlSZ_E0_NS1_11comp_targetILNS1_3genE8ELNS1_11target_archE1030ELNS1_3gpuE2ELNS1_3repE0EEENS1_38merge_mergepath_config_static_selectorELNS0_4arch9wavefront6targetE0EEEvSL_,comdat
.Lfunc_end514:
	.size	_ZN7rocprim17ROCPRIM_400000_NS6detail17trampoline_kernelINS0_14default_configENS1_38merge_sort_block_merge_config_selectorIfNS0_10empty_typeEEEZZNS1_27merge_sort_block_merge_implIS3_N6thrust23THRUST_200600_302600_NS6detail15normal_iteratorINS9_10device_ptrIfEEEEPS5_jNS1_19radix_merge_compareILb0ELb0EfNS0_19identity_decomposerEEEEE10hipError_tT0_T1_T2_jT3_P12ihipStream_tbPNSt15iterator_traitsISK_E10value_typeEPNSQ_ISL_E10value_typeEPSM_NS1_7vsmem_tEENKUlT_SK_SL_SM_E_clISE_PfSF_SF_EESJ_SZ_SK_SL_SM_EUlSZ_E0_NS1_11comp_targetILNS1_3genE8ELNS1_11target_archE1030ELNS1_3gpuE2ELNS1_3repE0EEENS1_38merge_mergepath_config_static_selectorELNS0_4arch9wavefront6targetE0EEEvSL_, .Lfunc_end514-_ZN7rocprim17ROCPRIM_400000_NS6detail17trampoline_kernelINS0_14default_configENS1_38merge_sort_block_merge_config_selectorIfNS0_10empty_typeEEEZZNS1_27merge_sort_block_merge_implIS3_N6thrust23THRUST_200600_302600_NS6detail15normal_iteratorINS9_10device_ptrIfEEEEPS5_jNS1_19radix_merge_compareILb0ELb0EfNS0_19identity_decomposerEEEEE10hipError_tT0_T1_T2_jT3_P12ihipStream_tbPNSt15iterator_traitsISK_E10value_typeEPNSQ_ISL_E10value_typeEPSM_NS1_7vsmem_tEENKUlT_SK_SL_SM_E_clISE_PfSF_SF_EESJ_SZ_SK_SL_SM_EUlSZ_E0_NS1_11comp_targetILNS1_3genE8ELNS1_11target_archE1030ELNS1_3gpuE2ELNS1_3repE0EEENS1_38merge_mergepath_config_static_selectorELNS0_4arch9wavefront6targetE0EEEvSL_
                                        ; -- End function
	.set _ZN7rocprim17ROCPRIM_400000_NS6detail17trampoline_kernelINS0_14default_configENS1_38merge_sort_block_merge_config_selectorIfNS0_10empty_typeEEEZZNS1_27merge_sort_block_merge_implIS3_N6thrust23THRUST_200600_302600_NS6detail15normal_iteratorINS9_10device_ptrIfEEEEPS5_jNS1_19radix_merge_compareILb0ELb0EfNS0_19identity_decomposerEEEEE10hipError_tT0_T1_T2_jT3_P12ihipStream_tbPNSt15iterator_traitsISK_E10value_typeEPNSQ_ISL_E10value_typeEPSM_NS1_7vsmem_tEENKUlT_SK_SL_SM_E_clISE_PfSF_SF_EESJ_SZ_SK_SL_SM_EUlSZ_E0_NS1_11comp_targetILNS1_3genE8ELNS1_11target_archE1030ELNS1_3gpuE2ELNS1_3repE0EEENS1_38merge_mergepath_config_static_selectorELNS0_4arch9wavefront6targetE0EEEvSL_.num_vgpr, 15
	.set _ZN7rocprim17ROCPRIM_400000_NS6detail17trampoline_kernelINS0_14default_configENS1_38merge_sort_block_merge_config_selectorIfNS0_10empty_typeEEEZZNS1_27merge_sort_block_merge_implIS3_N6thrust23THRUST_200600_302600_NS6detail15normal_iteratorINS9_10device_ptrIfEEEEPS5_jNS1_19radix_merge_compareILb0ELb0EfNS0_19identity_decomposerEEEEE10hipError_tT0_T1_T2_jT3_P12ihipStream_tbPNSt15iterator_traitsISK_E10value_typeEPNSQ_ISL_E10value_typeEPSM_NS1_7vsmem_tEENKUlT_SK_SL_SM_E_clISE_PfSF_SF_EESJ_SZ_SK_SL_SM_EUlSZ_E0_NS1_11comp_targetILNS1_3genE8ELNS1_11target_archE1030ELNS1_3gpuE2ELNS1_3repE0EEENS1_38merge_mergepath_config_static_selectorELNS0_4arch9wavefront6targetE0EEEvSL_.num_agpr, 0
	.set _ZN7rocprim17ROCPRIM_400000_NS6detail17trampoline_kernelINS0_14default_configENS1_38merge_sort_block_merge_config_selectorIfNS0_10empty_typeEEEZZNS1_27merge_sort_block_merge_implIS3_N6thrust23THRUST_200600_302600_NS6detail15normal_iteratorINS9_10device_ptrIfEEEEPS5_jNS1_19radix_merge_compareILb0ELb0EfNS0_19identity_decomposerEEEEE10hipError_tT0_T1_T2_jT3_P12ihipStream_tbPNSt15iterator_traitsISK_E10value_typeEPNSQ_ISL_E10value_typeEPSM_NS1_7vsmem_tEENKUlT_SK_SL_SM_E_clISE_PfSF_SF_EESJ_SZ_SK_SL_SM_EUlSZ_E0_NS1_11comp_targetILNS1_3genE8ELNS1_11target_archE1030ELNS1_3gpuE2ELNS1_3repE0EEENS1_38merge_mergepath_config_static_selectorELNS0_4arch9wavefront6targetE0EEEvSL_.numbered_sgpr, 23
	.set _ZN7rocprim17ROCPRIM_400000_NS6detail17trampoline_kernelINS0_14default_configENS1_38merge_sort_block_merge_config_selectorIfNS0_10empty_typeEEEZZNS1_27merge_sort_block_merge_implIS3_N6thrust23THRUST_200600_302600_NS6detail15normal_iteratorINS9_10device_ptrIfEEEEPS5_jNS1_19radix_merge_compareILb0ELb0EfNS0_19identity_decomposerEEEEE10hipError_tT0_T1_T2_jT3_P12ihipStream_tbPNSt15iterator_traitsISK_E10value_typeEPNSQ_ISL_E10value_typeEPSM_NS1_7vsmem_tEENKUlT_SK_SL_SM_E_clISE_PfSF_SF_EESJ_SZ_SK_SL_SM_EUlSZ_E0_NS1_11comp_targetILNS1_3genE8ELNS1_11target_archE1030ELNS1_3gpuE2ELNS1_3repE0EEENS1_38merge_mergepath_config_static_selectorELNS0_4arch9wavefront6targetE0EEEvSL_.num_named_barrier, 0
	.set _ZN7rocprim17ROCPRIM_400000_NS6detail17trampoline_kernelINS0_14default_configENS1_38merge_sort_block_merge_config_selectorIfNS0_10empty_typeEEEZZNS1_27merge_sort_block_merge_implIS3_N6thrust23THRUST_200600_302600_NS6detail15normal_iteratorINS9_10device_ptrIfEEEEPS5_jNS1_19radix_merge_compareILb0ELb0EfNS0_19identity_decomposerEEEEE10hipError_tT0_T1_T2_jT3_P12ihipStream_tbPNSt15iterator_traitsISK_E10value_typeEPNSQ_ISL_E10value_typeEPSM_NS1_7vsmem_tEENKUlT_SK_SL_SM_E_clISE_PfSF_SF_EESJ_SZ_SK_SL_SM_EUlSZ_E0_NS1_11comp_targetILNS1_3genE8ELNS1_11target_archE1030ELNS1_3gpuE2ELNS1_3repE0EEENS1_38merge_mergepath_config_static_selectorELNS0_4arch9wavefront6targetE0EEEvSL_.private_seg_size, 0
	.set _ZN7rocprim17ROCPRIM_400000_NS6detail17trampoline_kernelINS0_14default_configENS1_38merge_sort_block_merge_config_selectorIfNS0_10empty_typeEEEZZNS1_27merge_sort_block_merge_implIS3_N6thrust23THRUST_200600_302600_NS6detail15normal_iteratorINS9_10device_ptrIfEEEEPS5_jNS1_19radix_merge_compareILb0ELb0EfNS0_19identity_decomposerEEEEE10hipError_tT0_T1_T2_jT3_P12ihipStream_tbPNSt15iterator_traitsISK_E10value_typeEPNSQ_ISL_E10value_typeEPSM_NS1_7vsmem_tEENKUlT_SK_SL_SM_E_clISE_PfSF_SF_EESJ_SZ_SK_SL_SM_EUlSZ_E0_NS1_11comp_targetILNS1_3genE8ELNS1_11target_archE1030ELNS1_3gpuE2ELNS1_3repE0EEENS1_38merge_mergepath_config_static_selectorELNS0_4arch9wavefront6targetE0EEEvSL_.uses_vcc, 1
	.set _ZN7rocprim17ROCPRIM_400000_NS6detail17trampoline_kernelINS0_14default_configENS1_38merge_sort_block_merge_config_selectorIfNS0_10empty_typeEEEZZNS1_27merge_sort_block_merge_implIS3_N6thrust23THRUST_200600_302600_NS6detail15normal_iteratorINS9_10device_ptrIfEEEEPS5_jNS1_19radix_merge_compareILb0ELb0EfNS0_19identity_decomposerEEEEE10hipError_tT0_T1_T2_jT3_P12ihipStream_tbPNSt15iterator_traitsISK_E10value_typeEPNSQ_ISL_E10value_typeEPSM_NS1_7vsmem_tEENKUlT_SK_SL_SM_E_clISE_PfSF_SF_EESJ_SZ_SK_SL_SM_EUlSZ_E0_NS1_11comp_targetILNS1_3genE8ELNS1_11target_archE1030ELNS1_3gpuE2ELNS1_3repE0EEENS1_38merge_mergepath_config_static_selectorELNS0_4arch9wavefront6targetE0EEEvSL_.uses_flat_scratch, 0
	.set _ZN7rocprim17ROCPRIM_400000_NS6detail17trampoline_kernelINS0_14default_configENS1_38merge_sort_block_merge_config_selectorIfNS0_10empty_typeEEEZZNS1_27merge_sort_block_merge_implIS3_N6thrust23THRUST_200600_302600_NS6detail15normal_iteratorINS9_10device_ptrIfEEEEPS5_jNS1_19radix_merge_compareILb0ELb0EfNS0_19identity_decomposerEEEEE10hipError_tT0_T1_T2_jT3_P12ihipStream_tbPNSt15iterator_traitsISK_E10value_typeEPNSQ_ISL_E10value_typeEPSM_NS1_7vsmem_tEENKUlT_SK_SL_SM_E_clISE_PfSF_SF_EESJ_SZ_SK_SL_SM_EUlSZ_E0_NS1_11comp_targetILNS1_3genE8ELNS1_11target_archE1030ELNS1_3gpuE2ELNS1_3repE0EEENS1_38merge_mergepath_config_static_selectorELNS0_4arch9wavefront6targetE0EEEvSL_.has_dyn_sized_stack, 0
	.set _ZN7rocprim17ROCPRIM_400000_NS6detail17trampoline_kernelINS0_14default_configENS1_38merge_sort_block_merge_config_selectorIfNS0_10empty_typeEEEZZNS1_27merge_sort_block_merge_implIS3_N6thrust23THRUST_200600_302600_NS6detail15normal_iteratorINS9_10device_ptrIfEEEEPS5_jNS1_19radix_merge_compareILb0ELb0EfNS0_19identity_decomposerEEEEE10hipError_tT0_T1_T2_jT3_P12ihipStream_tbPNSt15iterator_traitsISK_E10value_typeEPNSQ_ISL_E10value_typeEPSM_NS1_7vsmem_tEENKUlT_SK_SL_SM_E_clISE_PfSF_SF_EESJ_SZ_SK_SL_SM_EUlSZ_E0_NS1_11comp_targetILNS1_3genE8ELNS1_11target_archE1030ELNS1_3gpuE2ELNS1_3repE0EEENS1_38merge_mergepath_config_static_selectorELNS0_4arch9wavefront6targetE0EEEvSL_.has_recursion, 0
	.set _ZN7rocprim17ROCPRIM_400000_NS6detail17trampoline_kernelINS0_14default_configENS1_38merge_sort_block_merge_config_selectorIfNS0_10empty_typeEEEZZNS1_27merge_sort_block_merge_implIS3_N6thrust23THRUST_200600_302600_NS6detail15normal_iteratorINS9_10device_ptrIfEEEEPS5_jNS1_19radix_merge_compareILb0ELb0EfNS0_19identity_decomposerEEEEE10hipError_tT0_T1_T2_jT3_P12ihipStream_tbPNSt15iterator_traitsISK_E10value_typeEPNSQ_ISL_E10value_typeEPSM_NS1_7vsmem_tEENKUlT_SK_SL_SM_E_clISE_PfSF_SF_EESJ_SZ_SK_SL_SM_EUlSZ_E0_NS1_11comp_targetILNS1_3genE8ELNS1_11target_archE1030ELNS1_3gpuE2ELNS1_3repE0EEENS1_38merge_mergepath_config_static_selectorELNS0_4arch9wavefront6targetE0EEEvSL_.has_indirect_call, 0
	.section	.AMDGPU.csdata,"",@progbits
; Kernel info:
; codeLenInByte = 1556
; TotalNumSgprs: 25
; NumVgprs: 15
; ScratchSize: 0
; MemoryBound: 0
; FloatMode: 240
; IeeeMode: 1
; LDSByteSize: 4224 bytes/workgroup (compile time only)
; SGPRBlocks: 0
; VGPRBlocks: 1
; NumSGPRsForWavesPerEU: 25
; NumVGPRsForWavesPerEU: 15
; Occupancy: 16
; WaveLimiterHint : 1
; COMPUTE_PGM_RSRC2:SCRATCH_EN: 0
; COMPUTE_PGM_RSRC2:USER_SGPR: 6
; COMPUTE_PGM_RSRC2:TRAP_HANDLER: 0
; COMPUTE_PGM_RSRC2:TGID_X_EN: 1
; COMPUTE_PGM_RSRC2:TGID_Y_EN: 1
; COMPUTE_PGM_RSRC2:TGID_Z_EN: 1
; COMPUTE_PGM_RSRC2:TIDIG_COMP_CNT: 0
	.section	.text._ZN7rocprim17ROCPRIM_400000_NS6detail17trampoline_kernelINS0_14default_configENS1_38merge_sort_block_merge_config_selectorIfNS0_10empty_typeEEEZZNS1_27merge_sort_block_merge_implIS3_N6thrust23THRUST_200600_302600_NS6detail15normal_iteratorINS9_10device_ptrIfEEEEPS5_jNS1_19radix_merge_compareILb0ELb0EfNS0_19identity_decomposerEEEEE10hipError_tT0_T1_T2_jT3_P12ihipStream_tbPNSt15iterator_traitsISK_E10value_typeEPNSQ_ISL_E10value_typeEPSM_NS1_7vsmem_tEENKUlT_SK_SL_SM_E_clISE_PfSF_SF_EESJ_SZ_SK_SL_SM_EUlSZ_E1_NS1_11comp_targetILNS1_3genE0ELNS1_11target_archE4294967295ELNS1_3gpuE0ELNS1_3repE0EEENS1_36merge_oddeven_config_static_selectorELNS0_4arch9wavefront6targetE0EEEvSL_,"axG",@progbits,_ZN7rocprim17ROCPRIM_400000_NS6detail17trampoline_kernelINS0_14default_configENS1_38merge_sort_block_merge_config_selectorIfNS0_10empty_typeEEEZZNS1_27merge_sort_block_merge_implIS3_N6thrust23THRUST_200600_302600_NS6detail15normal_iteratorINS9_10device_ptrIfEEEEPS5_jNS1_19radix_merge_compareILb0ELb0EfNS0_19identity_decomposerEEEEE10hipError_tT0_T1_T2_jT3_P12ihipStream_tbPNSt15iterator_traitsISK_E10value_typeEPNSQ_ISL_E10value_typeEPSM_NS1_7vsmem_tEENKUlT_SK_SL_SM_E_clISE_PfSF_SF_EESJ_SZ_SK_SL_SM_EUlSZ_E1_NS1_11comp_targetILNS1_3genE0ELNS1_11target_archE4294967295ELNS1_3gpuE0ELNS1_3repE0EEENS1_36merge_oddeven_config_static_selectorELNS0_4arch9wavefront6targetE0EEEvSL_,comdat
	.protected	_ZN7rocprim17ROCPRIM_400000_NS6detail17trampoline_kernelINS0_14default_configENS1_38merge_sort_block_merge_config_selectorIfNS0_10empty_typeEEEZZNS1_27merge_sort_block_merge_implIS3_N6thrust23THRUST_200600_302600_NS6detail15normal_iteratorINS9_10device_ptrIfEEEEPS5_jNS1_19radix_merge_compareILb0ELb0EfNS0_19identity_decomposerEEEEE10hipError_tT0_T1_T2_jT3_P12ihipStream_tbPNSt15iterator_traitsISK_E10value_typeEPNSQ_ISL_E10value_typeEPSM_NS1_7vsmem_tEENKUlT_SK_SL_SM_E_clISE_PfSF_SF_EESJ_SZ_SK_SL_SM_EUlSZ_E1_NS1_11comp_targetILNS1_3genE0ELNS1_11target_archE4294967295ELNS1_3gpuE0ELNS1_3repE0EEENS1_36merge_oddeven_config_static_selectorELNS0_4arch9wavefront6targetE0EEEvSL_ ; -- Begin function _ZN7rocprim17ROCPRIM_400000_NS6detail17trampoline_kernelINS0_14default_configENS1_38merge_sort_block_merge_config_selectorIfNS0_10empty_typeEEEZZNS1_27merge_sort_block_merge_implIS3_N6thrust23THRUST_200600_302600_NS6detail15normal_iteratorINS9_10device_ptrIfEEEEPS5_jNS1_19radix_merge_compareILb0ELb0EfNS0_19identity_decomposerEEEEE10hipError_tT0_T1_T2_jT3_P12ihipStream_tbPNSt15iterator_traitsISK_E10value_typeEPNSQ_ISL_E10value_typeEPSM_NS1_7vsmem_tEENKUlT_SK_SL_SM_E_clISE_PfSF_SF_EESJ_SZ_SK_SL_SM_EUlSZ_E1_NS1_11comp_targetILNS1_3genE0ELNS1_11target_archE4294967295ELNS1_3gpuE0ELNS1_3repE0EEENS1_36merge_oddeven_config_static_selectorELNS0_4arch9wavefront6targetE0EEEvSL_
	.globl	_ZN7rocprim17ROCPRIM_400000_NS6detail17trampoline_kernelINS0_14default_configENS1_38merge_sort_block_merge_config_selectorIfNS0_10empty_typeEEEZZNS1_27merge_sort_block_merge_implIS3_N6thrust23THRUST_200600_302600_NS6detail15normal_iteratorINS9_10device_ptrIfEEEEPS5_jNS1_19radix_merge_compareILb0ELb0EfNS0_19identity_decomposerEEEEE10hipError_tT0_T1_T2_jT3_P12ihipStream_tbPNSt15iterator_traitsISK_E10value_typeEPNSQ_ISL_E10value_typeEPSM_NS1_7vsmem_tEENKUlT_SK_SL_SM_E_clISE_PfSF_SF_EESJ_SZ_SK_SL_SM_EUlSZ_E1_NS1_11comp_targetILNS1_3genE0ELNS1_11target_archE4294967295ELNS1_3gpuE0ELNS1_3repE0EEENS1_36merge_oddeven_config_static_selectorELNS0_4arch9wavefront6targetE0EEEvSL_
	.p2align	8
	.type	_ZN7rocprim17ROCPRIM_400000_NS6detail17trampoline_kernelINS0_14default_configENS1_38merge_sort_block_merge_config_selectorIfNS0_10empty_typeEEEZZNS1_27merge_sort_block_merge_implIS3_N6thrust23THRUST_200600_302600_NS6detail15normal_iteratorINS9_10device_ptrIfEEEEPS5_jNS1_19radix_merge_compareILb0ELb0EfNS0_19identity_decomposerEEEEE10hipError_tT0_T1_T2_jT3_P12ihipStream_tbPNSt15iterator_traitsISK_E10value_typeEPNSQ_ISL_E10value_typeEPSM_NS1_7vsmem_tEENKUlT_SK_SL_SM_E_clISE_PfSF_SF_EESJ_SZ_SK_SL_SM_EUlSZ_E1_NS1_11comp_targetILNS1_3genE0ELNS1_11target_archE4294967295ELNS1_3gpuE0ELNS1_3repE0EEENS1_36merge_oddeven_config_static_selectorELNS0_4arch9wavefront6targetE0EEEvSL_,@function
_ZN7rocprim17ROCPRIM_400000_NS6detail17trampoline_kernelINS0_14default_configENS1_38merge_sort_block_merge_config_selectorIfNS0_10empty_typeEEEZZNS1_27merge_sort_block_merge_implIS3_N6thrust23THRUST_200600_302600_NS6detail15normal_iteratorINS9_10device_ptrIfEEEEPS5_jNS1_19radix_merge_compareILb0ELb0EfNS0_19identity_decomposerEEEEE10hipError_tT0_T1_T2_jT3_P12ihipStream_tbPNSt15iterator_traitsISK_E10value_typeEPNSQ_ISL_E10value_typeEPSM_NS1_7vsmem_tEENKUlT_SK_SL_SM_E_clISE_PfSF_SF_EESJ_SZ_SK_SL_SM_EUlSZ_E1_NS1_11comp_targetILNS1_3genE0ELNS1_11target_archE4294967295ELNS1_3gpuE0ELNS1_3repE0EEENS1_36merge_oddeven_config_static_selectorELNS0_4arch9wavefront6targetE0EEEvSL_: ; @_ZN7rocprim17ROCPRIM_400000_NS6detail17trampoline_kernelINS0_14default_configENS1_38merge_sort_block_merge_config_selectorIfNS0_10empty_typeEEEZZNS1_27merge_sort_block_merge_implIS3_N6thrust23THRUST_200600_302600_NS6detail15normal_iteratorINS9_10device_ptrIfEEEEPS5_jNS1_19radix_merge_compareILb0ELb0EfNS0_19identity_decomposerEEEEE10hipError_tT0_T1_T2_jT3_P12ihipStream_tbPNSt15iterator_traitsISK_E10value_typeEPNSQ_ISL_E10value_typeEPSM_NS1_7vsmem_tEENKUlT_SK_SL_SM_E_clISE_PfSF_SF_EESJ_SZ_SK_SL_SM_EUlSZ_E1_NS1_11comp_targetILNS1_3genE0ELNS1_11target_archE4294967295ELNS1_3gpuE0ELNS1_3repE0EEENS1_36merge_oddeven_config_static_selectorELNS0_4arch9wavefront6targetE0EEEvSL_
; %bb.0:
	.section	.rodata,"a",@progbits
	.p2align	6, 0x0
	.amdhsa_kernel _ZN7rocprim17ROCPRIM_400000_NS6detail17trampoline_kernelINS0_14default_configENS1_38merge_sort_block_merge_config_selectorIfNS0_10empty_typeEEEZZNS1_27merge_sort_block_merge_implIS3_N6thrust23THRUST_200600_302600_NS6detail15normal_iteratorINS9_10device_ptrIfEEEEPS5_jNS1_19radix_merge_compareILb0ELb0EfNS0_19identity_decomposerEEEEE10hipError_tT0_T1_T2_jT3_P12ihipStream_tbPNSt15iterator_traitsISK_E10value_typeEPNSQ_ISL_E10value_typeEPSM_NS1_7vsmem_tEENKUlT_SK_SL_SM_E_clISE_PfSF_SF_EESJ_SZ_SK_SL_SM_EUlSZ_E1_NS1_11comp_targetILNS1_3genE0ELNS1_11target_archE4294967295ELNS1_3gpuE0ELNS1_3repE0EEENS1_36merge_oddeven_config_static_selectorELNS0_4arch9wavefront6targetE0EEEvSL_
		.amdhsa_group_segment_fixed_size 0
		.amdhsa_private_segment_fixed_size 0
		.amdhsa_kernarg_size 48
		.amdhsa_user_sgpr_count 6
		.amdhsa_user_sgpr_private_segment_buffer 1
		.amdhsa_user_sgpr_dispatch_ptr 0
		.amdhsa_user_sgpr_queue_ptr 0
		.amdhsa_user_sgpr_kernarg_segment_ptr 1
		.amdhsa_user_sgpr_dispatch_id 0
		.amdhsa_user_sgpr_flat_scratch_init 0
		.amdhsa_user_sgpr_private_segment_size 0
		.amdhsa_wavefront_size32 1
		.amdhsa_uses_dynamic_stack 0
		.amdhsa_system_sgpr_private_segment_wavefront_offset 0
		.amdhsa_system_sgpr_workgroup_id_x 1
		.amdhsa_system_sgpr_workgroup_id_y 0
		.amdhsa_system_sgpr_workgroup_id_z 0
		.amdhsa_system_sgpr_workgroup_info 0
		.amdhsa_system_vgpr_workitem_id 0
		.amdhsa_next_free_vgpr 1
		.amdhsa_next_free_sgpr 1
		.amdhsa_reserve_vcc 0
		.amdhsa_reserve_flat_scratch 0
		.amdhsa_float_round_mode_32 0
		.amdhsa_float_round_mode_16_64 0
		.amdhsa_float_denorm_mode_32 3
		.amdhsa_float_denorm_mode_16_64 3
		.amdhsa_dx10_clamp 1
		.amdhsa_ieee_mode 1
		.amdhsa_fp16_overflow 0
		.amdhsa_workgroup_processor_mode 1
		.amdhsa_memory_ordered 1
		.amdhsa_forward_progress 1
		.amdhsa_shared_vgpr_count 0
		.amdhsa_exception_fp_ieee_invalid_op 0
		.amdhsa_exception_fp_denorm_src 0
		.amdhsa_exception_fp_ieee_div_zero 0
		.amdhsa_exception_fp_ieee_overflow 0
		.amdhsa_exception_fp_ieee_underflow 0
		.amdhsa_exception_fp_ieee_inexact 0
		.amdhsa_exception_int_div_zero 0
	.end_amdhsa_kernel
	.section	.text._ZN7rocprim17ROCPRIM_400000_NS6detail17trampoline_kernelINS0_14default_configENS1_38merge_sort_block_merge_config_selectorIfNS0_10empty_typeEEEZZNS1_27merge_sort_block_merge_implIS3_N6thrust23THRUST_200600_302600_NS6detail15normal_iteratorINS9_10device_ptrIfEEEEPS5_jNS1_19radix_merge_compareILb0ELb0EfNS0_19identity_decomposerEEEEE10hipError_tT0_T1_T2_jT3_P12ihipStream_tbPNSt15iterator_traitsISK_E10value_typeEPNSQ_ISL_E10value_typeEPSM_NS1_7vsmem_tEENKUlT_SK_SL_SM_E_clISE_PfSF_SF_EESJ_SZ_SK_SL_SM_EUlSZ_E1_NS1_11comp_targetILNS1_3genE0ELNS1_11target_archE4294967295ELNS1_3gpuE0ELNS1_3repE0EEENS1_36merge_oddeven_config_static_selectorELNS0_4arch9wavefront6targetE0EEEvSL_,"axG",@progbits,_ZN7rocprim17ROCPRIM_400000_NS6detail17trampoline_kernelINS0_14default_configENS1_38merge_sort_block_merge_config_selectorIfNS0_10empty_typeEEEZZNS1_27merge_sort_block_merge_implIS3_N6thrust23THRUST_200600_302600_NS6detail15normal_iteratorINS9_10device_ptrIfEEEEPS5_jNS1_19radix_merge_compareILb0ELb0EfNS0_19identity_decomposerEEEEE10hipError_tT0_T1_T2_jT3_P12ihipStream_tbPNSt15iterator_traitsISK_E10value_typeEPNSQ_ISL_E10value_typeEPSM_NS1_7vsmem_tEENKUlT_SK_SL_SM_E_clISE_PfSF_SF_EESJ_SZ_SK_SL_SM_EUlSZ_E1_NS1_11comp_targetILNS1_3genE0ELNS1_11target_archE4294967295ELNS1_3gpuE0ELNS1_3repE0EEENS1_36merge_oddeven_config_static_selectorELNS0_4arch9wavefront6targetE0EEEvSL_,comdat
.Lfunc_end515:
	.size	_ZN7rocprim17ROCPRIM_400000_NS6detail17trampoline_kernelINS0_14default_configENS1_38merge_sort_block_merge_config_selectorIfNS0_10empty_typeEEEZZNS1_27merge_sort_block_merge_implIS3_N6thrust23THRUST_200600_302600_NS6detail15normal_iteratorINS9_10device_ptrIfEEEEPS5_jNS1_19radix_merge_compareILb0ELb0EfNS0_19identity_decomposerEEEEE10hipError_tT0_T1_T2_jT3_P12ihipStream_tbPNSt15iterator_traitsISK_E10value_typeEPNSQ_ISL_E10value_typeEPSM_NS1_7vsmem_tEENKUlT_SK_SL_SM_E_clISE_PfSF_SF_EESJ_SZ_SK_SL_SM_EUlSZ_E1_NS1_11comp_targetILNS1_3genE0ELNS1_11target_archE4294967295ELNS1_3gpuE0ELNS1_3repE0EEENS1_36merge_oddeven_config_static_selectorELNS0_4arch9wavefront6targetE0EEEvSL_, .Lfunc_end515-_ZN7rocprim17ROCPRIM_400000_NS6detail17trampoline_kernelINS0_14default_configENS1_38merge_sort_block_merge_config_selectorIfNS0_10empty_typeEEEZZNS1_27merge_sort_block_merge_implIS3_N6thrust23THRUST_200600_302600_NS6detail15normal_iteratorINS9_10device_ptrIfEEEEPS5_jNS1_19radix_merge_compareILb0ELb0EfNS0_19identity_decomposerEEEEE10hipError_tT0_T1_T2_jT3_P12ihipStream_tbPNSt15iterator_traitsISK_E10value_typeEPNSQ_ISL_E10value_typeEPSM_NS1_7vsmem_tEENKUlT_SK_SL_SM_E_clISE_PfSF_SF_EESJ_SZ_SK_SL_SM_EUlSZ_E1_NS1_11comp_targetILNS1_3genE0ELNS1_11target_archE4294967295ELNS1_3gpuE0ELNS1_3repE0EEENS1_36merge_oddeven_config_static_selectorELNS0_4arch9wavefront6targetE0EEEvSL_
                                        ; -- End function
	.set _ZN7rocprim17ROCPRIM_400000_NS6detail17trampoline_kernelINS0_14default_configENS1_38merge_sort_block_merge_config_selectorIfNS0_10empty_typeEEEZZNS1_27merge_sort_block_merge_implIS3_N6thrust23THRUST_200600_302600_NS6detail15normal_iteratorINS9_10device_ptrIfEEEEPS5_jNS1_19radix_merge_compareILb0ELb0EfNS0_19identity_decomposerEEEEE10hipError_tT0_T1_T2_jT3_P12ihipStream_tbPNSt15iterator_traitsISK_E10value_typeEPNSQ_ISL_E10value_typeEPSM_NS1_7vsmem_tEENKUlT_SK_SL_SM_E_clISE_PfSF_SF_EESJ_SZ_SK_SL_SM_EUlSZ_E1_NS1_11comp_targetILNS1_3genE0ELNS1_11target_archE4294967295ELNS1_3gpuE0ELNS1_3repE0EEENS1_36merge_oddeven_config_static_selectorELNS0_4arch9wavefront6targetE0EEEvSL_.num_vgpr, 0
	.set _ZN7rocprim17ROCPRIM_400000_NS6detail17trampoline_kernelINS0_14default_configENS1_38merge_sort_block_merge_config_selectorIfNS0_10empty_typeEEEZZNS1_27merge_sort_block_merge_implIS3_N6thrust23THRUST_200600_302600_NS6detail15normal_iteratorINS9_10device_ptrIfEEEEPS5_jNS1_19radix_merge_compareILb0ELb0EfNS0_19identity_decomposerEEEEE10hipError_tT0_T1_T2_jT3_P12ihipStream_tbPNSt15iterator_traitsISK_E10value_typeEPNSQ_ISL_E10value_typeEPSM_NS1_7vsmem_tEENKUlT_SK_SL_SM_E_clISE_PfSF_SF_EESJ_SZ_SK_SL_SM_EUlSZ_E1_NS1_11comp_targetILNS1_3genE0ELNS1_11target_archE4294967295ELNS1_3gpuE0ELNS1_3repE0EEENS1_36merge_oddeven_config_static_selectorELNS0_4arch9wavefront6targetE0EEEvSL_.num_agpr, 0
	.set _ZN7rocprim17ROCPRIM_400000_NS6detail17trampoline_kernelINS0_14default_configENS1_38merge_sort_block_merge_config_selectorIfNS0_10empty_typeEEEZZNS1_27merge_sort_block_merge_implIS3_N6thrust23THRUST_200600_302600_NS6detail15normal_iteratorINS9_10device_ptrIfEEEEPS5_jNS1_19radix_merge_compareILb0ELb0EfNS0_19identity_decomposerEEEEE10hipError_tT0_T1_T2_jT3_P12ihipStream_tbPNSt15iterator_traitsISK_E10value_typeEPNSQ_ISL_E10value_typeEPSM_NS1_7vsmem_tEENKUlT_SK_SL_SM_E_clISE_PfSF_SF_EESJ_SZ_SK_SL_SM_EUlSZ_E1_NS1_11comp_targetILNS1_3genE0ELNS1_11target_archE4294967295ELNS1_3gpuE0ELNS1_3repE0EEENS1_36merge_oddeven_config_static_selectorELNS0_4arch9wavefront6targetE0EEEvSL_.numbered_sgpr, 0
	.set _ZN7rocprim17ROCPRIM_400000_NS6detail17trampoline_kernelINS0_14default_configENS1_38merge_sort_block_merge_config_selectorIfNS0_10empty_typeEEEZZNS1_27merge_sort_block_merge_implIS3_N6thrust23THRUST_200600_302600_NS6detail15normal_iteratorINS9_10device_ptrIfEEEEPS5_jNS1_19radix_merge_compareILb0ELb0EfNS0_19identity_decomposerEEEEE10hipError_tT0_T1_T2_jT3_P12ihipStream_tbPNSt15iterator_traitsISK_E10value_typeEPNSQ_ISL_E10value_typeEPSM_NS1_7vsmem_tEENKUlT_SK_SL_SM_E_clISE_PfSF_SF_EESJ_SZ_SK_SL_SM_EUlSZ_E1_NS1_11comp_targetILNS1_3genE0ELNS1_11target_archE4294967295ELNS1_3gpuE0ELNS1_3repE0EEENS1_36merge_oddeven_config_static_selectorELNS0_4arch9wavefront6targetE0EEEvSL_.num_named_barrier, 0
	.set _ZN7rocprim17ROCPRIM_400000_NS6detail17trampoline_kernelINS0_14default_configENS1_38merge_sort_block_merge_config_selectorIfNS0_10empty_typeEEEZZNS1_27merge_sort_block_merge_implIS3_N6thrust23THRUST_200600_302600_NS6detail15normal_iteratorINS9_10device_ptrIfEEEEPS5_jNS1_19radix_merge_compareILb0ELb0EfNS0_19identity_decomposerEEEEE10hipError_tT0_T1_T2_jT3_P12ihipStream_tbPNSt15iterator_traitsISK_E10value_typeEPNSQ_ISL_E10value_typeEPSM_NS1_7vsmem_tEENKUlT_SK_SL_SM_E_clISE_PfSF_SF_EESJ_SZ_SK_SL_SM_EUlSZ_E1_NS1_11comp_targetILNS1_3genE0ELNS1_11target_archE4294967295ELNS1_3gpuE0ELNS1_3repE0EEENS1_36merge_oddeven_config_static_selectorELNS0_4arch9wavefront6targetE0EEEvSL_.private_seg_size, 0
	.set _ZN7rocprim17ROCPRIM_400000_NS6detail17trampoline_kernelINS0_14default_configENS1_38merge_sort_block_merge_config_selectorIfNS0_10empty_typeEEEZZNS1_27merge_sort_block_merge_implIS3_N6thrust23THRUST_200600_302600_NS6detail15normal_iteratorINS9_10device_ptrIfEEEEPS5_jNS1_19radix_merge_compareILb0ELb0EfNS0_19identity_decomposerEEEEE10hipError_tT0_T1_T2_jT3_P12ihipStream_tbPNSt15iterator_traitsISK_E10value_typeEPNSQ_ISL_E10value_typeEPSM_NS1_7vsmem_tEENKUlT_SK_SL_SM_E_clISE_PfSF_SF_EESJ_SZ_SK_SL_SM_EUlSZ_E1_NS1_11comp_targetILNS1_3genE0ELNS1_11target_archE4294967295ELNS1_3gpuE0ELNS1_3repE0EEENS1_36merge_oddeven_config_static_selectorELNS0_4arch9wavefront6targetE0EEEvSL_.uses_vcc, 0
	.set _ZN7rocprim17ROCPRIM_400000_NS6detail17trampoline_kernelINS0_14default_configENS1_38merge_sort_block_merge_config_selectorIfNS0_10empty_typeEEEZZNS1_27merge_sort_block_merge_implIS3_N6thrust23THRUST_200600_302600_NS6detail15normal_iteratorINS9_10device_ptrIfEEEEPS5_jNS1_19radix_merge_compareILb0ELb0EfNS0_19identity_decomposerEEEEE10hipError_tT0_T1_T2_jT3_P12ihipStream_tbPNSt15iterator_traitsISK_E10value_typeEPNSQ_ISL_E10value_typeEPSM_NS1_7vsmem_tEENKUlT_SK_SL_SM_E_clISE_PfSF_SF_EESJ_SZ_SK_SL_SM_EUlSZ_E1_NS1_11comp_targetILNS1_3genE0ELNS1_11target_archE4294967295ELNS1_3gpuE0ELNS1_3repE0EEENS1_36merge_oddeven_config_static_selectorELNS0_4arch9wavefront6targetE0EEEvSL_.uses_flat_scratch, 0
	.set _ZN7rocprim17ROCPRIM_400000_NS6detail17trampoline_kernelINS0_14default_configENS1_38merge_sort_block_merge_config_selectorIfNS0_10empty_typeEEEZZNS1_27merge_sort_block_merge_implIS3_N6thrust23THRUST_200600_302600_NS6detail15normal_iteratorINS9_10device_ptrIfEEEEPS5_jNS1_19radix_merge_compareILb0ELb0EfNS0_19identity_decomposerEEEEE10hipError_tT0_T1_T2_jT3_P12ihipStream_tbPNSt15iterator_traitsISK_E10value_typeEPNSQ_ISL_E10value_typeEPSM_NS1_7vsmem_tEENKUlT_SK_SL_SM_E_clISE_PfSF_SF_EESJ_SZ_SK_SL_SM_EUlSZ_E1_NS1_11comp_targetILNS1_3genE0ELNS1_11target_archE4294967295ELNS1_3gpuE0ELNS1_3repE0EEENS1_36merge_oddeven_config_static_selectorELNS0_4arch9wavefront6targetE0EEEvSL_.has_dyn_sized_stack, 0
	.set _ZN7rocprim17ROCPRIM_400000_NS6detail17trampoline_kernelINS0_14default_configENS1_38merge_sort_block_merge_config_selectorIfNS0_10empty_typeEEEZZNS1_27merge_sort_block_merge_implIS3_N6thrust23THRUST_200600_302600_NS6detail15normal_iteratorINS9_10device_ptrIfEEEEPS5_jNS1_19radix_merge_compareILb0ELb0EfNS0_19identity_decomposerEEEEE10hipError_tT0_T1_T2_jT3_P12ihipStream_tbPNSt15iterator_traitsISK_E10value_typeEPNSQ_ISL_E10value_typeEPSM_NS1_7vsmem_tEENKUlT_SK_SL_SM_E_clISE_PfSF_SF_EESJ_SZ_SK_SL_SM_EUlSZ_E1_NS1_11comp_targetILNS1_3genE0ELNS1_11target_archE4294967295ELNS1_3gpuE0ELNS1_3repE0EEENS1_36merge_oddeven_config_static_selectorELNS0_4arch9wavefront6targetE0EEEvSL_.has_recursion, 0
	.set _ZN7rocprim17ROCPRIM_400000_NS6detail17trampoline_kernelINS0_14default_configENS1_38merge_sort_block_merge_config_selectorIfNS0_10empty_typeEEEZZNS1_27merge_sort_block_merge_implIS3_N6thrust23THRUST_200600_302600_NS6detail15normal_iteratorINS9_10device_ptrIfEEEEPS5_jNS1_19radix_merge_compareILb0ELb0EfNS0_19identity_decomposerEEEEE10hipError_tT0_T1_T2_jT3_P12ihipStream_tbPNSt15iterator_traitsISK_E10value_typeEPNSQ_ISL_E10value_typeEPSM_NS1_7vsmem_tEENKUlT_SK_SL_SM_E_clISE_PfSF_SF_EESJ_SZ_SK_SL_SM_EUlSZ_E1_NS1_11comp_targetILNS1_3genE0ELNS1_11target_archE4294967295ELNS1_3gpuE0ELNS1_3repE0EEENS1_36merge_oddeven_config_static_selectorELNS0_4arch9wavefront6targetE0EEEvSL_.has_indirect_call, 0
	.section	.AMDGPU.csdata,"",@progbits
; Kernel info:
; codeLenInByte = 0
; TotalNumSgprs: 0
; NumVgprs: 0
; ScratchSize: 0
; MemoryBound: 0
; FloatMode: 240
; IeeeMode: 1
; LDSByteSize: 0 bytes/workgroup (compile time only)
; SGPRBlocks: 0
; VGPRBlocks: 0
; NumSGPRsForWavesPerEU: 1
; NumVGPRsForWavesPerEU: 1
; Occupancy: 16
; WaveLimiterHint : 0
; COMPUTE_PGM_RSRC2:SCRATCH_EN: 0
; COMPUTE_PGM_RSRC2:USER_SGPR: 6
; COMPUTE_PGM_RSRC2:TRAP_HANDLER: 0
; COMPUTE_PGM_RSRC2:TGID_X_EN: 1
; COMPUTE_PGM_RSRC2:TGID_Y_EN: 0
; COMPUTE_PGM_RSRC2:TGID_Z_EN: 0
; COMPUTE_PGM_RSRC2:TIDIG_COMP_CNT: 0
	.section	.text._ZN7rocprim17ROCPRIM_400000_NS6detail17trampoline_kernelINS0_14default_configENS1_38merge_sort_block_merge_config_selectorIfNS0_10empty_typeEEEZZNS1_27merge_sort_block_merge_implIS3_N6thrust23THRUST_200600_302600_NS6detail15normal_iteratorINS9_10device_ptrIfEEEEPS5_jNS1_19radix_merge_compareILb0ELb0EfNS0_19identity_decomposerEEEEE10hipError_tT0_T1_T2_jT3_P12ihipStream_tbPNSt15iterator_traitsISK_E10value_typeEPNSQ_ISL_E10value_typeEPSM_NS1_7vsmem_tEENKUlT_SK_SL_SM_E_clISE_PfSF_SF_EESJ_SZ_SK_SL_SM_EUlSZ_E1_NS1_11comp_targetILNS1_3genE10ELNS1_11target_archE1201ELNS1_3gpuE5ELNS1_3repE0EEENS1_36merge_oddeven_config_static_selectorELNS0_4arch9wavefront6targetE0EEEvSL_,"axG",@progbits,_ZN7rocprim17ROCPRIM_400000_NS6detail17trampoline_kernelINS0_14default_configENS1_38merge_sort_block_merge_config_selectorIfNS0_10empty_typeEEEZZNS1_27merge_sort_block_merge_implIS3_N6thrust23THRUST_200600_302600_NS6detail15normal_iteratorINS9_10device_ptrIfEEEEPS5_jNS1_19radix_merge_compareILb0ELb0EfNS0_19identity_decomposerEEEEE10hipError_tT0_T1_T2_jT3_P12ihipStream_tbPNSt15iterator_traitsISK_E10value_typeEPNSQ_ISL_E10value_typeEPSM_NS1_7vsmem_tEENKUlT_SK_SL_SM_E_clISE_PfSF_SF_EESJ_SZ_SK_SL_SM_EUlSZ_E1_NS1_11comp_targetILNS1_3genE10ELNS1_11target_archE1201ELNS1_3gpuE5ELNS1_3repE0EEENS1_36merge_oddeven_config_static_selectorELNS0_4arch9wavefront6targetE0EEEvSL_,comdat
	.protected	_ZN7rocprim17ROCPRIM_400000_NS6detail17trampoline_kernelINS0_14default_configENS1_38merge_sort_block_merge_config_selectorIfNS0_10empty_typeEEEZZNS1_27merge_sort_block_merge_implIS3_N6thrust23THRUST_200600_302600_NS6detail15normal_iteratorINS9_10device_ptrIfEEEEPS5_jNS1_19radix_merge_compareILb0ELb0EfNS0_19identity_decomposerEEEEE10hipError_tT0_T1_T2_jT3_P12ihipStream_tbPNSt15iterator_traitsISK_E10value_typeEPNSQ_ISL_E10value_typeEPSM_NS1_7vsmem_tEENKUlT_SK_SL_SM_E_clISE_PfSF_SF_EESJ_SZ_SK_SL_SM_EUlSZ_E1_NS1_11comp_targetILNS1_3genE10ELNS1_11target_archE1201ELNS1_3gpuE5ELNS1_3repE0EEENS1_36merge_oddeven_config_static_selectorELNS0_4arch9wavefront6targetE0EEEvSL_ ; -- Begin function _ZN7rocprim17ROCPRIM_400000_NS6detail17trampoline_kernelINS0_14default_configENS1_38merge_sort_block_merge_config_selectorIfNS0_10empty_typeEEEZZNS1_27merge_sort_block_merge_implIS3_N6thrust23THRUST_200600_302600_NS6detail15normal_iteratorINS9_10device_ptrIfEEEEPS5_jNS1_19radix_merge_compareILb0ELb0EfNS0_19identity_decomposerEEEEE10hipError_tT0_T1_T2_jT3_P12ihipStream_tbPNSt15iterator_traitsISK_E10value_typeEPNSQ_ISL_E10value_typeEPSM_NS1_7vsmem_tEENKUlT_SK_SL_SM_E_clISE_PfSF_SF_EESJ_SZ_SK_SL_SM_EUlSZ_E1_NS1_11comp_targetILNS1_3genE10ELNS1_11target_archE1201ELNS1_3gpuE5ELNS1_3repE0EEENS1_36merge_oddeven_config_static_selectorELNS0_4arch9wavefront6targetE0EEEvSL_
	.globl	_ZN7rocprim17ROCPRIM_400000_NS6detail17trampoline_kernelINS0_14default_configENS1_38merge_sort_block_merge_config_selectorIfNS0_10empty_typeEEEZZNS1_27merge_sort_block_merge_implIS3_N6thrust23THRUST_200600_302600_NS6detail15normal_iteratorINS9_10device_ptrIfEEEEPS5_jNS1_19radix_merge_compareILb0ELb0EfNS0_19identity_decomposerEEEEE10hipError_tT0_T1_T2_jT3_P12ihipStream_tbPNSt15iterator_traitsISK_E10value_typeEPNSQ_ISL_E10value_typeEPSM_NS1_7vsmem_tEENKUlT_SK_SL_SM_E_clISE_PfSF_SF_EESJ_SZ_SK_SL_SM_EUlSZ_E1_NS1_11comp_targetILNS1_3genE10ELNS1_11target_archE1201ELNS1_3gpuE5ELNS1_3repE0EEENS1_36merge_oddeven_config_static_selectorELNS0_4arch9wavefront6targetE0EEEvSL_
	.p2align	8
	.type	_ZN7rocprim17ROCPRIM_400000_NS6detail17trampoline_kernelINS0_14default_configENS1_38merge_sort_block_merge_config_selectorIfNS0_10empty_typeEEEZZNS1_27merge_sort_block_merge_implIS3_N6thrust23THRUST_200600_302600_NS6detail15normal_iteratorINS9_10device_ptrIfEEEEPS5_jNS1_19radix_merge_compareILb0ELb0EfNS0_19identity_decomposerEEEEE10hipError_tT0_T1_T2_jT3_P12ihipStream_tbPNSt15iterator_traitsISK_E10value_typeEPNSQ_ISL_E10value_typeEPSM_NS1_7vsmem_tEENKUlT_SK_SL_SM_E_clISE_PfSF_SF_EESJ_SZ_SK_SL_SM_EUlSZ_E1_NS1_11comp_targetILNS1_3genE10ELNS1_11target_archE1201ELNS1_3gpuE5ELNS1_3repE0EEENS1_36merge_oddeven_config_static_selectorELNS0_4arch9wavefront6targetE0EEEvSL_,@function
_ZN7rocprim17ROCPRIM_400000_NS6detail17trampoline_kernelINS0_14default_configENS1_38merge_sort_block_merge_config_selectorIfNS0_10empty_typeEEEZZNS1_27merge_sort_block_merge_implIS3_N6thrust23THRUST_200600_302600_NS6detail15normal_iteratorINS9_10device_ptrIfEEEEPS5_jNS1_19radix_merge_compareILb0ELb0EfNS0_19identity_decomposerEEEEE10hipError_tT0_T1_T2_jT3_P12ihipStream_tbPNSt15iterator_traitsISK_E10value_typeEPNSQ_ISL_E10value_typeEPSM_NS1_7vsmem_tEENKUlT_SK_SL_SM_E_clISE_PfSF_SF_EESJ_SZ_SK_SL_SM_EUlSZ_E1_NS1_11comp_targetILNS1_3genE10ELNS1_11target_archE1201ELNS1_3gpuE5ELNS1_3repE0EEENS1_36merge_oddeven_config_static_selectorELNS0_4arch9wavefront6targetE0EEEvSL_: ; @_ZN7rocprim17ROCPRIM_400000_NS6detail17trampoline_kernelINS0_14default_configENS1_38merge_sort_block_merge_config_selectorIfNS0_10empty_typeEEEZZNS1_27merge_sort_block_merge_implIS3_N6thrust23THRUST_200600_302600_NS6detail15normal_iteratorINS9_10device_ptrIfEEEEPS5_jNS1_19radix_merge_compareILb0ELb0EfNS0_19identity_decomposerEEEEE10hipError_tT0_T1_T2_jT3_P12ihipStream_tbPNSt15iterator_traitsISK_E10value_typeEPNSQ_ISL_E10value_typeEPSM_NS1_7vsmem_tEENKUlT_SK_SL_SM_E_clISE_PfSF_SF_EESJ_SZ_SK_SL_SM_EUlSZ_E1_NS1_11comp_targetILNS1_3genE10ELNS1_11target_archE1201ELNS1_3gpuE5ELNS1_3repE0EEENS1_36merge_oddeven_config_static_selectorELNS0_4arch9wavefront6targetE0EEEvSL_
; %bb.0:
	.section	.rodata,"a",@progbits
	.p2align	6, 0x0
	.amdhsa_kernel _ZN7rocprim17ROCPRIM_400000_NS6detail17trampoline_kernelINS0_14default_configENS1_38merge_sort_block_merge_config_selectorIfNS0_10empty_typeEEEZZNS1_27merge_sort_block_merge_implIS3_N6thrust23THRUST_200600_302600_NS6detail15normal_iteratorINS9_10device_ptrIfEEEEPS5_jNS1_19radix_merge_compareILb0ELb0EfNS0_19identity_decomposerEEEEE10hipError_tT0_T1_T2_jT3_P12ihipStream_tbPNSt15iterator_traitsISK_E10value_typeEPNSQ_ISL_E10value_typeEPSM_NS1_7vsmem_tEENKUlT_SK_SL_SM_E_clISE_PfSF_SF_EESJ_SZ_SK_SL_SM_EUlSZ_E1_NS1_11comp_targetILNS1_3genE10ELNS1_11target_archE1201ELNS1_3gpuE5ELNS1_3repE0EEENS1_36merge_oddeven_config_static_selectorELNS0_4arch9wavefront6targetE0EEEvSL_
		.amdhsa_group_segment_fixed_size 0
		.amdhsa_private_segment_fixed_size 0
		.amdhsa_kernarg_size 48
		.amdhsa_user_sgpr_count 6
		.amdhsa_user_sgpr_private_segment_buffer 1
		.amdhsa_user_sgpr_dispatch_ptr 0
		.amdhsa_user_sgpr_queue_ptr 0
		.amdhsa_user_sgpr_kernarg_segment_ptr 1
		.amdhsa_user_sgpr_dispatch_id 0
		.amdhsa_user_sgpr_flat_scratch_init 0
		.amdhsa_user_sgpr_private_segment_size 0
		.amdhsa_wavefront_size32 1
		.amdhsa_uses_dynamic_stack 0
		.amdhsa_system_sgpr_private_segment_wavefront_offset 0
		.amdhsa_system_sgpr_workgroup_id_x 1
		.amdhsa_system_sgpr_workgroup_id_y 0
		.amdhsa_system_sgpr_workgroup_id_z 0
		.amdhsa_system_sgpr_workgroup_info 0
		.amdhsa_system_vgpr_workitem_id 0
		.amdhsa_next_free_vgpr 1
		.amdhsa_next_free_sgpr 1
		.amdhsa_reserve_vcc 0
		.amdhsa_reserve_flat_scratch 0
		.amdhsa_float_round_mode_32 0
		.amdhsa_float_round_mode_16_64 0
		.amdhsa_float_denorm_mode_32 3
		.amdhsa_float_denorm_mode_16_64 3
		.amdhsa_dx10_clamp 1
		.amdhsa_ieee_mode 1
		.amdhsa_fp16_overflow 0
		.amdhsa_workgroup_processor_mode 1
		.amdhsa_memory_ordered 1
		.amdhsa_forward_progress 1
		.amdhsa_shared_vgpr_count 0
		.amdhsa_exception_fp_ieee_invalid_op 0
		.amdhsa_exception_fp_denorm_src 0
		.amdhsa_exception_fp_ieee_div_zero 0
		.amdhsa_exception_fp_ieee_overflow 0
		.amdhsa_exception_fp_ieee_underflow 0
		.amdhsa_exception_fp_ieee_inexact 0
		.amdhsa_exception_int_div_zero 0
	.end_amdhsa_kernel
	.section	.text._ZN7rocprim17ROCPRIM_400000_NS6detail17trampoline_kernelINS0_14default_configENS1_38merge_sort_block_merge_config_selectorIfNS0_10empty_typeEEEZZNS1_27merge_sort_block_merge_implIS3_N6thrust23THRUST_200600_302600_NS6detail15normal_iteratorINS9_10device_ptrIfEEEEPS5_jNS1_19radix_merge_compareILb0ELb0EfNS0_19identity_decomposerEEEEE10hipError_tT0_T1_T2_jT3_P12ihipStream_tbPNSt15iterator_traitsISK_E10value_typeEPNSQ_ISL_E10value_typeEPSM_NS1_7vsmem_tEENKUlT_SK_SL_SM_E_clISE_PfSF_SF_EESJ_SZ_SK_SL_SM_EUlSZ_E1_NS1_11comp_targetILNS1_3genE10ELNS1_11target_archE1201ELNS1_3gpuE5ELNS1_3repE0EEENS1_36merge_oddeven_config_static_selectorELNS0_4arch9wavefront6targetE0EEEvSL_,"axG",@progbits,_ZN7rocprim17ROCPRIM_400000_NS6detail17trampoline_kernelINS0_14default_configENS1_38merge_sort_block_merge_config_selectorIfNS0_10empty_typeEEEZZNS1_27merge_sort_block_merge_implIS3_N6thrust23THRUST_200600_302600_NS6detail15normal_iteratorINS9_10device_ptrIfEEEEPS5_jNS1_19radix_merge_compareILb0ELb0EfNS0_19identity_decomposerEEEEE10hipError_tT0_T1_T2_jT3_P12ihipStream_tbPNSt15iterator_traitsISK_E10value_typeEPNSQ_ISL_E10value_typeEPSM_NS1_7vsmem_tEENKUlT_SK_SL_SM_E_clISE_PfSF_SF_EESJ_SZ_SK_SL_SM_EUlSZ_E1_NS1_11comp_targetILNS1_3genE10ELNS1_11target_archE1201ELNS1_3gpuE5ELNS1_3repE0EEENS1_36merge_oddeven_config_static_selectorELNS0_4arch9wavefront6targetE0EEEvSL_,comdat
.Lfunc_end516:
	.size	_ZN7rocprim17ROCPRIM_400000_NS6detail17trampoline_kernelINS0_14default_configENS1_38merge_sort_block_merge_config_selectorIfNS0_10empty_typeEEEZZNS1_27merge_sort_block_merge_implIS3_N6thrust23THRUST_200600_302600_NS6detail15normal_iteratorINS9_10device_ptrIfEEEEPS5_jNS1_19radix_merge_compareILb0ELb0EfNS0_19identity_decomposerEEEEE10hipError_tT0_T1_T2_jT3_P12ihipStream_tbPNSt15iterator_traitsISK_E10value_typeEPNSQ_ISL_E10value_typeEPSM_NS1_7vsmem_tEENKUlT_SK_SL_SM_E_clISE_PfSF_SF_EESJ_SZ_SK_SL_SM_EUlSZ_E1_NS1_11comp_targetILNS1_3genE10ELNS1_11target_archE1201ELNS1_3gpuE5ELNS1_3repE0EEENS1_36merge_oddeven_config_static_selectorELNS0_4arch9wavefront6targetE0EEEvSL_, .Lfunc_end516-_ZN7rocprim17ROCPRIM_400000_NS6detail17trampoline_kernelINS0_14default_configENS1_38merge_sort_block_merge_config_selectorIfNS0_10empty_typeEEEZZNS1_27merge_sort_block_merge_implIS3_N6thrust23THRUST_200600_302600_NS6detail15normal_iteratorINS9_10device_ptrIfEEEEPS5_jNS1_19radix_merge_compareILb0ELb0EfNS0_19identity_decomposerEEEEE10hipError_tT0_T1_T2_jT3_P12ihipStream_tbPNSt15iterator_traitsISK_E10value_typeEPNSQ_ISL_E10value_typeEPSM_NS1_7vsmem_tEENKUlT_SK_SL_SM_E_clISE_PfSF_SF_EESJ_SZ_SK_SL_SM_EUlSZ_E1_NS1_11comp_targetILNS1_3genE10ELNS1_11target_archE1201ELNS1_3gpuE5ELNS1_3repE0EEENS1_36merge_oddeven_config_static_selectorELNS0_4arch9wavefront6targetE0EEEvSL_
                                        ; -- End function
	.set _ZN7rocprim17ROCPRIM_400000_NS6detail17trampoline_kernelINS0_14default_configENS1_38merge_sort_block_merge_config_selectorIfNS0_10empty_typeEEEZZNS1_27merge_sort_block_merge_implIS3_N6thrust23THRUST_200600_302600_NS6detail15normal_iteratorINS9_10device_ptrIfEEEEPS5_jNS1_19radix_merge_compareILb0ELb0EfNS0_19identity_decomposerEEEEE10hipError_tT0_T1_T2_jT3_P12ihipStream_tbPNSt15iterator_traitsISK_E10value_typeEPNSQ_ISL_E10value_typeEPSM_NS1_7vsmem_tEENKUlT_SK_SL_SM_E_clISE_PfSF_SF_EESJ_SZ_SK_SL_SM_EUlSZ_E1_NS1_11comp_targetILNS1_3genE10ELNS1_11target_archE1201ELNS1_3gpuE5ELNS1_3repE0EEENS1_36merge_oddeven_config_static_selectorELNS0_4arch9wavefront6targetE0EEEvSL_.num_vgpr, 0
	.set _ZN7rocprim17ROCPRIM_400000_NS6detail17trampoline_kernelINS0_14default_configENS1_38merge_sort_block_merge_config_selectorIfNS0_10empty_typeEEEZZNS1_27merge_sort_block_merge_implIS3_N6thrust23THRUST_200600_302600_NS6detail15normal_iteratorINS9_10device_ptrIfEEEEPS5_jNS1_19radix_merge_compareILb0ELb0EfNS0_19identity_decomposerEEEEE10hipError_tT0_T1_T2_jT3_P12ihipStream_tbPNSt15iterator_traitsISK_E10value_typeEPNSQ_ISL_E10value_typeEPSM_NS1_7vsmem_tEENKUlT_SK_SL_SM_E_clISE_PfSF_SF_EESJ_SZ_SK_SL_SM_EUlSZ_E1_NS1_11comp_targetILNS1_3genE10ELNS1_11target_archE1201ELNS1_3gpuE5ELNS1_3repE0EEENS1_36merge_oddeven_config_static_selectorELNS0_4arch9wavefront6targetE0EEEvSL_.num_agpr, 0
	.set _ZN7rocprim17ROCPRIM_400000_NS6detail17trampoline_kernelINS0_14default_configENS1_38merge_sort_block_merge_config_selectorIfNS0_10empty_typeEEEZZNS1_27merge_sort_block_merge_implIS3_N6thrust23THRUST_200600_302600_NS6detail15normal_iteratorINS9_10device_ptrIfEEEEPS5_jNS1_19radix_merge_compareILb0ELb0EfNS0_19identity_decomposerEEEEE10hipError_tT0_T1_T2_jT3_P12ihipStream_tbPNSt15iterator_traitsISK_E10value_typeEPNSQ_ISL_E10value_typeEPSM_NS1_7vsmem_tEENKUlT_SK_SL_SM_E_clISE_PfSF_SF_EESJ_SZ_SK_SL_SM_EUlSZ_E1_NS1_11comp_targetILNS1_3genE10ELNS1_11target_archE1201ELNS1_3gpuE5ELNS1_3repE0EEENS1_36merge_oddeven_config_static_selectorELNS0_4arch9wavefront6targetE0EEEvSL_.numbered_sgpr, 0
	.set _ZN7rocprim17ROCPRIM_400000_NS6detail17trampoline_kernelINS0_14default_configENS1_38merge_sort_block_merge_config_selectorIfNS0_10empty_typeEEEZZNS1_27merge_sort_block_merge_implIS3_N6thrust23THRUST_200600_302600_NS6detail15normal_iteratorINS9_10device_ptrIfEEEEPS5_jNS1_19radix_merge_compareILb0ELb0EfNS0_19identity_decomposerEEEEE10hipError_tT0_T1_T2_jT3_P12ihipStream_tbPNSt15iterator_traitsISK_E10value_typeEPNSQ_ISL_E10value_typeEPSM_NS1_7vsmem_tEENKUlT_SK_SL_SM_E_clISE_PfSF_SF_EESJ_SZ_SK_SL_SM_EUlSZ_E1_NS1_11comp_targetILNS1_3genE10ELNS1_11target_archE1201ELNS1_3gpuE5ELNS1_3repE0EEENS1_36merge_oddeven_config_static_selectorELNS0_4arch9wavefront6targetE0EEEvSL_.num_named_barrier, 0
	.set _ZN7rocprim17ROCPRIM_400000_NS6detail17trampoline_kernelINS0_14default_configENS1_38merge_sort_block_merge_config_selectorIfNS0_10empty_typeEEEZZNS1_27merge_sort_block_merge_implIS3_N6thrust23THRUST_200600_302600_NS6detail15normal_iteratorINS9_10device_ptrIfEEEEPS5_jNS1_19radix_merge_compareILb0ELb0EfNS0_19identity_decomposerEEEEE10hipError_tT0_T1_T2_jT3_P12ihipStream_tbPNSt15iterator_traitsISK_E10value_typeEPNSQ_ISL_E10value_typeEPSM_NS1_7vsmem_tEENKUlT_SK_SL_SM_E_clISE_PfSF_SF_EESJ_SZ_SK_SL_SM_EUlSZ_E1_NS1_11comp_targetILNS1_3genE10ELNS1_11target_archE1201ELNS1_3gpuE5ELNS1_3repE0EEENS1_36merge_oddeven_config_static_selectorELNS0_4arch9wavefront6targetE0EEEvSL_.private_seg_size, 0
	.set _ZN7rocprim17ROCPRIM_400000_NS6detail17trampoline_kernelINS0_14default_configENS1_38merge_sort_block_merge_config_selectorIfNS0_10empty_typeEEEZZNS1_27merge_sort_block_merge_implIS3_N6thrust23THRUST_200600_302600_NS6detail15normal_iteratorINS9_10device_ptrIfEEEEPS5_jNS1_19radix_merge_compareILb0ELb0EfNS0_19identity_decomposerEEEEE10hipError_tT0_T1_T2_jT3_P12ihipStream_tbPNSt15iterator_traitsISK_E10value_typeEPNSQ_ISL_E10value_typeEPSM_NS1_7vsmem_tEENKUlT_SK_SL_SM_E_clISE_PfSF_SF_EESJ_SZ_SK_SL_SM_EUlSZ_E1_NS1_11comp_targetILNS1_3genE10ELNS1_11target_archE1201ELNS1_3gpuE5ELNS1_3repE0EEENS1_36merge_oddeven_config_static_selectorELNS0_4arch9wavefront6targetE0EEEvSL_.uses_vcc, 0
	.set _ZN7rocprim17ROCPRIM_400000_NS6detail17trampoline_kernelINS0_14default_configENS1_38merge_sort_block_merge_config_selectorIfNS0_10empty_typeEEEZZNS1_27merge_sort_block_merge_implIS3_N6thrust23THRUST_200600_302600_NS6detail15normal_iteratorINS9_10device_ptrIfEEEEPS5_jNS1_19radix_merge_compareILb0ELb0EfNS0_19identity_decomposerEEEEE10hipError_tT0_T1_T2_jT3_P12ihipStream_tbPNSt15iterator_traitsISK_E10value_typeEPNSQ_ISL_E10value_typeEPSM_NS1_7vsmem_tEENKUlT_SK_SL_SM_E_clISE_PfSF_SF_EESJ_SZ_SK_SL_SM_EUlSZ_E1_NS1_11comp_targetILNS1_3genE10ELNS1_11target_archE1201ELNS1_3gpuE5ELNS1_3repE0EEENS1_36merge_oddeven_config_static_selectorELNS0_4arch9wavefront6targetE0EEEvSL_.uses_flat_scratch, 0
	.set _ZN7rocprim17ROCPRIM_400000_NS6detail17trampoline_kernelINS0_14default_configENS1_38merge_sort_block_merge_config_selectorIfNS0_10empty_typeEEEZZNS1_27merge_sort_block_merge_implIS3_N6thrust23THRUST_200600_302600_NS6detail15normal_iteratorINS9_10device_ptrIfEEEEPS5_jNS1_19radix_merge_compareILb0ELb0EfNS0_19identity_decomposerEEEEE10hipError_tT0_T1_T2_jT3_P12ihipStream_tbPNSt15iterator_traitsISK_E10value_typeEPNSQ_ISL_E10value_typeEPSM_NS1_7vsmem_tEENKUlT_SK_SL_SM_E_clISE_PfSF_SF_EESJ_SZ_SK_SL_SM_EUlSZ_E1_NS1_11comp_targetILNS1_3genE10ELNS1_11target_archE1201ELNS1_3gpuE5ELNS1_3repE0EEENS1_36merge_oddeven_config_static_selectorELNS0_4arch9wavefront6targetE0EEEvSL_.has_dyn_sized_stack, 0
	.set _ZN7rocprim17ROCPRIM_400000_NS6detail17trampoline_kernelINS0_14default_configENS1_38merge_sort_block_merge_config_selectorIfNS0_10empty_typeEEEZZNS1_27merge_sort_block_merge_implIS3_N6thrust23THRUST_200600_302600_NS6detail15normal_iteratorINS9_10device_ptrIfEEEEPS5_jNS1_19radix_merge_compareILb0ELb0EfNS0_19identity_decomposerEEEEE10hipError_tT0_T1_T2_jT3_P12ihipStream_tbPNSt15iterator_traitsISK_E10value_typeEPNSQ_ISL_E10value_typeEPSM_NS1_7vsmem_tEENKUlT_SK_SL_SM_E_clISE_PfSF_SF_EESJ_SZ_SK_SL_SM_EUlSZ_E1_NS1_11comp_targetILNS1_3genE10ELNS1_11target_archE1201ELNS1_3gpuE5ELNS1_3repE0EEENS1_36merge_oddeven_config_static_selectorELNS0_4arch9wavefront6targetE0EEEvSL_.has_recursion, 0
	.set _ZN7rocprim17ROCPRIM_400000_NS6detail17trampoline_kernelINS0_14default_configENS1_38merge_sort_block_merge_config_selectorIfNS0_10empty_typeEEEZZNS1_27merge_sort_block_merge_implIS3_N6thrust23THRUST_200600_302600_NS6detail15normal_iteratorINS9_10device_ptrIfEEEEPS5_jNS1_19radix_merge_compareILb0ELb0EfNS0_19identity_decomposerEEEEE10hipError_tT0_T1_T2_jT3_P12ihipStream_tbPNSt15iterator_traitsISK_E10value_typeEPNSQ_ISL_E10value_typeEPSM_NS1_7vsmem_tEENKUlT_SK_SL_SM_E_clISE_PfSF_SF_EESJ_SZ_SK_SL_SM_EUlSZ_E1_NS1_11comp_targetILNS1_3genE10ELNS1_11target_archE1201ELNS1_3gpuE5ELNS1_3repE0EEENS1_36merge_oddeven_config_static_selectorELNS0_4arch9wavefront6targetE0EEEvSL_.has_indirect_call, 0
	.section	.AMDGPU.csdata,"",@progbits
; Kernel info:
; codeLenInByte = 0
; TotalNumSgprs: 0
; NumVgprs: 0
; ScratchSize: 0
; MemoryBound: 0
; FloatMode: 240
; IeeeMode: 1
; LDSByteSize: 0 bytes/workgroup (compile time only)
; SGPRBlocks: 0
; VGPRBlocks: 0
; NumSGPRsForWavesPerEU: 1
; NumVGPRsForWavesPerEU: 1
; Occupancy: 16
; WaveLimiterHint : 0
; COMPUTE_PGM_RSRC2:SCRATCH_EN: 0
; COMPUTE_PGM_RSRC2:USER_SGPR: 6
; COMPUTE_PGM_RSRC2:TRAP_HANDLER: 0
; COMPUTE_PGM_RSRC2:TGID_X_EN: 1
; COMPUTE_PGM_RSRC2:TGID_Y_EN: 0
; COMPUTE_PGM_RSRC2:TGID_Z_EN: 0
; COMPUTE_PGM_RSRC2:TIDIG_COMP_CNT: 0
	.section	.text._ZN7rocprim17ROCPRIM_400000_NS6detail17trampoline_kernelINS0_14default_configENS1_38merge_sort_block_merge_config_selectorIfNS0_10empty_typeEEEZZNS1_27merge_sort_block_merge_implIS3_N6thrust23THRUST_200600_302600_NS6detail15normal_iteratorINS9_10device_ptrIfEEEEPS5_jNS1_19radix_merge_compareILb0ELb0EfNS0_19identity_decomposerEEEEE10hipError_tT0_T1_T2_jT3_P12ihipStream_tbPNSt15iterator_traitsISK_E10value_typeEPNSQ_ISL_E10value_typeEPSM_NS1_7vsmem_tEENKUlT_SK_SL_SM_E_clISE_PfSF_SF_EESJ_SZ_SK_SL_SM_EUlSZ_E1_NS1_11comp_targetILNS1_3genE5ELNS1_11target_archE942ELNS1_3gpuE9ELNS1_3repE0EEENS1_36merge_oddeven_config_static_selectorELNS0_4arch9wavefront6targetE0EEEvSL_,"axG",@progbits,_ZN7rocprim17ROCPRIM_400000_NS6detail17trampoline_kernelINS0_14default_configENS1_38merge_sort_block_merge_config_selectorIfNS0_10empty_typeEEEZZNS1_27merge_sort_block_merge_implIS3_N6thrust23THRUST_200600_302600_NS6detail15normal_iteratorINS9_10device_ptrIfEEEEPS5_jNS1_19radix_merge_compareILb0ELb0EfNS0_19identity_decomposerEEEEE10hipError_tT0_T1_T2_jT3_P12ihipStream_tbPNSt15iterator_traitsISK_E10value_typeEPNSQ_ISL_E10value_typeEPSM_NS1_7vsmem_tEENKUlT_SK_SL_SM_E_clISE_PfSF_SF_EESJ_SZ_SK_SL_SM_EUlSZ_E1_NS1_11comp_targetILNS1_3genE5ELNS1_11target_archE942ELNS1_3gpuE9ELNS1_3repE0EEENS1_36merge_oddeven_config_static_selectorELNS0_4arch9wavefront6targetE0EEEvSL_,comdat
	.protected	_ZN7rocprim17ROCPRIM_400000_NS6detail17trampoline_kernelINS0_14default_configENS1_38merge_sort_block_merge_config_selectorIfNS0_10empty_typeEEEZZNS1_27merge_sort_block_merge_implIS3_N6thrust23THRUST_200600_302600_NS6detail15normal_iteratorINS9_10device_ptrIfEEEEPS5_jNS1_19radix_merge_compareILb0ELb0EfNS0_19identity_decomposerEEEEE10hipError_tT0_T1_T2_jT3_P12ihipStream_tbPNSt15iterator_traitsISK_E10value_typeEPNSQ_ISL_E10value_typeEPSM_NS1_7vsmem_tEENKUlT_SK_SL_SM_E_clISE_PfSF_SF_EESJ_SZ_SK_SL_SM_EUlSZ_E1_NS1_11comp_targetILNS1_3genE5ELNS1_11target_archE942ELNS1_3gpuE9ELNS1_3repE0EEENS1_36merge_oddeven_config_static_selectorELNS0_4arch9wavefront6targetE0EEEvSL_ ; -- Begin function _ZN7rocprim17ROCPRIM_400000_NS6detail17trampoline_kernelINS0_14default_configENS1_38merge_sort_block_merge_config_selectorIfNS0_10empty_typeEEEZZNS1_27merge_sort_block_merge_implIS3_N6thrust23THRUST_200600_302600_NS6detail15normal_iteratorINS9_10device_ptrIfEEEEPS5_jNS1_19radix_merge_compareILb0ELb0EfNS0_19identity_decomposerEEEEE10hipError_tT0_T1_T2_jT3_P12ihipStream_tbPNSt15iterator_traitsISK_E10value_typeEPNSQ_ISL_E10value_typeEPSM_NS1_7vsmem_tEENKUlT_SK_SL_SM_E_clISE_PfSF_SF_EESJ_SZ_SK_SL_SM_EUlSZ_E1_NS1_11comp_targetILNS1_3genE5ELNS1_11target_archE942ELNS1_3gpuE9ELNS1_3repE0EEENS1_36merge_oddeven_config_static_selectorELNS0_4arch9wavefront6targetE0EEEvSL_
	.globl	_ZN7rocprim17ROCPRIM_400000_NS6detail17trampoline_kernelINS0_14default_configENS1_38merge_sort_block_merge_config_selectorIfNS0_10empty_typeEEEZZNS1_27merge_sort_block_merge_implIS3_N6thrust23THRUST_200600_302600_NS6detail15normal_iteratorINS9_10device_ptrIfEEEEPS5_jNS1_19radix_merge_compareILb0ELb0EfNS0_19identity_decomposerEEEEE10hipError_tT0_T1_T2_jT3_P12ihipStream_tbPNSt15iterator_traitsISK_E10value_typeEPNSQ_ISL_E10value_typeEPSM_NS1_7vsmem_tEENKUlT_SK_SL_SM_E_clISE_PfSF_SF_EESJ_SZ_SK_SL_SM_EUlSZ_E1_NS1_11comp_targetILNS1_3genE5ELNS1_11target_archE942ELNS1_3gpuE9ELNS1_3repE0EEENS1_36merge_oddeven_config_static_selectorELNS0_4arch9wavefront6targetE0EEEvSL_
	.p2align	8
	.type	_ZN7rocprim17ROCPRIM_400000_NS6detail17trampoline_kernelINS0_14default_configENS1_38merge_sort_block_merge_config_selectorIfNS0_10empty_typeEEEZZNS1_27merge_sort_block_merge_implIS3_N6thrust23THRUST_200600_302600_NS6detail15normal_iteratorINS9_10device_ptrIfEEEEPS5_jNS1_19radix_merge_compareILb0ELb0EfNS0_19identity_decomposerEEEEE10hipError_tT0_T1_T2_jT3_P12ihipStream_tbPNSt15iterator_traitsISK_E10value_typeEPNSQ_ISL_E10value_typeEPSM_NS1_7vsmem_tEENKUlT_SK_SL_SM_E_clISE_PfSF_SF_EESJ_SZ_SK_SL_SM_EUlSZ_E1_NS1_11comp_targetILNS1_3genE5ELNS1_11target_archE942ELNS1_3gpuE9ELNS1_3repE0EEENS1_36merge_oddeven_config_static_selectorELNS0_4arch9wavefront6targetE0EEEvSL_,@function
_ZN7rocprim17ROCPRIM_400000_NS6detail17trampoline_kernelINS0_14default_configENS1_38merge_sort_block_merge_config_selectorIfNS0_10empty_typeEEEZZNS1_27merge_sort_block_merge_implIS3_N6thrust23THRUST_200600_302600_NS6detail15normal_iteratorINS9_10device_ptrIfEEEEPS5_jNS1_19radix_merge_compareILb0ELb0EfNS0_19identity_decomposerEEEEE10hipError_tT0_T1_T2_jT3_P12ihipStream_tbPNSt15iterator_traitsISK_E10value_typeEPNSQ_ISL_E10value_typeEPSM_NS1_7vsmem_tEENKUlT_SK_SL_SM_E_clISE_PfSF_SF_EESJ_SZ_SK_SL_SM_EUlSZ_E1_NS1_11comp_targetILNS1_3genE5ELNS1_11target_archE942ELNS1_3gpuE9ELNS1_3repE0EEENS1_36merge_oddeven_config_static_selectorELNS0_4arch9wavefront6targetE0EEEvSL_: ; @_ZN7rocprim17ROCPRIM_400000_NS6detail17trampoline_kernelINS0_14default_configENS1_38merge_sort_block_merge_config_selectorIfNS0_10empty_typeEEEZZNS1_27merge_sort_block_merge_implIS3_N6thrust23THRUST_200600_302600_NS6detail15normal_iteratorINS9_10device_ptrIfEEEEPS5_jNS1_19radix_merge_compareILb0ELb0EfNS0_19identity_decomposerEEEEE10hipError_tT0_T1_T2_jT3_P12ihipStream_tbPNSt15iterator_traitsISK_E10value_typeEPNSQ_ISL_E10value_typeEPSM_NS1_7vsmem_tEENKUlT_SK_SL_SM_E_clISE_PfSF_SF_EESJ_SZ_SK_SL_SM_EUlSZ_E1_NS1_11comp_targetILNS1_3genE5ELNS1_11target_archE942ELNS1_3gpuE9ELNS1_3repE0EEENS1_36merge_oddeven_config_static_selectorELNS0_4arch9wavefront6targetE0EEEvSL_
; %bb.0:
	.section	.rodata,"a",@progbits
	.p2align	6, 0x0
	.amdhsa_kernel _ZN7rocprim17ROCPRIM_400000_NS6detail17trampoline_kernelINS0_14default_configENS1_38merge_sort_block_merge_config_selectorIfNS0_10empty_typeEEEZZNS1_27merge_sort_block_merge_implIS3_N6thrust23THRUST_200600_302600_NS6detail15normal_iteratorINS9_10device_ptrIfEEEEPS5_jNS1_19radix_merge_compareILb0ELb0EfNS0_19identity_decomposerEEEEE10hipError_tT0_T1_T2_jT3_P12ihipStream_tbPNSt15iterator_traitsISK_E10value_typeEPNSQ_ISL_E10value_typeEPSM_NS1_7vsmem_tEENKUlT_SK_SL_SM_E_clISE_PfSF_SF_EESJ_SZ_SK_SL_SM_EUlSZ_E1_NS1_11comp_targetILNS1_3genE5ELNS1_11target_archE942ELNS1_3gpuE9ELNS1_3repE0EEENS1_36merge_oddeven_config_static_selectorELNS0_4arch9wavefront6targetE0EEEvSL_
		.amdhsa_group_segment_fixed_size 0
		.amdhsa_private_segment_fixed_size 0
		.amdhsa_kernarg_size 48
		.amdhsa_user_sgpr_count 6
		.amdhsa_user_sgpr_private_segment_buffer 1
		.amdhsa_user_sgpr_dispatch_ptr 0
		.amdhsa_user_sgpr_queue_ptr 0
		.amdhsa_user_sgpr_kernarg_segment_ptr 1
		.amdhsa_user_sgpr_dispatch_id 0
		.amdhsa_user_sgpr_flat_scratch_init 0
		.amdhsa_user_sgpr_private_segment_size 0
		.amdhsa_wavefront_size32 1
		.amdhsa_uses_dynamic_stack 0
		.amdhsa_system_sgpr_private_segment_wavefront_offset 0
		.amdhsa_system_sgpr_workgroup_id_x 1
		.amdhsa_system_sgpr_workgroup_id_y 0
		.amdhsa_system_sgpr_workgroup_id_z 0
		.amdhsa_system_sgpr_workgroup_info 0
		.amdhsa_system_vgpr_workitem_id 0
		.amdhsa_next_free_vgpr 1
		.amdhsa_next_free_sgpr 1
		.amdhsa_reserve_vcc 0
		.amdhsa_reserve_flat_scratch 0
		.amdhsa_float_round_mode_32 0
		.amdhsa_float_round_mode_16_64 0
		.amdhsa_float_denorm_mode_32 3
		.amdhsa_float_denorm_mode_16_64 3
		.amdhsa_dx10_clamp 1
		.amdhsa_ieee_mode 1
		.amdhsa_fp16_overflow 0
		.amdhsa_workgroup_processor_mode 1
		.amdhsa_memory_ordered 1
		.amdhsa_forward_progress 1
		.amdhsa_shared_vgpr_count 0
		.amdhsa_exception_fp_ieee_invalid_op 0
		.amdhsa_exception_fp_denorm_src 0
		.amdhsa_exception_fp_ieee_div_zero 0
		.amdhsa_exception_fp_ieee_overflow 0
		.amdhsa_exception_fp_ieee_underflow 0
		.amdhsa_exception_fp_ieee_inexact 0
		.amdhsa_exception_int_div_zero 0
	.end_amdhsa_kernel
	.section	.text._ZN7rocprim17ROCPRIM_400000_NS6detail17trampoline_kernelINS0_14default_configENS1_38merge_sort_block_merge_config_selectorIfNS0_10empty_typeEEEZZNS1_27merge_sort_block_merge_implIS3_N6thrust23THRUST_200600_302600_NS6detail15normal_iteratorINS9_10device_ptrIfEEEEPS5_jNS1_19radix_merge_compareILb0ELb0EfNS0_19identity_decomposerEEEEE10hipError_tT0_T1_T2_jT3_P12ihipStream_tbPNSt15iterator_traitsISK_E10value_typeEPNSQ_ISL_E10value_typeEPSM_NS1_7vsmem_tEENKUlT_SK_SL_SM_E_clISE_PfSF_SF_EESJ_SZ_SK_SL_SM_EUlSZ_E1_NS1_11comp_targetILNS1_3genE5ELNS1_11target_archE942ELNS1_3gpuE9ELNS1_3repE0EEENS1_36merge_oddeven_config_static_selectorELNS0_4arch9wavefront6targetE0EEEvSL_,"axG",@progbits,_ZN7rocprim17ROCPRIM_400000_NS6detail17trampoline_kernelINS0_14default_configENS1_38merge_sort_block_merge_config_selectorIfNS0_10empty_typeEEEZZNS1_27merge_sort_block_merge_implIS3_N6thrust23THRUST_200600_302600_NS6detail15normal_iteratorINS9_10device_ptrIfEEEEPS5_jNS1_19radix_merge_compareILb0ELb0EfNS0_19identity_decomposerEEEEE10hipError_tT0_T1_T2_jT3_P12ihipStream_tbPNSt15iterator_traitsISK_E10value_typeEPNSQ_ISL_E10value_typeEPSM_NS1_7vsmem_tEENKUlT_SK_SL_SM_E_clISE_PfSF_SF_EESJ_SZ_SK_SL_SM_EUlSZ_E1_NS1_11comp_targetILNS1_3genE5ELNS1_11target_archE942ELNS1_3gpuE9ELNS1_3repE0EEENS1_36merge_oddeven_config_static_selectorELNS0_4arch9wavefront6targetE0EEEvSL_,comdat
.Lfunc_end517:
	.size	_ZN7rocprim17ROCPRIM_400000_NS6detail17trampoline_kernelINS0_14default_configENS1_38merge_sort_block_merge_config_selectorIfNS0_10empty_typeEEEZZNS1_27merge_sort_block_merge_implIS3_N6thrust23THRUST_200600_302600_NS6detail15normal_iteratorINS9_10device_ptrIfEEEEPS5_jNS1_19radix_merge_compareILb0ELb0EfNS0_19identity_decomposerEEEEE10hipError_tT0_T1_T2_jT3_P12ihipStream_tbPNSt15iterator_traitsISK_E10value_typeEPNSQ_ISL_E10value_typeEPSM_NS1_7vsmem_tEENKUlT_SK_SL_SM_E_clISE_PfSF_SF_EESJ_SZ_SK_SL_SM_EUlSZ_E1_NS1_11comp_targetILNS1_3genE5ELNS1_11target_archE942ELNS1_3gpuE9ELNS1_3repE0EEENS1_36merge_oddeven_config_static_selectorELNS0_4arch9wavefront6targetE0EEEvSL_, .Lfunc_end517-_ZN7rocprim17ROCPRIM_400000_NS6detail17trampoline_kernelINS0_14default_configENS1_38merge_sort_block_merge_config_selectorIfNS0_10empty_typeEEEZZNS1_27merge_sort_block_merge_implIS3_N6thrust23THRUST_200600_302600_NS6detail15normal_iteratorINS9_10device_ptrIfEEEEPS5_jNS1_19radix_merge_compareILb0ELb0EfNS0_19identity_decomposerEEEEE10hipError_tT0_T1_T2_jT3_P12ihipStream_tbPNSt15iterator_traitsISK_E10value_typeEPNSQ_ISL_E10value_typeEPSM_NS1_7vsmem_tEENKUlT_SK_SL_SM_E_clISE_PfSF_SF_EESJ_SZ_SK_SL_SM_EUlSZ_E1_NS1_11comp_targetILNS1_3genE5ELNS1_11target_archE942ELNS1_3gpuE9ELNS1_3repE0EEENS1_36merge_oddeven_config_static_selectorELNS0_4arch9wavefront6targetE0EEEvSL_
                                        ; -- End function
	.set _ZN7rocprim17ROCPRIM_400000_NS6detail17trampoline_kernelINS0_14default_configENS1_38merge_sort_block_merge_config_selectorIfNS0_10empty_typeEEEZZNS1_27merge_sort_block_merge_implIS3_N6thrust23THRUST_200600_302600_NS6detail15normal_iteratorINS9_10device_ptrIfEEEEPS5_jNS1_19radix_merge_compareILb0ELb0EfNS0_19identity_decomposerEEEEE10hipError_tT0_T1_T2_jT3_P12ihipStream_tbPNSt15iterator_traitsISK_E10value_typeEPNSQ_ISL_E10value_typeEPSM_NS1_7vsmem_tEENKUlT_SK_SL_SM_E_clISE_PfSF_SF_EESJ_SZ_SK_SL_SM_EUlSZ_E1_NS1_11comp_targetILNS1_3genE5ELNS1_11target_archE942ELNS1_3gpuE9ELNS1_3repE0EEENS1_36merge_oddeven_config_static_selectorELNS0_4arch9wavefront6targetE0EEEvSL_.num_vgpr, 0
	.set _ZN7rocprim17ROCPRIM_400000_NS6detail17trampoline_kernelINS0_14default_configENS1_38merge_sort_block_merge_config_selectorIfNS0_10empty_typeEEEZZNS1_27merge_sort_block_merge_implIS3_N6thrust23THRUST_200600_302600_NS6detail15normal_iteratorINS9_10device_ptrIfEEEEPS5_jNS1_19radix_merge_compareILb0ELb0EfNS0_19identity_decomposerEEEEE10hipError_tT0_T1_T2_jT3_P12ihipStream_tbPNSt15iterator_traitsISK_E10value_typeEPNSQ_ISL_E10value_typeEPSM_NS1_7vsmem_tEENKUlT_SK_SL_SM_E_clISE_PfSF_SF_EESJ_SZ_SK_SL_SM_EUlSZ_E1_NS1_11comp_targetILNS1_3genE5ELNS1_11target_archE942ELNS1_3gpuE9ELNS1_3repE0EEENS1_36merge_oddeven_config_static_selectorELNS0_4arch9wavefront6targetE0EEEvSL_.num_agpr, 0
	.set _ZN7rocprim17ROCPRIM_400000_NS6detail17trampoline_kernelINS0_14default_configENS1_38merge_sort_block_merge_config_selectorIfNS0_10empty_typeEEEZZNS1_27merge_sort_block_merge_implIS3_N6thrust23THRUST_200600_302600_NS6detail15normal_iteratorINS9_10device_ptrIfEEEEPS5_jNS1_19radix_merge_compareILb0ELb0EfNS0_19identity_decomposerEEEEE10hipError_tT0_T1_T2_jT3_P12ihipStream_tbPNSt15iterator_traitsISK_E10value_typeEPNSQ_ISL_E10value_typeEPSM_NS1_7vsmem_tEENKUlT_SK_SL_SM_E_clISE_PfSF_SF_EESJ_SZ_SK_SL_SM_EUlSZ_E1_NS1_11comp_targetILNS1_3genE5ELNS1_11target_archE942ELNS1_3gpuE9ELNS1_3repE0EEENS1_36merge_oddeven_config_static_selectorELNS0_4arch9wavefront6targetE0EEEvSL_.numbered_sgpr, 0
	.set _ZN7rocprim17ROCPRIM_400000_NS6detail17trampoline_kernelINS0_14default_configENS1_38merge_sort_block_merge_config_selectorIfNS0_10empty_typeEEEZZNS1_27merge_sort_block_merge_implIS3_N6thrust23THRUST_200600_302600_NS6detail15normal_iteratorINS9_10device_ptrIfEEEEPS5_jNS1_19radix_merge_compareILb0ELb0EfNS0_19identity_decomposerEEEEE10hipError_tT0_T1_T2_jT3_P12ihipStream_tbPNSt15iterator_traitsISK_E10value_typeEPNSQ_ISL_E10value_typeEPSM_NS1_7vsmem_tEENKUlT_SK_SL_SM_E_clISE_PfSF_SF_EESJ_SZ_SK_SL_SM_EUlSZ_E1_NS1_11comp_targetILNS1_3genE5ELNS1_11target_archE942ELNS1_3gpuE9ELNS1_3repE0EEENS1_36merge_oddeven_config_static_selectorELNS0_4arch9wavefront6targetE0EEEvSL_.num_named_barrier, 0
	.set _ZN7rocprim17ROCPRIM_400000_NS6detail17trampoline_kernelINS0_14default_configENS1_38merge_sort_block_merge_config_selectorIfNS0_10empty_typeEEEZZNS1_27merge_sort_block_merge_implIS3_N6thrust23THRUST_200600_302600_NS6detail15normal_iteratorINS9_10device_ptrIfEEEEPS5_jNS1_19radix_merge_compareILb0ELb0EfNS0_19identity_decomposerEEEEE10hipError_tT0_T1_T2_jT3_P12ihipStream_tbPNSt15iterator_traitsISK_E10value_typeEPNSQ_ISL_E10value_typeEPSM_NS1_7vsmem_tEENKUlT_SK_SL_SM_E_clISE_PfSF_SF_EESJ_SZ_SK_SL_SM_EUlSZ_E1_NS1_11comp_targetILNS1_3genE5ELNS1_11target_archE942ELNS1_3gpuE9ELNS1_3repE0EEENS1_36merge_oddeven_config_static_selectorELNS0_4arch9wavefront6targetE0EEEvSL_.private_seg_size, 0
	.set _ZN7rocprim17ROCPRIM_400000_NS6detail17trampoline_kernelINS0_14default_configENS1_38merge_sort_block_merge_config_selectorIfNS0_10empty_typeEEEZZNS1_27merge_sort_block_merge_implIS3_N6thrust23THRUST_200600_302600_NS6detail15normal_iteratorINS9_10device_ptrIfEEEEPS5_jNS1_19radix_merge_compareILb0ELb0EfNS0_19identity_decomposerEEEEE10hipError_tT0_T1_T2_jT3_P12ihipStream_tbPNSt15iterator_traitsISK_E10value_typeEPNSQ_ISL_E10value_typeEPSM_NS1_7vsmem_tEENKUlT_SK_SL_SM_E_clISE_PfSF_SF_EESJ_SZ_SK_SL_SM_EUlSZ_E1_NS1_11comp_targetILNS1_3genE5ELNS1_11target_archE942ELNS1_3gpuE9ELNS1_3repE0EEENS1_36merge_oddeven_config_static_selectorELNS0_4arch9wavefront6targetE0EEEvSL_.uses_vcc, 0
	.set _ZN7rocprim17ROCPRIM_400000_NS6detail17trampoline_kernelINS0_14default_configENS1_38merge_sort_block_merge_config_selectorIfNS0_10empty_typeEEEZZNS1_27merge_sort_block_merge_implIS3_N6thrust23THRUST_200600_302600_NS6detail15normal_iteratorINS9_10device_ptrIfEEEEPS5_jNS1_19radix_merge_compareILb0ELb0EfNS0_19identity_decomposerEEEEE10hipError_tT0_T1_T2_jT3_P12ihipStream_tbPNSt15iterator_traitsISK_E10value_typeEPNSQ_ISL_E10value_typeEPSM_NS1_7vsmem_tEENKUlT_SK_SL_SM_E_clISE_PfSF_SF_EESJ_SZ_SK_SL_SM_EUlSZ_E1_NS1_11comp_targetILNS1_3genE5ELNS1_11target_archE942ELNS1_3gpuE9ELNS1_3repE0EEENS1_36merge_oddeven_config_static_selectorELNS0_4arch9wavefront6targetE0EEEvSL_.uses_flat_scratch, 0
	.set _ZN7rocprim17ROCPRIM_400000_NS6detail17trampoline_kernelINS0_14default_configENS1_38merge_sort_block_merge_config_selectorIfNS0_10empty_typeEEEZZNS1_27merge_sort_block_merge_implIS3_N6thrust23THRUST_200600_302600_NS6detail15normal_iteratorINS9_10device_ptrIfEEEEPS5_jNS1_19radix_merge_compareILb0ELb0EfNS0_19identity_decomposerEEEEE10hipError_tT0_T1_T2_jT3_P12ihipStream_tbPNSt15iterator_traitsISK_E10value_typeEPNSQ_ISL_E10value_typeEPSM_NS1_7vsmem_tEENKUlT_SK_SL_SM_E_clISE_PfSF_SF_EESJ_SZ_SK_SL_SM_EUlSZ_E1_NS1_11comp_targetILNS1_3genE5ELNS1_11target_archE942ELNS1_3gpuE9ELNS1_3repE0EEENS1_36merge_oddeven_config_static_selectorELNS0_4arch9wavefront6targetE0EEEvSL_.has_dyn_sized_stack, 0
	.set _ZN7rocprim17ROCPRIM_400000_NS6detail17trampoline_kernelINS0_14default_configENS1_38merge_sort_block_merge_config_selectorIfNS0_10empty_typeEEEZZNS1_27merge_sort_block_merge_implIS3_N6thrust23THRUST_200600_302600_NS6detail15normal_iteratorINS9_10device_ptrIfEEEEPS5_jNS1_19radix_merge_compareILb0ELb0EfNS0_19identity_decomposerEEEEE10hipError_tT0_T1_T2_jT3_P12ihipStream_tbPNSt15iterator_traitsISK_E10value_typeEPNSQ_ISL_E10value_typeEPSM_NS1_7vsmem_tEENKUlT_SK_SL_SM_E_clISE_PfSF_SF_EESJ_SZ_SK_SL_SM_EUlSZ_E1_NS1_11comp_targetILNS1_3genE5ELNS1_11target_archE942ELNS1_3gpuE9ELNS1_3repE0EEENS1_36merge_oddeven_config_static_selectorELNS0_4arch9wavefront6targetE0EEEvSL_.has_recursion, 0
	.set _ZN7rocprim17ROCPRIM_400000_NS6detail17trampoline_kernelINS0_14default_configENS1_38merge_sort_block_merge_config_selectorIfNS0_10empty_typeEEEZZNS1_27merge_sort_block_merge_implIS3_N6thrust23THRUST_200600_302600_NS6detail15normal_iteratorINS9_10device_ptrIfEEEEPS5_jNS1_19radix_merge_compareILb0ELb0EfNS0_19identity_decomposerEEEEE10hipError_tT0_T1_T2_jT3_P12ihipStream_tbPNSt15iterator_traitsISK_E10value_typeEPNSQ_ISL_E10value_typeEPSM_NS1_7vsmem_tEENKUlT_SK_SL_SM_E_clISE_PfSF_SF_EESJ_SZ_SK_SL_SM_EUlSZ_E1_NS1_11comp_targetILNS1_3genE5ELNS1_11target_archE942ELNS1_3gpuE9ELNS1_3repE0EEENS1_36merge_oddeven_config_static_selectorELNS0_4arch9wavefront6targetE0EEEvSL_.has_indirect_call, 0
	.section	.AMDGPU.csdata,"",@progbits
; Kernel info:
; codeLenInByte = 0
; TotalNumSgprs: 0
; NumVgprs: 0
; ScratchSize: 0
; MemoryBound: 0
; FloatMode: 240
; IeeeMode: 1
; LDSByteSize: 0 bytes/workgroup (compile time only)
; SGPRBlocks: 0
; VGPRBlocks: 0
; NumSGPRsForWavesPerEU: 1
; NumVGPRsForWavesPerEU: 1
; Occupancy: 16
; WaveLimiterHint : 0
; COMPUTE_PGM_RSRC2:SCRATCH_EN: 0
; COMPUTE_PGM_RSRC2:USER_SGPR: 6
; COMPUTE_PGM_RSRC2:TRAP_HANDLER: 0
; COMPUTE_PGM_RSRC2:TGID_X_EN: 1
; COMPUTE_PGM_RSRC2:TGID_Y_EN: 0
; COMPUTE_PGM_RSRC2:TGID_Z_EN: 0
; COMPUTE_PGM_RSRC2:TIDIG_COMP_CNT: 0
	.section	.text._ZN7rocprim17ROCPRIM_400000_NS6detail17trampoline_kernelINS0_14default_configENS1_38merge_sort_block_merge_config_selectorIfNS0_10empty_typeEEEZZNS1_27merge_sort_block_merge_implIS3_N6thrust23THRUST_200600_302600_NS6detail15normal_iteratorINS9_10device_ptrIfEEEEPS5_jNS1_19radix_merge_compareILb0ELb0EfNS0_19identity_decomposerEEEEE10hipError_tT0_T1_T2_jT3_P12ihipStream_tbPNSt15iterator_traitsISK_E10value_typeEPNSQ_ISL_E10value_typeEPSM_NS1_7vsmem_tEENKUlT_SK_SL_SM_E_clISE_PfSF_SF_EESJ_SZ_SK_SL_SM_EUlSZ_E1_NS1_11comp_targetILNS1_3genE4ELNS1_11target_archE910ELNS1_3gpuE8ELNS1_3repE0EEENS1_36merge_oddeven_config_static_selectorELNS0_4arch9wavefront6targetE0EEEvSL_,"axG",@progbits,_ZN7rocprim17ROCPRIM_400000_NS6detail17trampoline_kernelINS0_14default_configENS1_38merge_sort_block_merge_config_selectorIfNS0_10empty_typeEEEZZNS1_27merge_sort_block_merge_implIS3_N6thrust23THRUST_200600_302600_NS6detail15normal_iteratorINS9_10device_ptrIfEEEEPS5_jNS1_19radix_merge_compareILb0ELb0EfNS0_19identity_decomposerEEEEE10hipError_tT0_T1_T2_jT3_P12ihipStream_tbPNSt15iterator_traitsISK_E10value_typeEPNSQ_ISL_E10value_typeEPSM_NS1_7vsmem_tEENKUlT_SK_SL_SM_E_clISE_PfSF_SF_EESJ_SZ_SK_SL_SM_EUlSZ_E1_NS1_11comp_targetILNS1_3genE4ELNS1_11target_archE910ELNS1_3gpuE8ELNS1_3repE0EEENS1_36merge_oddeven_config_static_selectorELNS0_4arch9wavefront6targetE0EEEvSL_,comdat
	.protected	_ZN7rocprim17ROCPRIM_400000_NS6detail17trampoline_kernelINS0_14default_configENS1_38merge_sort_block_merge_config_selectorIfNS0_10empty_typeEEEZZNS1_27merge_sort_block_merge_implIS3_N6thrust23THRUST_200600_302600_NS6detail15normal_iteratorINS9_10device_ptrIfEEEEPS5_jNS1_19radix_merge_compareILb0ELb0EfNS0_19identity_decomposerEEEEE10hipError_tT0_T1_T2_jT3_P12ihipStream_tbPNSt15iterator_traitsISK_E10value_typeEPNSQ_ISL_E10value_typeEPSM_NS1_7vsmem_tEENKUlT_SK_SL_SM_E_clISE_PfSF_SF_EESJ_SZ_SK_SL_SM_EUlSZ_E1_NS1_11comp_targetILNS1_3genE4ELNS1_11target_archE910ELNS1_3gpuE8ELNS1_3repE0EEENS1_36merge_oddeven_config_static_selectorELNS0_4arch9wavefront6targetE0EEEvSL_ ; -- Begin function _ZN7rocprim17ROCPRIM_400000_NS6detail17trampoline_kernelINS0_14default_configENS1_38merge_sort_block_merge_config_selectorIfNS0_10empty_typeEEEZZNS1_27merge_sort_block_merge_implIS3_N6thrust23THRUST_200600_302600_NS6detail15normal_iteratorINS9_10device_ptrIfEEEEPS5_jNS1_19radix_merge_compareILb0ELb0EfNS0_19identity_decomposerEEEEE10hipError_tT0_T1_T2_jT3_P12ihipStream_tbPNSt15iterator_traitsISK_E10value_typeEPNSQ_ISL_E10value_typeEPSM_NS1_7vsmem_tEENKUlT_SK_SL_SM_E_clISE_PfSF_SF_EESJ_SZ_SK_SL_SM_EUlSZ_E1_NS1_11comp_targetILNS1_3genE4ELNS1_11target_archE910ELNS1_3gpuE8ELNS1_3repE0EEENS1_36merge_oddeven_config_static_selectorELNS0_4arch9wavefront6targetE0EEEvSL_
	.globl	_ZN7rocprim17ROCPRIM_400000_NS6detail17trampoline_kernelINS0_14default_configENS1_38merge_sort_block_merge_config_selectorIfNS0_10empty_typeEEEZZNS1_27merge_sort_block_merge_implIS3_N6thrust23THRUST_200600_302600_NS6detail15normal_iteratorINS9_10device_ptrIfEEEEPS5_jNS1_19radix_merge_compareILb0ELb0EfNS0_19identity_decomposerEEEEE10hipError_tT0_T1_T2_jT3_P12ihipStream_tbPNSt15iterator_traitsISK_E10value_typeEPNSQ_ISL_E10value_typeEPSM_NS1_7vsmem_tEENKUlT_SK_SL_SM_E_clISE_PfSF_SF_EESJ_SZ_SK_SL_SM_EUlSZ_E1_NS1_11comp_targetILNS1_3genE4ELNS1_11target_archE910ELNS1_3gpuE8ELNS1_3repE0EEENS1_36merge_oddeven_config_static_selectorELNS0_4arch9wavefront6targetE0EEEvSL_
	.p2align	8
	.type	_ZN7rocprim17ROCPRIM_400000_NS6detail17trampoline_kernelINS0_14default_configENS1_38merge_sort_block_merge_config_selectorIfNS0_10empty_typeEEEZZNS1_27merge_sort_block_merge_implIS3_N6thrust23THRUST_200600_302600_NS6detail15normal_iteratorINS9_10device_ptrIfEEEEPS5_jNS1_19radix_merge_compareILb0ELb0EfNS0_19identity_decomposerEEEEE10hipError_tT0_T1_T2_jT3_P12ihipStream_tbPNSt15iterator_traitsISK_E10value_typeEPNSQ_ISL_E10value_typeEPSM_NS1_7vsmem_tEENKUlT_SK_SL_SM_E_clISE_PfSF_SF_EESJ_SZ_SK_SL_SM_EUlSZ_E1_NS1_11comp_targetILNS1_3genE4ELNS1_11target_archE910ELNS1_3gpuE8ELNS1_3repE0EEENS1_36merge_oddeven_config_static_selectorELNS0_4arch9wavefront6targetE0EEEvSL_,@function
_ZN7rocprim17ROCPRIM_400000_NS6detail17trampoline_kernelINS0_14default_configENS1_38merge_sort_block_merge_config_selectorIfNS0_10empty_typeEEEZZNS1_27merge_sort_block_merge_implIS3_N6thrust23THRUST_200600_302600_NS6detail15normal_iteratorINS9_10device_ptrIfEEEEPS5_jNS1_19radix_merge_compareILb0ELb0EfNS0_19identity_decomposerEEEEE10hipError_tT0_T1_T2_jT3_P12ihipStream_tbPNSt15iterator_traitsISK_E10value_typeEPNSQ_ISL_E10value_typeEPSM_NS1_7vsmem_tEENKUlT_SK_SL_SM_E_clISE_PfSF_SF_EESJ_SZ_SK_SL_SM_EUlSZ_E1_NS1_11comp_targetILNS1_3genE4ELNS1_11target_archE910ELNS1_3gpuE8ELNS1_3repE0EEENS1_36merge_oddeven_config_static_selectorELNS0_4arch9wavefront6targetE0EEEvSL_: ; @_ZN7rocprim17ROCPRIM_400000_NS6detail17trampoline_kernelINS0_14default_configENS1_38merge_sort_block_merge_config_selectorIfNS0_10empty_typeEEEZZNS1_27merge_sort_block_merge_implIS3_N6thrust23THRUST_200600_302600_NS6detail15normal_iteratorINS9_10device_ptrIfEEEEPS5_jNS1_19radix_merge_compareILb0ELb0EfNS0_19identity_decomposerEEEEE10hipError_tT0_T1_T2_jT3_P12ihipStream_tbPNSt15iterator_traitsISK_E10value_typeEPNSQ_ISL_E10value_typeEPSM_NS1_7vsmem_tEENKUlT_SK_SL_SM_E_clISE_PfSF_SF_EESJ_SZ_SK_SL_SM_EUlSZ_E1_NS1_11comp_targetILNS1_3genE4ELNS1_11target_archE910ELNS1_3gpuE8ELNS1_3repE0EEENS1_36merge_oddeven_config_static_selectorELNS0_4arch9wavefront6targetE0EEEvSL_
; %bb.0:
	.section	.rodata,"a",@progbits
	.p2align	6, 0x0
	.amdhsa_kernel _ZN7rocprim17ROCPRIM_400000_NS6detail17trampoline_kernelINS0_14default_configENS1_38merge_sort_block_merge_config_selectorIfNS0_10empty_typeEEEZZNS1_27merge_sort_block_merge_implIS3_N6thrust23THRUST_200600_302600_NS6detail15normal_iteratorINS9_10device_ptrIfEEEEPS5_jNS1_19radix_merge_compareILb0ELb0EfNS0_19identity_decomposerEEEEE10hipError_tT0_T1_T2_jT3_P12ihipStream_tbPNSt15iterator_traitsISK_E10value_typeEPNSQ_ISL_E10value_typeEPSM_NS1_7vsmem_tEENKUlT_SK_SL_SM_E_clISE_PfSF_SF_EESJ_SZ_SK_SL_SM_EUlSZ_E1_NS1_11comp_targetILNS1_3genE4ELNS1_11target_archE910ELNS1_3gpuE8ELNS1_3repE0EEENS1_36merge_oddeven_config_static_selectorELNS0_4arch9wavefront6targetE0EEEvSL_
		.amdhsa_group_segment_fixed_size 0
		.amdhsa_private_segment_fixed_size 0
		.amdhsa_kernarg_size 48
		.amdhsa_user_sgpr_count 6
		.amdhsa_user_sgpr_private_segment_buffer 1
		.amdhsa_user_sgpr_dispatch_ptr 0
		.amdhsa_user_sgpr_queue_ptr 0
		.amdhsa_user_sgpr_kernarg_segment_ptr 1
		.amdhsa_user_sgpr_dispatch_id 0
		.amdhsa_user_sgpr_flat_scratch_init 0
		.amdhsa_user_sgpr_private_segment_size 0
		.amdhsa_wavefront_size32 1
		.amdhsa_uses_dynamic_stack 0
		.amdhsa_system_sgpr_private_segment_wavefront_offset 0
		.amdhsa_system_sgpr_workgroup_id_x 1
		.amdhsa_system_sgpr_workgroup_id_y 0
		.amdhsa_system_sgpr_workgroup_id_z 0
		.amdhsa_system_sgpr_workgroup_info 0
		.amdhsa_system_vgpr_workitem_id 0
		.amdhsa_next_free_vgpr 1
		.amdhsa_next_free_sgpr 1
		.amdhsa_reserve_vcc 0
		.amdhsa_reserve_flat_scratch 0
		.amdhsa_float_round_mode_32 0
		.amdhsa_float_round_mode_16_64 0
		.amdhsa_float_denorm_mode_32 3
		.amdhsa_float_denorm_mode_16_64 3
		.amdhsa_dx10_clamp 1
		.amdhsa_ieee_mode 1
		.amdhsa_fp16_overflow 0
		.amdhsa_workgroup_processor_mode 1
		.amdhsa_memory_ordered 1
		.amdhsa_forward_progress 1
		.amdhsa_shared_vgpr_count 0
		.amdhsa_exception_fp_ieee_invalid_op 0
		.amdhsa_exception_fp_denorm_src 0
		.amdhsa_exception_fp_ieee_div_zero 0
		.amdhsa_exception_fp_ieee_overflow 0
		.amdhsa_exception_fp_ieee_underflow 0
		.amdhsa_exception_fp_ieee_inexact 0
		.amdhsa_exception_int_div_zero 0
	.end_amdhsa_kernel
	.section	.text._ZN7rocprim17ROCPRIM_400000_NS6detail17trampoline_kernelINS0_14default_configENS1_38merge_sort_block_merge_config_selectorIfNS0_10empty_typeEEEZZNS1_27merge_sort_block_merge_implIS3_N6thrust23THRUST_200600_302600_NS6detail15normal_iteratorINS9_10device_ptrIfEEEEPS5_jNS1_19radix_merge_compareILb0ELb0EfNS0_19identity_decomposerEEEEE10hipError_tT0_T1_T2_jT3_P12ihipStream_tbPNSt15iterator_traitsISK_E10value_typeEPNSQ_ISL_E10value_typeEPSM_NS1_7vsmem_tEENKUlT_SK_SL_SM_E_clISE_PfSF_SF_EESJ_SZ_SK_SL_SM_EUlSZ_E1_NS1_11comp_targetILNS1_3genE4ELNS1_11target_archE910ELNS1_3gpuE8ELNS1_3repE0EEENS1_36merge_oddeven_config_static_selectorELNS0_4arch9wavefront6targetE0EEEvSL_,"axG",@progbits,_ZN7rocprim17ROCPRIM_400000_NS6detail17trampoline_kernelINS0_14default_configENS1_38merge_sort_block_merge_config_selectorIfNS0_10empty_typeEEEZZNS1_27merge_sort_block_merge_implIS3_N6thrust23THRUST_200600_302600_NS6detail15normal_iteratorINS9_10device_ptrIfEEEEPS5_jNS1_19radix_merge_compareILb0ELb0EfNS0_19identity_decomposerEEEEE10hipError_tT0_T1_T2_jT3_P12ihipStream_tbPNSt15iterator_traitsISK_E10value_typeEPNSQ_ISL_E10value_typeEPSM_NS1_7vsmem_tEENKUlT_SK_SL_SM_E_clISE_PfSF_SF_EESJ_SZ_SK_SL_SM_EUlSZ_E1_NS1_11comp_targetILNS1_3genE4ELNS1_11target_archE910ELNS1_3gpuE8ELNS1_3repE0EEENS1_36merge_oddeven_config_static_selectorELNS0_4arch9wavefront6targetE0EEEvSL_,comdat
.Lfunc_end518:
	.size	_ZN7rocprim17ROCPRIM_400000_NS6detail17trampoline_kernelINS0_14default_configENS1_38merge_sort_block_merge_config_selectorIfNS0_10empty_typeEEEZZNS1_27merge_sort_block_merge_implIS3_N6thrust23THRUST_200600_302600_NS6detail15normal_iteratorINS9_10device_ptrIfEEEEPS5_jNS1_19radix_merge_compareILb0ELb0EfNS0_19identity_decomposerEEEEE10hipError_tT0_T1_T2_jT3_P12ihipStream_tbPNSt15iterator_traitsISK_E10value_typeEPNSQ_ISL_E10value_typeEPSM_NS1_7vsmem_tEENKUlT_SK_SL_SM_E_clISE_PfSF_SF_EESJ_SZ_SK_SL_SM_EUlSZ_E1_NS1_11comp_targetILNS1_3genE4ELNS1_11target_archE910ELNS1_3gpuE8ELNS1_3repE0EEENS1_36merge_oddeven_config_static_selectorELNS0_4arch9wavefront6targetE0EEEvSL_, .Lfunc_end518-_ZN7rocprim17ROCPRIM_400000_NS6detail17trampoline_kernelINS0_14default_configENS1_38merge_sort_block_merge_config_selectorIfNS0_10empty_typeEEEZZNS1_27merge_sort_block_merge_implIS3_N6thrust23THRUST_200600_302600_NS6detail15normal_iteratorINS9_10device_ptrIfEEEEPS5_jNS1_19radix_merge_compareILb0ELb0EfNS0_19identity_decomposerEEEEE10hipError_tT0_T1_T2_jT3_P12ihipStream_tbPNSt15iterator_traitsISK_E10value_typeEPNSQ_ISL_E10value_typeEPSM_NS1_7vsmem_tEENKUlT_SK_SL_SM_E_clISE_PfSF_SF_EESJ_SZ_SK_SL_SM_EUlSZ_E1_NS1_11comp_targetILNS1_3genE4ELNS1_11target_archE910ELNS1_3gpuE8ELNS1_3repE0EEENS1_36merge_oddeven_config_static_selectorELNS0_4arch9wavefront6targetE0EEEvSL_
                                        ; -- End function
	.set _ZN7rocprim17ROCPRIM_400000_NS6detail17trampoline_kernelINS0_14default_configENS1_38merge_sort_block_merge_config_selectorIfNS0_10empty_typeEEEZZNS1_27merge_sort_block_merge_implIS3_N6thrust23THRUST_200600_302600_NS6detail15normal_iteratorINS9_10device_ptrIfEEEEPS5_jNS1_19radix_merge_compareILb0ELb0EfNS0_19identity_decomposerEEEEE10hipError_tT0_T1_T2_jT3_P12ihipStream_tbPNSt15iterator_traitsISK_E10value_typeEPNSQ_ISL_E10value_typeEPSM_NS1_7vsmem_tEENKUlT_SK_SL_SM_E_clISE_PfSF_SF_EESJ_SZ_SK_SL_SM_EUlSZ_E1_NS1_11comp_targetILNS1_3genE4ELNS1_11target_archE910ELNS1_3gpuE8ELNS1_3repE0EEENS1_36merge_oddeven_config_static_selectorELNS0_4arch9wavefront6targetE0EEEvSL_.num_vgpr, 0
	.set _ZN7rocprim17ROCPRIM_400000_NS6detail17trampoline_kernelINS0_14default_configENS1_38merge_sort_block_merge_config_selectorIfNS0_10empty_typeEEEZZNS1_27merge_sort_block_merge_implIS3_N6thrust23THRUST_200600_302600_NS6detail15normal_iteratorINS9_10device_ptrIfEEEEPS5_jNS1_19radix_merge_compareILb0ELb0EfNS0_19identity_decomposerEEEEE10hipError_tT0_T1_T2_jT3_P12ihipStream_tbPNSt15iterator_traitsISK_E10value_typeEPNSQ_ISL_E10value_typeEPSM_NS1_7vsmem_tEENKUlT_SK_SL_SM_E_clISE_PfSF_SF_EESJ_SZ_SK_SL_SM_EUlSZ_E1_NS1_11comp_targetILNS1_3genE4ELNS1_11target_archE910ELNS1_3gpuE8ELNS1_3repE0EEENS1_36merge_oddeven_config_static_selectorELNS0_4arch9wavefront6targetE0EEEvSL_.num_agpr, 0
	.set _ZN7rocprim17ROCPRIM_400000_NS6detail17trampoline_kernelINS0_14default_configENS1_38merge_sort_block_merge_config_selectorIfNS0_10empty_typeEEEZZNS1_27merge_sort_block_merge_implIS3_N6thrust23THRUST_200600_302600_NS6detail15normal_iteratorINS9_10device_ptrIfEEEEPS5_jNS1_19radix_merge_compareILb0ELb0EfNS0_19identity_decomposerEEEEE10hipError_tT0_T1_T2_jT3_P12ihipStream_tbPNSt15iterator_traitsISK_E10value_typeEPNSQ_ISL_E10value_typeEPSM_NS1_7vsmem_tEENKUlT_SK_SL_SM_E_clISE_PfSF_SF_EESJ_SZ_SK_SL_SM_EUlSZ_E1_NS1_11comp_targetILNS1_3genE4ELNS1_11target_archE910ELNS1_3gpuE8ELNS1_3repE0EEENS1_36merge_oddeven_config_static_selectorELNS0_4arch9wavefront6targetE0EEEvSL_.numbered_sgpr, 0
	.set _ZN7rocprim17ROCPRIM_400000_NS6detail17trampoline_kernelINS0_14default_configENS1_38merge_sort_block_merge_config_selectorIfNS0_10empty_typeEEEZZNS1_27merge_sort_block_merge_implIS3_N6thrust23THRUST_200600_302600_NS6detail15normal_iteratorINS9_10device_ptrIfEEEEPS5_jNS1_19radix_merge_compareILb0ELb0EfNS0_19identity_decomposerEEEEE10hipError_tT0_T1_T2_jT3_P12ihipStream_tbPNSt15iterator_traitsISK_E10value_typeEPNSQ_ISL_E10value_typeEPSM_NS1_7vsmem_tEENKUlT_SK_SL_SM_E_clISE_PfSF_SF_EESJ_SZ_SK_SL_SM_EUlSZ_E1_NS1_11comp_targetILNS1_3genE4ELNS1_11target_archE910ELNS1_3gpuE8ELNS1_3repE0EEENS1_36merge_oddeven_config_static_selectorELNS0_4arch9wavefront6targetE0EEEvSL_.num_named_barrier, 0
	.set _ZN7rocprim17ROCPRIM_400000_NS6detail17trampoline_kernelINS0_14default_configENS1_38merge_sort_block_merge_config_selectorIfNS0_10empty_typeEEEZZNS1_27merge_sort_block_merge_implIS3_N6thrust23THRUST_200600_302600_NS6detail15normal_iteratorINS9_10device_ptrIfEEEEPS5_jNS1_19radix_merge_compareILb0ELb0EfNS0_19identity_decomposerEEEEE10hipError_tT0_T1_T2_jT3_P12ihipStream_tbPNSt15iterator_traitsISK_E10value_typeEPNSQ_ISL_E10value_typeEPSM_NS1_7vsmem_tEENKUlT_SK_SL_SM_E_clISE_PfSF_SF_EESJ_SZ_SK_SL_SM_EUlSZ_E1_NS1_11comp_targetILNS1_3genE4ELNS1_11target_archE910ELNS1_3gpuE8ELNS1_3repE0EEENS1_36merge_oddeven_config_static_selectorELNS0_4arch9wavefront6targetE0EEEvSL_.private_seg_size, 0
	.set _ZN7rocprim17ROCPRIM_400000_NS6detail17trampoline_kernelINS0_14default_configENS1_38merge_sort_block_merge_config_selectorIfNS0_10empty_typeEEEZZNS1_27merge_sort_block_merge_implIS3_N6thrust23THRUST_200600_302600_NS6detail15normal_iteratorINS9_10device_ptrIfEEEEPS5_jNS1_19radix_merge_compareILb0ELb0EfNS0_19identity_decomposerEEEEE10hipError_tT0_T1_T2_jT3_P12ihipStream_tbPNSt15iterator_traitsISK_E10value_typeEPNSQ_ISL_E10value_typeEPSM_NS1_7vsmem_tEENKUlT_SK_SL_SM_E_clISE_PfSF_SF_EESJ_SZ_SK_SL_SM_EUlSZ_E1_NS1_11comp_targetILNS1_3genE4ELNS1_11target_archE910ELNS1_3gpuE8ELNS1_3repE0EEENS1_36merge_oddeven_config_static_selectorELNS0_4arch9wavefront6targetE0EEEvSL_.uses_vcc, 0
	.set _ZN7rocprim17ROCPRIM_400000_NS6detail17trampoline_kernelINS0_14default_configENS1_38merge_sort_block_merge_config_selectorIfNS0_10empty_typeEEEZZNS1_27merge_sort_block_merge_implIS3_N6thrust23THRUST_200600_302600_NS6detail15normal_iteratorINS9_10device_ptrIfEEEEPS5_jNS1_19radix_merge_compareILb0ELb0EfNS0_19identity_decomposerEEEEE10hipError_tT0_T1_T2_jT3_P12ihipStream_tbPNSt15iterator_traitsISK_E10value_typeEPNSQ_ISL_E10value_typeEPSM_NS1_7vsmem_tEENKUlT_SK_SL_SM_E_clISE_PfSF_SF_EESJ_SZ_SK_SL_SM_EUlSZ_E1_NS1_11comp_targetILNS1_3genE4ELNS1_11target_archE910ELNS1_3gpuE8ELNS1_3repE0EEENS1_36merge_oddeven_config_static_selectorELNS0_4arch9wavefront6targetE0EEEvSL_.uses_flat_scratch, 0
	.set _ZN7rocprim17ROCPRIM_400000_NS6detail17trampoline_kernelINS0_14default_configENS1_38merge_sort_block_merge_config_selectorIfNS0_10empty_typeEEEZZNS1_27merge_sort_block_merge_implIS3_N6thrust23THRUST_200600_302600_NS6detail15normal_iteratorINS9_10device_ptrIfEEEEPS5_jNS1_19radix_merge_compareILb0ELb0EfNS0_19identity_decomposerEEEEE10hipError_tT0_T1_T2_jT3_P12ihipStream_tbPNSt15iterator_traitsISK_E10value_typeEPNSQ_ISL_E10value_typeEPSM_NS1_7vsmem_tEENKUlT_SK_SL_SM_E_clISE_PfSF_SF_EESJ_SZ_SK_SL_SM_EUlSZ_E1_NS1_11comp_targetILNS1_3genE4ELNS1_11target_archE910ELNS1_3gpuE8ELNS1_3repE0EEENS1_36merge_oddeven_config_static_selectorELNS0_4arch9wavefront6targetE0EEEvSL_.has_dyn_sized_stack, 0
	.set _ZN7rocprim17ROCPRIM_400000_NS6detail17trampoline_kernelINS0_14default_configENS1_38merge_sort_block_merge_config_selectorIfNS0_10empty_typeEEEZZNS1_27merge_sort_block_merge_implIS3_N6thrust23THRUST_200600_302600_NS6detail15normal_iteratorINS9_10device_ptrIfEEEEPS5_jNS1_19radix_merge_compareILb0ELb0EfNS0_19identity_decomposerEEEEE10hipError_tT0_T1_T2_jT3_P12ihipStream_tbPNSt15iterator_traitsISK_E10value_typeEPNSQ_ISL_E10value_typeEPSM_NS1_7vsmem_tEENKUlT_SK_SL_SM_E_clISE_PfSF_SF_EESJ_SZ_SK_SL_SM_EUlSZ_E1_NS1_11comp_targetILNS1_3genE4ELNS1_11target_archE910ELNS1_3gpuE8ELNS1_3repE0EEENS1_36merge_oddeven_config_static_selectorELNS0_4arch9wavefront6targetE0EEEvSL_.has_recursion, 0
	.set _ZN7rocprim17ROCPRIM_400000_NS6detail17trampoline_kernelINS0_14default_configENS1_38merge_sort_block_merge_config_selectorIfNS0_10empty_typeEEEZZNS1_27merge_sort_block_merge_implIS3_N6thrust23THRUST_200600_302600_NS6detail15normal_iteratorINS9_10device_ptrIfEEEEPS5_jNS1_19radix_merge_compareILb0ELb0EfNS0_19identity_decomposerEEEEE10hipError_tT0_T1_T2_jT3_P12ihipStream_tbPNSt15iterator_traitsISK_E10value_typeEPNSQ_ISL_E10value_typeEPSM_NS1_7vsmem_tEENKUlT_SK_SL_SM_E_clISE_PfSF_SF_EESJ_SZ_SK_SL_SM_EUlSZ_E1_NS1_11comp_targetILNS1_3genE4ELNS1_11target_archE910ELNS1_3gpuE8ELNS1_3repE0EEENS1_36merge_oddeven_config_static_selectorELNS0_4arch9wavefront6targetE0EEEvSL_.has_indirect_call, 0
	.section	.AMDGPU.csdata,"",@progbits
; Kernel info:
; codeLenInByte = 0
; TotalNumSgprs: 0
; NumVgprs: 0
; ScratchSize: 0
; MemoryBound: 0
; FloatMode: 240
; IeeeMode: 1
; LDSByteSize: 0 bytes/workgroup (compile time only)
; SGPRBlocks: 0
; VGPRBlocks: 0
; NumSGPRsForWavesPerEU: 1
; NumVGPRsForWavesPerEU: 1
; Occupancy: 16
; WaveLimiterHint : 0
; COMPUTE_PGM_RSRC2:SCRATCH_EN: 0
; COMPUTE_PGM_RSRC2:USER_SGPR: 6
; COMPUTE_PGM_RSRC2:TRAP_HANDLER: 0
; COMPUTE_PGM_RSRC2:TGID_X_EN: 1
; COMPUTE_PGM_RSRC2:TGID_Y_EN: 0
; COMPUTE_PGM_RSRC2:TGID_Z_EN: 0
; COMPUTE_PGM_RSRC2:TIDIG_COMP_CNT: 0
	.section	.text._ZN7rocprim17ROCPRIM_400000_NS6detail17trampoline_kernelINS0_14default_configENS1_38merge_sort_block_merge_config_selectorIfNS0_10empty_typeEEEZZNS1_27merge_sort_block_merge_implIS3_N6thrust23THRUST_200600_302600_NS6detail15normal_iteratorINS9_10device_ptrIfEEEEPS5_jNS1_19radix_merge_compareILb0ELb0EfNS0_19identity_decomposerEEEEE10hipError_tT0_T1_T2_jT3_P12ihipStream_tbPNSt15iterator_traitsISK_E10value_typeEPNSQ_ISL_E10value_typeEPSM_NS1_7vsmem_tEENKUlT_SK_SL_SM_E_clISE_PfSF_SF_EESJ_SZ_SK_SL_SM_EUlSZ_E1_NS1_11comp_targetILNS1_3genE3ELNS1_11target_archE908ELNS1_3gpuE7ELNS1_3repE0EEENS1_36merge_oddeven_config_static_selectorELNS0_4arch9wavefront6targetE0EEEvSL_,"axG",@progbits,_ZN7rocprim17ROCPRIM_400000_NS6detail17trampoline_kernelINS0_14default_configENS1_38merge_sort_block_merge_config_selectorIfNS0_10empty_typeEEEZZNS1_27merge_sort_block_merge_implIS3_N6thrust23THRUST_200600_302600_NS6detail15normal_iteratorINS9_10device_ptrIfEEEEPS5_jNS1_19radix_merge_compareILb0ELb0EfNS0_19identity_decomposerEEEEE10hipError_tT0_T1_T2_jT3_P12ihipStream_tbPNSt15iterator_traitsISK_E10value_typeEPNSQ_ISL_E10value_typeEPSM_NS1_7vsmem_tEENKUlT_SK_SL_SM_E_clISE_PfSF_SF_EESJ_SZ_SK_SL_SM_EUlSZ_E1_NS1_11comp_targetILNS1_3genE3ELNS1_11target_archE908ELNS1_3gpuE7ELNS1_3repE0EEENS1_36merge_oddeven_config_static_selectorELNS0_4arch9wavefront6targetE0EEEvSL_,comdat
	.protected	_ZN7rocprim17ROCPRIM_400000_NS6detail17trampoline_kernelINS0_14default_configENS1_38merge_sort_block_merge_config_selectorIfNS0_10empty_typeEEEZZNS1_27merge_sort_block_merge_implIS3_N6thrust23THRUST_200600_302600_NS6detail15normal_iteratorINS9_10device_ptrIfEEEEPS5_jNS1_19radix_merge_compareILb0ELb0EfNS0_19identity_decomposerEEEEE10hipError_tT0_T1_T2_jT3_P12ihipStream_tbPNSt15iterator_traitsISK_E10value_typeEPNSQ_ISL_E10value_typeEPSM_NS1_7vsmem_tEENKUlT_SK_SL_SM_E_clISE_PfSF_SF_EESJ_SZ_SK_SL_SM_EUlSZ_E1_NS1_11comp_targetILNS1_3genE3ELNS1_11target_archE908ELNS1_3gpuE7ELNS1_3repE0EEENS1_36merge_oddeven_config_static_selectorELNS0_4arch9wavefront6targetE0EEEvSL_ ; -- Begin function _ZN7rocprim17ROCPRIM_400000_NS6detail17trampoline_kernelINS0_14default_configENS1_38merge_sort_block_merge_config_selectorIfNS0_10empty_typeEEEZZNS1_27merge_sort_block_merge_implIS3_N6thrust23THRUST_200600_302600_NS6detail15normal_iteratorINS9_10device_ptrIfEEEEPS5_jNS1_19radix_merge_compareILb0ELb0EfNS0_19identity_decomposerEEEEE10hipError_tT0_T1_T2_jT3_P12ihipStream_tbPNSt15iterator_traitsISK_E10value_typeEPNSQ_ISL_E10value_typeEPSM_NS1_7vsmem_tEENKUlT_SK_SL_SM_E_clISE_PfSF_SF_EESJ_SZ_SK_SL_SM_EUlSZ_E1_NS1_11comp_targetILNS1_3genE3ELNS1_11target_archE908ELNS1_3gpuE7ELNS1_3repE0EEENS1_36merge_oddeven_config_static_selectorELNS0_4arch9wavefront6targetE0EEEvSL_
	.globl	_ZN7rocprim17ROCPRIM_400000_NS6detail17trampoline_kernelINS0_14default_configENS1_38merge_sort_block_merge_config_selectorIfNS0_10empty_typeEEEZZNS1_27merge_sort_block_merge_implIS3_N6thrust23THRUST_200600_302600_NS6detail15normal_iteratorINS9_10device_ptrIfEEEEPS5_jNS1_19radix_merge_compareILb0ELb0EfNS0_19identity_decomposerEEEEE10hipError_tT0_T1_T2_jT3_P12ihipStream_tbPNSt15iterator_traitsISK_E10value_typeEPNSQ_ISL_E10value_typeEPSM_NS1_7vsmem_tEENKUlT_SK_SL_SM_E_clISE_PfSF_SF_EESJ_SZ_SK_SL_SM_EUlSZ_E1_NS1_11comp_targetILNS1_3genE3ELNS1_11target_archE908ELNS1_3gpuE7ELNS1_3repE0EEENS1_36merge_oddeven_config_static_selectorELNS0_4arch9wavefront6targetE0EEEvSL_
	.p2align	8
	.type	_ZN7rocprim17ROCPRIM_400000_NS6detail17trampoline_kernelINS0_14default_configENS1_38merge_sort_block_merge_config_selectorIfNS0_10empty_typeEEEZZNS1_27merge_sort_block_merge_implIS3_N6thrust23THRUST_200600_302600_NS6detail15normal_iteratorINS9_10device_ptrIfEEEEPS5_jNS1_19radix_merge_compareILb0ELb0EfNS0_19identity_decomposerEEEEE10hipError_tT0_T1_T2_jT3_P12ihipStream_tbPNSt15iterator_traitsISK_E10value_typeEPNSQ_ISL_E10value_typeEPSM_NS1_7vsmem_tEENKUlT_SK_SL_SM_E_clISE_PfSF_SF_EESJ_SZ_SK_SL_SM_EUlSZ_E1_NS1_11comp_targetILNS1_3genE3ELNS1_11target_archE908ELNS1_3gpuE7ELNS1_3repE0EEENS1_36merge_oddeven_config_static_selectorELNS0_4arch9wavefront6targetE0EEEvSL_,@function
_ZN7rocprim17ROCPRIM_400000_NS6detail17trampoline_kernelINS0_14default_configENS1_38merge_sort_block_merge_config_selectorIfNS0_10empty_typeEEEZZNS1_27merge_sort_block_merge_implIS3_N6thrust23THRUST_200600_302600_NS6detail15normal_iteratorINS9_10device_ptrIfEEEEPS5_jNS1_19radix_merge_compareILb0ELb0EfNS0_19identity_decomposerEEEEE10hipError_tT0_T1_T2_jT3_P12ihipStream_tbPNSt15iterator_traitsISK_E10value_typeEPNSQ_ISL_E10value_typeEPSM_NS1_7vsmem_tEENKUlT_SK_SL_SM_E_clISE_PfSF_SF_EESJ_SZ_SK_SL_SM_EUlSZ_E1_NS1_11comp_targetILNS1_3genE3ELNS1_11target_archE908ELNS1_3gpuE7ELNS1_3repE0EEENS1_36merge_oddeven_config_static_selectorELNS0_4arch9wavefront6targetE0EEEvSL_: ; @_ZN7rocprim17ROCPRIM_400000_NS6detail17trampoline_kernelINS0_14default_configENS1_38merge_sort_block_merge_config_selectorIfNS0_10empty_typeEEEZZNS1_27merge_sort_block_merge_implIS3_N6thrust23THRUST_200600_302600_NS6detail15normal_iteratorINS9_10device_ptrIfEEEEPS5_jNS1_19radix_merge_compareILb0ELb0EfNS0_19identity_decomposerEEEEE10hipError_tT0_T1_T2_jT3_P12ihipStream_tbPNSt15iterator_traitsISK_E10value_typeEPNSQ_ISL_E10value_typeEPSM_NS1_7vsmem_tEENKUlT_SK_SL_SM_E_clISE_PfSF_SF_EESJ_SZ_SK_SL_SM_EUlSZ_E1_NS1_11comp_targetILNS1_3genE3ELNS1_11target_archE908ELNS1_3gpuE7ELNS1_3repE0EEENS1_36merge_oddeven_config_static_selectorELNS0_4arch9wavefront6targetE0EEEvSL_
; %bb.0:
	.section	.rodata,"a",@progbits
	.p2align	6, 0x0
	.amdhsa_kernel _ZN7rocprim17ROCPRIM_400000_NS6detail17trampoline_kernelINS0_14default_configENS1_38merge_sort_block_merge_config_selectorIfNS0_10empty_typeEEEZZNS1_27merge_sort_block_merge_implIS3_N6thrust23THRUST_200600_302600_NS6detail15normal_iteratorINS9_10device_ptrIfEEEEPS5_jNS1_19radix_merge_compareILb0ELb0EfNS0_19identity_decomposerEEEEE10hipError_tT0_T1_T2_jT3_P12ihipStream_tbPNSt15iterator_traitsISK_E10value_typeEPNSQ_ISL_E10value_typeEPSM_NS1_7vsmem_tEENKUlT_SK_SL_SM_E_clISE_PfSF_SF_EESJ_SZ_SK_SL_SM_EUlSZ_E1_NS1_11comp_targetILNS1_3genE3ELNS1_11target_archE908ELNS1_3gpuE7ELNS1_3repE0EEENS1_36merge_oddeven_config_static_selectorELNS0_4arch9wavefront6targetE0EEEvSL_
		.amdhsa_group_segment_fixed_size 0
		.amdhsa_private_segment_fixed_size 0
		.amdhsa_kernarg_size 48
		.amdhsa_user_sgpr_count 6
		.amdhsa_user_sgpr_private_segment_buffer 1
		.amdhsa_user_sgpr_dispatch_ptr 0
		.amdhsa_user_sgpr_queue_ptr 0
		.amdhsa_user_sgpr_kernarg_segment_ptr 1
		.amdhsa_user_sgpr_dispatch_id 0
		.amdhsa_user_sgpr_flat_scratch_init 0
		.amdhsa_user_sgpr_private_segment_size 0
		.amdhsa_wavefront_size32 1
		.amdhsa_uses_dynamic_stack 0
		.amdhsa_system_sgpr_private_segment_wavefront_offset 0
		.amdhsa_system_sgpr_workgroup_id_x 1
		.amdhsa_system_sgpr_workgroup_id_y 0
		.amdhsa_system_sgpr_workgroup_id_z 0
		.amdhsa_system_sgpr_workgroup_info 0
		.amdhsa_system_vgpr_workitem_id 0
		.amdhsa_next_free_vgpr 1
		.amdhsa_next_free_sgpr 1
		.amdhsa_reserve_vcc 0
		.amdhsa_reserve_flat_scratch 0
		.amdhsa_float_round_mode_32 0
		.amdhsa_float_round_mode_16_64 0
		.amdhsa_float_denorm_mode_32 3
		.amdhsa_float_denorm_mode_16_64 3
		.amdhsa_dx10_clamp 1
		.amdhsa_ieee_mode 1
		.amdhsa_fp16_overflow 0
		.amdhsa_workgroup_processor_mode 1
		.amdhsa_memory_ordered 1
		.amdhsa_forward_progress 1
		.amdhsa_shared_vgpr_count 0
		.amdhsa_exception_fp_ieee_invalid_op 0
		.amdhsa_exception_fp_denorm_src 0
		.amdhsa_exception_fp_ieee_div_zero 0
		.amdhsa_exception_fp_ieee_overflow 0
		.amdhsa_exception_fp_ieee_underflow 0
		.amdhsa_exception_fp_ieee_inexact 0
		.amdhsa_exception_int_div_zero 0
	.end_amdhsa_kernel
	.section	.text._ZN7rocprim17ROCPRIM_400000_NS6detail17trampoline_kernelINS0_14default_configENS1_38merge_sort_block_merge_config_selectorIfNS0_10empty_typeEEEZZNS1_27merge_sort_block_merge_implIS3_N6thrust23THRUST_200600_302600_NS6detail15normal_iteratorINS9_10device_ptrIfEEEEPS5_jNS1_19radix_merge_compareILb0ELb0EfNS0_19identity_decomposerEEEEE10hipError_tT0_T1_T2_jT3_P12ihipStream_tbPNSt15iterator_traitsISK_E10value_typeEPNSQ_ISL_E10value_typeEPSM_NS1_7vsmem_tEENKUlT_SK_SL_SM_E_clISE_PfSF_SF_EESJ_SZ_SK_SL_SM_EUlSZ_E1_NS1_11comp_targetILNS1_3genE3ELNS1_11target_archE908ELNS1_3gpuE7ELNS1_3repE0EEENS1_36merge_oddeven_config_static_selectorELNS0_4arch9wavefront6targetE0EEEvSL_,"axG",@progbits,_ZN7rocprim17ROCPRIM_400000_NS6detail17trampoline_kernelINS0_14default_configENS1_38merge_sort_block_merge_config_selectorIfNS0_10empty_typeEEEZZNS1_27merge_sort_block_merge_implIS3_N6thrust23THRUST_200600_302600_NS6detail15normal_iteratorINS9_10device_ptrIfEEEEPS5_jNS1_19radix_merge_compareILb0ELb0EfNS0_19identity_decomposerEEEEE10hipError_tT0_T1_T2_jT3_P12ihipStream_tbPNSt15iterator_traitsISK_E10value_typeEPNSQ_ISL_E10value_typeEPSM_NS1_7vsmem_tEENKUlT_SK_SL_SM_E_clISE_PfSF_SF_EESJ_SZ_SK_SL_SM_EUlSZ_E1_NS1_11comp_targetILNS1_3genE3ELNS1_11target_archE908ELNS1_3gpuE7ELNS1_3repE0EEENS1_36merge_oddeven_config_static_selectorELNS0_4arch9wavefront6targetE0EEEvSL_,comdat
.Lfunc_end519:
	.size	_ZN7rocprim17ROCPRIM_400000_NS6detail17trampoline_kernelINS0_14default_configENS1_38merge_sort_block_merge_config_selectorIfNS0_10empty_typeEEEZZNS1_27merge_sort_block_merge_implIS3_N6thrust23THRUST_200600_302600_NS6detail15normal_iteratorINS9_10device_ptrIfEEEEPS5_jNS1_19radix_merge_compareILb0ELb0EfNS0_19identity_decomposerEEEEE10hipError_tT0_T1_T2_jT3_P12ihipStream_tbPNSt15iterator_traitsISK_E10value_typeEPNSQ_ISL_E10value_typeEPSM_NS1_7vsmem_tEENKUlT_SK_SL_SM_E_clISE_PfSF_SF_EESJ_SZ_SK_SL_SM_EUlSZ_E1_NS1_11comp_targetILNS1_3genE3ELNS1_11target_archE908ELNS1_3gpuE7ELNS1_3repE0EEENS1_36merge_oddeven_config_static_selectorELNS0_4arch9wavefront6targetE0EEEvSL_, .Lfunc_end519-_ZN7rocprim17ROCPRIM_400000_NS6detail17trampoline_kernelINS0_14default_configENS1_38merge_sort_block_merge_config_selectorIfNS0_10empty_typeEEEZZNS1_27merge_sort_block_merge_implIS3_N6thrust23THRUST_200600_302600_NS6detail15normal_iteratorINS9_10device_ptrIfEEEEPS5_jNS1_19radix_merge_compareILb0ELb0EfNS0_19identity_decomposerEEEEE10hipError_tT0_T1_T2_jT3_P12ihipStream_tbPNSt15iterator_traitsISK_E10value_typeEPNSQ_ISL_E10value_typeEPSM_NS1_7vsmem_tEENKUlT_SK_SL_SM_E_clISE_PfSF_SF_EESJ_SZ_SK_SL_SM_EUlSZ_E1_NS1_11comp_targetILNS1_3genE3ELNS1_11target_archE908ELNS1_3gpuE7ELNS1_3repE0EEENS1_36merge_oddeven_config_static_selectorELNS0_4arch9wavefront6targetE0EEEvSL_
                                        ; -- End function
	.set _ZN7rocprim17ROCPRIM_400000_NS6detail17trampoline_kernelINS0_14default_configENS1_38merge_sort_block_merge_config_selectorIfNS0_10empty_typeEEEZZNS1_27merge_sort_block_merge_implIS3_N6thrust23THRUST_200600_302600_NS6detail15normal_iteratorINS9_10device_ptrIfEEEEPS5_jNS1_19radix_merge_compareILb0ELb0EfNS0_19identity_decomposerEEEEE10hipError_tT0_T1_T2_jT3_P12ihipStream_tbPNSt15iterator_traitsISK_E10value_typeEPNSQ_ISL_E10value_typeEPSM_NS1_7vsmem_tEENKUlT_SK_SL_SM_E_clISE_PfSF_SF_EESJ_SZ_SK_SL_SM_EUlSZ_E1_NS1_11comp_targetILNS1_3genE3ELNS1_11target_archE908ELNS1_3gpuE7ELNS1_3repE0EEENS1_36merge_oddeven_config_static_selectorELNS0_4arch9wavefront6targetE0EEEvSL_.num_vgpr, 0
	.set _ZN7rocprim17ROCPRIM_400000_NS6detail17trampoline_kernelINS0_14default_configENS1_38merge_sort_block_merge_config_selectorIfNS0_10empty_typeEEEZZNS1_27merge_sort_block_merge_implIS3_N6thrust23THRUST_200600_302600_NS6detail15normal_iteratorINS9_10device_ptrIfEEEEPS5_jNS1_19radix_merge_compareILb0ELb0EfNS0_19identity_decomposerEEEEE10hipError_tT0_T1_T2_jT3_P12ihipStream_tbPNSt15iterator_traitsISK_E10value_typeEPNSQ_ISL_E10value_typeEPSM_NS1_7vsmem_tEENKUlT_SK_SL_SM_E_clISE_PfSF_SF_EESJ_SZ_SK_SL_SM_EUlSZ_E1_NS1_11comp_targetILNS1_3genE3ELNS1_11target_archE908ELNS1_3gpuE7ELNS1_3repE0EEENS1_36merge_oddeven_config_static_selectorELNS0_4arch9wavefront6targetE0EEEvSL_.num_agpr, 0
	.set _ZN7rocprim17ROCPRIM_400000_NS6detail17trampoline_kernelINS0_14default_configENS1_38merge_sort_block_merge_config_selectorIfNS0_10empty_typeEEEZZNS1_27merge_sort_block_merge_implIS3_N6thrust23THRUST_200600_302600_NS6detail15normal_iteratorINS9_10device_ptrIfEEEEPS5_jNS1_19radix_merge_compareILb0ELb0EfNS0_19identity_decomposerEEEEE10hipError_tT0_T1_T2_jT3_P12ihipStream_tbPNSt15iterator_traitsISK_E10value_typeEPNSQ_ISL_E10value_typeEPSM_NS1_7vsmem_tEENKUlT_SK_SL_SM_E_clISE_PfSF_SF_EESJ_SZ_SK_SL_SM_EUlSZ_E1_NS1_11comp_targetILNS1_3genE3ELNS1_11target_archE908ELNS1_3gpuE7ELNS1_3repE0EEENS1_36merge_oddeven_config_static_selectorELNS0_4arch9wavefront6targetE0EEEvSL_.numbered_sgpr, 0
	.set _ZN7rocprim17ROCPRIM_400000_NS6detail17trampoline_kernelINS0_14default_configENS1_38merge_sort_block_merge_config_selectorIfNS0_10empty_typeEEEZZNS1_27merge_sort_block_merge_implIS3_N6thrust23THRUST_200600_302600_NS6detail15normal_iteratorINS9_10device_ptrIfEEEEPS5_jNS1_19radix_merge_compareILb0ELb0EfNS0_19identity_decomposerEEEEE10hipError_tT0_T1_T2_jT3_P12ihipStream_tbPNSt15iterator_traitsISK_E10value_typeEPNSQ_ISL_E10value_typeEPSM_NS1_7vsmem_tEENKUlT_SK_SL_SM_E_clISE_PfSF_SF_EESJ_SZ_SK_SL_SM_EUlSZ_E1_NS1_11comp_targetILNS1_3genE3ELNS1_11target_archE908ELNS1_3gpuE7ELNS1_3repE0EEENS1_36merge_oddeven_config_static_selectorELNS0_4arch9wavefront6targetE0EEEvSL_.num_named_barrier, 0
	.set _ZN7rocprim17ROCPRIM_400000_NS6detail17trampoline_kernelINS0_14default_configENS1_38merge_sort_block_merge_config_selectorIfNS0_10empty_typeEEEZZNS1_27merge_sort_block_merge_implIS3_N6thrust23THRUST_200600_302600_NS6detail15normal_iteratorINS9_10device_ptrIfEEEEPS5_jNS1_19radix_merge_compareILb0ELb0EfNS0_19identity_decomposerEEEEE10hipError_tT0_T1_T2_jT3_P12ihipStream_tbPNSt15iterator_traitsISK_E10value_typeEPNSQ_ISL_E10value_typeEPSM_NS1_7vsmem_tEENKUlT_SK_SL_SM_E_clISE_PfSF_SF_EESJ_SZ_SK_SL_SM_EUlSZ_E1_NS1_11comp_targetILNS1_3genE3ELNS1_11target_archE908ELNS1_3gpuE7ELNS1_3repE0EEENS1_36merge_oddeven_config_static_selectorELNS0_4arch9wavefront6targetE0EEEvSL_.private_seg_size, 0
	.set _ZN7rocprim17ROCPRIM_400000_NS6detail17trampoline_kernelINS0_14default_configENS1_38merge_sort_block_merge_config_selectorIfNS0_10empty_typeEEEZZNS1_27merge_sort_block_merge_implIS3_N6thrust23THRUST_200600_302600_NS6detail15normal_iteratorINS9_10device_ptrIfEEEEPS5_jNS1_19radix_merge_compareILb0ELb0EfNS0_19identity_decomposerEEEEE10hipError_tT0_T1_T2_jT3_P12ihipStream_tbPNSt15iterator_traitsISK_E10value_typeEPNSQ_ISL_E10value_typeEPSM_NS1_7vsmem_tEENKUlT_SK_SL_SM_E_clISE_PfSF_SF_EESJ_SZ_SK_SL_SM_EUlSZ_E1_NS1_11comp_targetILNS1_3genE3ELNS1_11target_archE908ELNS1_3gpuE7ELNS1_3repE0EEENS1_36merge_oddeven_config_static_selectorELNS0_4arch9wavefront6targetE0EEEvSL_.uses_vcc, 0
	.set _ZN7rocprim17ROCPRIM_400000_NS6detail17trampoline_kernelINS0_14default_configENS1_38merge_sort_block_merge_config_selectorIfNS0_10empty_typeEEEZZNS1_27merge_sort_block_merge_implIS3_N6thrust23THRUST_200600_302600_NS6detail15normal_iteratorINS9_10device_ptrIfEEEEPS5_jNS1_19radix_merge_compareILb0ELb0EfNS0_19identity_decomposerEEEEE10hipError_tT0_T1_T2_jT3_P12ihipStream_tbPNSt15iterator_traitsISK_E10value_typeEPNSQ_ISL_E10value_typeEPSM_NS1_7vsmem_tEENKUlT_SK_SL_SM_E_clISE_PfSF_SF_EESJ_SZ_SK_SL_SM_EUlSZ_E1_NS1_11comp_targetILNS1_3genE3ELNS1_11target_archE908ELNS1_3gpuE7ELNS1_3repE0EEENS1_36merge_oddeven_config_static_selectorELNS0_4arch9wavefront6targetE0EEEvSL_.uses_flat_scratch, 0
	.set _ZN7rocprim17ROCPRIM_400000_NS6detail17trampoline_kernelINS0_14default_configENS1_38merge_sort_block_merge_config_selectorIfNS0_10empty_typeEEEZZNS1_27merge_sort_block_merge_implIS3_N6thrust23THRUST_200600_302600_NS6detail15normal_iteratorINS9_10device_ptrIfEEEEPS5_jNS1_19radix_merge_compareILb0ELb0EfNS0_19identity_decomposerEEEEE10hipError_tT0_T1_T2_jT3_P12ihipStream_tbPNSt15iterator_traitsISK_E10value_typeEPNSQ_ISL_E10value_typeEPSM_NS1_7vsmem_tEENKUlT_SK_SL_SM_E_clISE_PfSF_SF_EESJ_SZ_SK_SL_SM_EUlSZ_E1_NS1_11comp_targetILNS1_3genE3ELNS1_11target_archE908ELNS1_3gpuE7ELNS1_3repE0EEENS1_36merge_oddeven_config_static_selectorELNS0_4arch9wavefront6targetE0EEEvSL_.has_dyn_sized_stack, 0
	.set _ZN7rocprim17ROCPRIM_400000_NS6detail17trampoline_kernelINS0_14default_configENS1_38merge_sort_block_merge_config_selectorIfNS0_10empty_typeEEEZZNS1_27merge_sort_block_merge_implIS3_N6thrust23THRUST_200600_302600_NS6detail15normal_iteratorINS9_10device_ptrIfEEEEPS5_jNS1_19radix_merge_compareILb0ELb0EfNS0_19identity_decomposerEEEEE10hipError_tT0_T1_T2_jT3_P12ihipStream_tbPNSt15iterator_traitsISK_E10value_typeEPNSQ_ISL_E10value_typeEPSM_NS1_7vsmem_tEENKUlT_SK_SL_SM_E_clISE_PfSF_SF_EESJ_SZ_SK_SL_SM_EUlSZ_E1_NS1_11comp_targetILNS1_3genE3ELNS1_11target_archE908ELNS1_3gpuE7ELNS1_3repE0EEENS1_36merge_oddeven_config_static_selectorELNS0_4arch9wavefront6targetE0EEEvSL_.has_recursion, 0
	.set _ZN7rocprim17ROCPRIM_400000_NS6detail17trampoline_kernelINS0_14default_configENS1_38merge_sort_block_merge_config_selectorIfNS0_10empty_typeEEEZZNS1_27merge_sort_block_merge_implIS3_N6thrust23THRUST_200600_302600_NS6detail15normal_iteratorINS9_10device_ptrIfEEEEPS5_jNS1_19radix_merge_compareILb0ELb0EfNS0_19identity_decomposerEEEEE10hipError_tT0_T1_T2_jT3_P12ihipStream_tbPNSt15iterator_traitsISK_E10value_typeEPNSQ_ISL_E10value_typeEPSM_NS1_7vsmem_tEENKUlT_SK_SL_SM_E_clISE_PfSF_SF_EESJ_SZ_SK_SL_SM_EUlSZ_E1_NS1_11comp_targetILNS1_3genE3ELNS1_11target_archE908ELNS1_3gpuE7ELNS1_3repE0EEENS1_36merge_oddeven_config_static_selectorELNS0_4arch9wavefront6targetE0EEEvSL_.has_indirect_call, 0
	.section	.AMDGPU.csdata,"",@progbits
; Kernel info:
; codeLenInByte = 0
; TotalNumSgprs: 0
; NumVgprs: 0
; ScratchSize: 0
; MemoryBound: 0
; FloatMode: 240
; IeeeMode: 1
; LDSByteSize: 0 bytes/workgroup (compile time only)
; SGPRBlocks: 0
; VGPRBlocks: 0
; NumSGPRsForWavesPerEU: 1
; NumVGPRsForWavesPerEU: 1
; Occupancy: 16
; WaveLimiterHint : 0
; COMPUTE_PGM_RSRC2:SCRATCH_EN: 0
; COMPUTE_PGM_RSRC2:USER_SGPR: 6
; COMPUTE_PGM_RSRC2:TRAP_HANDLER: 0
; COMPUTE_PGM_RSRC2:TGID_X_EN: 1
; COMPUTE_PGM_RSRC2:TGID_Y_EN: 0
; COMPUTE_PGM_RSRC2:TGID_Z_EN: 0
; COMPUTE_PGM_RSRC2:TIDIG_COMP_CNT: 0
	.section	.text._ZN7rocprim17ROCPRIM_400000_NS6detail17trampoline_kernelINS0_14default_configENS1_38merge_sort_block_merge_config_selectorIfNS0_10empty_typeEEEZZNS1_27merge_sort_block_merge_implIS3_N6thrust23THRUST_200600_302600_NS6detail15normal_iteratorINS9_10device_ptrIfEEEEPS5_jNS1_19radix_merge_compareILb0ELb0EfNS0_19identity_decomposerEEEEE10hipError_tT0_T1_T2_jT3_P12ihipStream_tbPNSt15iterator_traitsISK_E10value_typeEPNSQ_ISL_E10value_typeEPSM_NS1_7vsmem_tEENKUlT_SK_SL_SM_E_clISE_PfSF_SF_EESJ_SZ_SK_SL_SM_EUlSZ_E1_NS1_11comp_targetILNS1_3genE2ELNS1_11target_archE906ELNS1_3gpuE6ELNS1_3repE0EEENS1_36merge_oddeven_config_static_selectorELNS0_4arch9wavefront6targetE0EEEvSL_,"axG",@progbits,_ZN7rocprim17ROCPRIM_400000_NS6detail17trampoline_kernelINS0_14default_configENS1_38merge_sort_block_merge_config_selectorIfNS0_10empty_typeEEEZZNS1_27merge_sort_block_merge_implIS3_N6thrust23THRUST_200600_302600_NS6detail15normal_iteratorINS9_10device_ptrIfEEEEPS5_jNS1_19radix_merge_compareILb0ELb0EfNS0_19identity_decomposerEEEEE10hipError_tT0_T1_T2_jT3_P12ihipStream_tbPNSt15iterator_traitsISK_E10value_typeEPNSQ_ISL_E10value_typeEPSM_NS1_7vsmem_tEENKUlT_SK_SL_SM_E_clISE_PfSF_SF_EESJ_SZ_SK_SL_SM_EUlSZ_E1_NS1_11comp_targetILNS1_3genE2ELNS1_11target_archE906ELNS1_3gpuE6ELNS1_3repE0EEENS1_36merge_oddeven_config_static_selectorELNS0_4arch9wavefront6targetE0EEEvSL_,comdat
	.protected	_ZN7rocprim17ROCPRIM_400000_NS6detail17trampoline_kernelINS0_14default_configENS1_38merge_sort_block_merge_config_selectorIfNS0_10empty_typeEEEZZNS1_27merge_sort_block_merge_implIS3_N6thrust23THRUST_200600_302600_NS6detail15normal_iteratorINS9_10device_ptrIfEEEEPS5_jNS1_19radix_merge_compareILb0ELb0EfNS0_19identity_decomposerEEEEE10hipError_tT0_T1_T2_jT3_P12ihipStream_tbPNSt15iterator_traitsISK_E10value_typeEPNSQ_ISL_E10value_typeEPSM_NS1_7vsmem_tEENKUlT_SK_SL_SM_E_clISE_PfSF_SF_EESJ_SZ_SK_SL_SM_EUlSZ_E1_NS1_11comp_targetILNS1_3genE2ELNS1_11target_archE906ELNS1_3gpuE6ELNS1_3repE0EEENS1_36merge_oddeven_config_static_selectorELNS0_4arch9wavefront6targetE0EEEvSL_ ; -- Begin function _ZN7rocprim17ROCPRIM_400000_NS6detail17trampoline_kernelINS0_14default_configENS1_38merge_sort_block_merge_config_selectorIfNS0_10empty_typeEEEZZNS1_27merge_sort_block_merge_implIS3_N6thrust23THRUST_200600_302600_NS6detail15normal_iteratorINS9_10device_ptrIfEEEEPS5_jNS1_19radix_merge_compareILb0ELb0EfNS0_19identity_decomposerEEEEE10hipError_tT0_T1_T2_jT3_P12ihipStream_tbPNSt15iterator_traitsISK_E10value_typeEPNSQ_ISL_E10value_typeEPSM_NS1_7vsmem_tEENKUlT_SK_SL_SM_E_clISE_PfSF_SF_EESJ_SZ_SK_SL_SM_EUlSZ_E1_NS1_11comp_targetILNS1_3genE2ELNS1_11target_archE906ELNS1_3gpuE6ELNS1_3repE0EEENS1_36merge_oddeven_config_static_selectorELNS0_4arch9wavefront6targetE0EEEvSL_
	.globl	_ZN7rocprim17ROCPRIM_400000_NS6detail17trampoline_kernelINS0_14default_configENS1_38merge_sort_block_merge_config_selectorIfNS0_10empty_typeEEEZZNS1_27merge_sort_block_merge_implIS3_N6thrust23THRUST_200600_302600_NS6detail15normal_iteratorINS9_10device_ptrIfEEEEPS5_jNS1_19radix_merge_compareILb0ELb0EfNS0_19identity_decomposerEEEEE10hipError_tT0_T1_T2_jT3_P12ihipStream_tbPNSt15iterator_traitsISK_E10value_typeEPNSQ_ISL_E10value_typeEPSM_NS1_7vsmem_tEENKUlT_SK_SL_SM_E_clISE_PfSF_SF_EESJ_SZ_SK_SL_SM_EUlSZ_E1_NS1_11comp_targetILNS1_3genE2ELNS1_11target_archE906ELNS1_3gpuE6ELNS1_3repE0EEENS1_36merge_oddeven_config_static_selectorELNS0_4arch9wavefront6targetE0EEEvSL_
	.p2align	8
	.type	_ZN7rocprim17ROCPRIM_400000_NS6detail17trampoline_kernelINS0_14default_configENS1_38merge_sort_block_merge_config_selectorIfNS0_10empty_typeEEEZZNS1_27merge_sort_block_merge_implIS3_N6thrust23THRUST_200600_302600_NS6detail15normal_iteratorINS9_10device_ptrIfEEEEPS5_jNS1_19radix_merge_compareILb0ELb0EfNS0_19identity_decomposerEEEEE10hipError_tT0_T1_T2_jT3_P12ihipStream_tbPNSt15iterator_traitsISK_E10value_typeEPNSQ_ISL_E10value_typeEPSM_NS1_7vsmem_tEENKUlT_SK_SL_SM_E_clISE_PfSF_SF_EESJ_SZ_SK_SL_SM_EUlSZ_E1_NS1_11comp_targetILNS1_3genE2ELNS1_11target_archE906ELNS1_3gpuE6ELNS1_3repE0EEENS1_36merge_oddeven_config_static_selectorELNS0_4arch9wavefront6targetE0EEEvSL_,@function
_ZN7rocprim17ROCPRIM_400000_NS6detail17trampoline_kernelINS0_14default_configENS1_38merge_sort_block_merge_config_selectorIfNS0_10empty_typeEEEZZNS1_27merge_sort_block_merge_implIS3_N6thrust23THRUST_200600_302600_NS6detail15normal_iteratorINS9_10device_ptrIfEEEEPS5_jNS1_19radix_merge_compareILb0ELb0EfNS0_19identity_decomposerEEEEE10hipError_tT0_T1_T2_jT3_P12ihipStream_tbPNSt15iterator_traitsISK_E10value_typeEPNSQ_ISL_E10value_typeEPSM_NS1_7vsmem_tEENKUlT_SK_SL_SM_E_clISE_PfSF_SF_EESJ_SZ_SK_SL_SM_EUlSZ_E1_NS1_11comp_targetILNS1_3genE2ELNS1_11target_archE906ELNS1_3gpuE6ELNS1_3repE0EEENS1_36merge_oddeven_config_static_selectorELNS0_4arch9wavefront6targetE0EEEvSL_: ; @_ZN7rocprim17ROCPRIM_400000_NS6detail17trampoline_kernelINS0_14default_configENS1_38merge_sort_block_merge_config_selectorIfNS0_10empty_typeEEEZZNS1_27merge_sort_block_merge_implIS3_N6thrust23THRUST_200600_302600_NS6detail15normal_iteratorINS9_10device_ptrIfEEEEPS5_jNS1_19radix_merge_compareILb0ELb0EfNS0_19identity_decomposerEEEEE10hipError_tT0_T1_T2_jT3_P12ihipStream_tbPNSt15iterator_traitsISK_E10value_typeEPNSQ_ISL_E10value_typeEPSM_NS1_7vsmem_tEENKUlT_SK_SL_SM_E_clISE_PfSF_SF_EESJ_SZ_SK_SL_SM_EUlSZ_E1_NS1_11comp_targetILNS1_3genE2ELNS1_11target_archE906ELNS1_3gpuE6ELNS1_3repE0EEENS1_36merge_oddeven_config_static_selectorELNS0_4arch9wavefront6targetE0EEEvSL_
; %bb.0:
	.section	.rodata,"a",@progbits
	.p2align	6, 0x0
	.amdhsa_kernel _ZN7rocprim17ROCPRIM_400000_NS6detail17trampoline_kernelINS0_14default_configENS1_38merge_sort_block_merge_config_selectorIfNS0_10empty_typeEEEZZNS1_27merge_sort_block_merge_implIS3_N6thrust23THRUST_200600_302600_NS6detail15normal_iteratorINS9_10device_ptrIfEEEEPS5_jNS1_19radix_merge_compareILb0ELb0EfNS0_19identity_decomposerEEEEE10hipError_tT0_T1_T2_jT3_P12ihipStream_tbPNSt15iterator_traitsISK_E10value_typeEPNSQ_ISL_E10value_typeEPSM_NS1_7vsmem_tEENKUlT_SK_SL_SM_E_clISE_PfSF_SF_EESJ_SZ_SK_SL_SM_EUlSZ_E1_NS1_11comp_targetILNS1_3genE2ELNS1_11target_archE906ELNS1_3gpuE6ELNS1_3repE0EEENS1_36merge_oddeven_config_static_selectorELNS0_4arch9wavefront6targetE0EEEvSL_
		.amdhsa_group_segment_fixed_size 0
		.amdhsa_private_segment_fixed_size 0
		.amdhsa_kernarg_size 48
		.amdhsa_user_sgpr_count 6
		.amdhsa_user_sgpr_private_segment_buffer 1
		.amdhsa_user_sgpr_dispatch_ptr 0
		.amdhsa_user_sgpr_queue_ptr 0
		.amdhsa_user_sgpr_kernarg_segment_ptr 1
		.amdhsa_user_sgpr_dispatch_id 0
		.amdhsa_user_sgpr_flat_scratch_init 0
		.amdhsa_user_sgpr_private_segment_size 0
		.amdhsa_wavefront_size32 1
		.amdhsa_uses_dynamic_stack 0
		.amdhsa_system_sgpr_private_segment_wavefront_offset 0
		.amdhsa_system_sgpr_workgroup_id_x 1
		.amdhsa_system_sgpr_workgroup_id_y 0
		.amdhsa_system_sgpr_workgroup_id_z 0
		.amdhsa_system_sgpr_workgroup_info 0
		.amdhsa_system_vgpr_workitem_id 0
		.amdhsa_next_free_vgpr 1
		.amdhsa_next_free_sgpr 1
		.amdhsa_reserve_vcc 0
		.amdhsa_reserve_flat_scratch 0
		.amdhsa_float_round_mode_32 0
		.amdhsa_float_round_mode_16_64 0
		.amdhsa_float_denorm_mode_32 3
		.amdhsa_float_denorm_mode_16_64 3
		.amdhsa_dx10_clamp 1
		.amdhsa_ieee_mode 1
		.amdhsa_fp16_overflow 0
		.amdhsa_workgroup_processor_mode 1
		.amdhsa_memory_ordered 1
		.amdhsa_forward_progress 1
		.amdhsa_shared_vgpr_count 0
		.amdhsa_exception_fp_ieee_invalid_op 0
		.amdhsa_exception_fp_denorm_src 0
		.amdhsa_exception_fp_ieee_div_zero 0
		.amdhsa_exception_fp_ieee_overflow 0
		.amdhsa_exception_fp_ieee_underflow 0
		.amdhsa_exception_fp_ieee_inexact 0
		.amdhsa_exception_int_div_zero 0
	.end_amdhsa_kernel
	.section	.text._ZN7rocprim17ROCPRIM_400000_NS6detail17trampoline_kernelINS0_14default_configENS1_38merge_sort_block_merge_config_selectorIfNS0_10empty_typeEEEZZNS1_27merge_sort_block_merge_implIS3_N6thrust23THRUST_200600_302600_NS6detail15normal_iteratorINS9_10device_ptrIfEEEEPS5_jNS1_19radix_merge_compareILb0ELb0EfNS0_19identity_decomposerEEEEE10hipError_tT0_T1_T2_jT3_P12ihipStream_tbPNSt15iterator_traitsISK_E10value_typeEPNSQ_ISL_E10value_typeEPSM_NS1_7vsmem_tEENKUlT_SK_SL_SM_E_clISE_PfSF_SF_EESJ_SZ_SK_SL_SM_EUlSZ_E1_NS1_11comp_targetILNS1_3genE2ELNS1_11target_archE906ELNS1_3gpuE6ELNS1_3repE0EEENS1_36merge_oddeven_config_static_selectorELNS0_4arch9wavefront6targetE0EEEvSL_,"axG",@progbits,_ZN7rocprim17ROCPRIM_400000_NS6detail17trampoline_kernelINS0_14default_configENS1_38merge_sort_block_merge_config_selectorIfNS0_10empty_typeEEEZZNS1_27merge_sort_block_merge_implIS3_N6thrust23THRUST_200600_302600_NS6detail15normal_iteratorINS9_10device_ptrIfEEEEPS5_jNS1_19radix_merge_compareILb0ELb0EfNS0_19identity_decomposerEEEEE10hipError_tT0_T1_T2_jT3_P12ihipStream_tbPNSt15iterator_traitsISK_E10value_typeEPNSQ_ISL_E10value_typeEPSM_NS1_7vsmem_tEENKUlT_SK_SL_SM_E_clISE_PfSF_SF_EESJ_SZ_SK_SL_SM_EUlSZ_E1_NS1_11comp_targetILNS1_3genE2ELNS1_11target_archE906ELNS1_3gpuE6ELNS1_3repE0EEENS1_36merge_oddeven_config_static_selectorELNS0_4arch9wavefront6targetE0EEEvSL_,comdat
.Lfunc_end520:
	.size	_ZN7rocprim17ROCPRIM_400000_NS6detail17trampoline_kernelINS0_14default_configENS1_38merge_sort_block_merge_config_selectorIfNS0_10empty_typeEEEZZNS1_27merge_sort_block_merge_implIS3_N6thrust23THRUST_200600_302600_NS6detail15normal_iteratorINS9_10device_ptrIfEEEEPS5_jNS1_19radix_merge_compareILb0ELb0EfNS0_19identity_decomposerEEEEE10hipError_tT0_T1_T2_jT3_P12ihipStream_tbPNSt15iterator_traitsISK_E10value_typeEPNSQ_ISL_E10value_typeEPSM_NS1_7vsmem_tEENKUlT_SK_SL_SM_E_clISE_PfSF_SF_EESJ_SZ_SK_SL_SM_EUlSZ_E1_NS1_11comp_targetILNS1_3genE2ELNS1_11target_archE906ELNS1_3gpuE6ELNS1_3repE0EEENS1_36merge_oddeven_config_static_selectorELNS0_4arch9wavefront6targetE0EEEvSL_, .Lfunc_end520-_ZN7rocprim17ROCPRIM_400000_NS6detail17trampoline_kernelINS0_14default_configENS1_38merge_sort_block_merge_config_selectorIfNS0_10empty_typeEEEZZNS1_27merge_sort_block_merge_implIS3_N6thrust23THRUST_200600_302600_NS6detail15normal_iteratorINS9_10device_ptrIfEEEEPS5_jNS1_19radix_merge_compareILb0ELb0EfNS0_19identity_decomposerEEEEE10hipError_tT0_T1_T2_jT3_P12ihipStream_tbPNSt15iterator_traitsISK_E10value_typeEPNSQ_ISL_E10value_typeEPSM_NS1_7vsmem_tEENKUlT_SK_SL_SM_E_clISE_PfSF_SF_EESJ_SZ_SK_SL_SM_EUlSZ_E1_NS1_11comp_targetILNS1_3genE2ELNS1_11target_archE906ELNS1_3gpuE6ELNS1_3repE0EEENS1_36merge_oddeven_config_static_selectorELNS0_4arch9wavefront6targetE0EEEvSL_
                                        ; -- End function
	.set _ZN7rocprim17ROCPRIM_400000_NS6detail17trampoline_kernelINS0_14default_configENS1_38merge_sort_block_merge_config_selectorIfNS0_10empty_typeEEEZZNS1_27merge_sort_block_merge_implIS3_N6thrust23THRUST_200600_302600_NS6detail15normal_iteratorINS9_10device_ptrIfEEEEPS5_jNS1_19radix_merge_compareILb0ELb0EfNS0_19identity_decomposerEEEEE10hipError_tT0_T1_T2_jT3_P12ihipStream_tbPNSt15iterator_traitsISK_E10value_typeEPNSQ_ISL_E10value_typeEPSM_NS1_7vsmem_tEENKUlT_SK_SL_SM_E_clISE_PfSF_SF_EESJ_SZ_SK_SL_SM_EUlSZ_E1_NS1_11comp_targetILNS1_3genE2ELNS1_11target_archE906ELNS1_3gpuE6ELNS1_3repE0EEENS1_36merge_oddeven_config_static_selectorELNS0_4arch9wavefront6targetE0EEEvSL_.num_vgpr, 0
	.set _ZN7rocprim17ROCPRIM_400000_NS6detail17trampoline_kernelINS0_14default_configENS1_38merge_sort_block_merge_config_selectorIfNS0_10empty_typeEEEZZNS1_27merge_sort_block_merge_implIS3_N6thrust23THRUST_200600_302600_NS6detail15normal_iteratorINS9_10device_ptrIfEEEEPS5_jNS1_19radix_merge_compareILb0ELb0EfNS0_19identity_decomposerEEEEE10hipError_tT0_T1_T2_jT3_P12ihipStream_tbPNSt15iterator_traitsISK_E10value_typeEPNSQ_ISL_E10value_typeEPSM_NS1_7vsmem_tEENKUlT_SK_SL_SM_E_clISE_PfSF_SF_EESJ_SZ_SK_SL_SM_EUlSZ_E1_NS1_11comp_targetILNS1_3genE2ELNS1_11target_archE906ELNS1_3gpuE6ELNS1_3repE0EEENS1_36merge_oddeven_config_static_selectorELNS0_4arch9wavefront6targetE0EEEvSL_.num_agpr, 0
	.set _ZN7rocprim17ROCPRIM_400000_NS6detail17trampoline_kernelINS0_14default_configENS1_38merge_sort_block_merge_config_selectorIfNS0_10empty_typeEEEZZNS1_27merge_sort_block_merge_implIS3_N6thrust23THRUST_200600_302600_NS6detail15normal_iteratorINS9_10device_ptrIfEEEEPS5_jNS1_19radix_merge_compareILb0ELb0EfNS0_19identity_decomposerEEEEE10hipError_tT0_T1_T2_jT3_P12ihipStream_tbPNSt15iterator_traitsISK_E10value_typeEPNSQ_ISL_E10value_typeEPSM_NS1_7vsmem_tEENKUlT_SK_SL_SM_E_clISE_PfSF_SF_EESJ_SZ_SK_SL_SM_EUlSZ_E1_NS1_11comp_targetILNS1_3genE2ELNS1_11target_archE906ELNS1_3gpuE6ELNS1_3repE0EEENS1_36merge_oddeven_config_static_selectorELNS0_4arch9wavefront6targetE0EEEvSL_.numbered_sgpr, 0
	.set _ZN7rocprim17ROCPRIM_400000_NS6detail17trampoline_kernelINS0_14default_configENS1_38merge_sort_block_merge_config_selectorIfNS0_10empty_typeEEEZZNS1_27merge_sort_block_merge_implIS3_N6thrust23THRUST_200600_302600_NS6detail15normal_iteratorINS9_10device_ptrIfEEEEPS5_jNS1_19radix_merge_compareILb0ELb0EfNS0_19identity_decomposerEEEEE10hipError_tT0_T1_T2_jT3_P12ihipStream_tbPNSt15iterator_traitsISK_E10value_typeEPNSQ_ISL_E10value_typeEPSM_NS1_7vsmem_tEENKUlT_SK_SL_SM_E_clISE_PfSF_SF_EESJ_SZ_SK_SL_SM_EUlSZ_E1_NS1_11comp_targetILNS1_3genE2ELNS1_11target_archE906ELNS1_3gpuE6ELNS1_3repE0EEENS1_36merge_oddeven_config_static_selectorELNS0_4arch9wavefront6targetE0EEEvSL_.num_named_barrier, 0
	.set _ZN7rocprim17ROCPRIM_400000_NS6detail17trampoline_kernelINS0_14default_configENS1_38merge_sort_block_merge_config_selectorIfNS0_10empty_typeEEEZZNS1_27merge_sort_block_merge_implIS3_N6thrust23THRUST_200600_302600_NS6detail15normal_iteratorINS9_10device_ptrIfEEEEPS5_jNS1_19radix_merge_compareILb0ELb0EfNS0_19identity_decomposerEEEEE10hipError_tT0_T1_T2_jT3_P12ihipStream_tbPNSt15iterator_traitsISK_E10value_typeEPNSQ_ISL_E10value_typeEPSM_NS1_7vsmem_tEENKUlT_SK_SL_SM_E_clISE_PfSF_SF_EESJ_SZ_SK_SL_SM_EUlSZ_E1_NS1_11comp_targetILNS1_3genE2ELNS1_11target_archE906ELNS1_3gpuE6ELNS1_3repE0EEENS1_36merge_oddeven_config_static_selectorELNS0_4arch9wavefront6targetE0EEEvSL_.private_seg_size, 0
	.set _ZN7rocprim17ROCPRIM_400000_NS6detail17trampoline_kernelINS0_14default_configENS1_38merge_sort_block_merge_config_selectorIfNS0_10empty_typeEEEZZNS1_27merge_sort_block_merge_implIS3_N6thrust23THRUST_200600_302600_NS6detail15normal_iteratorINS9_10device_ptrIfEEEEPS5_jNS1_19radix_merge_compareILb0ELb0EfNS0_19identity_decomposerEEEEE10hipError_tT0_T1_T2_jT3_P12ihipStream_tbPNSt15iterator_traitsISK_E10value_typeEPNSQ_ISL_E10value_typeEPSM_NS1_7vsmem_tEENKUlT_SK_SL_SM_E_clISE_PfSF_SF_EESJ_SZ_SK_SL_SM_EUlSZ_E1_NS1_11comp_targetILNS1_3genE2ELNS1_11target_archE906ELNS1_3gpuE6ELNS1_3repE0EEENS1_36merge_oddeven_config_static_selectorELNS0_4arch9wavefront6targetE0EEEvSL_.uses_vcc, 0
	.set _ZN7rocprim17ROCPRIM_400000_NS6detail17trampoline_kernelINS0_14default_configENS1_38merge_sort_block_merge_config_selectorIfNS0_10empty_typeEEEZZNS1_27merge_sort_block_merge_implIS3_N6thrust23THRUST_200600_302600_NS6detail15normal_iteratorINS9_10device_ptrIfEEEEPS5_jNS1_19radix_merge_compareILb0ELb0EfNS0_19identity_decomposerEEEEE10hipError_tT0_T1_T2_jT3_P12ihipStream_tbPNSt15iterator_traitsISK_E10value_typeEPNSQ_ISL_E10value_typeEPSM_NS1_7vsmem_tEENKUlT_SK_SL_SM_E_clISE_PfSF_SF_EESJ_SZ_SK_SL_SM_EUlSZ_E1_NS1_11comp_targetILNS1_3genE2ELNS1_11target_archE906ELNS1_3gpuE6ELNS1_3repE0EEENS1_36merge_oddeven_config_static_selectorELNS0_4arch9wavefront6targetE0EEEvSL_.uses_flat_scratch, 0
	.set _ZN7rocprim17ROCPRIM_400000_NS6detail17trampoline_kernelINS0_14default_configENS1_38merge_sort_block_merge_config_selectorIfNS0_10empty_typeEEEZZNS1_27merge_sort_block_merge_implIS3_N6thrust23THRUST_200600_302600_NS6detail15normal_iteratorINS9_10device_ptrIfEEEEPS5_jNS1_19radix_merge_compareILb0ELb0EfNS0_19identity_decomposerEEEEE10hipError_tT0_T1_T2_jT3_P12ihipStream_tbPNSt15iterator_traitsISK_E10value_typeEPNSQ_ISL_E10value_typeEPSM_NS1_7vsmem_tEENKUlT_SK_SL_SM_E_clISE_PfSF_SF_EESJ_SZ_SK_SL_SM_EUlSZ_E1_NS1_11comp_targetILNS1_3genE2ELNS1_11target_archE906ELNS1_3gpuE6ELNS1_3repE0EEENS1_36merge_oddeven_config_static_selectorELNS0_4arch9wavefront6targetE0EEEvSL_.has_dyn_sized_stack, 0
	.set _ZN7rocprim17ROCPRIM_400000_NS6detail17trampoline_kernelINS0_14default_configENS1_38merge_sort_block_merge_config_selectorIfNS0_10empty_typeEEEZZNS1_27merge_sort_block_merge_implIS3_N6thrust23THRUST_200600_302600_NS6detail15normal_iteratorINS9_10device_ptrIfEEEEPS5_jNS1_19radix_merge_compareILb0ELb0EfNS0_19identity_decomposerEEEEE10hipError_tT0_T1_T2_jT3_P12ihipStream_tbPNSt15iterator_traitsISK_E10value_typeEPNSQ_ISL_E10value_typeEPSM_NS1_7vsmem_tEENKUlT_SK_SL_SM_E_clISE_PfSF_SF_EESJ_SZ_SK_SL_SM_EUlSZ_E1_NS1_11comp_targetILNS1_3genE2ELNS1_11target_archE906ELNS1_3gpuE6ELNS1_3repE0EEENS1_36merge_oddeven_config_static_selectorELNS0_4arch9wavefront6targetE0EEEvSL_.has_recursion, 0
	.set _ZN7rocprim17ROCPRIM_400000_NS6detail17trampoline_kernelINS0_14default_configENS1_38merge_sort_block_merge_config_selectorIfNS0_10empty_typeEEEZZNS1_27merge_sort_block_merge_implIS3_N6thrust23THRUST_200600_302600_NS6detail15normal_iteratorINS9_10device_ptrIfEEEEPS5_jNS1_19radix_merge_compareILb0ELb0EfNS0_19identity_decomposerEEEEE10hipError_tT0_T1_T2_jT3_P12ihipStream_tbPNSt15iterator_traitsISK_E10value_typeEPNSQ_ISL_E10value_typeEPSM_NS1_7vsmem_tEENKUlT_SK_SL_SM_E_clISE_PfSF_SF_EESJ_SZ_SK_SL_SM_EUlSZ_E1_NS1_11comp_targetILNS1_3genE2ELNS1_11target_archE906ELNS1_3gpuE6ELNS1_3repE0EEENS1_36merge_oddeven_config_static_selectorELNS0_4arch9wavefront6targetE0EEEvSL_.has_indirect_call, 0
	.section	.AMDGPU.csdata,"",@progbits
; Kernel info:
; codeLenInByte = 0
; TotalNumSgprs: 0
; NumVgprs: 0
; ScratchSize: 0
; MemoryBound: 0
; FloatMode: 240
; IeeeMode: 1
; LDSByteSize: 0 bytes/workgroup (compile time only)
; SGPRBlocks: 0
; VGPRBlocks: 0
; NumSGPRsForWavesPerEU: 1
; NumVGPRsForWavesPerEU: 1
; Occupancy: 16
; WaveLimiterHint : 0
; COMPUTE_PGM_RSRC2:SCRATCH_EN: 0
; COMPUTE_PGM_RSRC2:USER_SGPR: 6
; COMPUTE_PGM_RSRC2:TRAP_HANDLER: 0
; COMPUTE_PGM_RSRC2:TGID_X_EN: 1
; COMPUTE_PGM_RSRC2:TGID_Y_EN: 0
; COMPUTE_PGM_RSRC2:TGID_Z_EN: 0
; COMPUTE_PGM_RSRC2:TIDIG_COMP_CNT: 0
	.section	.text._ZN7rocprim17ROCPRIM_400000_NS6detail17trampoline_kernelINS0_14default_configENS1_38merge_sort_block_merge_config_selectorIfNS0_10empty_typeEEEZZNS1_27merge_sort_block_merge_implIS3_N6thrust23THRUST_200600_302600_NS6detail15normal_iteratorINS9_10device_ptrIfEEEEPS5_jNS1_19radix_merge_compareILb0ELb0EfNS0_19identity_decomposerEEEEE10hipError_tT0_T1_T2_jT3_P12ihipStream_tbPNSt15iterator_traitsISK_E10value_typeEPNSQ_ISL_E10value_typeEPSM_NS1_7vsmem_tEENKUlT_SK_SL_SM_E_clISE_PfSF_SF_EESJ_SZ_SK_SL_SM_EUlSZ_E1_NS1_11comp_targetILNS1_3genE9ELNS1_11target_archE1100ELNS1_3gpuE3ELNS1_3repE0EEENS1_36merge_oddeven_config_static_selectorELNS0_4arch9wavefront6targetE0EEEvSL_,"axG",@progbits,_ZN7rocprim17ROCPRIM_400000_NS6detail17trampoline_kernelINS0_14default_configENS1_38merge_sort_block_merge_config_selectorIfNS0_10empty_typeEEEZZNS1_27merge_sort_block_merge_implIS3_N6thrust23THRUST_200600_302600_NS6detail15normal_iteratorINS9_10device_ptrIfEEEEPS5_jNS1_19radix_merge_compareILb0ELb0EfNS0_19identity_decomposerEEEEE10hipError_tT0_T1_T2_jT3_P12ihipStream_tbPNSt15iterator_traitsISK_E10value_typeEPNSQ_ISL_E10value_typeEPSM_NS1_7vsmem_tEENKUlT_SK_SL_SM_E_clISE_PfSF_SF_EESJ_SZ_SK_SL_SM_EUlSZ_E1_NS1_11comp_targetILNS1_3genE9ELNS1_11target_archE1100ELNS1_3gpuE3ELNS1_3repE0EEENS1_36merge_oddeven_config_static_selectorELNS0_4arch9wavefront6targetE0EEEvSL_,comdat
	.protected	_ZN7rocprim17ROCPRIM_400000_NS6detail17trampoline_kernelINS0_14default_configENS1_38merge_sort_block_merge_config_selectorIfNS0_10empty_typeEEEZZNS1_27merge_sort_block_merge_implIS3_N6thrust23THRUST_200600_302600_NS6detail15normal_iteratorINS9_10device_ptrIfEEEEPS5_jNS1_19radix_merge_compareILb0ELb0EfNS0_19identity_decomposerEEEEE10hipError_tT0_T1_T2_jT3_P12ihipStream_tbPNSt15iterator_traitsISK_E10value_typeEPNSQ_ISL_E10value_typeEPSM_NS1_7vsmem_tEENKUlT_SK_SL_SM_E_clISE_PfSF_SF_EESJ_SZ_SK_SL_SM_EUlSZ_E1_NS1_11comp_targetILNS1_3genE9ELNS1_11target_archE1100ELNS1_3gpuE3ELNS1_3repE0EEENS1_36merge_oddeven_config_static_selectorELNS0_4arch9wavefront6targetE0EEEvSL_ ; -- Begin function _ZN7rocprim17ROCPRIM_400000_NS6detail17trampoline_kernelINS0_14default_configENS1_38merge_sort_block_merge_config_selectorIfNS0_10empty_typeEEEZZNS1_27merge_sort_block_merge_implIS3_N6thrust23THRUST_200600_302600_NS6detail15normal_iteratorINS9_10device_ptrIfEEEEPS5_jNS1_19radix_merge_compareILb0ELb0EfNS0_19identity_decomposerEEEEE10hipError_tT0_T1_T2_jT3_P12ihipStream_tbPNSt15iterator_traitsISK_E10value_typeEPNSQ_ISL_E10value_typeEPSM_NS1_7vsmem_tEENKUlT_SK_SL_SM_E_clISE_PfSF_SF_EESJ_SZ_SK_SL_SM_EUlSZ_E1_NS1_11comp_targetILNS1_3genE9ELNS1_11target_archE1100ELNS1_3gpuE3ELNS1_3repE0EEENS1_36merge_oddeven_config_static_selectorELNS0_4arch9wavefront6targetE0EEEvSL_
	.globl	_ZN7rocprim17ROCPRIM_400000_NS6detail17trampoline_kernelINS0_14default_configENS1_38merge_sort_block_merge_config_selectorIfNS0_10empty_typeEEEZZNS1_27merge_sort_block_merge_implIS3_N6thrust23THRUST_200600_302600_NS6detail15normal_iteratorINS9_10device_ptrIfEEEEPS5_jNS1_19radix_merge_compareILb0ELb0EfNS0_19identity_decomposerEEEEE10hipError_tT0_T1_T2_jT3_P12ihipStream_tbPNSt15iterator_traitsISK_E10value_typeEPNSQ_ISL_E10value_typeEPSM_NS1_7vsmem_tEENKUlT_SK_SL_SM_E_clISE_PfSF_SF_EESJ_SZ_SK_SL_SM_EUlSZ_E1_NS1_11comp_targetILNS1_3genE9ELNS1_11target_archE1100ELNS1_3gpuE3ELNS1_3repE0EEENS1_36merge_oddeven_config_static_selectorELNS0_4arch9wavefront6targetE0EEEvSL_
	.p2align	8
	.type	_ZN7rocprim17ROCPRIM_400000_NS6detail17trampoline_kernelINS0_14default_configENS1_38merge_sort_block_merge_config_selectorIfNS0_10empty_typeEEEZZNS1_27merge_sort_block_merge_implIS3_N6thrust23THRUST_200600_302600_NS6detail15normal_iteratorINS9_10device_ptrIfEEEEPS5_jNS1_19radix_merge_compareILb0ELb0EfNS0_19identity_decomposerEEEEE10hipError_tT0_T1_T2_jT3_P12ihipStream_tbPNSt15iterator_traitsISK_E10value_typeEPNSQ_ISL_E10value_typeEPSM_NS1_7vsmem_tEENKUlT_SK_SL_SM_E_clISE_PfSF_SF_EESJ_SZ_SK_SL_SM_EUlSZ_E1_NS1_11comp_targetILNS1_3genE9ELNS1_11target_archE1100ELNS1_3gpuE3ELNS1_3repE0EEENS1_36merge_oddeven_config_static_selectorELNS0_4arch9wavefront6targetE0EEEvSL_,@function
_ZN7rocprim17ROCPRIM_400000_NS6detail17trampoline_kernelINS0_14default_configENS1_38merge_sort_block_merge_config_selectorIfNS0_10empty_typeEEEZZNS1_27merge_sort_block_merge_implIS3_N6thrust23THRUST_200600_302600_NS6detail15normal_iteratorINS9_10device_ptrIfEEEEPS5_jNS1_19radix_merge_compareILb0ELb0EfNS0_19identity_decomposerEEEEE10hipError_tT0_T1_T2_jT3_P12ihipStream_tbPNSt15iterator_traitsISK_E10value_typeEPNSQ_ISL_E10value_typeEPSM_NS1_7vsmem_tEENKUlT_SK_SL_SM_E_clISE_PfSF_SF_EESJ_SZ_SK_SL_SM_EUlSZ_E1_NS1_11comp_targetILNS1_3genE9ELNS1_11target_archE1100ELNS1_3gpuE3ELNS1_3repE0EEENS1_36merge_oddeven_config_static_selectorELNS0_4arch9wavefront6targetE0EEEvSL_: ; @_ZN7rocprim17ROCPRIM_400000_NS6detail17trampoline_kernelINS0_14default_configENS1_38merge_sort_block_merge_config_selectorIfNS0_10empty_typeEEEZZNS1_27merge_sort_block_merge_implIS3_N6thrust23THRUST_200600_302600_NS6detail15normal_iteratorINS9_10device_ptrIfEEEEPS5_jNS1_19radix_merge_compareILb0ELb0EfNS0_19identity_decomposerEEEEE10hipError_tT0_T1_T2_jT3_P12ihipStream_tbPNSt15iterator_traitsISK_E10value_typeEPNSQ_ISL_E10value_typeEPSM_NS1_7vsmem_tEENKUlT_SK_SL_SM_E_clISE_PfSF_SF_EESJ_SZ_SK_SL_SM_EUlSZ_E1_NS1_11comp_targetILNS1_3genE9ELNS1_11target_archE1100ELNS1_3gpuE3ELNS1_3repE0EEENS1_36merge_oddeven_config_static_selectorELNS0_4arch9wavefront6targetE0EEEvSL_
; %bb.0:
	.section	.rodata,"a",@progbits
	.p2align	6, 0x0
	.amdhsa_kernel _ZN7rocprim17ROCPRIM_400000_NS6detail17trampoline_kernelINS0_14default_configENS1_38merge_sort_block_merge_config_selectorIfNS0_10empty_typeEEEZZNS1_27merge_sort_block_merge_implIS3_N6thrust23THRUST_200600_302600_NS6detail15normal_iteratorINS9_10device_ptrIfEEEEPS5_jNS1_19radix_merge_compareILb0ELb0EfNS0_19identity_decomposerEEEEE10hipError_tT0_T1_T2_jT3_P12ihipStream_tbPNSt15iterator_traitsISK_E10value_typeEPNSQ_ISL_E10value_typeEPSM_NS1_7vsmem_tEENKUlT_SK_SL_SM_E_clISE_PfSF_SF_EESJ_SZ_SK_SL_SM_EUlSZ_E1_NS1_11comp_targetILNS1_3genE9ELNS1_11target_archE1100ELNS1_3gpuE3ELNS1_3repE0EEENS1_36merge_oddeven_config_static_selectorELNS0_4arch9wavefront6targetE0EEEvSL_
		.amdhsa_group_segment_fixed_size 0
		.amdhsa_private_segment_fixed_size 0
		.amdhsa_kernarg_size 48
		.amdhsa_user_sgpr_count 6
		.amdhsa_user_sgpr_private_segment_buffer 1
		.amdhsa_user_sgpr_dispatch_ptr 0
		.amdhsa_user_sgpr_queue_ptr 0
		.amdhsa_user_sgpr_kernarg_segment_ptr 1
		.amdhsa_user_sgpr_dispatch_id 0
		.amdhsa_user_sgpr_flat_scratch_init 0
		.amdhsa_user_sgpr_private_segment_size 0
		.amdhsa_wavefront_size32 1
		.amdhsa_uses_dynamic_stack 0
		.amdhsa_system_sgpr_private_segment_wavefront_offset 0
		.amdhsa_system_sgpr_workgroup_id_x 1
		.amdhsa_system_sgpr_workgroup_id_y 0
		.amdhsa_system_sgpr_workgroup_id_z 0
		.amdhsa_system_sgpr_workgroup_info 0
		.amdhsa_system_vgpr_workitem_id 0
		.amdhsa_next_free_vgpr 1
		.amdhsa_next_free_sgpr 1
		.amdhsa_reserve_vcc 0
		.amdhsa_reserve_flat_scratch 0
		.amdhsa_float_round_mode_32 0
		.amdhsa_float_round_mode_16_64 0
		.amdhsa_float_denorm_mode_32 3
		.amdhsa_float_denorm_mode_16_64 3
		.amdhsa_dx10_clamp 1
		.amdhsa_ieee_mode 1
		.amdhsa_fp16_overflow 0
		.amdhsa_workgroup_processor_mode 1
		.amdhsa_memory_ordered 1
		.amdhsa_forward_progress 1
		.amdhsa_shared_vgpr_count 0
		.amdhsa_exception_fp_ieee_invalid_op 0
		.amdhsa_exception_fp_denorm_src 0
		.amdhsa_exception_fp_ieee_div_zero 0
		.amdhsa_exception_fp_ieee_overflow 0
		.amdhsa_exception_fp_ieee_underflow 0
		.amdhsa_exception_fp_ieee_inexact 0
		.amdhsa_exception_int_div_zero 0
	.end_amdhsa_kernel
	.section	.text._ZN7rocprim17ROCPRIM_400000_NS6detail17trampoline_kernelINS0_14default_configENS1_38merge_sort_block_merge_config_selectorIfNS0_10empty_typeEEEZZNS1_27merge_sort_block_merge_implIS3_N6thrust23THRUST_200600_302600_NS6detail15normal_iteratorINS9_10device_ptrIfEEEEPS5_jNS1_19radix_merge_compareILb0ELb0EfNS0_19identity_decomposerEEEEE10hipError_tT0_T1_T2_jT3_P12ihipStream_tbPNSt15iterator_traitsISK_E10value_typeEPNSQ_ISL_E10value_typeEPSM_NS1_7vsmem_tEENKUlT_SK_SL_SM_E_clISE_PfSF_SF_EESJ_SZ_SK_SL_SM_EUlSZ_E1_NS1_11comp_targetILNS1_3genE9ELNS1_11target_archE1100ELNS1_3gpuE3ELNS1_3repE0EEENS1_36merge_oddeven_config_static_selectorELNS0_4arch9wavefront6targetE0EEEvSL_,"axG",@progbits,_ZN7rocprim17ROCPRIM_400000_NS6detail17trampoline_kernelINS0_14default_configENS1_38merge_sort_block_merge_config_selectorIfNS0_10empty_typeEEEZZNS1_27merge_sort_block_merge_implIS3_N6thrust23THRUST_200600_302600_NS6detail15normal_iteratorINS9_10device_ptrIfEEEEPS5_jNS1_19radix_merge_compareILb0ELb0EfNS0_19identity_decomposerEEEEE10hipError_tT0_T1_T2_jT3_P12ihipStream_tbPNSt15iterator_traitsISK_E10value_typeEPNSQ_ISL_E10value_typeEPSM_NS1_7vsmem_tEENKUlT_SK_SL_SM_E_clISE_PfSF_SF_EESJ_SZ_SK_SL_SM_EUlSZ_E1_NS1_11comp_targetILNS1_3genE9ELNS1_11target_archE1100ELNS1_3gpuE3ELNS1_3repE0EEENS1_36merge_oddeven_config_static_selectorELNS0_4arch9wavefront6targetE0EEEvSL_,comdat
.Lfunc_end521:
	.size	_ZN7rocprim17ROCPRIM_400000_NS6detail17trampoline_kernelINS0_14default_configENS1_38merge_sort_block_merge_config_selectorIfNS0_10empty_typeEEEZZNS1_27merge_sort_block_merge_implIS3_N6thrust23THRUST_200600_302600_NS6detail15normal_iteratorINS9_10device_ptrIfEEEEPS5_jNS1_19radix_merge_compareILb0ELb0EfNS0_19identity_decomposerEEEEE10hipError_tT0_T1_T2_jT3_P12ihipStream_tbPNSt15iterator_traitsISK_E10value_typeEPNSQ_ISL_E10value_typeEPSM_NS1_7vsmem_tEENKUlT_SK_SL_SM_E_clISE_PfSF_SF_EESJ_SZ_SK_SL_SM_EUlSZ_E1_NS1_11comp_targetILNS1_3genE9ELNS1_11target_archE1100ELNS1_3gpuE3ELNS1_3repE0EEENS1_36merge_oddeven_config_static_selectorELNS0_4arch9wavefront6targetE0EEEvSL_, .Lfunc_end521-_ZN7rocprim17ROCPRIM_400000_NS6detail17trampoline_kernelINS0_14default_configENS1_38merge_sort_block_merge_config_selectorIfNS0_10empty_typeEEEZZNS1_27merge_sort_block_merge_implIS3_N6thrust23THRUST_200600_302600_NS6detail15normal_iteratorINS9_10device_ptrIfEEEEPS5_jNS1_19radix_merge_compareILb0ELb0EfNS0_19identity_decomposerEEEEE10hipError_tT0_T1_T2_jT3_P12ihipStream_tbPNSt15iterator_traitsISK_E10value_typeEPNSQ_ISL_E10value_typeEPSM_NS1_7vsmem_tEENKUlT_SK_SL_SM_E_clISE_PfSF_SF_EESJ_SZ_SK_SL_SM_EUlSZ_E1_NS1_11comp_targetILNS1_3genE9ELNS1_11target_archE1100ELNS1_3gpuE3ELNS1_3repE0EEENS1_36merge_oddeven_config_static_selectorELNS0_4arch9wavefront6targetE0EEEvSL_
                                        ; -- End function
	.set _ZN7rocprim17ROCPRIM_400000_NS6detail17trampoline_kernelINS0_14default_configENS1_38merge_sort_block_merge_config_selectorIfNS0_10empty_typeEEEZZNS1_27merge_sort_block_merge_implIS3_N6thrust23THRUST_200600_302600_NS6detail15normal_iteratorINS9_10device_ptrIfEEEEPS5_jNS1_19radix_merge_compareILb0ELb0EfNS0_19identity_decomposerEEEEE10hipError_tT0_T1_T2_jT3_P12ihipStream_tbPNSt15iterator_traitsISK_E10value_typeEPNSQ_ISL_E10value_typeEPSM_NS1_7vsmem_tEENKUlT_SK_SL_SM_E_clISE_PfSF_SF_EESJ_SZ_SK_SL_SM_EUlSZ_E1_NS1_11comp_targetILNS1_3genE9ELNS1_11target_archE1100ELNS1_3gpuE3ELNS1_3repE0EEENS1_36merge_oddeven_config_static_selectorELNS0_4arch9wavefront6targetE0EEEvSL_.num_vgpr, 0
	.set _ZN7rocprim17ROCPRIM_400000_NS6detail17trampoline_kernelINS0_14default_configENS1_38merge_sort_block_merge_config_selectorIfNS0_10empty_typeEEEZZNS1_27merge_sort_block_merge_implIS3_N6thrust23THRUST_200600_302600_NS6detail15normal_iteratorINS9_10device_ptrIfEEEEPS5_jNS1_19radix_merge_compareILb0ELb0EfNS0_19identity_decomposerEEEEE10hipError_tT0_T1_T2_jT3_P12ihipStream_tbPNSt15iterator_traitsISK_E10value_typeEPNSQ_ISL_E10value_typeEPSM_NS1_7vsmem_tEENKUlT_SK_SL_SM_E_clISE_PfSF_SF_EESJ_SZ_SK_SL_SM_EUlSZ_E1_NS1_11comp_targetILNS1_3genE9ELNS1_11target_archE1100ELNS1_3gpuE3ELNS1_3repE0EEENS1_36merge_oddeven_config_static_selectorELNS0_4arch9wavefront6targetE0EEEvSL_.num_agpr, 0
	.set _ZN7rocprim17ROCPRIM_400000_NS6detail17trampoline_kernelINS0_14default_configENS1_38merge_sort_block_merge_config_selectorIfNS0_10empty_typeEEEZZNS1_27merge_sort_block_merge_implIS3_N6thrust23THRUST_200600_302600_NS6detail15normal_iteratorINS9_10device_ptrIfEEEEPS5_jNS1_19radix_merge_compareILb0ELb0EfNS0_19identity_decomposerEEEEE10hipError_tT0_T1_T2_jT3_P12ihipStream_tbPNSt15iterator_traitsISK_E10value_typeEPNSQ_ISL_E10value_typeEPSM_NS1_7vsmem_tEENKUlT_SK_SL_SM_E_clISE_PfSF_SF_EESJ_SZ_SK_SL_SM_EUlSZ_E1_NS1_11comp_targetILNS1_3genE9ELNS1_11target_archE1100ELNS1_3gpuE3ELNS1_3repE0EEENS1_36merge_oddeven_config_static_selectorELNS0_4arch9wavefront6targetE0EEEvSL_.numbered_sgpr, 0
	.set _ZN7rocprim17ROCPRIM_400000_NS6detail17trampoline_kernelINS0_14default_configENS1_38merge_sort_block_merge_config_selectorIfNS0_10empty_typeEEEZZNS1_27merge_sort_block_merge_implIS3_N6thrust23THRUST_200600_302600_NS6detail15normal_iteratorINS9_10device_ptrIfEEEEPS5_jNS1_19radix_merge_compareILb0ELb0EfNS0_19identity_decomposerEEEEE10hipError_tT0_T1_T2_jT3_P12ihipStream_tbPNSt15iterator_traitsISK_E10value_typeEPNSQ_ISL_E10value_typeEPSM_NS1_7vsmem_tEENKUlT_SK_SL_SM_E_clISE_PfSF_SF_EESJ_SZ_SK_SL_SM_EUlSZ_E1_NS1_11comp_targetILNS1_3genE9ELNS1_11target_archE1100ELNS1_3gpuE3ELNS1_3repE0EEENS1_36merge_oddeven_config_static_selectorELNS0_4arch9wavefront6targetE0EEEvSL_.num_named_barrier, 0
	.set _ZN7rocprim17ROCPRIM_400000_NS6detail17trampoline_kernelINS0_14default_configENS1_38merge_sort_block_merge_config_selectorIfNS0_10empty_typeEEEZZNS1_27merge_sort_block_merge_implIS3_N6thrust23THRUST_200600_302600_NS6detail15normal_iteratorINS9_10device_ptrIfEEEEPS5_jNS1_19radix_merge_compareILb0ELb0EfNS0_19identity_decomposerEEEEE10hipError_tT0_T1_T2_jT3_P12ihipStream_tbPNSt15iterator_traitsISK_E10value_typeEPNSQ_ISL_E10value_typeEPSM_NS1_7vsmem_tEENKUlT_SK_SL_SM_E_clISE_PfSF_SF_EESJ_SZ_SK_SL_SM_EUlSZ_E1_NS1_11comp_targetILNS1_3genE9ELNS1_11target_archE1100ELNS1_3gpuE3ELNS1_3repE0EEENS1_36merge_oddeven_config_static_selectorELNS0_4arch9wavefront6targetE0EEEvSL_.private_seg_size, 0
	.set _ZN7rocprim17ROCPRIM_400000_NS6detail17trampoline_kernelINS0_14default_configENS1_38merge_sort_block_merge_config_selectorIfNS0_10empty_typeEEEZZNS1_27merge_sort_block_merge_implIS3_N6thrust23THRUST_200600_302600_NS6detail15normal_iteratorINS9_10device_ptrIfEEEEPS5_jNS1_19radix_merge_compareILb0ELb0EfNS0_19identity_decomposerEEEEE10hipError_tT0_T1_T2_jT3_P12ihipStream_tbPNSt15iterator_traitsISK_E10value_typeEPNSQ_ISL_E10value_typeEPSM_NS1_7vsmem_tEENKUlT_SK_SL_SM_E_clISE_PfSF_SF_EESJ_SZ_SK_SL_SM_EUlSZ_E1_NS1_11comp_targetILNS1_3genE9ELNS1_11target_archE1100ELNS1_3gpuE3ELNS1_3repE0EEENS1_36merge_oddeven_config_static_selectorELNS0_4arch9wavefront6targetE0EEEvSL_.uses_vcc, 0
	.set _ZN7rocprim17ROCPRIM_400000_NS6detail17trampoline_kernelINS0_14default_configENS1_38merge_sort_block_merge_config_selectorIfNS0_10empty_typeEEEZZNS1_27merge_sort_block_merge_implIS3_N6thrust23THRUST_200600_302600_NS6detail15normal_iteratorINS9_10device_ptrIfEEEEPS5_jNS1_19radix_merge_compareILb0ELb0EfNS0_19identity_decomposerEEEEE10hipError_tT0_T1_T2_jT3_P12ihipStream_tbPNSt15iterator_traitsISK_E10value_typeEPNSQ_ISL_E10value_typeEPSM_NS1_7vsmem_tEENKUlT_SK_SL_SM_E_clISE_PfSF_SF_EESJ_SZ_SK_SL_SM_EUlSZ_E1_NS1_11comp_targetILNS1_3genE9ELNS1_11target_archE1100ELNS1_3gpuE3ELNS1_3repE0EEENS1_36merge_oddeven_config_static_selectorELNS0_4arch9wavefront6targetE0EEEvSL_.uses_flat_scratch, 0
	.set _ZN7rocprim17ROCPRIM_400000_NS6detail17trampoline_kernelINS0_14default_configENS1_38merge_sort_block_merge_config_selectorIfNS0_10empty_typeEEEZZNS1_27merge_sort_block_merge_implIS3_N6thrust23THRUST_200600_302600_NS6detail15normal_iteratorINS9_10device_ptrIfEEEEPS5_jNS1_19radix_merge_compareILb0ELb0EfNS0_19identity_decomposerEEEEE10hipError_tT0_T1_T2_jT3_P12ihipStream_tbPNSt15iterator_traitsISK_E10value_typeEPNSQ_ISL_E10value_typeEPSM_NS1_7vsmem_tEENKUlT_SK_SL_SM_E_clISE_PfSF_SF_EESJ_SZ_SK_SL_SM_EUlSZ_E1_NS1_11comp_targetILNS1_3genE9ELNS1_11target_archE1100ELNS1_3gpuE3ELNS1_3repE0EEENS1_36merge_oddeven_config_static_selectorELNS0_4arch9wavefront6targetE0EEEvSL_.has_dyn_sized_stack, 0
	.set _ZN7rocprim17ROCPRIM_400000_NS6detail17trampoline_kernelINS0_14default_configENS1_38merge_sort_block_merge_config_selectorIfNS0_10empty_typeEEEZZNS1_27merge_sort_block_merge_implIS3_N6thrust23THRUST_200600_302600_NS6detail15normal_iteratorINS9_10device_ptrIfEEEEPS5_jNS1_19radix_merge_compareILb0ELb0EfNS0_19identity_decomposerEEEEE10hipError_tT0_T1_T2_jT3_P12ihipStream_tbPNSt15iterator_traitsISK_E10value_typeEPNSQ_ISL_E10value_typeEPSM_NS1_7vsmem_tEENKUlT_SK_SL_SM_E_clISE_PfSF_SF_EESJ_SZ_SK_SL_SM_EUlSZ_E1_NS1_11comp_targetILNS1_3genE9ELNS1_11target_archE1100ELNS1_3gpuE3ELNS1_3repE0EEENS1_36merge_oddeven_config_static_selectorELNS0_4arch9wavefront6targetE0EEEvSL_.has_recursion, 0
	.set _ZN7rocprim17ROCPRIM_400000_NS6detail17trampoline_kernelINS0_14default_configENS1_38merge_sort_block_merge_config_selectorIfNS0_10empty_typeEEEZZNS1_27merge_sort_block_merge_implIS3_N6thrust23THRUST_200600_302600_NS6detail15normal_iteratorINS9_10device_ptrIfEEEEPS5_jNS1_19radix_merge_compareILb0ELb0EfNS0_19identity_decomposerEEEEE10hipError_tT0_T1_T2_jT3_P12ihipStream_tbPNSt15iterator_traitsISK_E10value_typeEPNSQ_ISL_E10value_typeEPSM_NS1_7vsmem_tEENKUlT_SK_SL_SM_E_clISE_PfSF_SF_EESJ_SZ_SK_SL_SM_EUlSZ_E1_NS1_11comp_targetILNS1_3genE9ELNS1_11target_archE1100ELNS1_3gpuE3ELNS1_3repE0EEENS1_36merge_oddeven_config_static_selectorELNS0_4arch9wavefront6targetE0EEEvSL_.has_indirect_call, 0
	.section	.AMDGPU.csdata,"",@progbits
; Kernel info:
; codeLenInByte = 0
; TotalNumSgprs: 0
; NumVgprs: 0
; ScratchSize: 0
; MemoryBound: 0
; FloatMode: 240
; IeeeMode: 1
; LDSByteSize: 0 bytes/workgroup (compile time only)
; SGPRBlocks: 0
; VGPRBlocks: 0
; NumSGPRsForWavesPerEU: 1
; NumVGPRsForWavesPerEU: 1
; Occupancy: 16
; WaveLimiterHint : 0
; COMPUTE_PGM_RSRC2:SCRATCH_EN: 0
; COMPUTE_PGM_RSRC2:USER_SGPR: 6
; COMPUTE_PGM_RSRC2:TRAP_HANDLER: 0
; COMPUTE_PGM_RSRC2:TGID_X_EN: 1
; COMPUTE_PGM_RSRC2:TGID_Y_EN: 0
; COMPUTE_PGM_RSRC2:TGID_Z_EN: 0
; COMPUTE_PGM_RSRC2:TIDIG_COMP_CNT: 0
	.section	.text._ZN7rocprim17ROCPRIM_400000_NS6detail17trampoline_kernelINS0_14default_configENS1_38merge_sort_block_merge_config_selectorIfNS0_10empty_typeEEEZZNS1_27merge_sort_block_merge_implIS3_N6thrust23THRUST_200600_302600_NS6detail15normal_iteratorINS9_10device_ptrIfEEEEPS5_jNS1_19radix_merge_compareILb0ELb0EfNS0_19identity_decomposerEEEEE10hipError_tT0_T1_T2_jT3_P12ihipStream_tbPNSt15iterator_traitsISK_E10value_typeEPNSQ_ISL_E10value_typeEPSM_NS1_7vsmem_tEENKUlT_SK_SL_SM_E_clISE_PfSF_SF_EESJ_SZ_SK_SL_SM_EUlSZ_E1_NS1_11comp_targetILNS1_3genE8ELNS1_11target_archE1030ELNS1_3gpuE2ELNS1_3repE0EEENS1_36merge_oddeven_config_static_selectorELNS0_4arch9wavefront6targetE0EEEvSL_,"axG",@progbits,_ZN7rocprim17ROCPRIM_400000_NS6detail17trampoline_kernelINS0_14default_configENS1_38merge_sort_block_merge_config_selectorIfNS0_10empty_typeEEEZZNS1_27merge_sort_block_merge_implIS3_N6thrust23THRUST_200600_302600_NS6detail15normal_iteratorINS9_10device_ptrIfEEEEPS5_jNS1_19radix_merge_compareILb0ELb0EfNS0_19identity_decomposerEEEEE10hipError_tT0_T1_T2_jT3_P12ihipStream_tbPNSt15iterator_traitsISK_E10value_typeEPNSQ_ISL_E10value_typeEPSM_NS1_7vsmem_tEENKUlT_SK_SL_SM_E_clISE_PfSF_SF_EESJ_SZ_SK_SL_SM_EUlSZ_E1_NS1_11comp_targetILNS1_3genE8ELNS1_11target_archE1030ELNS1_3gpuE2ELNS1_3repE0EEENS1_36merge_oddeven_config_static_selectorELNS0_4arch9wavefront6targetE0EEEvSL_,comdat
	.protected	_ZN7rocprim17ROCPRIM_400000_NS6detail17trampoline_kernelINS0_14default_configENS1_38merge_sort_block_merge_config_selectorIfNS0_10empty_typeEEEZZNS1_27merge_sort_block_merge_implIS3_N6thrust23THRUST_200600_302600_NS6detail15normal_iteratorINS9_10device_ptrIfEEEEPS5_jNS1_19radix_merge_compareILb0ELb0EfNS0_19identity_decomposerEEEEE10hipError_tT0_T1_T2_jT3_P12ihipStream_tbPNSt15iterator_traitsISK_E10value_typeEPNSQ_ISL_E10value_typeEPSM_NS1_7vsmem_tEENKUlT_SK_SL_SM_E_clISE_PfSF_SF_EESJ_SZ_SK_SL_SM_EUlSZ_E1_NS1_11comp_targetILNS1_3genE8ELNS1_11target_archE1030ELNS1_3gpuE2ELNS1_3repE0EEENS1_36merge_oddeven_config_static_selectorELNS0_4arch9wavefront6targetE0EEEvSL_ ; -- Begin function _ZN7rocprim17ROCPRIM_400000_NS6detail17trampoline_kernelINS0_14default_configENS1_38merge_sort_block_merge_config_selectorIfNS0_10empty_typeEEEZZNS1_27merge_sort_block_merge_implIS3_N6thrust23THRUST_200600_302600_NS6detail15normal_iteratorINS9_10device_ptrIfEEEEPS5_jNS1_19radix_merge_compareILb0ELb0EfNS0_19identity_decomposerEEEEE10hipError_tT0_T1_T2_jT3_P12ihipStream_tbPNSt15iterator_traitsISK_E10value_typeEPNSQ_ISL_E10value_typeEPSM_NS1_7vsmem_tEENKUlT_SK_SL_SM_E_clISE_PfSF_SF_EESJ_SZ_SK_SL_SM_EUlSZ_E1_NS1_11comp_targetILNS1_3genE8ELNS1_11target_archE1030ELNS1_3gpuE2ELNS1_3repE0EEENS1_36merge_oddeven_config_static_selectorELNS0_4arch9wavefront6targetE0EEEvSL_
	.globl	_ZN7rocprim17ROCPRIM_400000_NS6detail17trampoline_kernelINS0_14default_configENS1_38merge_sort_block_merge_config_selectorIfNS0_10empty_typeEEEZZNS1_27merge_sort_block_merge_implIS3_N6thrust23THRUST_200600_302600_NS6detail15normal_iteratorINS9_10device_ptrIfEEEEPS5_jNS1_19radix_merge_compareILb0ELb0EfNS0_19identity_decomposerEEEEE10hipError_tT0_T1_T2_jT3_P12ihipStream_tbPNSt15iterator_traitsISK_E10value_typeEPNSQ_ISL_E10value_typeEPSM_NS1_7vsmem_tEENKUlT_SK_SL_SM_E_clISE_PfSF_SF_EESJ_SZ_SK_SL_SM_EUlSZ_E1_NS1_11comp_targetILNS1_3genE8ELNS1_11target_archE1030ELNS1_3gpuE2ELNS1_3repE0EEENS1_36merge_oddeven_config_static_selectorELNS0_4arch9wavefront6targetE0EEEvSL_
	.p2align	8
	.type	_ZN7rocprim17ROCPRIM_400000_NS6detail17trampoline_kernelINS0_14default_configENS1_38merge_sort_block_merge_config_selectorIfNS0_10empty_typeEEEZZNS1_27merge_sort_block_merge_implIS3_N6thrust23THRUST_200600_302600_NS6detail15normal_iteratorINS9_10device_ptrIfEEEEPS5_jNS1_19radix_merge_compareILb0ELb0EfNS0_19identity_decomposerEEEEE10hipError_tT0_T1_T2_jT3_P12ihipStream_tbPNSt15iterator_traitsISK_E10value_typeEPNSQ_ISL_E10value_typeEPSM_NS1_7vsmem_tEENKUlT_SK_SL_SM_E_clISE_PfSF_SF_EESJ_SZ_SK_SL_SM_EUlSZ_E1_NS1_11comp_targetILNS1_3genE8ELNS1_11target_archE1030ELNS1_3gpuE2ELNS1_3repE0EEENS1_36merge_oddeven_config_static_selectorELNS0_4arch9wavefront6targetE0EEEvSL_,@function
_ZN7rocprim17ROCPRIM_400000_NS6detail17trampoline_kernelINS0_14default_configENS1_38merge_sort_block_merge_config_selectorIfNS0_10empty_typeEEEZZNS1_27merge_sort_block_merge_implIS3_N6thrust23THRUST_200600_302600_NS6detail15normal_iteratorINS9_10device_ptrIfEEEEPS5_jNS1_19radix_merge_compareILb0ELb0EfNS0_19identity_decomposerEEEEE10hipError_tT0_T1_T2_jT3_P12ihipStream_tbPNSt15iterator_traitsISK_E10value_typeEPNSQ_ISL_E10value_typeEPSM_NS1_7vsmem_tEENKUlT_SK_SL_SM_E_clISE_PfSF_SF_EESJ_SZ_SK_SL_SM_EUlSZ_E1_NS1_11comp_targetILNS1_3genE8ELNS1_11target_archE1030ELNS1_3gpuE2ELNS1_3repE0EEENS1_36merge_oddeven_config_static_selectorELNS0_4arch9wavefront6targetE0EEEvSL_: ; @_ZN7rocprim17ROCPRIM_400000_NS6detail17trampoline_kernelINS0_14default_configENS1_38merge_sort_block_merge_config_selectorIfNS0_10empty_typeEEEZZNS1_27merge_sort_block_merge_implIS3_N6thrust23THRUST_200600_302600_NS6detail15normal_iteratorINS9_10device_ptrIfEEEEPS5_jNS1_19radix_merge_compareILb0ELb0EfNS0_19identity_decomposerEEEEE10hipError_tT0_T1_T2_jT3_P12ihipStream_tbPNSt15iterator_traitsISK_E10value_typeEPNSQ_ISL_E10value_typeEPSM_NS1_7vsmem_tEENKUlT_SK_SL_SM_E_clISE_PfSF_SF_EESJ_SZ_SK_SL_SM_EUlSZ_E1_NS1_11comp_targetILNS1_3genE8ELNS1_11target_archE1030ELNS1_3gpuE2ELNS1_3repE0EEENS1_36merge_oddeven_config_static_selectorELNS0_4arch9wavefront6targetE0EEEvSL_
; %bb.0:
	s_load_dword s7, s[4:5], 0x20
	s_waitcnt lgkmcnt(0)
	s_lshr_b32 s0, s7, 8
	s_cmp_lg_u32 s6, s0
	s_cselect_b32 s13, -1, 0
	s_cmp_eq_u32 s6, s0
	s_cselect_b32 s12, -1, 0
	s_lshl_b32 s2, s6, 8
	s_sub_i32 s0, s7, s2
	v_cmp_gt_u32_e64 s1, s0, v0
	s_or_b32 s0, s13, s1
	s_and_saveexec_b32 s3, s0
	s_cbranch_execz .LBB522_20
; %bb.1:
	s_load_dwordx4 s[8:11], s[4:5], 0x0
	s_mov_b32 s3, 0
	v_lshlrev_b32_e32 v1, 2, v0
	s_lshl_b64 s[14:15], s[2:3], 2
	s_load_dword s5, s[4:5], 0x24
	v_add_nc_u32_e32 v0, s2, v0
	s_waitcnt lgkmcnt(0)
	s_add_u32 s14, s8, s14
	s_addc_u32 s15, s9, s15
	global_load_dword v2, v1, s[14:15]
	s_lshr_b32 s0, s5, 8
	s_sub_i32 s4, 0, s0
	s_and_b32 s4, s6, s4
	s_and_b32 s0, s4, s0
	s_lshl_b32 s6, s4, 8
	s_sub_i32 s4, 0, s5
	s_cmp_eq_u32 s0, 0
	s_cselect_b32 s0, -1, 0
	s_and_b32 s14, s0, exec_lo
	s_cselect_b32 s4, s5, s4
	s_add_i32 s4, s4, s6
	s_cmp_gt_u32 s7, s4
	s_cbranch_scc1 .LBB522_3
; %bb.2:
	v_cmp_gt_u32_e32 vcc_lo, s7, v0
	s_or_b32 s3, vcc_lo, s13
	s_and_b32 s3, s3, exec_lo
	s_cbranch_execz .LBB522_4
	s_branch .LBB522_18
.LBB522_3:
.LBB522_4:
	s_waitcnt vmcnt(0)
	v_add_f32_e32 v1, 0, v2
	s_min_u32 s2, s4, s7
	s_and_b32 vcc_lo, exec_lo, s12
	s_add_i32 s13, s6, s2
	s_min_u32 s6, s6, s2
	v_ashrrev_i32_e32 v3, 31, v1
	v_subrev_nc_u32_e32 v0, s13, v0
	s_add_i32 s5, s2, s5
	s_min_u32 s5, s5, s7
	v_or_b32_e32 v4, 0x80000000, v3
	v_add_nc_u32_e32 v3, s6, v0
	v_xor_b32_e32 v4, v4, v1
	s_cbranch_vccz .LBB522_12
; %bb.5:
                                        ; implicit-def: $vgpr0
	s_and_saveexec_b32 s6, s1
	s_cbranch_execz .LBB522_11
; %bb.6:
	v_mov_b32_e32 v5, s2
	s_cmp_ge_u32 s4, s5
	s_cbranch_scc1 .LBB522_10
; %bb.7:
	v_mov_b32_e32 v6, s5
	v_mov_b32_e32 v5, s2
	;; [unrolled: 1-line block ×3, first 2 shown]
	s_mov_b32 s1, 0
	.p2align	6
.LBB522_8:                              ; =>This Inner Loop Header: Depth=1
	v_add_nc_u32_e32 v0, v5, v6
	v_lshrrev_b32_e32 v0, 1, v0
	v_lshlrev_b64 v[7:8], 2, v[0:1]
	v_add_co_u32 v7, vcc_lo, s8, v7
	v_add_co_ci_u32_e64 v8, null, s9, v8, vcc_lo
	global_load_dword v7, v[7:8], off
	s_waitcnt vmcnt(0)
	v_add_f32_e32 v7, 0, v7
	v_ashrrev_i32_e32 v8, 31, v7
	v_or_b32_e32 v8, 0x80000000, v8
	v_xor_b32_e32 v7, v8, v7
	v_cmp_gt_u32_e32 vcc_lo, v4, v7
	v_cndmask_b32_e64 v8, 0, 1, vcc_lo
	v_cmp_le_u32_e32 vcc_lo, v7, v4
	v_cndmask_b32_e64 v7, 0, 1, vcc_lo
	v_cndmask_b32_e64 v7, v7, v8, s0
	v_add_nc_u32_e32 v8, 1, v0
	v_and_b32_e32 v7, 1, v7
	v_cmp_eq_u32_e32 vcc_lo, 1, v7
	v_cndmask_b32_e32 v6, v0, v6, vcc_lo
	v_cndmask_b32_e32 v5, v5, v8, vcc_lo
	v_cmp_ge_u32_e32 vcc_lo, v5, v6
	s_or_b32 s1, vcc_lo, s1
	s_andn2_b32 exec_lo, exec_lo, s1
	s_cbranch_execnz .LBB522_8
; %bb.9:
	s_or_b32 exec_lo, exec_lo, s1
.LBB522_10:
	v_add_nc_u32_e32 v0, v5, v3
	s_or_b32 s3, s3, exec_lo
.LBB522_11:
	s_or_b32 exec_lo, exec_lo, s6
	s_branch .LBB522_18
.LBB522_12:
                                        ; implicit-def: $vgpr0
	s_cbranch_execz .LBB522_18
; %bb.13:
	v_mov_b32_e32 v5, s2
	s_cmp_ge_u32 s4, s5
	s_cbranch_scc1 .LBB522_17
; %bb.14:
	v_mov_b32_e32 v6, s5
	v_mov_b32_e32 v5, s2
	;; [unrolled: 1-line block ×3, first 2 shown]
	s_mov_b32 s1, 0
	.p2align	6
.LBB522_15:                             ; =>This Inner Loop Header: Depth=1
	v_add_nc_u32_e32 v0, v5, v6
	v_lshrrev_b32_e32 v0, 1, v0
	v_lshlrev_b64 v[7:8], 2, v[0:1]
	v_add_co_u32 v7, vcc_lo, s8, v7
	v_add_co_ci_u32_e64 v8, null, s9, v8, vcc_lo
	global_load_dword v7, v[7:8], off
	s_waitcnt vmcnt(0)
	v_add_f32_e32 v7, 0, v7
	v_ashrrev_i32_e32 v8, 31, v7
	v_or_b32_e32 v8, 0x80000000, v8
	v_xor_b32_e32 v7, v8, v7
	v_cmp_gt_u32_e32 vcc_lo, v4, v7
	v_cndmask_b32_e64 v8, 0, 1, vcc_lo
	v_cmp_le_u32_e32 vcc_lo, v7, v4
	v_cndmask_b32_e64 v7, 0, 1, vcc_lo
	v_cndmask_b32_e64 v7, v7, v8, s0
	v_add_nc_u32_e32 v8, 1, v0
	v_and_b32_e32 v7, 1, v7
	v_cmp_eq_u32_e32 vcc_lo, 1, v7
	v_cndmask_b32_e32 v6, v0, v6, vcc_lo
	v_cndmask_b32_e32 v5, v5, v8, vcc_lo
	v_cmp_ge_u32_e32 vcc_lo, v5, v6
	s_or_b32 s1, vcc_lo, s1
	s_andn2_b32 exec_lo, exec_lo, s1
	s_cbranch_execnz .LBB522_15
; %bb.16:
	s_or_b32 exec_lo, exec_lo, s1
.LBB522_17:
	v_add_nc_u32_e32 v0, v5, v3
	s_mov_b32 s3, -1
.LBB522_18:
	s_and_b32 exec_lo, exec_lo, s3
	s_cbranch_execz .LBB522_20
; %bb.19:
	v_mov_b32_e32 v1, 0
	v_lshlrev_b64 v[0:1], 2, v[0:1]
	v_add_co_u32 v0, vcc_lo, s10, v0
	v_add_co_ci_u32_e64 v1, null, s11, v1, vcc_lo
	s_waitcnt vmcnt(0)
	global_store_dword v[0:1], v2, off
.LBB522_20:
	s_endpgm
	.section	.rodata,"a",@progbits
	.p2align	6, 0x0
	.amdhsa_kernel _ZN7rocprim17ROCPRIM_400000_NS6detail17trampoline_kernelINS0_14default_configENS1_38merge_sort_block_merge_config_selectorIfNS0_10empty_typeEEEZZNS1_27merge_sort_block_merge_implIS3_N6thrust23THRUST_200600_302600_NS6detail15normal_iteratorINS9_10device_ptrIfEEEEPS5_jNS1_19radix_merge_compareILb0ELb0EfNS0_19identity_decomposerEEEEE10hipError_tT0_T1_T2_jT3_P12ihipStream_tbPNSt15iterator_traitsISK_E10value_typeEPNSQ_ISL_E10value_typeEPSM_NS1_7vsmem_tEENKUlT_SK_SL_SM_E_clISE_PfSF_SF_EESJ_SZ_SK_SL_SM_EUlSZ_E1_NS1_11comp_targetILNS1_3genE8ELNS1_11target_archE1030ELNS1_3gpuE2ELNS1_3repE0EEENS1_36merge_oddeven_config_static_selectorELNS0_4arch9wavefront6targetE0EEEvSL_
		.amdhsa_group_segment_fixed_size 0
		.amdhsa_private_segment_fixed_size 0
		.amdhsa_kernarg_size 48
		.amdhsa_user_sgpr_count 6
		.amdhsa_user_sgpr_private_segment_buffer 1
		.amdhsa_user_sgpr_dispatch_ptr 0
		.amdhsa_user_sgpr_queue_ptr 0
		.amdhsa_user_sgpr_kernarg_segment_ptr 1
		.amdhsa_user_sgpr_dispatch_id 0
		.amdhsa_user_sgpr_flat_scratch_init 0
		.amdhsa_user_sgpr_private_segment_size 0
		.amdhsa_wavefront_size32 1
		.amdhsa_uses_dynamic_stack 0
		.amdhsa_system_sgpr_private_segment_wavefront_offset 0
		.amdhsa_system_sgpr_workgroup_id_x 1
		.amdhsa_system_sgpr_workgroup_id_y 0
		.amdhsa_system_sgpr_workgroup_id_z 0
		.amdhsa_system_sgpr_workgroup_info 0
		.amdhsa_system_vgpr_workitem_id 0
		.amdhsa_next_free_vgpr 9
		.amdhsa_next_free_sgpr 16
		.amdhsa_reserve_vcc 1
		.amdhsa_reserve_flat_scratch 0
		.amdhsa_float_round_mode_32 0
		.amdhsa_float_round_mode_16_64 0
		.amdhsa_float_denorm_mode_32 3
		.amdhsa_float_denorm_mode_16_64 3
		.amdhsa_dx10_clamp 1
		.amdhsa_ieee_mode 1
		.amdhsa_fp16_overflow 0
		.amdhsa_workgroup_processor_mode 1
		.amdhsa_memory_ordered 1
		.amdhsa_forward_progress 1
		.amdhsa_shared_vgpr_count 0
		.amdhsa_exception_fp_ieee_invalid_op 0
		.amdhsa_exception_fp_denorm_src 0
		.amdhsa_exception_fp_ieee_div_zero 0
		.amdhsa_exception_fp_ieee_overflow 0
		.amdhsa_exception_fp_ieee_underflow 0
		.amdhsa_exception_fp_ieee_inexact 0
		.amdhsa_exception_int_div_zero 0
	.end_amdhsa_kernel
	.section	.text._ZN7rocprim17ROCPRIM_400000_NS6detail17trampoline_kernelINS0_14default_configENS1_38merge_sort_block_merge_config_selectorIfNS0_10empty_typeEEEZZNS1_27merge_sort_block_merge_implIS3_N6thrust23THRUST_200600_302600_NS6detail15normal_iteratorINS9_10device_ptrIfEEEEPS5_jNS1_19radix_merge_compareILb0ELb0EfNS0_19identity_decomposerEEEEE10hipError_tT0_T1_T2_jT3_P12ihipStream_tbPNSt15iterator_traitsISK_E10value_typeEPNSQ_ISL_E10value_typeEPSM_NS1_7vsmem_tEENKUlT_SK_SL_SM_E_clISE_PfSF_SF_EESJ_SZ_SK_SL_SM_EUlSZ_E1_NS1_11comp_targetILNS1_3genE8ELNS1_11target_archE1030ELNS1_3gpuE2ELNS1_3repE0EEENS1_36merge_oddeven_config_static_selectorELNS0_4arch9wavefront6targetE0EEEvSL_,"axG",@progbits,_ZN7rocprim17ROCPRIM_400000_NS6detail17trampoline_kernelINS0_14default_configENS1_38merge_sort_block_merge_config_selectorIfNS0_10empty_typeEEEZZNS1_27merge_sort_block_merge_implIS3_N6thrust23THRUST_200600_302600_NS6detail15normal_iteratorINS9_10device_ptrIfEEEEPS5_jNS1_19radix_merge_compareILb0ELb0EfNS0_19identity_decomposerEEEEE10hipError_tT0_T1_T2_jT3_P12ihipStream_tbPNSt15iterator_traitsISK_E10value_typeEPNSQ_ISL_E10value_typeEPSM_NS1_7vsmem_tEENKUlT_SK_SL_SM_E_clISE_PfSF_SF_EESJ_SZ_SK_SL_SM_EUlSZ_E1_NS1_11comp_targetILNS1_3genE8ELNS1_11target_archE1030ELNS1_3gpuE2ELNS1_3repE0EEENS1_36merge_oddeven_config_static_selectorELNS0_4arch9wavefront6targetE0EEEvSL_,comdat
.Lfunc_end522:
	.size	_ZN7rocprim17ROCPRIM_400000_NS6detail17trampoline_kernelINS0_14default_configENS1_38merge_sort_block_merge_config_selectorIfNS0_10empty_typeEEEZZNS1_27merge_sort_block_merge_implIS3_N6thrust23THRUST_200600_302600_NS6detail15normal_iteratorINS9_10device_ptrIfEEEEPS5_jNS1_19radix_merge_compareILb0ELb0EfNS0_19identity_decomposerEEEEE10hipError_tT0_T1_T2_jT3_P12ihipStream_tbPNSt15iterator_traitsISK_E10value_typeEPNSQ_ISL_E10value_typeEPSM_NS1_7vsmem_tEENKUlT_SK_SL_SM_E_clISE_PfSF_SF_EESJ_SZ_SK_SL_SM_EUlSZ_E1_NS1_11comp_targetILNS1_3genE8ELNS1_11target_archE1030ELNS1_3gpuE2ELNS1_3repE0EEENS1_36merge_oddeven_config_static_selectorELNS0_4arch9wavefront6targetE0EEEvSL_, .Lfunc_end522-_ZN7rocprim17ROCPRIM_400000_NS6detail17trampoline_kernelINS0_14default_configENS1_38merge_sort_block_merge_config_selectorIfNS0_10empty_typeEEEZZNS1_27merge_sort_block_merge_implIS3_N6thrust23THRUST_200600_302600_NS6detail15normal_iteratorINS9_10device_ptrIfEEEEPS5_jNS1_19radix_merge_compareILb0ELb0EfNS0_19identity_decomposerEEEEE10hipError_tT0_T1_T2_jT3_P12ihipStream_tbPNSt15iterator_traitsISK_E10value_typeEPNSQ_ISL_E10value_typeEPSM_NS1_7vsmem_tEENKUlT_SK_SL_SM_E_clISE_PfSF_SF_EESJ_SZ_SK_SL_SM_EUlSZ_E1_NS1_11comp_targetILNS1_3genE8ELNS1_11target_archE1030ELNS1_3gpuE2ELNS1_3repE0EEENS1_36merge_oddeven_config_static_selectorELNS0_4arch9wavefront6targetE0EEEvSL_
                                        ; -- End function
	.set _ZN7rocprim17ROCPRIM_400000_NS6detail17trampoline_kernelINS0_14default_configENS1_38merge_sort_block_merge_config_selectorIfNS0_10empty_typeEEEZZNS1_27merge_sort_block_merge_implIS3_N6thrust23THRUST_200600_302600_NS6detail15normal_iteratorINS9_10device_ptrIfEEEEPS5_jNS1_19radix_merge_compareILb0ELb0EfNS0_19identity_decomposerEEEEE10hipError_tT0_T1_T2_jT3_P12ihipStream_tbPNSt15iterator_traitsISK_E10value_typeEPNSQ_ISL_E10value_typeEPSM_NS1_7vsmem_tEENKUlT_SK_SL_SM_E_clISE_PfSF_SF_EESJ_SZ_SK_SL_SM_EUlSZ_E1_NS1_11comp_targetILNS1_3genE8ELNS1_11target_archE1030ELNS1_3gpuE2ELNS1_3repE0EEENS1_36merge_oddeven_config_static_selectorELNS0_4arch9wavefront6targetE0EEEvSL_.num_vgpr, 9
	.set _ZN7rocprim17ROCPRIM_400000_NS6detail17trampoline_kernelINS0_14default_configENS1_38merge_sort_block_merge_config_selectorIfNS0_10empty_typeEEEZZNS1_27merge_sort_block_merge_implIS3_N6thrust23THRUST_200600_302600_NS6detail15normal_iteratorINS9_10device_ptrIfEEEEPS5_jNS1_19radix_merge_compareILb0ELb0EfNS0_19identity_decomposerEEEEE10hipError_tT0_T1_T2_jT3_P12ihipStream_tbPNSt15iterator_traitsISK_E10value_typeEPNSQ_ISL_E10value_typeEPSM_NS1_7vsmem_tEENKUlT_SK_SL_SM_E_clISE_PfSF_SF_EESJ_SZ_SK_SL_SM_EUlSZ_E1_NS1_11comp_targetILNS1_3genE8ELNS1_11target_archE1030ELNS1_3gpuE2ELNS1_3repE0EEENS1_36merge_oddeven_config_static_selectorELNS0_4arch9wavefront6targetE0EEEvSL_.num_agpr, 0
	.set _ZN7rocprim17ROCPRIM_400000_NS6detail17trampoline_kernelINS0_14default_configENS1_38merge_sort_block_merge_config_selectorIfNS0_10empty_typeEEEZZNS1_27merge_sort_block_merge_implIS3_N6thrust23THRUST_200600_302600_NS6detail15normal_iteratorINS9_10device_ptrIfEEEEPS5_jNS1_19radix_merge_compareILb0ELb0EfNS0_19identity_decomposerEEEEE10hipError_tT0_T1_T2_jT3_P12ihipStream_tbPNSt15iterator_traitsISK_E10value_typeEPNSQ_ISL_E10value_typeEPSM_NS1_7vsmem_tEENKUlT_SK_SL_SM_E_clISE_PfSF_SF_EESJ_SZ_SK_SL_SM_EUlSZ_E1_NS1_11comp_targetILNS1_3genE8ELNS1_11target_archE1030ELNS1_3gpuE2ELNS1_3repE0EEENS1_36merge_oddeven_config_static_selectorELNS0_4arch9wavefront6targetE0EEEvSL_.numbered_sgpr, 16
	.set _ZN7rocprim17ROCPRIM_400000_NS6detail17trampoline_kernelINS0_14default_configENS1_38merge_sort_block_merge_config_selectorIfNS0_10empty_typeEEEZZNS1_27merge_sort_block_merge_implIS3_N6thrust23THRUST_200600_302600_NS6detail15normal_iteratorINS9_10device_ptrIfEEEEPS5_jNS1_19radix_merge_compareILb0ELb0EfNS0_19identity_decomposerEEEEE10hipError_tT0_T1_T2_jT3_P12ihipStream_tbPNSt15iterator_traitsISK_E10value_typeEPNSQ_ISL_E10value_typeEPSM_NS1_7vsmem_tEENKUlT_SK_SL_SM_E_clISE_PfSF_SF_EESJ_SZ_SK_SL_SM_EUlSZ_E1_NS1_11comp_targetILNS1_3genE8ELNS1_11target_archE1030ELNS1_3gpuE2ELNS1_3repE0EEENS1_36merge_oddeven_config_static_selectorELNS0_4arch9wavefront6targetE0EEEvSL_.num_named_barrier, 0
	.set _ZN7rocprim17ROCPRIM_400000_NS6detail17trampoline_kernelINS0_14default_configENS1_38merge_sort_block_merge_config_selectorIfNS0_10empty_typeEEEZZNS1_27merge_sort_block_merge_implIS3_N6thrust23THRUST_200600_302600_NS6detail15normal_iteratorINS9_10device_ptrIfEEEEPS5_jNS1_19radix_merge_compareILb0ELb0EfNS0_19identity_decomposerEEEEE10hipError_tT0_T1_T2_jT3_P12ihipStream_tbPNSt15iterator_traitsISK_E10value_typeEPNSQ_ISL_E10value_typeEPSM_NS1_7vsmem_tEENKUlT_SK_SL_SM_E_clISE_PfSF_SF_EESJ_SZ_SK_SL_SM_EUlSZ_E1_NS1_11comp_targetILNS1_3genE8ELNS1_11target_archE1030ELNS1_3gpuE2ELNS1_3repE0EEENS1_36merge_oddeven_config_static_selectorELNS0_4arch9wavefront6targetE0EEEvSL_.private_seg_size, 0
	.set _ZN7rocprim17ROCPRIM_400000_NS6detail17trampoline_kernelINS0_14default_configENS1_38merge_sort_block_merge_config_selectorIfNS0_10empty_typeEEEZZNS1_27merge_sort_block_merge_implIS3_N6thrust23THRUST_200600_302600_NS6detail15normal_iteratorINS9_10device_ptrIfEEEEPS5_jNS1_19radix_merge_compareILb0ELb0EfNS0_19identity_decomposerEEEEE10hipError_tT0_T1_T2_jT3_P12ihipStream_tbPNSt15iterator_traitsISK_E10value_typeEPNSQ_ISL_E10value_typeEPSM_NS1_7vsmem_tEENKUlT_SK_SL_SM_E_clISE_PfSF_SF_EESJ_SZ_SK_SL_SM_EUlSZ_E1_NS1_11comp_targetILNS1_3genE8ELNS1_11target_archE1030ELNS1_3gpuE2ELNS1_3repE0EEENS1_36merge_oddeven_config_static_selectorELNS0_4arch9wavefront6targetE0EEEvSL_.uses_vcc, 1
	.set _ZN7rocprim17ROCPRIM_400000_NS6detail17trampoline_kernelINS0_14default_configENS1_38merge_sort_block_merge_config_selectorIfNS0_10empty_typeEEEZZNS1_27merge_sort_block_merge_implIS3_N6thrust23THRUST_200600_302600_NS6detail15normal_iteratorINS9_10device_ptrIfEEEEPS5_jNS1_19radix_merge_compareILb0ELb0EfNS0_19identity_decomposerEEEEE10hipError_tT0_T1_T2_jT3_P12ihipStream_tbPNSt15iterator_traitsISK_E10value_typeEPNSQ_ISL_E10value_typeEPSM_NS1_7vsmem_tEENKUlT_SK_SL_SM_E_clISE_PfSF_SF_EESJ_SZ_SK_SL_SM_EUlSZ_E1_NS1_11comp_targetILNS1_3genE8ELNS1_11target_archE1030ELNS1_3gpuE2ELNS1_3repE0EEENS1_36merge_oddeven_config_static_selectorELNS0_4arch9wavefront6targetE0EEEvSL_.uses_flat_scratch, 0
	.set _ZN7rocprim17ROCPRIM_400000_NS6detail17trampoline_kernelINS0_14default_configENS1_38merge_sort_block_merge_config_selectorIfNS0_10empty_typeEEEZZNS1_27merge_sort_block_merge_implIS3_N6thrust23THRUST_200600_302600_NS6detail15normal_iteratorINS9_10device_ptrIfEEEEPS5_jNS1_19radix_merge_compareILb0ELb0EfNS0_19identity_decomposerEEEEE10hipError_tT0_T1_T2_jT3_P12ihipStream_tbPNSt15iterator_traitsISK_E10value_typeEPNSQ_ISL_E10value_typeEPSM_NS1_7vsmem_tEENKUlT_SK_SL_SM_E_clISE_PfSF_SF_EESJ_SZ_SK_SL_SM_EUlSZ_E1_NS1_11comp_targetILNS1_3genE8ELNS1_11target_archE1030ELNS1_3gpuE2ELNS1_3repE0EEENS1_36merge_oddeven_config_static_selectorELNS0_4arch9wavefront6targetE0EEEvSL_.has_dyn_sized_stack, 0
	.set _ZN7rocprim17ROCPRIM_400000_NS6detail17trampoline_kernelINS0_14default_configENS1_38merge_sort_block_merge_config_selectorIfNS0_10empty_typeEEEZZNS1_27merge_sort_block_merge_implIS3_N6thrust23THRUST_200600_302600_NS6detail15normal_iteratorINS9_10device_ptrIfEEEEPS5_jNS1_19radix_merge_compareILb0ELb0EfNS0_19identity_decomposerEEEEE10hipError_tT0_T1_T2_jT3_P12ihipStream_tbPNSt15iterator_traitsISK_E10value_typeEPNSQ_ISL_E10value_typeEPSM_NS1_7vsmem_tEENKUlT_SK_SL_SM_E_clISE_PfSF_SF_EESJ_SZ_SK_SL_SM_EUlSZ_E1_NS1_11comp_targetILNS1_3genE8ELNS1_11target_archE1030ELNS1_3gpuE2ELNS1_3repE0EEENS1_36merge_oddeven_config_static_selectorELNS0_4arch9wavefront6targetE0EEEvSL_.has_recursion, 0
	.set _ZN7rocprim17ROCPRIM_400000_NS6detail17trampoline_kernelINS0_14default_configENS1_38merge_sort_block_merge_config_selectorIfNS0_10empty_typeEEEZZNS1_27merge_sort_block_merge_implIS3_N6thrust23THRUST_200600_302600_NS6detail15normal_iteratorINS9_10device_ptrIfEEEEPS5_jNS1_19radix_merge_compareILb0ELb0EfNS0_19identity_decomposerEEEEE10hipError_tT0_T1_T2_jT3_P12ihipStream_tbPNSt15iterator_traitsISK_E10value_typeEPNSQ_ISL_E10value_typeEPSM_NS1_7vsmem_tEENKUlT_SK_SL_SM_E_clISE_PfSF_SF_EESJ_SZ_SK_SL_SM_EUlSZ_E1_NS1_11comp_targetILNS1_3genE8ELNS1_11target_archE1030ELNS1_3gpuE2ELNS1_3repE0EEENS1_36merge_oddeven_config_static_selectorELNS0_4arch9wavefront6targetE0EEEvSL_.has_indirect_call, 0
	.section	.AMDGPU.csdata,"",@progbits
; Kernel info:
; codeLenInByte = 708
; TotalNumSgprs: 18
; NumVgprs: 9
; ScratchSize: 0
; MemoryBound: 0
; FloatMode: 240
; IeeeMode: 1
; LDSByteSize: 0 bytes/workgroup (compile time only)
; SGPRBlocks: 0
; VGPRBlocks: 1
; NumSGPRsForWavesPerEU: 18
; NumVGPRsForWavesPerEU: 9
; Occupancy: 16
; WaveLimiterHint : 0
; COMPUTE_PGM_RSRC2:SCRATCH_EN: 0
; COMPUTE_PGM_RSRC2:USER_SGPR: 6
; COMPUTE_PGM_RSRC2:TRAP_HANDLER: 0
; COMPUTE_PGM_RSRC2:TGID_X_EN: 1
; COMPUTE_PGM_RSRC2:TGID_Y_EN: 0
; COMPUTE_PGM_RSRC2:TGID_Z_EN: 0
; COMPUTE_PGM_RSRC2:TIDIG_COMP_CNT: 0
	.section	.text._ZN7rocprim17ROCPRIM_400000_NS6detail17trampoline_kernelINS0_14default_configENS1_25transform_config_selectorIfLb0EEEZNS1_14transform_implILb0ES3_S5_PfN6thrust23THRUST_200600_302600_NS6detail15normal_iteratorINS9_10device_ptrIfEEEENS0_8identityIfEEEE10hipError_tT2_T3_mT4_P12ihipStream_tbEUlT_E_NS1_11comp_targetILNS1_3genE0ELNS1_11target_archE4294967295ELNS1_3gpuE0ELNS1_3repE0EEENS1_30default_config_static_selectorELNS0_4arch9wavefront6targetE0EEEvT1_,"axG",@progbits,_ZN7rocprim17ROCPRIM_400000_NS6detail17trampoline_kernelINS0_14default_configENS1_25transform_config_selectorIfLb0EEEZNS1_14transform_implILb0ES3_S5_PfN6thrust23THRUST_200600_302600_NS6detail15normal_iteratorINS9_10device_ptrIfEEEENS0_8identityIfEEEE10hipError_tT2_T3_mT4_P12ihipStream_tbEUlT_E_NS1_11comp_targetILNS1_3genE0ELNS1_11target_archE4294967295ELNS1_3gpuE0ELNS1_3repE0EEENS1_30default_config_static_selectorELNS0_4arch9wavefront6targetE0EEEvT1_,comdat
	.protected	_ZN7rocprim17ROCPRIM_400000_NS6detail17trampoline_kernelINS0_14default_configENS1_25transform_config_selectorIfLb0EEEZNS1_14transform_implILb0ES3_S5_PfN6thrust23THRUST_200600_302600_NS6detail15normal_iteratorINS9_10device_ptrIfEEEENS0_8identityIfEEEE10hipError_tT2_T3_mT4_P12ihipStream_tbEUlT_E_NS1_11comp_targetILNS1_3genE0ELNS1_11target_archE4294967295ELNS1_3gpuE0ELNS1_3repE0EEENS1_30default_config_static_selectorELNS0_4arch9wavefront6targetE0EEEvT1_ ; -- Begin function _ZN7rocprim17ROCPRIM_400000_NS6detail17trampoline_kernelINS0_14default_configENS1_25transform_config_selectorIfLb0EEEZNS1_14transform_implILb0ES3_S5_PfN6thrust23THRUST_200600_302600_NS6detail15normal_iteratorINS9_10device_ptrIfEEEENS0_8identityIfEEEE10hipError_tT2_T3_mT4_P12ihipStream_tbEUlT_E_NS1_11comp_targetILNS1_3genE0ELNS1_11target_archE4294967295ELNS1_3gpuE0ELNS1_3repE0EEENS1_30default_config_static_selectorELNS0_4arch9wavefront6targetE0EEEvT1_
	.globl	_ZN7rocprim17ROCPRIM_400000_NS6detail17trampoline_kernelINS0_14default_configENS1_25transform_config_selectorIfLb0EEEZNS1_14transform_implILb0ES3_S5_PfN6thrust23THRUST_200600_302600_NS6detail15normal_iteratorINS9_10device_ptrIfEEEENS0_8identityIfEEEE10hipError_tT2_T3_mT4_P12ihipStream_tbEUlT_E_NS1_11comp_targetILNS1_3genE0ELNS1_11target_archE4294967295ELNS1_3gpuE0ELNS1_3repE0EEENS1_30default_config_static_selectorELNS0_4arch9wavefront6targetE0EEEvT1_
	.p2align	8
	.type	_ZN7rocprim17ROCPRIM_400000_NS6detail17trampoline_kernelINS0_14default_configENS1_25transform_config_selectorIfLb0EEEZNS1_14transform_implILb0ES3_S5_PfN6thrust23THRUST_200600_302600_NS6detail15normal_iteratorINS9_10device_ptrIfEEEENS0_8identityIfEEEE10hipError_tT2_T3_mT4_P12ihipStream_tbEUlT_E_NS1_11comp_targetILNS1_3genE0ELNS1_11target_archE4294967295ELNS1_3gpuE0ELNS1_3repE0EEENS1_30default_config_static_selectorELNS0_4arch9wavefront6targetE0EEEvT1_,@function
_ZN7rocprim17ROCPRIM_400000_NS6detail17trampoline_kernelINS0_14default_configENS1_25transform_config_selectorIfLb0EEEZNS1_14transform_implILb0ES3_S5_PfN6thrust23THRUST_200600_302600_NS6detail15normal_iteratorINS9_10device_ptrIfEEEENS0_8identityIfEEEE10hipError_tT2_T3_mT4_P12ihipStream_tbEUlT_E_NS1_11comp_targetILNS1_3genE0ELNS1_11target_archE4294967295ELNS1_3gpuE0ELNS1_3repE0EEENS1_30default_config_static_selectorELNS0_4arch9wavefront6targetE0EEEvT1_: ; @_ZN7rocprim17ROCPRIM_400000_NS6detail17trampoline_kernelINS0_14default_configENS1_25transform_config_selectorIfLb0EEEZNS1_14transform_implILb0ES3_S5_PfN6thrust23THRUST_200600_302600_NS6detail15normal_iteratorINS9_10device_ptrIfEEEENS0_8identityIfEEEE10hipError_tT2_T3_mT4_P12ihipStream_tbEUlT_E_NS1_11comp_targetILNS1_3genE0ELNS1_11target_archE4294967295ELNS1_3gpuE0ELNS1_3repE0EEENS1_30default_config_static_selectorELNS0_4arch9wavefront6targetE0EEEvT1_
; %bb.0:
	.section	.rodata,"a",@progbits
	.p2align	6, 0x0
	.amdhsa_kernel _ZN7rocprim17ROCPRIM_400000_NS6detail17trampoline_kernelINS0_14default_configENS1_25transform_config_selectorIfLb0EEEZNS1_14transform_implILb0ES3_S5_PfN6thrust23THRUST_200600_302600_NS6detail15normal_iteratorINS9_10device_ptrIfEEEENS0_8identityIfEEEE10hipError_tT2_T3_mT4_P12ihipStream_tbEUlT_E_NS1_11comp_targetILNS1_3genE0ELNS1_11target_archE4294967295ELNS1_3gpuE0ELNS1_3repE0EEENS1_30default_config_static_selectorELNS0_4arch9wavefront6targetE0EEEvT1_
		.amdhsa_group_segment_fixed_size 0
		.amdhsa_private_segment_fixed_size 0
		.amdhsa_kernarg_size 40
		.amdhsa_user_sgpr_count 6
		.amdhsa_user_sgpr_private_segment_buffer 1
		.amdhsa_user_sgpr_dispatch_ptr 0
		.amdhsa_user_sgpr_queue_ptr 0
		.amdhsa_user_sgpr_kernarg_segment_ptr 1
		.amdhsa_user_sgpr_dispatch_id 0
		.amdhsa_user_sgpr_flat_scratch_init 0
		.amdhsa_user_sgpr_private_segment_size 0
		.amdhsa_wavefront_size32 1
		.amdhsa_uses_dynamic_stack 0
		.amdhsa_system_sgpr_private_segment_wavefront_offset 0
		.amdhsa_system_sgpr_workgroup_id_x 1
		.amdhsa_system_sgpr_workgroup_id_y 0
		.amdhsa_system_sgpr_workgroup_id_z 0
		.amdhsa_system_sgpr_workgroup_info 0
		.amdhsa_system_vgpr_workitem_id 0
		.amdhsa_next_free_vgpr 1
		.amdhsa_next_free_sgpr 1
		.amdhsa_reserve_vcc 0
		.amdhsa_reserve_flat_scratch 0
		.amdhsa_float_round_mode_32 0
		.amdhsa_float_round_mode_16_64 0
		.amdhsa_float_denorm_mode_32 3
		.amdhsa_float_denorm_mode_16_64 3
		.amdhsa_dx10_clamp 1
		.amdhsa_ieee_mode 1
		.amdhsa_fp16_overflow 0
		.amdhsa_workgroup_processor_mode 1
		.amdhsa_memory_ordered 1
		.amdhsa_forward_progress 1
		.amdhsa_shared_vgpr_count 0
		.amdhsa_exception_fp_ieee_invalid_op 0
		.amdhsa_exception_fp_denorm_src 0
		.amdhsa_exception_fp_ieee_div_zero 0
		.amdhsa_exception_fp_ieee_overflow 0
		.amdhsa_exception_fp_ieee_underflow 0
		.amdhsa_exception_fp_ieee_inexact 0
		.amdhsa_exception_int_div_zero 0
	.end_amdhsa_kernel
	.section	.text._ZN7rocprim17ROCPRIM_400000_NS6detail17trampoline_kernelINS0_14default_configENS1_25transform_config_selectorIfLb0EEEZNS1_14transform_implILb0ES3_S5_PfN6thrust23THRUST_200600_302600_NS6detail15normal_iteratorINS9_10device_ptrIfEEEENS0_8identityIfEEEE10hipError_tT2_T3_mT4_P12ihipStream_tbEUlT_E_NS1_11comp_targetILNS1_3genE0ELNS1_11target_archE4294967295ELNS1_3gpuE0ELNS1_3repE0EEENS1_30default_config_static_selectorELNS0_4arch9wavefront6targetE0EEEvT1_,"axG",@progbits,_ZN7rocprim17ROCPRIM_400000_NS6detail17trampoline_kernelINS0_14default_configENS1_25transform_config_selectorIfLb0EEEZNS1_14transform_implILb0ES3_S5_PfN6thrust23THRUST_200600_302600_NS6detail15normal_iteratorINS9_10device_ptrIfEEEENS0_8identityIfEEEE10hipError_tT2_T3_mT4_P12ihipStream_tbEUlT_E_NS1_11comp_targetILNS1_3genE0ELNS1_11target_archE4294967295ELNS1_3gpuE0ELNS1_3repE0EEENS1_30default_config_static_selectorELNS0_4arch9wavefront6targetE0EEEvT1_,comdat
.Lfunc_end523:
	.size	_ZN7rocprim17ROCPRIM_400000_NS6detail17trampoline_kernelINS0_14default_configENS1_25transform_config_selectorIfLb0EEEZNS1_14transform_implILb0ES3_S5_PfN6thrust23THRUST_200600_302600_NS6detail15normal_iteratorINS9_10device_ptrIfEEEENS0_8identityIfEEEE10hipError_tT2_T3_mT4_P12ihipStream_tbEUlT_E_NS1_11comp_targetILNS1_3genE0ELNS1_11target_archE4294967295ELNS1_3gpuE0ELNS1_3repE0EEENS1_30default_config_static_selectorELNS0_4arch9wavefront6targetE0EEEvT1_, .Lfunc_end523-_ZN7rocprim17ROCPRIM_400000_NS6detail17trampoline_kernelINS0_14default_configENS1_25transform_config_selectorIfLb0EEEZNS1_14transform_implILb0ES3_S5_PfN6thrust23THRUST_200600_302600_NS6detail15normal_iteratorINS9_10device_ptrIfEEEENS0_8identityIfEEEE10hipError_tT2_T3_mT4_P12ihipStream_tbEUlT_E_NS1_11comp_targetILNS1_3genE0ELNS1_11target_archE4294967295ELNS1_3gpuE0ELNS1_3repE0EEENS1_30default_config_static_selectorELNS0_4arch9wavefront6targetE0EEEvT1_
                                        ; -- End function
	.set _ZN7rocprim17ROCPRIM_400000_NS6detail17trampoline_kernelINS0_14default_configENS1_25transform_config_selectorIfLb0EEEZNS1_14transform_implILb0ES3_S5_PfN6thrust23THRUST_200600_302600_NS6detail15normal_iteratorINS9_10device_ptrIfEEEENS0_8identityIfEEEE10hipError_tT2_T3_mT4_P12ihipStream_tbEUlT_E_NS1_11comp_targetILNS1_3genE0ELNS1_11target_archE4294967295ELNS1_3gpuE0ELNS1_3repE0EEENS1_30default_config_static_selectorELNS0_4arch9wavefront6targetE0EEEvT1_.num_vgpr, 0
	.set _ZN7rocprim17ROCPRIM_400000_NS6detail17trampoline_kernelINS0_14default_configENS1_25transform_config_selectorIfLb0EEEZNS1_14transform_implILb0ES3_S5_PfN6thrust23THRUST_200600_302600_NS6detail15normal_iteratorINS9_10device_ptrIfEEEENS0_8identityIfEEEE10hipError_tT2_T3_mT4_P12ihipStream_tbEUlT_E_NS1_11comp_targetILNS1_3genE0ELNS1_11target_archE4294967295ELNS1_3gpuE0ELNS1_3repE0EEENS1_30default_config_static_selectorELNS0_4arch9wavefront6targetE0EEEvT1_.num_agpr, 0
	.set _ZN7rocprim17ROCPRIM_400000_NS6detail17trampoline_kernelINS0_14default_configENS1_25transform_config_selectorIfLb0EEEZNS1_14transform_implILb0ES3_S5_PfN6thrust23THRUST_200600_302600_NS6detail15normal_iteratorINS9_10device_ptrIfEEEENS0_8identityIfEEEE10hipError_tT2_T3_mT4_P12ihipStream_tbEUlT_E_NS1_11comp_targetILNS1_3genE0ELNS1_11target_archE4294967295ELNS1_3gpuE0ELNS1_3repE0EEENS1_30default_config_static_selectorELNS0_4arch9wavefront6targetE0EEEvT1_.numbered_sgpr, 0
	.set _ZN7rocprim17ROCPRIM_400000_NS6detail17trampoline_kernelINS0_14default_configENS1_25transform_config_selectorIfLb0EEEZNS1_14transform_implILb0ES3_S5_PfN6thrust23THRUST_200600_302600_NS6detail15normal_iteratorINS9_10device_ptrIfEEEENS0_8identityIfEEEE10hipError_tT2_T3_mT4_P12ihipStream_tbEUlT_E_NS1_11comp_targetILNS1_3genE0ELNS1_11target_archE4294967295ELNS1_3gpuE0ELNS1_3repE0EEENS1_30default_config_static_selectorELNS0_4arch9wavefront6targetE0EEEvT1_.num_named_barrier, 0
	.set _ZN7rocprim17ROCPRIM_400000_NS6detail17trampoline_kernelINS0_14default_configENS1_25transform_config_selectorIfLb0EEEZNS1_14transform_implILb0ES3_S5_PfN6thrust23THRUST_200600_302600_NS6detail15normal_iteratorINS9_10device_ptrIfEEEENS0_8identityIfEEEE10hipError_tT2_T3_mT4_P12ihipStream_tbEUlT_E_NS1_11comp_targetILNS1_3genE0ELNS1_11target_archE4294967295ELNS1_3gpuE0ELNS1_3repE0EEENS1_30default_config_static_selectorELNS0_4arch9wavefront6targetE0EEEvT1_.private_seg_size, 0
	.set _ZN7rocprim17ROCPRIM_400000_NS6detail17trampoline_kernelINS0_14default_configENS1_25transform_config_selectorIfLb0EEEZNS1_14transform_implILb0ES3_S5_PfN6thrust23THRUST_200600_302600_NS6detail15normal_iteratorINS9_10device_ptrIfEEEENS0_8identityIfEEEE10hipError_tT2_T3_mT4_P12ihipStream_tbEUlT_E_NS1_11comp_targetILNS1_3genE0ELNS1_11target_archE4294967295ELNS1_3gpuE0ELNS1_3repE0EEENS1_30default_config_static_selectorELNS0_4arch9wavefront6targetE0EEEvT1_.uses_vcc, 0
	.set _ZN7rocprim17ROCPRIM_400000_NS6detail17trampoline_kernelINS0_14default_configENS1_25transform_config_selectorIfLb0EEEZNS1_14transform_implILb0ES3_S5_PfN6thrust23THRUST_200600_302600_NS6detail15normal_iteratorINS9_10device_ptrIfEEEENS0_8identityIfEEEE10hipError_tT2_T3_mT4_P12ihipStream_tbEUlT_E_NS1_11comp_targetILNS1_3genE0ELNS1_11target_archE4294967295ELNS1_3gpuE0ELNS1_3repE0EEENS1_30default_config_static_selectorELNS0_4arch9wavefront6targetE0EEEvT1_.uses_flat_scratch, 0
	.set _ZN7rocprim17ROCPRIM_400000_NS6detail17trampoline_kernelINS0_14default_configENS1_25transform_config_selectorIfLb0EEEZNS1_14transform_implILb0ES3_S5_PfN6thrust23THRUST_200600_302600_NS6detail15normal_iteratorINS9_10device_ptrIfEEEENS0_8identityIfEEEE10hipError_tT2_T3_mT4_P12ihipStream_tbEUlT_E_NS1_11comp_targetILNS1_3genE0ELNS1_11target_archE4294967295ELNS1_3gpuE0ELNS1_3repE0EEENS1_30default_config_static_selectorELNS0_4arch9wavefront6targetE0EEEvT1_.has_dyn_sized_stack, 0
	.set _ZN7rocprim17ROCPRIM_400000_NS6detail17trampoline_kernelINS0_14default_configENS1_25transform_config_selectorIfLb0EEEZNS1_14transform_implILb0ES3_S5_PfN6thrust23THRUST_200600_302600_NS6detail15normal_iteratorINS9_10device_ptrIfEEEENS0_8identityIfEEEE10hipError_tT2_T3_mT4_P12ihipStream_tbEUlT_E_NS1_11comp_targetILNS1_3genE0ELNS1_11target_archE4294967295ELNS1_3gpuE0ELNS1_3repE0EEENS1_30default_config_static_selectorELNS0_4arch9wavefront6targetE0EEEvT1_.has_recursion, 0
	.set _ZN7rocprim17ROCPRIM_400000_NS6detail17trampoline_kernelINS0_14default_configENS1_25transform_config_selectorIfLb0EEEZNS1_14transform_implILb0ES3_S5_PfN6thrust23THRUST_200600_302600_NS6detail15normal_iteratorINS9_10device_ptrIfEEEENS0_8identityIfEEEE10hipError_tT2_T3_mT4_P12ihipStream_tbEUlT_E_NS1_11comp_targetILNS1_3genE0ELNS1_11target_archE4294967295ELNS1_3gpuE0ELNS1_3repE0EEENS1_30default_config_static_selectorELNS0_4arch9wavefront6targetE0EEEvT1_.has_indirect_call, 0
	.section	.AMDGPU.csdata,"",@progbits
; Kernel info:
; codeLenInByte = 0
; TotalNumSgprs: 0
; NumVgprs: 0
; ScratchSize: 0
; MemoryBound: 0
; FloatMode: 240
; IeeeMode: 1
; LDSByteSize: 0 bytes/workgroup (compile time only)
; SGPRBlocks: 0
; VGPRBlocks: 0
; NumSGPRsForWavesPerEU: 1
; NumVGPRsForWavesPerEU: 1
; Occupancy: 16
; WaveLimiterHint : 0
; COMPUTE_PGM_RSRC2:SCRATCH_EN: 0
; COMPUTE_PGM_RSRC2:USER_SGPR: 6
; COMPUTE_PGM_RSRC2:TRAP_HANDLER: 0
; COMPUTE_PGM_RSRC2:TGID_X_EN: 1
; COMPUTE_PGM_RSRC2:TGID_Y_EN: 0
; COMPUTE_PGM_RSRC2:TGID_Z_EN: 0
; COMPUTE_PGM_RSRC2:TIDIG_COMP_CNT: 0
	.section	.text._ZN7rocprim17ROCPRIM_400000_NS6detail17trampoline_kernelINS0_14default_configENS1_25transform_config_selectorIfLb0EEEZNS1_14transform_implILb0ES3_S5_PfN6thrust23THRUST_200600_302600_NS6detail15normal_iteratorINS9_10device_ptrIfEEEENS0_8identityIfEEEE10hipError_tT2_T3_mT4_P12ihipStream_tbEUlT_E_NS1_11comp_targetILNS1_3genE5ELNS1_11target_archE942ELNS1_3gpuE9ELNS1_3repE0EEENS1_30default_config_static_selectorELNS0_4arch9wavefront6targetE0EEEvT1_,"axG",@progbits,_ZN7rocprim17ROCPRIM_400000_NS6detail17trampoline_kernelINS0_14default_configENS1_25transform_config_selectorIfLb0EEEZNS1_14transform_implILb0ES3_S5_PfN6thrust23THRUST_200600_302600_NS6detail15normal_iteratorINS9_10device_ptrIfEEEENS0_8identityIfEEEE10hipError_tT2_T3_mT4_P12ihipStream_tbEUlT_E_NS1_11comp_targetILNS1_3genE5ELNS1_11target_archE942ELNS1_3gpuE9ELNS1_3repE0EEENS1_30default_config_static_selectorELNS0_4arch9wavefront6targetE0EEEvT1_,comdat
	.protected	_ZN7rocprim17ROCPRIM_400000_NS6detail17trampoline_kernelINS0_14default_configENS1_25transform_config_selectorIfLb0EEEZNS1_14transform_implILb0ES3_S5_PfN6thrust23THRUST_200600_302600_NS6detail15normal_iteratorINS9_10device_ptrIfEEEENS0_8identityIfEEEE10hipError_tT2_T3_mT4_P12ihipStream_tbEUlT_E_NS1_11comp_targetILNS1_3genE5ELNS1_11target_archE942ELNS1_3gpuE9ELNS1_3repE0EEENS1_30default_config_static_selectorELNS0_4arch9wavefront6targetE0EEEvT1_ ; -- Begin function _ZN7rocprim17ROCPRIM_400000_NS6detail17trampoline_kernelINS0_14default_configENS1_25transform_config_selectorIfLb0EEEZNS1_14transform_implILb0ES3_S5_PfN6thrust23THRUST_200600_302600_NS6detail15normal_iteratorINS9_10device_ptrIfEEEENS0_8identityIfEEEE10hipError_tT2_T3_mT4_P12ihipStream_tbEUlT_E_NS1_11comp_targetILNS1_3genE5ELNS1_11target_archE942ELNS1_3gpuE9ELNS1_3repE0EEENS1_30default_config_static_selectorELNS0_4arch9wavefront6targetE0EEEvT1_
	.globl	_ZN7rocprim17ROCPRIM_400000_NS6detail17trampoline_kernelINS0_14default_configENS1_25transform_config_selectorIfLb0EEEZNS1_14transform_implILb0ES3_S5_PfN6thrust23THRUST_200600_302600_NS6detail15normal_iteratorINS9_10device_ptrIfEEEENS0_8identityIfEEEE10hipError_tT2_T3_mT4_P12ihipStream_tbEUlT_E_NS1_11comp_targetILNS1_3genE5ELNS1_11target_archE942ELNS1_3gpuE9ELNS1_3repE0EEENS1_30default_config_static_selectorELNS0_4arch9wavefront6targetE0EEEvT1_
	.p2align	8
	.type	_ZN7rocprim17ROCPRIM_400000_NS6detail17trampoline_kernelINS0_14default_configENS1_25transform_config_selectorIfLb0EEEZNS1_14transform_implILb0ES3_S5_PfN6thrust23THRUST_200600_302600_NS6detail15normal_iteratorINS9_10device_ptrIfEEEENS0_8identityIfEEEE10hipError_tT2_T3_mT4_P12ihipStream_tbEUlT_E_NS1_11comp_targetILNS1_3genE5ELNS1_11target_archE942ELNS1_3gpuE9ELNS1_3repE0EEENS1_30default_config_static_selectorELNS0_4arch9wavefront6targetE0EEEvT1_,@function
_ZN7rocprim17ROCPRIM_400000_NS6detail17trampoline_kernelINS0_14default_configENS1_25transform_config_selectorIfLb0EEEZNS1_14transform_implILb0ES3_S5_PfN6thrust23THRUST_200600_302600_NS6detail15normal_iteratorINS9_10device_ptrIfEEEENS0_8identityIfEEEE10hipError_tT2_T3_mT4_P12ihipStream_tbEUlT_E_NS1_11comp_targetILNS1_3genE5ELNS1_11target_archE942ELNS1_3gpuE9ELNS1_3repE0EEENS1_30default_config_static_selectorELNS0_4arch9wavefront6targetE0EEEvT1_: ; @_ZN7rocprim17ROCPRIM_400000_NS6detail17trampoline_kernelINS0_14default_configENS1_25transform_config_selectorIfLb0EEEZNS1_14transform_implILb0ES3_S5_PfN6thrust23THRUST_200600_302600_NS6detail15normal_iteratorINS9_10device_ptrIfEEEENS0_8identityIfEEEE10hipError_tT2_T3_mT4_P12ihipStream_tbEUlT_E_NS1_11comp_targetILNS1_3genE5ELNS1_11target_archE942ELNS1_3gpuE9ELNS1_3repE0EEENS1_30default_config_static_selectorELNS0_4arch9wavefront6targetE0EEEvT1_
; %bb.0:
	.section	.rodata,"a",@progbits
	.p2align	6, 0x0
	.amdhsa_kernel _ZN7rocprim17ROCPRIM_400000_NS6detail17trampoline_kernelINS0_14default_configENS1_25transform_config_selectorIfLb0EEEZNS1_14transform_implILb0ES3_S5_PfN6thrust23THRUST_200600_302600_NS6detail15normal_iteratorINS9_10device_ptrIfEEEENS0_8identityIfEEEE10hipError_tT2_T3_mT4_P12ihipStream_tbEUlT_E_NS1_11comp_targetILNS1_3genE5ELNS1_11target_archE942ELNS1_3gpuE9ELNS1_3repE0EEENS1_30default_config_static_selectorELNS0_4arch9wavefront6targetE0EEEvT1_
		.amdhsa_group_segment_fixed_size 0
		.amdhsa_private_segment_fixed_size 0
		.amdhsa_kernarg_size 40
		.amdhsa_user_sgpr_count 6
		.amdhsa_user_sgpr_private_segment_buffer 1
		.amdhsa_user_sgpr_dispatch_ptr 0
		.amdhsa_user_sgpr_queue_ptr 0
		.amdhsa_user_sgpr_kernarg_segment_ptr 1
		.amdhsa_user_sgpr_dispatch_id 0
		.amdhsa_user_sgpr_flat_scratch_init 0
		.amdhsa_user_sgpr_private_segment_size 0
		.amdhsa_wavefront_size32 1
		.amdhsa_uses_dynamic_stack 0
		.amdhsa_system_sgpr_private_segment_wavefront_offset 0
		.amdhsa_system_sgpr_workgroup_id_x 1
		.amdhsa_system_sgpr_workgroup_id_y 0
		.amdhsa_system_sgpr_workgroup_id_z 0
		.amdhsa_system_sgpr_workgroup_info 0
		.amdhsa_system_vgpr_workitem_id 0
		.amdhsa_next_free_vgpr 1
		.amdhsa_next_free_sgpr 1
		.amdhsa_reserve_vcc 0
		.amdhsa_reserve_flat_scratch 0
		.amdhsa_float_round_mode_32 0
		.amdhsa_float_round_mode_16_64 0
		.amdhsa_float_denorm_mode_32 3
		.amdhsa_float_denorm_mode_16_64 3
		.amdhsa_dx10_clamp 1
		.amdhsa_ieee_mode 1
		.amdhsa_fp16_overflow 0
		.amdhsa_workgroup_processor_mode 1
		.amdhsa_memory_ordered 1
		.amdhsa_forward_progress 1
		.amdhsa_shared_vgpr_count 0
		.amdhsa_exception_fp_ieee_invalid_op 0
		.amdhsa_exception_fp_denorm_src 0
		.amdhsa_exception_fp_ieee_div_zero 0
		.amdhsa_exception_fp_ieee_overflow 0
		.amdhsa_exception_fp_ieee_underflow 0
		.amdhsa_exception_fp_ieee_inexact 0
		.amdhsa_exception_int_div_zero 0
	.end_amdhsa_kernel
	.section	.text._ZN7rocprim17ROCPRIM_400000_NS6detail17trampoline_kernelINS0_14default_configENS1_25transform_config_selectorIfLb0EEEZNS1_14transform_implILb0ES3_S5_PfN6thrust23THRUST_200600_302600_NS6detail15normal_iteratorINS9_10device_ptrIfEEEENS0_8identityIfEEEE10hipError_tT2_T3_mT4_P12ihipStream_tbEUlT_E_NS1_11comp_targetILNS1_3genE5ELNS1_11target_archE942ELNS1_3gpuE9ELNS1_3repE0EEENS1_30default_config_static_selectorELNS0_4arch9wavefront6targetE0EEEvT1_,"axG",@progbits,_ZN7rocprim17ROCPRIM_400000_NS6detail17trampoline_kernelINS0_14default_configENS1_25transform_config_selectorIfLb0EEEZNS1_14transform_implILb0ES3_S5_PfN6thrust23THRUST_200600_302600_NS6detail15normal_iteratorINS9_10device_ptrIfEEEENS0_8identityIfEEEE10hipError_tT2_T3_mT4_P12ihipStream_tbEUlT_E_NS1_11comp_targetILNS1_3genE5ELNS1_11target_archE942ELNS1_3gpuE9ELNS1_3repE0EEENS1_30default_config_static_selectorELNS0_4arch9wavefront6targetE0EEEvT1_,comdat
.Lfunc_end524:
	.size	_ZN7rocprim17ROCPRIM_400000_NS6detail17trampoline_kernelINS0_14default_configENS1_25transform_config_selectorIfLb0EEEZNS1_14transform_implILb0ES3_S5_PfN6thrust23THRUST_200600_302600_NS6detail15normal_iteratorINS9_10device_ptrIfEEEENS0_8identityIfEEEE10hipError_tT2_T3_mT4_P12ihipStream_tbEUlT_E_NS1_11comp_targetILNS1_3genE5ELNS1_11target_archE942ELNS1_3gpuE9ELNS1_3repE0EEENS1_30default_config_static_selectorELNS0_4arch9wavefront6targetE0EEEvT1_, .Lfunc_end524-_ZN7rocprim17ROCPRIM_400000_NS6detail17trampoline_kernelINS0_14default_configENS1_25transform_config_selectorIfLb0EEEZNS1_14transform_implILb0ES3_S5_PfN6thrust23THRUST_200600_302600_NS6detail15normal_iteratorINS9_10device_ptrIfEEEENS0_8identityIfEEEE10hipError_tT2_T3_mT4_P12ihipStream_tbEUlT_E_NS1_11comp_targetILNS1_3genE5ELNS1_11target_archE942ELNS1_3gpuE9ELNS1_3repE0EEENS1_30default_config_static_selectorELNS0_4arch9wavefront6targetE0EEEvT1_
                                        ; -- End function
	.set _ZN7rocprim17ROCPRIM_400000_NS6detail17trampoline_kernelINS0_14default_configENS1_25transform_config_selectorIfLb0EEEZNS1_14transform_implILb0ES3_S5_PfN6thrust23THRUST_200600_302600_NS6detail15normal_iteratorINS9_10device_ptrIfEEEENS0_8identityIfEEEE10hipError_tT2_T3_mT4_P12ihipStream_tbEUlT_E_NS1_11comp_targetILNS1_3genE5ELNS1_11target_archE942ELNS1_3gpuE9ELNS1_3repE0EEENS1_30default_config_static_selectorELNS0_4arch9wavefront6targetE0EEEvT1_.num_vgpr, 0
	.set _ZN7rocprim17ROCPRIM_400000_NS6detail17trampoline_kernelINS0_14default_configENS1_25transform_config_selectorIfLb0EEEZNS1_14transform_implILb0ES3_S5_PfN6thrust23THRUST_200600_302600_NS6detail15normal_iteratorINS9_10device_ptrIfEEEENS0_8identityIfEEEE10hipError_tT2_T3_mT4_P12ihipStream_tbEUlT_E_NS1_11comp_targetILNS1_3genE5ELNS1_11target_archE942ELNS1_3gpuE9ELNS1_3repE0EEENS1_30default_config_static_selectorELNS0_4arch9wavefront6targetE0EEEvT1_.num_agpr, 0
	.set _ZN7rocprim17ROCPRIM_400000_NS6detail17trampoline_kernelINS0_14default_configENS1_25transform_config_selectorIfLb0EEEZNS1_14transform_implILb0ES3_S5_PfN6thrust23THRUST_200600_302600_NS6detail15normal_iteratorINS9_10device_ptrIfEEEENS0_8identityIfEEEE10hipError_tT2_T3_mT4_P12ihipStream_tbEUlT_E_NS1_11comp_targetILNS1_3genE5ELNS1_11target_archE942ELNS1_3gpuE9ELNS1_3repE0EEENS1_30default_config_static_selectorELNS0_4arch9wavefront6targetE0EEEvT1_.numbered_sgpr, 0
	.set _ZN7rocprim17ROCPRIM_400000_NS6detail17trampoline_kernelINS0_14default_configENS1_25transform_config_selectorIfLb0EEEZNS1_14transform_implILb0ES3_S5_PfN6thrust23THRUST_200600_302600_NS6detail15normal_iteratorINS9_10device_ptrIfEEEENS0_8identityIfEEEE10hipError_tT2_T3_mT4_P12ihipStream_tbEUlT_E_NS1_11comp_targetILNS1_3genE5ELNS1_11target_archE942ELNS1_3gpuE9ELNS1_3repE0EEENS1_30default_config_static_selectorELNS0_4arch9wavefront6targetE0EEEvT1_.num_named_barrier, 0
	.set _ZN7rocprim17ROCPRIM_400000_NS6detail17trampoline_kernelINS0_14default_configENS1_25transform_config_selectorIfLb0EEEZNS1_14transform_implILb0ES3_S5_PfN6thrust23THRUST_200600_302600_NS6detail15normal_iteratorINS9_10device_ptrIfEEEENS0_8identityIfEEEE10hipError_tT2_T3_mT4_P12ihipStream_tbEUlT_E_NS1_11comp_targetILNS1_3genE5ELNS1_11target_archE942ELNS1_3gpuE9ELNS1_3repE0EEENS1_30default_config_static_selectorELNS0_4arch9wavefront6targetE0EEEvT1_.private_seg_size, 0
	.set _ZN7rocprim17ROCPRIM_400000_NS6detail17trampoline_kernelINS0_14default_configENS1_25transform_config_selectorIfLb0EEEZNS1_14transform_implILb0ES3_S5_PfN6thrust23THRUST_200600_302600_NS6detail15normal_iteratorINS9_10device_ptrIfEEEENS0_8identityIfEEEE10hipError_tT2_T3_mT4_P12ihipStream_tbEUlT_E_NS1_11comp_targetILNS1_3genE5ELNS1_11target_archE942ELNS1_3gpuE9ELNS1_3repE0EEENS1_30default_config_static_selectorELNS0_4arch9wavefront6targetE0EEEvT1_.uses_vcc, 0
	.set _ZN7rocprim17ROCPRIM_400000_NS6detail17trampoline_kernelINS0_14default_configENS1_25transform_config_selectorIfLb0EEEZNS1_14transform_implILb0ES3_S5_PfN6thrust23THRUST_200600_302600_NS6detail15normal_iteratorINS9_10device_ptrIfEEEENS0_8identityIfEEEE10hipError_tT2_T3_mT4_P12ihipStream_tbEUlT_E_NS1_11comp_targetILNS1_3genE5ELNS1_11target_archE942ELNS1_3gpuE9ELNS1_3repE0EEENS1_30default_config_static_selectorELNS0_4arch9wavefront6targetE0EEEvT1_.uses_flat_scratch, 0
	.set _ZN7rocprim17ROCPRIM_400000_NS6detail17trampoline_kernelINS0_14default_configENS1_25transform_config_selectorIfLb0EEEZNS1_14transform_implILb0ES3_S5_PfN6thrust23THRUST_200600_302600_NS6detail15normal_iteratorINS9_10device_ptrIfEEEENS0_8identityIfEEEE10hipError_tT2_T3_mT4_P12ihipStream_tbEUlT_E_NS1_11comp_targetILNS1_3genE5ELNS1_11target_archE942ELNS1_3gpuE9ELNS1_3repE0EEENS1_30default_config_static_selectorELNS0_4arch9wavefront6targetE0EEEvT1_.has_dyn_sized_stack, 0
	.set _ZN7rocprim17ROCPRIM_400000_NS6detail17trampoline_kernelINS0_14default_configENS1_25transform_config_selectorIfLb0EEEZNS1_14transform_implILb0ES3_S5_PfN6thrust23THRUST_200600_302600_NS6detail15normal_iteratorINS9_10device_ptrIfEEEENS0_8identityIfEEEE10hipError_tT2_T3_mT4_P12ihipStream_tbEUlT_E_NS1_11comp_targetILNS1_3genE5ELNS1_11target_archE942ELNS1_3gpuE9ELNS1_3repE0EEENS1_30default_config_static_selectorELNS0_4arch9wavefront6targetE0EEEvT1_.has_recursion, 0
	.set _ZN7rocprim17ROCPRIM_400000_NS6detail17trampoline_kernelINS0_14default_configENS1_25transform_config_selectorIfLb0EEEZNS1_14transform_implILb0ES3_S5_PfN6thrust23THRUST_200600_302600_NS6detail15normal_iteratorINS9_10device_ptrIfEEEENS0_8identityIfEEEE10hipError_tT2_T3_mT4_P12ihipStream_tbEUlT_E_NS1_11comp_targetILNS1_3genE5ELNS1_11target_archE942ELNS1_3gpuE9ELNS1_3repE0EEENS1_30default_config_static_selectorELNS0_4arch9wavefront6targetE0EEEvT1_.has_indirect_call, 0
	.section	.AMDGPU.csdata,"",@progbits
; Kernel info:
; codeLenInByte = 0
; TotalNumSgprs: 0
; NumVgprs: 0
; ScratchSize: 0
; MemoryBound: 0
; FloatMode: 240
; IeeeMode: 1
; LDSByteSize: 0 bytes/workgroup (compile time only)
; SGPRBlocks: 0
; VGPRBlocks: 0
; NumSGPRsForWavesPerEU: 1
; NumVGPRsForWavesPerEU: 1
; Occupancy: 16
; WaveLimiterHint : 0
; COMPUTE_PGM_RSRC2:SCRATCH_EN: 0
; COMPUTE_PGM_RSRC2:USER_SGPR: 6
; COMPUTE_PGM_RSRC2:TRAP_HANDLER: 0
; COMPUTE_PGM_RSRC2:TGID_X_EN: 1
; COMPUTE_PGM_RSRC2:TGID_Y_EN: 0
; COMPUTE_PGM_RSRC2:TGID_Z_EN: 0
; COMPUTE_PGM_RSRC2:TIDIG_COMP_CNT: 0
	.section	.text._ZN7rocprim17ROCPRIM_400000_NS6detail17trampoline_kernelINS0_14default_configENS1_25transform_config_selectorIfLb0EEEZNS1_14transform_implILb0ES3_S5_PfN6thrust23THRUST_200600_302600_NS6detail15normal_iteratorINS9_10device_ptrIfEEEENS0_8identityIfEEEE10hipError_tT2_T3_mT4_P12ihipStream_tbEUlT_E_NS1_11comp_targetILNS1_3genE4ELNS1_11target_archE910ELNS1_3gpuE8ELNS1_3repE0EEENS1_30default_config_static_selectorELNS0_4arch9wavefront6targetE0EEEvT1_,"axG",@progbits,_ZN7rocprim17ROCPRIM_400000_NS6detail17trampoline_kernelINS0_14default_configENS1_25transform_config_selectorIfLb0EEEZNS1_14transform_implILb0ES3_S5_PfN6thrust23THRUST_200600_302600_NS6detail15normal_iteratorINS9_10device_ptrIfEEEENS0_8identityIfEEEE10hipError_tT2_T3_mT4_P12ihipStream_tbEUlT_E_NS1_11comp_targetILNS1_3genE4ELNS1_11target_archE910ELNS1_3gpuE8ELNS1_3repE0EEENS1_30default_config_static_selectorELNS0_4arch9wavefront6targetE0EEEvT1_,comdat
	.protected	_ZN7rocprim17ROCPRIM_400000_NS6detail17trampoline_kernelINS0_14default_configENS1_25transform_config_selectorIfLb0EEEZNS1_14transform_implILb0ES3_S5_PfN6thrust23THRUST_200600_302600_NS6detail15normal_iteratorINS9_10device_ptrIfEEEENS0_8identityIfEEEE10hipError_tT2_T3_mT4_P12ihipStream_tbEUlT_E_NS1_11comp_targetILNS1_3genE4ELNS1_11target_archE910ELNS1_3gpuE8ELNS1_3repE0EEENS1_30default_config_static_selectorELNS0_4arch9wavefront6targetE0EEEvT1_ ; -- Begin function _ZN7rocprim17ROCPRIM_400000_NS6detail17trampoline_kernelINS0_14default_configENS1_25transform_config_selectorIfLb0EEEZNS1_14transform_implILb0ES3_S5_PfN6thrust23THRUST_200600_302600_NS6detail15normal_iteratorINS9_10device_ptrIfEEEENS0_8identityIfEEEE10hipError_tT2_T3_mT4_P12ihipStream_tbEUlT_E_NS1_11comp_targetILNS1_3genE4ELNS1_11target_archE910ELNS1_3gpuE8ELNS1_3repE0EEENS1_30default_config_static_selectorELNS0_4arch9wavefront6targetE0EEEvT1_
	.globl	_ZN7rocprim17ROCPRIM_400000_NS6detail17trampoline_kernelINS0_14default_configENS1_25transform_config_selectorIfLb0EEEZNS1_14transform_implILb0ES3_S5_PfN6thrust23THRUST_200600_302600_NS6detail15normal_iteratorINS9_10device_ptrIfEEEENS0_8identityIfEEEE10hipError_tT2_T3_mT4_P12ihipStream_tbEUlT_E_NS1_11comp_targetILNS1_3genE4ELNS1_11target_archE910ELNS1_3gpuE8ELNS1_3repE0EEENS1_30default_config_static_selectorELNS0_4arch9wavefront6targetE0EEEvT1_
	.p2align	8
	.type	_ZN7rocprim17ROCPRIM_400000_NS6detail17trampoline_kernelINS0_14default_configENS1_25transform_config_selectorIfLb0EEEZNS1_14transform_implILb0ES3_S5_PfN6thrust23THRUST_200600_302600_NS6detail15normal_iteratorINS9_10device_ptrIfEEEENS0_8identityIfEEEE10hipError_tT2_T3_mT4_P12ihipStream_tbEUlT_E_NS1_11comp_targetILNS1_3genE4ELNS1_11target_archE910ELNS1_3gpuE8ELNS1_3repE0EEENS1_30default_config_static_selectorELNS0_4arch9wavefront6targetE0EEEvT1_,@function
_ZN7rocprim17ROCPRIM_400000_NS6detail17trampoline_kernelINS0_14default_configENS1_25transform_config_selectorIfLb0EEEZNS1_14transform_implILb0ES3_S5_PfN6thrust23THRUST_200600_302600_NS6detail15normal_iteratorINS9_10device_ptrIfEEEENS0_8identityIfEEEE10hipError_tT2_T3_mT4_P12ihipStream_tbEUlT_E_NS1_11comp_targetILNS1_3genE4ELNS1_11target_archE910ELNS1_3gpuE8ELNS1_3repE0EEENS1_30default_config_static_selectorELNS0_4arch9wavefront6targetE0EEEvT1_: ; @_ZN7rocprim17ROCPRIM_400000_NS6detail17trampoline_kernelINS0_14default_configENS1_25transform_config_selectorIfLb0EEEZNS1_14transform_implILb0ES3_S5_PfN6thrust23THRUST_200600_302600_NS6detail15normal_iteratorINS9_10device_ptrIfEEEENS0_8identityIfEEEE10hipError_tT2_T3_mT4_P12ihipStream_tbEUlT_E_NS1_11comp_targetILNS1_3genE4ELNS1_11target_archE910ELNS1_3gpuE8ELNS1_3repE0EEENS1_30default_config_static_selectorELNS0_4arch9wavefront6targetE0EEEvT1_
; %bb.0:
	.section	.rodata,"a",@progbits
	.p2align	6, 0x0
	.amdhsa_kernel _ZN7rocprim17ROCPRIM_400000_NS6detail17trampoline_kernelINS0_14default_configENS1_25transform_config_selectorIfLb0EEEZNS1_14transform_implILb0ES3_S5_PfN6thrust23THRUST_200600_302600_NS6detail15normal_iteratorINS9_10device_ptrIfEEEENS0_8identityIfEEEE10hipError_tT2_T3_mT4_P12ihipStream_tbEUlT_E_NS1_11comp_targetILNS1_3genE4ELNS1_11target_archE910ELNS1_3gpuE8ELNS1_3repE0EEENS1_30default_config_static_selectorELNS0_4arch9wavefront6targetE0EEEvT1_
		.amdhsa_group_segment_fixed_size 0
		.amdhsa_private_segment_fixed_size 0
		.amdhsa_kernarg_size 40
		.amdhsa_user_sgpr_count 6
		.amdhsa_user_sgpr_private_segment_buffer 1
		.amdhsa_user_sgpr_dispatch_ptr 0
		.amdhsa_user_sgpr_queue_ptr 0
		.amdhsa_user_sgpr_kernarg_segment_ptr 1
		.amdhsa_user_sgpr_dispatch_id 0
		.amdhsa_user_sgpr_flat_scratch_init 0
		.amdhsa_user_sgpr_private_segment_size 0
		.amdhsa_wavefront_size32 1
		.amdhsa_uses_dynamic_stack 0
		.amdhsa_system_sgpr_private_segment_wavefront_offset 0
		.amdhsa_system_sgpr_workgroup_id_x 1
		.amdhsa_system_sgpr_workgroup_id_y 0
		.amdhsa_system_sgpr_workgroup_id_z 0
		.amdhsa_system_sgpr_workgroup_info 0
		.amdhsa_system_vgpr_workitem_id 0
		.amdhsa_next_free_vgpr 1
		.amdhsa_next_free_sgpr 1
		.amdhsa_reserve_vcc 0
		.amdhsa_reserve_flat_scratch 0
		.amdhsa_float_round_mode_32 0
		.amdhsa_float_round_mode_16_64 0
		.amdhsa_float_denorm_mode_32 3
		.amdhsa_float_denorm_mode_16_64 3
		.amdhsa_dx10_clamp 1
		.amdhsa_ieee_mode 1
		.amdhsa_fp16_overflow 0
		.amdhsa_workgroup_processor_mode 1
		.amdhsa_memory_ordered 1
		.amdhsa_forward_progress 1
		.amdhsa_shared_vgpr_count 0
		.amdhsa_exception_fp_ieee_invalid_op 0
		.amdhsa_exception_fp_denorm_src 0
		.amdhsa_exception_fp_ieee_div_zero 0
		.amdhsa_exception_fp_ieee_overflow 0
		.amdhsa_exception_fp_ieee_underflow 0
		.amdhsa_exception_fp_ieee_inexact 0
		.amdhsa_exception_int_div_zero 0
	.end_amdhsa_kernel
	.section	.text._ZN7rocprim17ROCPRIM_400000_NS6detail17trampoline_kernelINS0_14default_configENS1_25transform_config_selectorIfLb0EEEZNS1_14transform_implILb0ES3_S5_PfN6thrust23THRUST_200600_302600_NS6detail15normal_iteratorINS9_10device_ptrIfEEEENS0_8identityIfEEEE10hipError_tT2_T3_mT4_P12ihipStream_tbEUlT_E_NS1_11comp_targetILNS1_3genE4ELNS1_11target_archE910ELNS1_3gpuE8ELNS1_3repE0EEENS1_30default_config_static_selectorELNS0_4arch9wavefront6targetE0EEEvT1_,"axG",@progbits,_ZN7rocprim17ROCPRIM_400000_NS6detail17trampoline_kernelINS0_14default_configENS1_25transform_config_selectorIfLb0EEEZNS1_14transform_implILb0ES3_S5_PfN6thrust23THRUST_200600_302600_NS6detail15normal_iteratorINS9_10device_ptrIfEEEENS0_8identityIfEEEE10hipError_tT2_T3_mT4_P12ihipStream_tbEUlT_E_NS1_11comp_targetILNS1_3genE4ELNS1_11target_archE910ELNS1_3gpuE8ELNS1_3repE0EEENS1_30default_config_static_selectorELNS0_4arch9wavefront6targetE0EEEvT1_,comdat
.Lfunc_end525:
	.size	_ZN7rocprim17ROCPRIM_400000_NS6detail17trampoline_kernelINS0_14default_configENS1_25transform_config_selectorIfLb0EEEZNS1_14transform_implILb0ES3_S5_PfN6thrust23THRUST_200600_302600_NS6detail15normal_iteratorINS9_10device_ptrIfEEEENS0_8identityIfEEEE10hipError_tT2_T3_mT4_P12ihipStream_tbEUlT_E_NS1_11comp_targetILNS1_3genE4ELNS1_11target_archE910ELNS1_3gpuE8ELNS1_3repE0EEENS1_30default_config_static_selectorELNS0_4arch9wavefront6targetE0EEEvT1_, .Lfunc_end525-_ZN7rocprim17ROCPRIM_400000_NS6detail17trampoline_kernelINS0_14default_configENS1_25transform_config_selectorIfLb0EEEZNS1_14transform_implILb0ES3_S5_PfN6thrust23THRUST_200600_302600_NS6detail15normal_iteratorINS9_10device_ptrIfEEEENS0_8identityIfEEEE10hipError_tT2_T3_mT4_P12ihipStream_tbEUlT_E_NS1_11comp_targetILNS1_3genE4ELNS1_11target_archE910ELNS1_3gpuE8ELNS1_3repE0EEENS1_30default_config_static_selectorELNS0_4arch9wavefront6targetE0EEEvT1_
                                        ; -- End function
	.set _ZN7rocprim17ROCPRIM_400000_NS6detail17trampoline_kernelINS0_14default_configENS1_25transform_config_selectorIfLb0EEEZNS1_14transform_implILb0ES3_S5_PfN6thrust23THRUST_200600_302600_NS6detail15normal_iteratorINS9_10device_ptrIfEEEENS0_8identityIfEEEE10hipError_tT2_T3_mT4_P12ihipStream_tbEUlT_E_NS1_11comp_targetILNS1_3genE4ELNS1_11target_archE910ELNS1_3gpuE8ELNS1_3repE0EEENS1_30default_config_static_selectorELNS0_4arch9wavefront6targetE0EEEvT1_.num_vgpr, 0
	.set _ZN7rocprim17ROCPRIM_400000_NS6detail17trampoline_kernelINS0_14default_configENS1_25transform_config_selectorIfLb0EEEZNS1_14transform_implILb0ES3_S5_PfN6thrust23THRUST_200600_302600_NS6detail15normal_iteratorINS9_10device_ptrIfEEEENS0_8identityIfEEEE10hipError_tT2_T3_mT4_P12ihipStream_tbEUlT_E_NS1_11comp_targetILNS1_3genE4ELNS1_11target_archE910ELNS1_3gpuE8ELNS1_3repE0EEENS1_30default_config_static_selectorELNS0_4arch9wavefront6targetE0EEEvT1_.num_agpr, 0
	.set _ZN7rocprim17ROCPRIM_400000_NS6detail17trampoline_kernelINS0_14default_configENS1_25transform_config_selectorIfLb0EEEZNS1_14transform_implILb0ES3_S5_PfN6thrust23THRUST_200600_302600_NS6detail15normal_iteratorINS9_10device_ptrIfEEEENS0_8identityIfEEEE10hipError_tT2_T3_mT4_P12ihipStream_tbEUlT_E_NS1_11comp_targetILNS1_3genE4ELNS1_11target_archE910ELNS1_3gpuE8ELNS1_3repE0EEENS1_30default_config_static_selectorELNS0_4arch9wavefront6targetE0EEEvT1_.numbered_sgpr, 0
	.set _ZN7rocprim17ROCPRIM_400000_NS6detail17trampoline_kernelINS0_14default_configENS1_25transform_config_selectorIfLb0EEEZNS1_14transform_implILb0ES3_S5_PfN6thrust23THRUST_200600_302600_NS6detail15normal_iteratorINS9_10device_ptrIfEEEENS0_8identityIfEEEE10hipError_tT2_T3_mT4_P12ihipStream_tbEUlT_E_NS1_11comp_targetILNS1_3genE4ELNS1_11target_archE910ELNS1_3gpuE8ELNS1_3repE0EEENS1_30default_config_static_selectorELNS0_4arch9wavefront6targetE0EEEvT1_.num_named_barrier, 0
	.set _ZN7rocprim17ROCPRIM_400000_NS6detail17trampoline_kernelINS0_14default_configENS1_25transform_config_selectorIfLb0EEEZNS1_14transform_implILb0ES3_S5_PfN6thrust23THRUST_200600_302600_NS6detail15normal_iteratorINS9_10device_ptrIfEEEENS0_8identityIfEEEE10hipError_tT2_T3_mT4_P12ihipStream_tbEUlT_E_NS1_11comp_targetILNS1_3genE4ELNS1_11target_archE910ELNS1_3gpuE8ELNS1_3repE0EEENS1_30default_config_static_selectorELNS0_4arch9wavefront6targetE0EEEvT1_.private_seg_size, 0
	.set _ZN7rocprim17ROCPRIM_400000_NS6detail17trampoline_kernelINS0_14default_configENS1_25transform_config_selectorIfLb0EEEZNS1_14transform_implILb0ES3_S5_PfN6thrust23THRUST_200600_302600_NS6detail15normal_iteratorINS9_10device_ptrIfEEEENS0_8identityIfEEEE10hipError_tT2_T3_mT4_P12ihipStream_tbEUlT_E_NS1_11comp_targetILNS1_3genE4ELNS1_11target_archE910ELNS1_3gpuE8ELNS1_3repE0EEENS1_30default_config_static_selectorELNS0_4arch9wavefront6targetE0EEEvT1_.uses_vcc, 0
	.set _ZN7rocprim17ROCPRIM_400000_NS6detail17trampoline_kernelINS0_14default_configENS1_25transform_config_selectorIfLb0EEEZNS1_14transform_implILb0ES3_S5_PfN6thrust23THRUST_200600_302600_NS6detail15normal_iteratorINS9_10device_ptrIfEEEENS0_8identityIfEEEE10hipError_tT2_T3_mT4_P12ihipStream_tbEUlT_E_NS1_11comp_targetILNS1_3genE4ELNS1_11target_archE910ELNS1_3gpuE8ELNS1_3repE0EEENS1_30default_config_static_selectorELNS0_4arch9wavefront6targetE0EEEvT1_.uses_flat_scratch, 0
	.set _ZN7rocprim17ROCPRIM_400000_NS6detail17trampoline_kernelINS0_14default_configENS1_25transform_config_selectorIfLb0EEEZNS1_14transform_implILb0ES3_S5_PfN6thrust23THRUST_200600_302600_NS6detail15normal_iteratorINS9_10device_ptrIfEEEENS0_8identityIfEEEE10hipError_tT2_T3_mT4_P12ihipStream_tbEUlT_E_NS1_11comp_targetILNS1_3genE4ELNS1_11target_archE910ELNS1_3gpuE8ELNS1_3repE0EEENS1_30default_config_static_selectorELNS0_4arch9wavefront6targetE0EEEvT1_.has_dyn_sized_stack, 0
	.set _ZN7rocprim17ROCPRIM_400000_NS6detail17trampoline_kernelINS0_14default_configENS1_25transform_config_selectorIfLb0EEEZNS1_14transform_implILb0ES3_S5_PfN6thrust23THRUST_200600_302600_NS6detail15normal_iteratorINS9_10device_ptrIfEEEENS0_8identityIfEEEE10hipError_tT2_T3_mT4_P12ihipStream_tbEUlT_E_NS1_11comp_targetILNS1_3genE4ELNS1_11target_archE910ELNS1_3gpuE8ELNS1_3repE0EEENS1_30default_config_static_selectorELNS0_4arch9wavefront6targetE0EEEvT1_.has_recursion, 0
	.set _ZN7rocprim17ROCPRIM_400000_NS6detail17trampoline_kernelINS0_14default_configENS1_25transform_config_selectorIfLb0EEEZNS1_14transform_implILb0ES3_S5_PfN6thrust23THRUST_200600_302600_NS6detail15normal_iteratorINS9_10device_ptrIfEEEENS0_8identityIfEEEE10hipError_tT2_T3_mT4_P12ihipStream_tbEUlT_E_NS1_11comp_targetILNS1_3genE4ELNS1_11target_archE910ELNS1_3gpuE8ELNS1_3repE0EEENS1_30default_config_static_selectorELNS0_4arch9wavefront6targetE0EEEvT1_.has_indirect_call, 0
	.section	.AMDGPU.csdata,"",@progbits
; Kernel info:
; codeLenInByte = 0
; TotalNumSgprs: 0
; NumVgprs: 0
; ScratchSize: 0
; MemoryBound: 0
; FloatMode: 240
; IeeeMode: 1
; LDSByteSize: 0 bytes/workgroup (compile time only)
; SGPRBlocks: 0
; VGPRBlocks: 0
; NumSGPRsForWavesPerEU: 1
; NumVGPRsForWavesPerEU: 1
; Occupancy: 16
; WaveLimiterHint : 0
; COMPUTE_PGM_RSRC2:SCRATCH_EN: 0
; COMPUTE_PGM_RSRC2:USER_SGPR: 6
; COMPUTE_PGM_RSRC2:TRAP_HANDLER: 0
; COMPUTE_PGM_RSRC2:TGID_X_EN: 1
; COMPUTE_PGM_RSRC2:TGID_Y_EN: 0
; COMPUTE_PGM_RSRC2:TGID_Z_EN: 0
; COMPUTE_PGM_RSRC2:TIDIG_COMP_CNT: 0
	.section	.text._ZN7rocprim17ROCPRIM_400000_NS6detail17trampoline_kernelINS0_14default_configENS1_25transform_config_selectorIfLb0EEEZNS1_14transform_implILb0ES3_S5_PfN6thrust23THRUST_200600_302600_NS6detail15normal_iteratorINS9_10device_ptrIfEEEENS0_8identityIfEEEE10hipError_tT2_T3_mT4_P12ihipStream_tbEUlT_E_NS1_11comp_targetILNS1_3genE3ELNS1_11target_archE908ELNS1_3gpuE7ELNS1_3repE0EEENS1_30default_config_static_selectorELNS0_4arch9wavefront6targetE0EEEvT1_,"axG",@progbits,_ZN7rocprim17ROCPRIM_400000_NS6detail17trampoline_kernelINS0_14default_configENS1_25transform_config_selectorIfLb0EEEZNS1_14transform_implILb0ES3_S5_PfN6thrust23THRUST_200600_302600_NS6detail15normal_iteratorINS9_10device_ptrIfEEEENS0_8identityIfEEEE10hipError_tT2_T3_mT4_P12ihipStream_tbEUlT_E_NS1_11comp_targetILNS1_3genE3ELNS1_11target_archE908ELNS1_3gpuE7ELNS1_3repE0EEENS1_30default_config_static_selectorELNS0_4arch9wavefront6targetE0EEEvT1_,comdat
	.protected	_ZN7rocprim17ROCPRIM_400000_NS6detail17trampoline_kernelINS0_14default_configENS1_25transform_config_selectorIfLb0EEEZNS1_14transform_implILb0ES3_S5_PfN6thrust23THRUST_200600_302600_NS6detail15normal_iteratorINS9_10device_ptrIfEEEENS0_8identityIfEEEE10hipError_tT2_T3_mT4_P12ihipStream_tbEUlT_E_NS1_11comp_targetILNS1_3genE3ELNS1_11target_archE908ELNS1_3gpuE7ELNS1_3repE0EEENS1_30default_config_static_selectorELNS0_4arch9wavefront6targetE0EEEvT1_ ; -- Begin function _ZN7rocprim17ROCPRIM_400000_NS6detail17trampoline_kernelINS0_14default_configENS1_25transform_config_selectorIfLb0EEEZNS1_14transform_implILb0ES3_S5_PfN6thrust23THRUST_200600_302600_NS6detail15normal_iteratorINS9_10device_ptrIfEEEENS0_8identityIfEEEE10hipError_tT2_T3_mT4_P12ihipStream_tbEUlT_E_NS1_11comp_targetILNS1_3genE3ELNS1_11target_archE908ELNS1_3gpuE7ELNS1_3repE0EEENS1_30default_config_static_selectorELNS0_4arch9wavefront6targetE0EEEvT1_
	.globl	_ZN7rocprim17ROCPRIM_400000_NS6detail17trampoline_kernelINS0_14default_configENS1_25transform_config_selectorIfLb0EEEZNS1_14transform_implILb0ES3_S5_PfN6thrust23THRUST_200600_302600_NS6detail15normal_iteratorINS9_10device_ptrIfEEEENS0_8identityIfEEEE10hipError_tT2_T3_mT4_P12ihipStream_tbEUlT_E_NS1_11comp_targetILNS1_3genE3ELNS1_11target_archE908ELNS1_3gpuE7ELNS1_3repE0EEENS1_30default_config_static_selectorELNS0_4arch9wavefront6targetE0EEEvT1_
	.p2align	8
	.type	_ZN7rocprim17ROCPRIM_400000_NS6detail17trampoline_kernelINS0_14default_configENS1_25transform_config_selectorIfLb0EEEZNS1_14transform_implILb0ES3_S5_PfN6thrust23THRUST_200600_302600_NS6detail15normal_iteratorINS9_10device_ptrIfEEEENS0_8identityIfEEEE10hipError_tT2_T3_mT4_P12ihipStream_tbEUlT_E_NS1_11comp_targetILNS1_3genE3ELNS1_11target_archE908ELNS1_3gpuE7ELNS1_3repE0EEENS1_30default_config_static_selectorELNS0_4arch9wavefront6targetE0EEEvT1_,@function
_ZN7rocprim17ROCPRIM_400000_NS6detail17trampoline_kernelINS0_14default_configENS1_25transform_config_selectorIfLb0EEEZNS1_14transform_implILb0ES3_S5_PfN6thrust23THRUST_200600_302600_NS6detail15normal_iteratorINS9_10device_ptrIfEEEENS0_8identityIfEEEE10hipError_tT2_T3_mT4_P12ihipStream_tbEUlT_E_NS1_11comp_targetILNS1_3genE3ELNS1_11target_archE908ELNS1_3gpuE7ELNS1_3repE0EEENS1_30default_config_static_selectorELNS0_4arch9wavefront6targetE0EEEvT1_: ; @_ZN7rocprim17ROCPRIM_400000_NS6detail17trampoline_kernelINS0_14default_configENS1_25transform_config_selectorIfLb0EEEZNS1_14transform_implILb0ES3_S5_PfN6thrust23THRUST_200600_302600_NS6detail15normal_iteratorINS9_10device_ptrIfEEEENS0_8identityIfEEEE10hipError_tT2_T3_mT4_P12ihipStream_tbEUlT_E_NS1_11comp_targetILNS1_3genE3ELNS1_11target_archE908ELNS1_3gpuE7ELNS1_3repE0EEENS1_30default_config_static_selectorELNS0_4arch9wavefront6targetE0EEEvT1_
; %bb.0:
	.section	.rodata,"a",@progbits
	.p2align	6, 0x0
	.amdhsa_kernel _ZN7rocprim17ROCPRIM_400000_NS6detail17trampoline_kernelINS0_14default_configENS1_25transform_config_selectorIfLb0EEEZNS1_14transform_implILb0ES3_S5_PfN6thrust23THRUST_200600_302600_NS6detail15normal_iteratorINS9_10device_ptrIfEEEENS0_8identityIfEEEE10hipError_tT2_T3_mT4_P12ihipStream_tbEUlT_E_NS1_11comp_targetILNS1_3genE3ELNS1_11target_archE908ELNS1_3gpuE7ELNS1_3repE0EEENS1_30default_config_static_selectorELNS0_4arch9wavefront6targetE0EEEvT1_
		.amdhsa_group_segment_fixed_size 0
		.amdhsa_private_segment_fixed_size 0
		.amdhsa_kernarg_size 40
		.amdhsa_user_sgpr_count 6
		.amdhsa_user_sgpr_private_segment_buffer 1
		.amdhsa_user_sgpr_dispatch_ptr 0
		.amdhsa_user_sgpr_queue_ptr 0
		.amdhsa_user_sgpr_kernarg_segment_ptr 1
		.amdhsa_user_sgpr_dispatch_id 0
		.amdhsa_user_sgpr_flat_scratch_init 0
		.amdhsa_user_sgpr_private_segment_size 0
		.amdhsa_wavefront_size32 1
		.amdhsa_uses_dynamic_stack 0
		.amdhsa_system_sgpr_private_segment_wavefront_offset 0
		.amdhsa_system_sgpr_workgroup_id_x 1
		.amdhsa_system_sgpr_workgroup_id_y 0
		.amdhsa_system_sgpr_workgroup_id_z 0
		.amdhsa_system_sgpr_workgroup_info 0
		.amdhsa_system_vgpr_workitem_id 0
		.amdhsa_next_free_vgpr 1
		.amdhsa_next_free_sgpr 1
		.amdhsa_reserve_vcc 0
		.amdhsa_reserve_flat_scratch 0
		.amdhsa_float_round_mode_32 0
		.amdhsa_float_round_mode_16_64 0
		.amdhsa_float_denorm_mode_32 3
		.amdhsa_float_denorm_mode_16_64 3
		.amdhsa_dx10_clamp 1
		.amdhsa_ieee_mode 1
		.amdhsa_fp16_overflow 0
		.amdhsa_workgroup_processor_mode 1
		.amdhsa_memory_ordered 1
		.amdhsa_forward_progress 1
		.amdhsa_shared_vgpr_count 0
		.amdhsa_exception_fp_ieee_invalid_op 0
		.amdhsa_exception_fp_denorm_src 0
		.amdhsa_exception_fp_ieee_div_zero 0
		.amdhsa_exception_fp_ieee_overflow 0
		.amdhsa_exception_fp_ieee_underflow 0
		.amdhsa_exception_fp_ieee_inexact 0
		.amdhsa_exception_int_div_zero 0
	.end_amdhsa_kernel
	.section	.text._ZN7rocprim17ROCPRIM_400000_NS6detail17trampoline_kernelINS0_14default_configENS1_25transform_config_selectorIfLb0EEEZNS1_14transform_implILb0ES3_S5_PfN6thrust23THRUST_200600_302600_NS6detail15normal_iteratorINS9_10device_ptrIfEEEENS0_8identityIfEEEE10hipError_tT2_T3_mT4_P12ihipStream_tbEUlT_E_NS1_11comp_targetILNS1_3genE3ELNS1_11target_archE908ELNS1_3gpuE7ELNS1_3repE0EEENS1_30default_config_static_selectorELNS0_4arch9wavefront6targetE0EEEvT1_,"axG",@progbits,_ZN7rocprim17ROCPRIM_400000_NS6detail17trampoline_kernelINS0_14default_configENS1_25transform_config_selectorIfLb0EEEZNS1_14transform_implILb0ES3_S5_PfN6thrust23THRUST_200600_302600_NS6detail15normal_iteratorINS9_10device_ptrIfEEEENS0_8identityIfEEEE10hipError_tT2_T3_mT4_P12ihipStream_tbEUlT_E_NS1_11comp_targetILNS1_3genE3ELNS1_11target_archE908ELNS1_3gpuE7ELNS1_3repE0EEENS1_30default_config_static_selectorELNS0_4arch9wavefront6targetE0EEEvT1_,comdat
.Lfunc_end526:
	.size	_ZN7rocprim17ROCPRIM_400000_NS6detail17trampoline_kernelINS0_14default_configENS1_25transform_config_selectorIfLb0EEEZNS1_14transform_implILb0ES3_S5_PfN6thrust23THRUST_200600_302600_NS6detail15normal_iteratorINS9_10device_ptrIfEEEENS0_8identityIfEEEE10hipError_tT2_T3_mT4_P12ihipStream_tbEUlT_E_NS1_11comp_targetILNS1_3genE3ELNS1_11target_archE908ELNS1_3gpuE7ELNS1_3repE0EEENS1_30default_config_static_selectorELNS0_4arch9wavefront6targetE0EEEvT1_, .Lfunc_end526-_ZN7rocprim17ROCPRIM_400000_NS6detail17trampoline_kernelINS0_14default_configENS1_25transform_config_selectorIfLb0EEEZNS1_14transform_implILb0ES3_S5_PfN6thrust23THRUST_200600_302600_NS6detail15normal_iteratorINS9_10device_ptrIfEEEENS0_8identityIfEEEE10hipError_tT2_T3_mT4_P12ihipStream_tbEUlT_E_NS1_11comp_targetILNS1_3genE3ELNS1_11target_archE908ELNS1_3gpuE7ELNS1_3repE0EEENS1_30default_config_static_selectorELNS0_4arch9wavefront6targetE0EEEvT1_
                                        ; -- End function
	.set _ZN7rocprim17ROCPRIM_400000_NS6detail17trampoline_kernelINS0_14default_configENS1_25transform_config_selectorIfLb0EEEZNS1_14transform_implILb0ES3_S5_PfN6thrust23THRUST_200600_302600_NS6detail15normal_iteratorINS9_10device_ptrIfEEEENS0_8identityIfEEEE10hipError_tT2_T3_mT4_P12ihipStream_tbEUlT_E_NS1_11comp_targetILNS1_3genE3ELNS1_11target_archE908ELNS1_3gpuE7ELNS1_3repE0EEENS1_30default_config_static_selectorELNS0_4arch9wavefront6targetE0EEEvT1_.num_vgpr, 0
	.set _ZN7rocprim17ROCPRIM_400000_NS6detail17trampoline_kernelINS0_14default_configENS1_25transform_config_selectorIfLb0EEEZNS1_14transform_implILb0ES3_S5_PfN6thrust23THRUST_200600_302600_NS6detail15normal_iteratorINS9_10device_ptrIfEEEENS0_8identityIfEEEE10hipError_tT2_T3_mT4_P12ihipStream_tbEUlT_E_NS1_11comp_targetILNS1_3genE3ELNS1_11target_archE908ELNS1_3gpuE7ELNS1_3repE0EEENS1_30default_config_static_selectorELNS0_4arch9wavefront6targetE0EEEvT1_.num_agpr, 0
	.set _ZN7rocprim17ROCPRIM_400000_NS6detail17trampoline_kernelINS0_14default_configENS1_25transform_config_selectorIfLb0EEEZNS1_14transform_implILb0ES3_S5_PfN6thrust23THRUST_200600_302600_NS6detail15normal_iteratorINS9_10device_ptrIfEEEENS0_8identityIfEEEE10hipError_tT2_T3_mT4_P12ihipStream_tbEUlT_E_NS1_11comp_targetILNS1_3genE3ELNS1_11target_archE908ELNS1_3gpuE7ELNS1_3repE0EEENS1_30default_config_static_selectorELNS0_4arch9wavefront6targetE0EEEvT1_.numbered_sgpr, 0
	.set _ZN7rocprim17ROCPRIM_400000_NS6detail17trampoline_kernelINS0_14default_configENS1_25transform_config_selectorIfLb0EEEZNS1_14transform_implILb0ES3_S5_PfN6thrust23THRUST_200600_302600_NS6detail15normal_iteratorINS9_10device_ptrIfEEEENS0_8identityIfEEEE10hipError_tT2_T3_mT4_P12ihipStream_tbEUlT_E_NS1_11comp_targetILNS1_3genE3ELNS1_11target_archE908ELNS1_3gpuE7ELNS1_3repE0EEENS1_30default_config_static_selectorELNS0_4arch9wavefront6targetE0EEEvT1_.num_named_barrier, 0
	.set _ZN7rocprim17ROCPRIM_400000_NS6detail17trampoline_kernelINS0_14default_configENS1_25transform_config_selectorIfLb0EEEZNS1_14transform_implILb0ES3_S5_PfN6thrust23THRUST_200600_302600_NS6detail15normal_iteratorINS9_10device_ptrIfEEEENS0_8identityIfEEEE10hipError_tT2_T3_mT4_P12ihipStream_tbEUlT_E_NS1_11comp_targetILNS1_3genE3ELNS1_11target_archE908ELNS1_3gpuE7ELNS1_3repE0EEENS1_30default_config_static_selectorELNS0_4arch9wavefront6targetE0EEEvT1_.private_seg_size, 0
	.set _ZN7rocprim17ROCPRIM_400000_NS6detail17trampoline_kernelINS0_14default_configENS1_25transform_config_selectorIfLb0EEEZNS1_14transform_implILb0ES3_S5_PfN6thrust23THRUST_200600_302600_NS6detail15normal_iteratorINS9_10device_ptrIfEEEENS0_8identityIfEEEE10hipError_tT2_T3_mT4_P12ihipStream_tbEUlT_E_NS1_11comp_targetILNS1_3genE3ELNS1_11target_archE908ELNS1_3gpuE7ELNS1_3repE0EEENS1_30default_config_static_selectorELNS0_4arch9wavefront6targetE0EEEvT1_.uses_vcc, 0
	.set _ZN7rocprim17ROCPRIM_400000_NS6detail17trampoline_kernelINS0_14default_configENS1_25transform_config_selectorIfLb0EEEZNS1_14transform_implILb0ES3_S5_PfN6thrust23THRUST_200600_302600_NS6detail15normal_iteratorINS9_10device_ptrIfEEEENS0_8identityIfEEEE10hipError_tT2_T3_mT4_P12ihipStream_tbEUlT_E_NS1_11comp_targetILNS1_3genE3ELNS1_11target_archE908ELNS1_3gpuE7ELNS1_3repE0EEENS1_30default_config_static_selectorELNS0_4arch9wavefront6targetE0EEEvT1_.uses_flat_scratch, 0
	.set _ZN7rocprim17ROCPRIM_400000_NS6detail17trampoline_kernelINS0_14default_configENS1_25transform_config_selectorIfLb0EEEZNS1_14transform_implILb0ES3_S5_PfN6thrust23THRUST_200600_302600_NS6detail15normal_iteratorINS9_10device_ptrIfEEEENS0_8identityIfEEEE10hipError_tT2_T3_mT4_P12ihipStream_tbEUlT_E_NS1_11comp_targetILNS1_3genE3ELNS1_11target_archE908ELNS1_3gpuE7ELNS1_3repE0EEENS1_30default_config_static_selectorELNS0_4arch9wavefront6targetE0EEEvT1_.has_dyn_sized_stack, 0
	.set _ZN7rocprim17ROCPRIM_400000_NS6detail17trampoline_kernelINS0_14default_configENS1_25transform_config_selectorIfLb0EEEZNS1_14transform_implILb0ES3_S5_PfN6thrust23THRUST_200600_302600_NS6detail15normal_iteratorINS9_10device_ptrIfEEEENS0_8identityIfEEEE10hipError_tT2_T3_mT4_P12ihipStream_tbEUlT_E_NS1_11comp_targetILNS1_3genE3ELNS1_11target_archE908ELNS1_3gpuE7ELNS1_3repE0EEENS1_30default_config_static_selectorELNS0_4arch9wavefront6targetE0EEEvT1_.has_recursion, 0
	.set _ZN7rocprim17ROCPRIM_400000_NS6detail17trampoline_kernelINS0_14default_configENS1_25transform_config_selectorIfLb0EEEZNS1_14transform_implILb0ES3_S5_PfN6thrust23THRUST_200600_302600_NS6detail15normal_iteratorINS9_10device_ptrIfEEEENS0_8identityIfEEEE10hipError_tT2_T3_mT4_P12ihipStream_tbEUlT_E_NS1_11comp_targetILNS1_3genE3ELNS1_11target_archE908ELNS1_3gpuE7ELNS1_3repE0EEENS1_30default_config_static_selectorELNS0_4arch9wavefront6targetE0EEEvT1_.has_indirect_call, 0
	.section	.AMDGPU.csdata,"",@progbits
; Kernel info:
; codeLenInByte = 0
; TotalNumSgprs: 0
; NumVgprs: 0
; ScratchSize: 0
; MemoryBound: 0
; FloatMode: 240
; IeeeMode: 1
; LDSByteSize: 0 bytes/workgroup (compile time only)
; SGPRBlocks: 0
; VGPRBlocks: 0
; NumSGPRsForWavesPerEU: 1
; NumVGPRsForWavesPerEU: 1
; Occupancy: 16
; WaveLimiterHint : 0
; COMPUTE_PGM_RSRC2:SCRATCH_EN: 0
; COMPUTE_PGM_RSRC2:USER_SGPR: 6
; COMPUTE_PGM_RSRC2:TRAP_HANDLER: 0
; COMPUTE_PGM_RSRC2:TGID_X_EN: 1
; COMPUTE_PGM_RSRC2:TGID_Y_EN: 0
; COMPUTE_PGM_RSRC2:TGID_Z_EN: 0
; COMPUTE_PGM_RSRC2:TIDIG_COMP_CNT: 0
	.section	.text._ZN7rocprim17ROCPRIM_400000_NS6detail17trampoline_kernelINS0_14default_configENS1_25transform_config_selectorIfLb0EEEZNS1_14transform_implILb0ES3_S5_PfN6thrust23THRUST_200600_302600_NS6detail15normal_iteratorINS9_10device_ptrIfEEEENS0_8identityIfEEEE10hipError_tT2_T3_mT4_P12ihipStream_tbEUlT_E_NS1_11comp_targetILNS1_3genE2ELNS1_11target_archE906ELNS1_3gpuE6ELNS1_3repE0EEENS1_30default_config_static_selectorELNS0_4arch9wavefront6targetE0EEEvT1_,"axG",@progbits,_ZN7rocprim17ROCPRIM_400000_NS6detail17trampoline_kernelINS0_14default_configENS1_25transform_config_selectorIfLb0EEEZNS1_14transform_implILb0ES3_S5_PfN6thrust23THRUST_200600_302600_NS6detail15normal_iteratorINS9_10device_ptrIfEEEENS0_8identityIfEEEE10hipError_tT2_T3_mT4_P12ihipStream_tbEUlT_E_NS1_11comp_targetILNS1_3genE2ELNS1_11target_archE906ELNS1_3gpuE6ELNS1_3repE0EEENS1_30default_config_static_selectorELNS0_4arch9wavefront6targetE0EEEvT1_,comdat
	.protected	_ZN7rocprim17ROCPRIM_400000_NS6detail17trampoline_kernelINS0_14default_configENS1_25transform_config_selectorIfLb0EEEZNS1_14transform_implILb0ES3_S5_PfN6thrust23THRUST_200600_302600_NS6detail15normal_iteratorINS9_10device_ptrIfEEEENS0_8identityIfEEEE10hipError_tT2_T3_mT4_P12ihipStream_tbEUlT_E_NS1_11comp_targetILNS1_3genE2ELNS1_11target_archE906ELNS1_3gpuE6ELNS1_3repE0EEENS1_30default_config_static_selectorELNS0_4arch9wavefront6targetE0EEEvT1_ ; -- Begin function _ZN7rocprim17ROCPRIM_400000_NS6detail17trampoline_kernelINS0_14default_configENS1_25transform_config_selectorIfLb0EEEZNS1_14transform_implILb0ES3_S5_PfN6thrust23THRUST_200600_302600_NS6detail15normal_iteratorINS9_10device_ptrIfEEEENS0_8identityIfEEEE10hipError_tT2_T3_mT4_P12ihipStream_tbEUlT_E_NS1_11comp_targetILNS1_3genE2ELNS1_11target_archE906ELNS1_3gpuE6ELNS1_3repE0EEENS1_30default_config_static_selectorELNS0_4arch9wavefront6targetE0EEEvT1_
	.globl	_ZN7rocprim17ROCPRIM_400000_NS6detail17trampoline_kernelINS0_14default_configENS1_25transform_config_selectorIfLb0EEEZNS1_14transform_implILb0ES3_S5_PfN6thrust23THRUST_200600_302600_NS6detail15normal_iteratorINS9_10device_ptrIfEEEENS0_8identityIfEEEE10hipError_tT2_T3_mT4_P12ihipStream_tbEUlT_E_NS1_11comp_targetILNS1_3genE2ELNS1_11target_archE906ELNS1_3gpuE6ELNS1_3repE0EEENS1_30default_config_static_selectorELNS0_4arch9wavefront6targetE0EEEvT1_
	.p2align	8
	.type	_ZN7rocprim17ROCPRIM_400000_NS6detail17trampoline_kernelINS0_14default_configENS1_25transform_config_selectorIfLb0EEEZNS1_14transform_implILb0ES3_S5_PfN6thrust23THRUST_200600_302600_NS6detail15normal_iteratorINS9_10device_ptrIfEEEENS0_8identityIfEEEE10hipError_tT2_T3_mT4_P12ihipStream_tbEUlT_E_NS1_11comp_targetILNS1_3genE2ELNS1_11target_archE906ELNS1_3gpuE6ELNS1_3repE0EEENS1_30default_config_static_selectorELNS0_4arch9wavefront6targetE0EEEvT1_,@function
_ZN7rocprim17ROCPRIM_400000_NS6detail17trampoline_kernelINS0_14default_configENS1_25transform_config_selectorIfLb0EEEZNS1_14transform_implILb0ES3_S5_PfN6thrust23THRUST_200600_302600_NS6detail15normal_iteratorINS9_10device_ptrIfEEEENS0_8identityIfEEEE10hipError_tT2_T3_mT4_P12ihipStream_tbEUlT_E_NS1_11comp_targetILNS1_3genE2ELNS1_11target_archE906ELNS1_3gpuE6ELNS1_3repE0EEENS1_30default_config_static_selectorELNS0_4arch9wavefront6targetE0EEEvT1_: ; @_ZN7rocprim17ROCPRIM_400000_NS6detail17trampoline_kernelINS0_14default_configENS1_25transform_config_selectorIfLb0EEEZNS1_14transform_implILb0ES3_S5_PfN6thrust23THRUST_200600_302600_NS6detail15normal_iteratorINS9_10device_ptrIfEEEENS0_8identityIfEEEE10hipError_tT2_T3_mT4_P12ihipStream_tbEUlT_E_NS1_11comp_targetILNS1_3genE2ELNS1_11target_archE906ELNS1_3gpuE6ELNS1_3repE0EEENS1_30default_config_static_selectorELNS0_4arch9wavefront6targetE0EEEvT1_
; %bb.0:
	.section	.rodata,"a",@progbits
	.p2align	6, 0x0
	.amdhsa_kernel _ZN7rocprim17ROCPRIM_400000_NS6detail17trampoline_kernelINS0_14default_configENS1_25transform_config_selectorIfLb0EEEZNS1_14transform_implILb0ES3_S5_PfN6thrust23THRUST_200600_302600_NS6detail15normal_iteratorINS9_10device_ptrIfEEEENS0_8identityIfEEEE10hipError_tT2_T3_mT4_P12ihipStream_tbEUlT_E_NS1_11comp_targetILNS1_3genE2ELNS1_11target_archE906ELNS1_3gpuE6ELNS1_3repE0EEENS1_30default_config_static_selectorELNS0_4arch9wavefront6targetE0EEEvT1_
		.amdhsa_group_segment_fixed_size 0
		.amdhsa_private_segment_fixed_size 0
		.amdhsa_kernarg_size 40
		.amdhsa_user_sgpr_count 6
		.amdhsa_user_sgpr_private_segment_buffer 1
		.amdhsa_user_sgpr_dispatch_ptr 0
		.amdhsa_user_sgpr_queue_ptr 0
		.amdhsa_user_sgpr_kernarg_segment_ptr 1
		.amdhsa_user_sgpr_dispatch_id 0
		.amdhsa_user_sgpr_flat_scratch_init 0
		.amdhsa_user_sgpr_private_segment_size 0
		.amdhsa_wavefront_size32 1
		.amdhsa_uses_dynamic_stack 0
		.amdhsa_system_sgpr_private_segment_wavefront_offset 0
		.amdhsa_system_sgpr_workgroup_id_x 1
		.amdhsa_system_sgpr_workgroup_id_y 0
		.amdhsa_system_sgpr_workgroup_id_z 0
		.amdhsa_system_sgpr_workgroup_info 0
		.amdhsa_system_vgpr_workitem_id 0
		.amdhsa_next_free_vgpr 1
		.amdhsa_next_free_sgpr 1
		.amdhsa_reserve_vcc 0
		.amdhsa_reserve_flat_scratch 0
		.amdhsa_float_round_mode_32 0
		.amdhsa_float_round_mode_16_64 0
		.amdhsa_float_denorm_mode_32 3
		.amdhsa_float_denorm_mode_16_64 3
		.amdhsa_dx10_clamp 1
		.amdhsa_ieee_mode 1
		.amdhsa_fp16_overflow 0
		.amdhsa_workgroup_processor_mode 1
		.amdhsa_memory_ordered 1
		.amdhsa_forward_progress 1
		.amdhsa_shared_vgpr_count 0
		.amdhsa_exception_fp_ieee_invalid_op 0
		.amdhsa_exception_fp_denorm_src 0
		.amdhsa_exception_fp_ieee_div_zero 0
		.amdhsa_exception_fp_ieee_overflow 0
		.amdhsa_exception_fp_ieee_underflow 0
		.amdhsa_exception_fp_ieee_inexact 0
		.amdhsa_exception_int_div_zero 0
	.end_amdhsa_kernel
	.section	.text._ZN7rocprim17ROCPRIM_400000_NS6detail17trampoline_kernelINS0_14default_configENS1_25transform_config_selectorIfLb0EEEZNS1_14transform_implILb0ES3_S5_PfN6thrust23THRUST_200600_302600_NS6detail15normal_iteratorINS9_10device_ptrIfEEEENS0_8identityIfEEEE10hipError_tT2_T3_mT4_P12ihipStream_tbEUlT_E_NS1_11comp_targetILNS1_3genE2ELNS1_11target_archE906ELNS1_3gpuE6ELNS1_3repE0EEENS1_30default_config_static_selectorELNS0_4arch9wavefront6targetE0EEEvT1_,"axG",@progbits,_ZN7rocprim17ROCPRIM_400000_NS6detail17trampoline_kernelINS0_14default_configENS1_25transform_config_selectorIfLb0EEEZNS1_14transform_implILb0ES3_S5_PfN6thrust23THRUST_200600_302600_NS6detail15normal_iteratorINS9_10device_ptrIfEEEENS0_8identityIfEEEE10hipError_tT2_T3_mT4_P12ihipStream_tbEUlT_E_NS1_11comp_targetILNS1_3genE2ELNS1_11target_archE906ELNS1_3gpuE6ELNS1_3repE0EEENS1_30default_config_static_selectorELNS0_4arch9wavefront6targetE0EEEvT1_,comdat
.Lfunc_end527:
	.size	_ZN7rocprim17ROCPRIM_400000_NS6detail17trampoline_kernelINS0_14default_configENS1_25transform_config_selectorIfLb0EEEZNS1_14transform_implILb0ES3_S5_PfN6thrust23THRUST_200600_302600_NS6detail15normal_iteratorINS9_10device_ptrIfEEEENS0_8identityIfEEEE10hipError_tT2_T3_mT4_P12ihipStream_tbEUlT_E_NS1_11comp_targetILNS1_3genE2ELNS1_11target_archE906ELNS1_3gpuE6ELNS1_3repE0EEENS1_30default_config_static_selectorELNS0_4arch9wavefront6targetE0EEEvT1_, .Lfunc_end527-_ZN7rocprim17ROCPRIM_400000_NS6detail17trampoline_kernelINS0_14default_configENS1_25transform_config_selectorIfLb0EEEZNS1_14transform_implILb0ES3_S5_PfN6thrust23THRUST_200600_302600_NS6detail15normal_iteratorINS9_10device_ptrIfEEEENS0_8identityIfEEEE10hipError_tT2_T3_mT4_P12ihipStream_tbEUlT_E_NS1_11comp_targetILNS1_3genE2ELNS1_11target_archE906ELNS1_3gpuE6ELNS1_3repE0EEENS1_30default_config_static_selectorELNS0_4arch9wavefront6targetE0EEEvT1_
                                        ; -- End function
	.set _ZN7rocprim17ROCPRIM_400000_NS6detail17trampoline_kernelINS0_14default_configENS1_25transform_config_selectorIfLb0EEEZNS1_14transform_implILb0ES3_S5_PfN6thrust23THRUST_200600_302600_NS6detail15normal_iteratorINS9_10device_ptrIfEEEENS0_8identityIfEEEE10hipError_tT2_T3_mT4_P12ihipStream_tbEUlT_E_NS1_11comp_targetILNS1_3genE2ELNS1_11target_archE906ELNS1_3gpuE6ELNS1_3repE0EEENS1_30default_config_static_selectorELNS0_4arch9wavefront6targetE0EEEvT1_.num_vgpr, 0
	.set _ZN7rocprim17ROCPRIM_400000_NS6detail17trampoline_kernelINS0_14default_configENS1_25transform_config_selectorIfLb0EEEZNS1_14transform_implILb0ES3_S5_PfN6thrust23THRUST_200600_302600_NS6detail15normal_iteratorINS9_10device_ptrIfEEEENS0_8identityIfEEEE10hipError_tT2_T3_mT4_P12ihipStream_tbEUlT_E_NS1_11comp_targetILNS1_3genE2ELNS1_11target_archE906ELNS1_3gpuE6ELNS1_3repE0EEENS1_30default_config_static_selectorELNS0_4arch9wavefront6targetE0EEEvT1_.num_agpr, 0
	.set _ZN7rocprim17ROCPRIM_400000_NS6detail17trampoline_kernelINS0_14default_configENS1_25transform_config_selectorIfLb0EEEZNS1_14transform_implILb0ES3_S5_PfN6thrust23THRUST_200600_302600_NS6detail15normal_iteratorINS9_10device_ptrIfEEEENS0_8identityIfEEEE10hipError_tT2_T3_mT4_P12ihipStream_tbEUlT_E_NS1_11comp_targetILNS1_3genE2ELNS1_11target_archE906ELNS1_3gpuE6ELNS1_3repE0EEENS1_30default_config_static_selectorELNS0_4arch9wavefront6targetE0EEEvT1_.numbered_sgpr, 0
	.set _ZN7rocprim17ROCPRIM_400000_NS6detail17trampoline_kernelINS0_14default_configENS1_25transform_config_selectorIfLb0EEEZNS1_14transform_implILb0ES3_S5_PfN6thrust23THRUST_200600_302600_NS6detail15normal_iteratorINS9_10device_ptrIfEEEENS0_8identityIfEEEE10hipError_tT2_T3_mT4_P12ihipStream_tbEUlT_E_NS1_11comp_targetILNS1_3genE2ELNS1_11target_archE906ELNS1_3gpuE6ELNS1_3repE0EEENS1_30default_config_static_selectorELNS0_4arch9wavefront6targetE0EEEvT1_.num_named_barrier, 0
	.set _ZN7rocprim17ROCPRIM_400000_NS6detail17trampoline_kernelINS0_14default_configENS1_25transform_config_selectorIfLb0EEEZNS1_14transform_implILb0ES3_S5_PfN6thrust23THRUST_200600_302600_NS6detail15normal_iteratorINS9_10device_ptrIfEEEENS0_8identityIfEEEE10hipError_tT2_T3_mT4_P12ihipStream_tbEUlT_E_NS1_11comp_targetILNS1_3genE2ELNS1_11target_archE906ELNS1_3gpuE6ELNS1_3repE0EEENS1_30default_config_static_selectorELNS0_4arch9wavefront6targetE0EEEvT1_.private_seg_size, 0
	.set _ZN7rocprim17ROCPRIM_400000_NS6detail17trampoline_kernelINS0_14default_configENS1_25transform_config_selectorIfLb0EEEZNS1_14transform_implILb0ES3_S5_PfN6thrust23THRUST_200600_302600_NS6detail15normal_iteratorINS9_10device_ptrIfEEEENS0_8identityIfEEEE10hipError_tT2_T3_mT4_P12ihipStream_tbEUlT_E_NS1_11comp_targetILNS1_3genE2ELNS1_11target_archE906ELNS1_3gpuE6ELNS1_3repE0EEENS1_30default_config_static_selectorELNS0_4arch9wavefront6targetE0EEEvT1_.uses_vcc, 0
	.set _ZN7rocprim17ROCPRIM_400000_NS6detail17trampoline_kernelINS0_14default_configENS1_25transform_config_selectorIfLb0EEEZNS1_14transform_implILb0ES3_S5_PfN6thrust23THRUST_200600_302600_NS6detail15normal_iteratorINS9_10device_ptrIfEEEENS0_8identityIfEEEE10hipError_tT2_T3_mT4_P12ihipStream_tbEUlT_E_NS1_11comp_targetILNS1_3genE2ELNS1_11target_archE906ELNS1_3gpuE6ELNS1_3repE0EEENS1_30default_config_static_selectorELNS0_4arch9wavefront6targetE0EEEvT1_.uses_flat_scratch, 0
	.set _ZN7rocprim17ROCPRIM_400000_NS6detail17trampoline_kernelINS0_14default_configENS1_25transform_config_selectorIfLb0EEEZNS1_14transform_implILb0ES3_S5_PfN6thrust23THRUST_200600_302600_NS6detail15normal_iteratorINS9_10device_ptrIfEEEENS0_8identityIfEEEE10hipError_tT2_T3_mT4_P12ihipStream_tbEUlT_E_NS1_11comp_targetILNS1_3genE2ELNS1_11target_archE906ELNS1_3gpuE6ELNS1_3repE0EEENS1_30default_config_static_selectorELNS0_4arch9wavefront6targetE0EEEvT1_.has_dyn_sized_stack, 0
	.set _ZN7rocprim17ROCPRIM_400000_NS6detail17trampoline_kernelINS0_14default_configENS1_25transform_config_selectorIfLb0EEEZNS1_14transform_implILb0ES3_S5_PfN6thrust23THRUST_200600_302600_NS6detail15normal_iteratorINS9_10device_ptrIfEEEENS0_8identityIfEEEE10hipError_tT2_T3_mT4_P12ihipStream_tbEUlT_E_NS1_11comp_targetILNS1_3genE2ELNS1_11target_archE906ELNS1_3gpuE6ELNS1_3repE0EEENS1_30default_config_static_selectorELNS0_4arch9wavefront6targetE0EEEvT1_.has_recursion, 0
	.set _ZN7rocprim17ROCPRIM_400000_NS6detail17trampoline_kernelINS0_14default_configENS1_25transform_config_selectorIfLb0EEEZNS1_14transform_implILb0ES3_S5_PfN6thrust23THRUST_200600_302600_NS6detail15normal_iteratorINS9_10device_ptrIfEEEENS0_8identityIfEEEE10hipError_tT2_T3_mT4_P12ihipStream_tbEUlT_E_NS1_11comp_targetILNS1_3genE2ELNS1_11target_archE906ELNS1_3gpuE6ELNS1_3repE0EEENS1_30default_config_static_selectorELNS0_4arch9wavefront6targetE0EEEvT1_.has_indirect_call, 0
	.section	.AMDGPU.csdata,"",@progbits
; Kernel info:
; codeLenInByte = 0
; TotalNumSgprs: 0
; NumVgprs: 0
; ScratchSize: 0
; MemoryBound: 0
; FloatMode: 240
; IeeeMode: 1
; LDSByteSize: 0 bytes/workgroup (compile time only)
; SGPRBlocks: 0
; VGPRBlocks: 0
; NumSGPRsForWavesPerEU: 1
; NumVGPRsForWavesPerEU: 1
; Occupancy: 16
; WaveLimiterHint : 0
; COMPUTE_PGM_RSRC2:SCRATCH_EN: 0
; COMPUTE_PGM_RSRC2:USER_SGPR: 6
; COMPUTE_PGM_RSRC2:TRAP_HANDLER: 0
; COMPUTE_PGM_RSRC2:TGID_X_EN: 1
; COMPUTE_PGM_RSRC2:TGID_Y_EN: 0
; COMPUTE_PGM_RSRC2:TGID_Z_EN: 0
; COMPUTE_PGM_RSRC2:TIDIG_COMP_CNT: 0
	.section	.text._ZN7rocprim17ROCPRIM_400000_NS6detail17trampoline_kernelINS0_14default_configENS1_25transform_config_selectorIfLb0EEEZNS1_14transform_implILb0ES3_S5_PfN6thrust23THRUST_200600_302600_NS6detail15normal_iteratorINS9_10device_ptrIfEEEENS0_8identityIfEEEE10hipError_tT2_T3_mT4_P12ihipStream_tbEUlT_E_NS1_11comp_targetILNS1_3genE10ELNS1_11target_archE1201ELNS1_3gpuE5ELNS1_3repE0EEENS1_30default_config_static_selectorELNS0_4arch9wavefront6targetE0EEEvT1_,"axG",@progbits,_ZN7rocprim17ROCPRIM_400000_NS6detail17trampoline_kernelINS0_14default_configENS1_25transform_config_selectorIfLb0EEEZNS1_14transform_implILb0ES3_S5_PfN6thrust23THRUST_200600_302600_NS6detail15normal_iteratorINS9_10device_ptrIfEEEENS0_8identityIfEEEE10hipError_tT2_T3_mT4_P12ihipStream_tbEUlT_E_NS1_11comp_targetILNS1_3genE10ELNS1_11target_archE1201ELNS1_3gpuE5ELNS1_3repE0EEENS1_30default_config_static_selectorELNS0_4arch9wavefront6targetE0EEEvT1_,comdat
	.protected	_ZN7rocprim17ROCPRIM_400000_NS6detail17trampoline_kernelINS0_14default_configENS1_25transform_config_selectorIfLb0EEEZNS1_14transform_implILb0ES3_S5_PfN6thrust23THRUST_200600_302600_NS6detail15normal_iteratorINS9_10device_ptrIfEEEENS0_8identityIfEEEE10hipError_tT2_T3_mT4_P12ihipStream_tbEUlT_E_NS1_11comp_targetILNS1_3genE10ELNS1_11target_archE1201ELNS1_3gpuE5ELNS1_3repE0EEENS1_30default_config_static_selectorELNS0_4arch9wavefront6targetE0EEEvT1_ ; -- Begin function _ZN7rocprim17ROCPRIM_400000_NS6detail17trampoline_kernelINS0_14default_configENS1_25transform_config_selectorIfLb0EEEZNS1_14transform_implILb0ES3_S5_PfN6thrust23THRUST_200600_302600_NS6detail15normal_iteratorINS9_10device_ptrIfEEEENS0_8identityIfEEEE10hipError_tT2_T3_mT4_P12ihipStream_tbEUlT_E_NS1_11comp_targetILNS1_3genE10ELNS1_11target_archE1201ELNS1_3gpuE5ELNS1_3repE0EEENS1_30default_config_static_selectorELNS0_4arch9wavefront6targetE0EEEvT1_
	.globl	_ZN7rocprim17ROCPRIM_400000_NS6detail17trampoline_kernelINS0_14default_configENS1_25transform_config_selectorIfLb0EEEZNS1_14transform_implILb0ES3_S5_PfN6thrust23THRUST_200600_302600_NS6detail15normal_iteratorINS9_10device_ptrIfEEEENS0_8identityIfEEEE10hipError_tT2_T3_mT4_P12ihipStream_tbEUlT_E_NS1_11comp_targetILNS1_3genE10ELNS1_11target_archE1201ELNS1_3gpuE5ELNS1_3repE0EEENS1_30default_config_static_selectorELNS0_4arch9wavefront6targetE0EEEvT1_
	.p2align	8
	.type	_ZN7rocprim17ROCPRIM_400000_NS6detail17trampoline_kernelINS0_14default_configENS1_25transform_config_selectorIfLb0EEEZNS1_14transform_implILb0ES3_S5_PfN6thrust23THRUST_200600_302600_NS6detail15normal_iteratorINS9_10device_ptrIfEEEENS0_8identityIfEEEE10hipError_tT2_T3_mT4_P12ihipStream_tbEUlT_E_NS1_11comp_targetILNS1_3genE10ELNS1_11target_archE1201ELNS1_3gpuE5ELNS1_3repE0EEENS1_30default_config_static_selectorELNS0_4arch9wavefront6targetE0EEEvT1_,@function
_ZN7rocprim17ROCPRIM_400000_NS6detail17trampoline_kernelINS0_14default_configENS1_25transform_config_selectorIfLb0EEEZNS1_14transform_implILb0ES3_S5_PfN6thrust23THRUST_200600_302600_NS6detail15normal_iteratorINS9_10device_ptrIfEEEENS0_8identityIfEEEE10hipError_tT2_T3_mT4_P12ihipStream_tbEUlT_E_NS1_11comp_targetILNS1_3genE10ELNS1_11target_archE1201ELNS1_3gpuE5ELNS1_3repE0EEENS1_30default_config_static_selectorELNS0_4arch9wavefront6targetE0EEEvT1_: ; @_ZN7rocprim17ROCPRIM_400000_NS6detail17trampoline_kernelINS0_14default_configENS1_25transform_config_selectorIfLb0EEEZNS1_14transform_implILb0ES3_S5_PfN6thrust23THRUST_200600_302600_NS6detail15normal_iteratorINS9_10device_ptrIfEEEENS0_8identityIfEEEE10hipError_tT2_T3_mT4_P12ihipStream_tbEUlT_E_NS1_11comp_targetILNS1_3genE10ELNS1_11target_archE1201ELNS1_3gpuE5ELNS1_3repE0EEENS1_30default_config_static_selectorELNS0_4arch9wavefront6targetE0EEEvT1_
; %bb.0:
	.section	.rodata,"a",@progbits
	.p2align	6, 0x0
	.amdhsa_kernel _ZN7rocprim17ROCPRIM_400000_NS6detail17trampoline_kernelINS0_14default_configENS1_25transform_config_selectorIfLb0EEEZNS1_14transform_implILb0ES3_S5_PfN6thrust23THRUST_200600_302600_NS6detail15normal_iteratorINS9_10device_ptrIfEEEENS0_8identityIfEEEE10hipError_tT2_T3_mT4_P12ihipStream_tbEUlT_E_NS1_11comp_targetILNS1_3genE10ELNS1_11target_archE1201ELNS1_3gpuE5ELNS1_3repE0EEENS1_30default_config_static_selectorELNS0_4arch9wavefront6targetE0EEEvT1_
		.amdhsa_group_segment_fixed_size 0
		.amdhsa_private_segment_fixed_size 0
		.amdhsa_kernarg_size 40
		.amdhsa_user_sgpr_count 6
		.amdhsa_user_sgpr_private_segment_buffer 1
		.amdhsa_user_sgpr_dispatch_ptr 0
		.amdhsa_user_sgpr_queue_ptr 0
		.amdhsa_user_sgpr_kernarg_segment_ptr 1
		.amdhsa_user_sgpr_dispatch_id 0
		.amdhsa_user_sgpr_flat_scratch_init 0
		.amdhsa_user_sgpr_private_segment_size 0
		.amdhsa_wavefront_size32 1
		.amdhsa_uses_dynamic_stack 0
		.amdhsa_system_sgpr_private_segment_wavefront_offset 0
		.amdhsa_system_sgpr_workgroup_id_x 1
		.amdhsa_system_sgpr_workgroup_id_y 0
		.amdhsa_system_sgpr_workgroup_id_z 0
		.amdhsa_system_sgpr_workgroup_info 0
		.amdhsa_system_vgpr_workitem_id 0
		.amdhsa_next_free_vgpr 1
		.amdhsa_next_free_sgpr 1
		.amdhsa_reserve_vcc 0
		.amdhsa_reserve_flat_scratch 0
		.amdhsa_float_round_mode_32 0
		.amdhsa_float_round_mode_16_64 0
		.amdhsa_float_denorm_mode_32 3
		.amdhsa_float_denorm_mode_16_64 3
		.amdhsa_dx10_clamp 1
		.amdhsa_ieee_mode 1
		.amdhsa_fp16_overflow 0
		.amdhsa_workgroup_processor_mode 1
		.amdhsa_memory_ordered 1
		.amdhsa_forward_progress 1
		.amdhsa_shared_vgpr_count 0
		.amdhsa_exception_fp_ieee_invalid_op 0
		.amdhsa_exception_fp_denorm_src 0
		.amdhsa_exception_fp_ieee_div_zero 0
		.amdhsa_exception_fp_ieee_overflow 0
		.amdhsa_exception_fp_ieee_underflow 0
		.amdhsa_exception_fp_ieee_inexact 0
		.amdhsa_exception_int_div_zero 0
	.end_amdhsa_kernel
	.section	.text._ZN7rocprim17ROCPRIM_400000_NS6detail17trampoline_kernelINS0_14default_configENS1_25transform_config_selectorIfLb0EEEZNS1_14transform_implILb0ES3_S5_PfN6thrust23THRUST_200600_302600_NS6detail15normal_iteratorINS9_10device_ptrIfEEEENS0_8identityIfEEEE10hipError_tT2_T3_mT4_P12ihipStream_tbEUlT_E_NS1_11comp_targetILNS1_3genE10ELNS1_11target_archE1201ELNS1_3gpuE5ELNS1_3repE0EEENS1_30default_config_static_selectorELNS0_4arch9wavefront6targetE0EEEvT1_,"axG",@progbits,_ZN7rocprim17ROCPRIM_400000_NS6detail17trampoline_kernelINS0_14default_configENS1_25transform_config_selectorIfLb0EEEZNS1_14transform_implILb0ES3_S5_PfN6thrust23THRUST_200600_302600_NS6detail15normal_iteratorINS9_10device_ptrIfEEEENS0_8identityIfEEEE10hipError_tT2_T3_mT4_P12ihipStream_tbEUlT_E_NS1_11comp_targetILNS1_3genE10ELNS1_11target_archE1201ELNS1_3gpuE5ELNS1_3repE0EEENS1_30default_config_static_selectorELNS0_4arch9wavefront6targetE0EEEvT1_,comdat
.Lfunc_end528:
	.size	_ZN7rocprim17ROCPRIM_400000_NS6detail17trampoline_kernelINS0_14default_configENS1_25transform_config_selectorIfLb0EEEZNS1_14transform_implILb0ES3_S5_PfN6thrust23THRUST_200600_302600_NS6detail15normal_iteratorINS9_10device_ptrIfEEEENS0_8identityIfEEEE10hipError_tT2_T3_mT4_P12ihipStream_tbEUlT_E_NS1_11comp_targetILNS1_3genE10ELNS1_11target_archE1201ELNS1_3gpuE5ELNS1_3repE0EEENS1_30default_config_static_selectorELNS0_4arch9wavefront6targetE0EEEvT1_, .Lfunc_end528-_ZN7rocprim17ROCPRIM_400000_NS6detail17trampoline_kernelINS0_14default_configENS1_25transform_config_selectorIfLb0EEEZNS1_14transform_implILb0ES3_S5_PfN6thrust23THRUST_200600_302600_NS6detail15normal_iteratorINS9_10device_ptrIfEEEENS0_8identityIfEEEE10hipError_tT2_T3_mT4_P12ihipStream_tbEUlT_E_NS1_11comp_targetILNS1_3genE10ELNS1_11target_archE1201ELNS1_3gpuE5ELNS1_3repE0EEENS1_30default_config_static_selectorELNS0_4arch9wavefront6targetE0EEEvT1_
                                        ; -- End function
	.set _ZN7rocprim17ROCPRIM_400000_NS6detail17trampoline_kernelINS0_14default_configENS1_25transform_config_selectorIfLb0EEEZNS1_14transform_implILb0ES3_S5_PfN6thrust23THRUST_200600_302600_NS6detail15normal_iteratorINS9_10device_ptrIfEEEENS0_8identityIfEEEE10hipError_tT2_T3_mT4_P12ihipStream_tbEUlT_E_NS1_11comp_targetILNS1_3genE10ELNS1_11target_archE1201ELNS1_3gpuE5ELNS1_3repE0EEENS1_30default_config_static_selectorELNS0_4arch9wavefront6targetE0EEEvT1_.num_vgpr, 0
	.set _ZN7rocprim17ROCPRIM_400000_NS6detail17trampoline_kernelINS0_14default_configENS1_25transform_config_selectorIfLb0EEEZNS1_14transform_implILb0ES3_S5_PfN6thrust23THRUST_200600_302600_NS6detail15normal_iteratorINS9_10device_ptrIfEEEENS0_8identityIfEEEE10hipError_tT2_T3_mT4_P12ihipStream_tbEUlT_E_NS1_11comp_targetILNS1_3genE10ELNS1_11target_archE1201ELNS1_3gpuE5ELNS1_3repE0EEENS1_30default_config_static_selectorELNS0_4arch9wavefront6targetE0EEEvT1_.num_agpr, 0
	.set _ZN7rocprim17ROCPRIM_400000_NS6detail17trampoline_kernelINS0_14default_configENS1_25transform_config_selectorIfLb0EEEZNS1_14transform_implILb0ES3_S5_PfN6thrust23THRUST_200600_302600_NS6detail15normal_iteratorINS9_10device_ptrIfEEEENS0_8identityIfEEEE10hipError_tT2_T3_mT4_P12ihipStream_tbEUlT_E_NS1_11comp_targetILNS1_3genE10ELNS1_11target_archE1201ELNS1_3gpuE5ELNS1_3repE0EEENS1_30default_config_static_selectorELNS0_4arch9wavefront6targetE0EEEvT1_.numbered_sgpr, 0
	.set _ZN7rocprim17ROCPRIM_400000_NS6detail17trampoline_kernelINS0_14default_configENS1_25transform_config_selectorIfLb0EEEZNS1_14transform_implILb0ES3_S5_PfN6thrust23THRUST_200600_302600_NS6detail15normal_iteratorINS9_10device_ptrIfEEEENS0_8identityIfEEEE10hipError_tT2_T3_mT4_P12ihipStream_tbEUlT_E_NS1_11comp_targetILNS1_3genE10ELNS1_11target_archE1201ELNS1_3gpuE5ELNS1_3repE0EEENS1_30default_config_static_selectorELNS0_4arch9wavefront6targetE0EEEvT1_.num_named_barrier, 0
	.set _ZN7rocprim17ROCPRIM_400000_NS6detail17trampoline_kernelINS0_14default_configENS1_25transform_config_selectorIfLb0EEEZNS1_14transform_implILb0ES3_S5_PfN6thrust23THRUST_200600_302600_NS6detail15normal_iteratorINS9_10device_ptrIfEEEENS0_8identityIfEEEE10hipError_tT2_T3_mT4_P12ihipStream_tbEUlT_E_NS1_11comp_targetILNS1_3genE10ELNS1_11target_archE1201ELNS1_3gpuE5ELNS1_3repE0EEENS1_30default_config_static_selectorELNS0_4arch9wavefront6targetE0EEEvT1_.private_seg_size, 0
	.set _ZN7rocprim17ROCPRIM_400000_NS6detail17trampoline_kernelINS0_14default_configENS1_25transform_config_selectorIfLb0EEEZNS1_14transform_implILb0ES3_S5_PfN6thrust23THRUST_200600_302600_NS6detail15normal_iteratorINS9_10device_ptrIfEEEENS0_8identityIfEEEE10hipError_tT2_T3_mT4_P12ihipStream_tbEUlT_E_NS1_11comp_targetILNS1_3genE10ELNS1_11target_archE1201ELNS1_3gpuE5ELNS1_3repE0EEENS1_30default_config_static_selectorELNS0_4arch9wavefront6targetE0EEEvT1_.uses_vcc, 0
	.set _ZN7rocprim17ROCPRIM_400000_NS6detail17trampoline_kernelINS0_14default_configENS1_25transform_config_selectorIfLb0EEEZNS1_14transform_implILb0ES3_S5_PfN6thrust23THRUST_200600_302600_NS6detail15normal_iteratorINS9_10device_ptrIfEEEENS0_8identityIfEEEE10hipError_tT2_T3_mT4_P12ihipStream_tbEUlT_E_NS1_11comp_targetILNS1_3genE10ELNS1_11target_archE1201ELNS1_3gpuE5ELNS1_3repE0EEENS1_30default_config_static_selectorELNS0_4arch9wavefront6targetE0EEEvT1_.uses_flat_scratch, 0
	.set _ZN7rocprim17ROCPRIM_400000_NS6detail17trampoline_kernelINS0_14default_configENS1_25transform_config_selectorIfLb0EEEZNS1_14transform_implILb0ES3_S5_PfN6thrust23THRUST_200600_302600_NS6detail15normal_iteratorINS9_10device_ptrIfEEEENS0_8identityIfEEEE10hipError_tT2_T3_mT4_P12ihipStream_tbEUlT_E_NS1_11comp_targetILNS1_3genE10ELNS1_11target_archE1201ELNS1_3gpuE5ELNS1_3repE0EEENS1_30default_config_static_selectorELNS0_4arch9wavefront6targetE0EEEvT1_.has_dyn_sized_stack, 0
	.set _ZN7rocprim17ROCPRIM_400000_NS6detail17trampoline_kernelINS0_14default_configENS1_25transform_config_selectorIfLb0EEEZNS1_14transform_implILb0ES3_S5_PfN6thrust23THRUST_200600_302600_NS6detail15normal_iteratorINS9_10device_ptrIfEEEENS0_8identityIfEEEE10hipError_tT2_T3_mT4_P12ihipStream_tbEUlT_E_NS1_11comp_targetILNS1_3genE10ELNS1_11target_archE1201ELNS1_3gpuE5ELNS1_3repE0EEENS1_30default_config_static_selectorELNS0_4arch9wavefront6targetE0EEEvT1_.has_recursion, 0
	.set _ZN7rocprim17ROCPRIM_400000_NS6detail17trampoline_kernelINS0_14default_configENS1_25transform_config_selectorIfLb0EEEZNS1_14transform_implILb0ES3_S5_PfN6thrust23THRUST_200600_302600_NS6detail15normal_iteratorINS9_10device_ptrIfEEEENS0_8identityIfEEEE10hipError_tT2_T3_mT4_P12ihipStream_tbEUlT_E_NS1_11comp_targetILNS1_3genE10ELNS1_11target_archE1201ELNS1_3gpuE5ELNS1_3repE0EEENS1_30default_config_static_selectorELNS0_4arch9wavefront6targetE0EEEvT1_.has_indirect_call, 0
	.section	.AMDGPU.csdata,"",@progbits
; Kernel info:
; codeLenInByte = 0
; TotalNumSgprs: 0
; NumVgprs: 0
; ScratchSize: 0
; MemoryBound: 0
; FloatMode: 240
; IeeeMode: 1
; LDSByteSize: 0 bytes/workgroup (compile time only)
; SGPRBlocks: 0
; VGPRBlocks: 0
; NumSGPRsForWavesPerEU: 1
; NumVGPRsForWavesPerEU: 1
; Occupancy: 16
; WaveLimiterHint : 0
; COMPUTE_PGM_RSRC2:SCRATCH_EN: 0
; COMPUTE_PGM_RSRC2:USER_SGPR: 6
; COMPUTE_PGM_RSRC2:TRAP_HANDLER: 0
; COMPUTE_PGM_RSRC2:TGID_X_EN: 1
; COMPUTE_PGM_RSRC2:TGID_Y_EN: 0
; COMPUTE_PGM_RSRC2:TGID_Z_EN: 0
; COMPUTE_PGM_RSRC2:TIDIG_COMP_CNT: 0
	.section	.text._ZN7rocprim17ROCPRIM_400000_NS6detail17trampoline_kernelINS0_14default_configENS1_25transform_config_selectorIfLb0EEEZNS1_14transform_implILb0ES3_S5_PfN6thrust23THRUST_200600_302600_NS6detail15normal_iteratorINS9_10device_ptrIfEEEENS0_8identityIfEEEE10hipError_tT2_T3_mT4_P12ihipStream_tbEUlT_E_NS1_11comp_targetILNS1_3genE10ELNS1_11target_archE1200ELNS1_3gpuE4ELNS1_3repE0EEENS1_30default_config_static_selectorELNS0_4arch9wavefront6targetE0EEEvT1_,"axG",@progbits,_ZN7rocprim17ROCPRIM_400000_NS6detail17trampoline_kernelINS0_14default_configENS1_25transform_config_selectorIfLb0EEEZNS1_14transform_implILb0ES3_S5_PfN6thrust23THRUST_200600_302600_NS6detail15normal_iteratorINS9_10device_ptrIfEEEENS0_8identityIfEEEE10hipError_tT2_T3_mT4_P12ihipStream_tbEUlT_E_NS1_11comp_targetILNS1_3genE10ELNS1_11target_archE1200ELNS1_3gpuE4ELNS1_3repE0EEENS1_30default_config_static_selectorELNS0_4arch9wavefront6targetE0EEEvT1_,comdat
	.protected	_ZN7rocprim17ROCPRIM_400000_NS6detail17trampoline_kernelINS0_14default_configENS1_25transform_config_selectorIfLb0EEEZNS1_14transform_implILb0ES3_S5_PfN6thrust23THRUST_200600_302600_NS6detail15normal_iteratorINS9_10device_ptrIfEEEENS0_8identityIfEEEE10hipError_tT2_T3_mT4_P12ihipStream_tbEUlT_E_NS1_11comp_targetILNS1_3genE10ELNS1_11target_archE1200ELNS1_3gpuE4ELNS1_3repE0EEENS1_30default_config_static_selectorELNS0_4arch9wavefront6targetE0EEEvT1_ ; -- Begin function _ZN7rocprim17ROCPRIM_400000_NS6detail17trampoline_kernelINS0_14default_configENS1_25transform_config_selectorIfLb0EEEZNS1_14transform_implILb0ES3_S5_PfN6thrust23THRUST_200600_302600_NS6detail15normal_iteratorINS9_10device_ptrIfEEEENS0_8identityIfEEEE10hipError_tT2_T3_mT4_P12ihipStream_tbEUlT_E_NS1_11comp_targetILNS1_3genE10ELNS1_11target_archE1200ELNS1_3gpuE4ELNS1_3repE0EEENS1_30default_config_static_selectorELNS0_4arch9wavefront6targetE0EEEvT1_
	.globl	_ZN7rocprim17ROCPRIM_400000_NS6detail17trampoline_kernelINS0_14default_configENS1_25transform_config_selectorIfLb0EEEZNS1_14transform_implILb0ES3_S5_PfN6thrust23THRUST_200600_302600_NS6detail15normal_iteratorINS9_10device_ptrIfEEEENS0_8identityIfEEEE10hipError_tT2_T3_mT4_P12ihipStream_tbEUlT_E_NS1_11comp_targetILNS1_3genE10ELNS1_11target_archE1200ELNS1_3gpuE4ELNS1_3repE0EEENS1_30default_config_static_selectorELNS0_4arch9wavefront6targetE0EEEvT1_
	.p2align	8
	.type	_ZN7rocprim17ROCPRIM_400000_NS6detail17trampoline_kernelINS0_14default_configENS1_25transform_config_selectorIfLb0EEEZNS1_14transform_implILb0ES3_S5_PfN6thrust23THRUST_200600_302600_NS6detail15normal_iteratorINS9_10device_ptrIfEEEENS0_8identityIfEEEE10hipError_tT2_T3_mT4_P12ihipStream_tbEUlT_E_NS1_11comp_targetILNS1_3genE10ELNS1_11target_archE1200ELNS1_3gpuE4ELNS1_3repE0EEENS1_30default_config_static_selectorELNS0_4arch9wavefront6targetE0EEEvT1_,@function
_ZN7rocprim17ROCPRIM_400000_NS6detail17trampoline_kernelINS0_14default_configENS1_25transform_config_selectorIfLb0EEEZNS1_14transform_implILb0ES3_S5_PfN6thrust23THRUST_200600_302600_NS6detail15normal_iteratorINS9_10device_ptrIfEEEENS0_8identityIfEEEE10hipError_tT2_T3_mT4_P12ihipStream_tbEUlT_E_NS1_11comp_targetILNS1_3genE10ELNS1_11target_archE1200ELNS1_3gpuE4ELNS1_3repE0EEENS1_30default_config_static_selectorELNS0_4arch9wavefront6targetE0EEEvT1_: ; @_ZN7rocprim17ROCPRIM_400000_NS6detail17trampoline_kernelINS0_14default_configENS1_25transform_config_selectorIfLb0EEEZNS1_14transform_implILb0ES3_S5_PfN6thrust23THRUST_200600_302600_NS6detail15normal_iteratorINS9_10device_ptrIfEEEENS0_8identityIfEEEE10hipError_tT2_T3_mT4_P12ihipStream_tbEUlT_E_NS1_11comp_targetILNS1_3genE10ELNS1_11target_archE1200ELNS1_3gpuE4ELNS1_3repE0EEENS1_30default_config_static_selectorELNS0_4arch9wavefront6targetE0EEEvT1_
; %bb.0:
	.section	.rodata,"a",@progbits
	.p2align	6, 0x0
	.amdhsa_kernel _ZN7rocprim17ROCPRIM_400000_NS6detail17trampoline_kernelINS0_14default_configENS1_25transform_config_selectorIfLb0EEEZNS1_14transform_implILb0ES3_S5_PfN6thrust23THRUST_200600_302600_NS6detail15normal_iteratorINS9_10device_ptrIfEEEENS0_8identityIfEEEE10hipError_tT2_T3_mT4_P12ihipStream_tbEUlT_E_NS1_11comp_targetILNS1_3genE10ELNS1_11target_archE1200ELNS1_3gpuE4ELNS1_3repE0EEENS1_30default_config_static_selectorELNS0_4arch9wavefront6targetE0EEEvT1_
		.amdhsa_group_segment_fixed_size 0
		.amdhsa_private_segment_fixed_size 0
		.amdhsa_kernarg_size 40
		.amdhsa_user_sgpr_count 6
		.amdhsa_user_sgpr_private_segment_buffer 1
		.amdhsa_user_sgpr_dispatch_ptr 0
		.amdhsa_user_sgpr_queue_ptr 0
		.amdhsa_user_sgpr_kernarg_segment_ptr 1
		.amdhsa_user_sgpr_dispatch_id 0
		.amdhsa_user_sgpr_flat_scratch_init 0
		.amdhsa_user_sgpr_private_segment_size 0
		.amdhsa_wavefront_size32 1
		.amdhsa_uses_dynamic_stack 0
		.amdhsa_system_sgpr_private_segment_wavefront_offset 0
		.amdhsa_system_sgpr_workgroup_id_x 1
		.amdhsa_system_sgpr_workgroup_id_y 0
		.amdhsa_system_sgpr_workgroup_id_z 0
		.amdhsa_system_sgpr_workgroup_info 0
		.amdhsa_system_vgpr_workitem_id 0
		.amdhsa_next_free_vgpr 1
		.amdhsa_next_free_sgpr 1
		.amdhsa_reserve_vcc 0
		.amdhsa_reserve_flat_scratch 0
		.amdhsa_float_round_mode_32 0
		.amdhsa_float_round_mode_16_64 0
		.amdhsa_float_denorm_mode_32 3
		.amdhsa_float_denorm_mode_16_64 3
		.amdhsa_dx10_clamp 1
		.amdhsa_ieee_mode 1
		.amdhsa_fp16_overflow 0
		.amdhsa_workgroup_processor_mode 1
		.amdhsa_memory_ordered 1
		.amdhsa_forward_progress 1
		.amdhsa_shared_vgpr_count 0
		.amdhsa_exception_fp_ieee_invalid_op 0
		.amdhsa_exception_fp_denorm_src 0
		.amdhsa_exception_fp_ieee_div_zero 0
		.amdhsa_exception_fp_ieee_overflow 0
		.amdhsa_exception_fp_ieee_underflow 0
		.amdhsa_exception_fp_ieee_inexact 0
		.amdhsa_exception_int_div_zero 0
	.end_amdhsa_kernel
	.section	.text._ZN7rocprim17ROCPRIM_400000_NS6detail17trampoline_kernelINS0_14default_configENS1_25transform_config_selectorIfLb0EEEZNS1_14transform_implILb0ES3_S5_PfN6thrust23THRUST_200600_302600_NS6detail15normal_iteratorINS9_10device_ptrIfEEEENS0_8identityIfEEEE10hipError_tT2_T3_mT4_P12ihipStream_tbEUlT_E_NS1_11comp_targetILNS1_3genE10ELNS1_11target_archE1200ELNS1_3gpuE4ELNS1_3repE0EEENS1_30default_config_static_selectorELNS0_4arch9wavefront6targetE0EEEvT1_,"axG",@progbits,_ZN7rocprim17ROCPRIM_400000_NS6detail17trampoline_kernelINS0_14default_configENS1_25transform_config_selectorIfLb0EEEZNS1_14transform_implILb0ES3_S5_PfN6thrust23THRUST_200600_302600_NS6detail15normal_iteratorINS9_10device_ptrIfEEEENS0_8identityIfEEEE10hipError_tT2_T3_mT4_P12ihipStream_tbEUlT_E_NS1_11comp_targetILNS1_3genE10ELNS1_11target_archE1200ELNS1_3gpuE4ELNS1_3repE0EEENS1_30default_config_static_selectorELNS0_4arch9wavefront6targetE0EEEvT1_,comdat
.Lfunc_end529:
	.size	_ZN7rocprim17ROCPRIM_400000_NS6detail17trampoline_kernelINS0_14default_configENS1_25transform_config_selectorIfLb0EEEZNS1_14transform_implILb0ES3_S5_PfN6thrust23THRUST_200600_302600_NS6detail15normal_iteratorINS9_10device_ptrIfEEEENS0_8identityIfEEEE10hipError_tT2_T3_mT4_P12ihipStream_tbEUlT_E_NS1_11comp_targetILNS1_3genE10ELNS1_11target_archE1200ELNS1_3gpuE4ELNS1_3repE0EEENS1_30default_config_static_selectorELNS0_4arch9wavefront6targetE0EEEvT1_, .Lfunc_end529-_ZN7rocprim17ROCPRIM_400000_NS6detail17trampoline_kernelINS0_14default_configENS1_25transform_config_selectorIfLb0EEEZNS1_14transform_implILb0ES3_S5_PfN6thrust23THRUST_200600_302600_NS6detail15normal_iteratorINS9_10device_ptrIfEEEENS0_8identityIfEEEE10hipError_tT2_T3_mT4_P12ihipStream_tbEUlT_E_NS1_11comp_targetILNS1_3genE10ELNS1_11target_archE1200ELNS1_3gpuE4ELNS1_3repE0EEENS1_30default_config_static_selectorELNS0_4arch9wavefront6targetE0EEEvT1_
                                        ; -- End function
	.set _ZN7rocprim17ROCPRIM_400000_NS6detail17trampoline_kernelINS0_14default_configENS1_25transform_config_selectorIfLb0EEEZNS1_14transform_implILb0ES3_S5_PfN6thrust23THRUST_200600_302600_NS6detail15normal_iteratorINS9_10device_ptrIfEEEENS0_8identityIfEEEE10hipError_tT2_T3_mT4_P12ihipStream_tbEUlT_E_NS1_11comp_targetILNS1_3genE10ELNS1_11target_archE1200ELNS1_3gpuE4ELNS1_3repE0EEENS1_30default_config_static_selectorELNS0_4arch9wavefront6targetE0EEEvT1_.num_vgpr, 0
	.set _ZN7rocprim17ROCPRIM_400000_NS6detail17trampoline_kernelINS0_14default_configENS1_25transform_config_selectorIfLb0EEEZNS1_14transform_implILb0ES3_S5_PfN6thrust23THRUST_200600_302600_NS6detail15normal_iteratorINS9_10device_ptrIfEEEENS0_8identityIfEEEE10hipError_tT2_T3_mT4_P12ihipStream_tbEUlT_E_NS1_11comp_targetILNS1_3genE10ELNS1_11target_archE1200ELNS1_3gpuE4ELNS1_3repE0EEENS1_30default_config_static_selectorELNS0_4arch9wavefront6targetE0EEEvT1_.num_agpr, 0
	.set _ZN7rocprim17ROCPRIM_400000_NS6detail17trampoline_kernelINS0_14default_configENS1_25transform_config_selectorIfLb0EEEZNS1_14transform_implILb0ES3_S5_PfN6thrust23THRUST_200600_302600_NS6detail15normal_iteratorINS9_10device_ptrIfEEEENS0_8identityIfEEEE10hipError_tT2_T3_mT4_P12ihipStream_tbEUlT_E_NS1_11comp_targetILNS1_3genE10ELNS1_11target_archE1200ELNS1_3gpuE4ELNS1_3repE0EEENS1_30default_config_static_selectorELNS0_4arch9wavefront6targetE0EEEvT1_.numbered_sgpr, 0
	.set _ZN7rocprim17ROCPRIM_400000_NS6detail17trampoline_kernelINS0_14default_configENS1_25transform_config_selectorIfLb0EEEZNS1_14transform_implILb0ES3_S5_PfN6thrust23THRUST_200600_302600_NS6detail15normal_iteratorINS9_10device_ptrIfEEEENS0_8identityIfEEEE10hipError_tT2_T3_mT4_P12ihipStream_tbEUlT_E_NS1_11comp_targetILNS1_3genE10ELNS1_11target_archE1200ELNS1_3gpuE4ELNS1_3repE0EEENS1_30default_config_static_selectorELNS0_4arch9wavefront6targetE0EEEvT1_.num_named_barrier, 0
	.set _ZN7rocprim17ROCPRIM_400000_NS6detail17trampoline_kernelINS0_14default_configENS1_25transform_config_selectorIfLb0EEEZNS1_14transform_implILb0ES3_S5_PfN6thrust23THRUST_200600_302600_NS6detail15normal_iteratorINS9_10device_ptrIfEEEENS0_8identityIfEEEE10hipError_tT2_T3_mT4_P12ihipStream_tbEUlT_E_NS1_11comp_targetILNS1_3genE10ELNS1_11target_archE1200ELNS1_3gpuE4ELNS1_3repE0EEENS1_30default_config_static_selectorELNS0_4arch9wavefront6targetE0EEEvT1_.private_seg_size, 0
	.set _ZN7rocprim17ROCPRIM_400000_NS6detail17trampoline_kernelINS0_14default_configENS1_25transform_config_selectorIfLb0EEEZNS1_14transform_implILb0ES3_S5_PfN6thrust23THRUST_200600_302600_NS6detail15normal_iteratorINS9_10device_ptrIfEEEENS0_8identityIfEEEE10hipError_tT2_T3_mT4_P12ihipStream_tbEUlT_E_NS1_11comp_targetILNS1_3genE10ELNS1_11target_archE1200ELNS1_3gpuE4ELNS1_3repE0EEENS1_30default_config_static_selectorELNS0_4arch9wavefront6targetE0EEEvT1_.uses_vcc, 0
	.set _ZN7rocprim17ROCPRIM_400000_NS6detail17trampoline_kernelINS0_14default_configENS1_25transform_config_selectorIfLb0EEEZNS1_14transform_implILb0ES3_S5_PfN6thrust23THRUST_200600_302600_NS6detail15normal_iteratorINS9_10device_ptrIfEEEENS0_8identityIfEEEE10hipError_tT2_T3_mT4_P12ihipStream_tbEUlT_E_NS1_11comp_targetILNS1_3genE10ELNS1_11target_archE1200ELNS1_3gpuE4ELNS1_3repE0EEENS1_30default_config_static_selectorELNS0_4arch9wavefront6targetE0EEEvT1_.uses_flat_scratch, 0
	.set _ZN7rocprim17ROCPRIM_400000_NS6detail17trampoline_kernelINS0_14default_configENS1_25transform_config_selectorIfLb0EEEZNS1_14transform_implILb0ES3_S5_PfN6thrust23THRUST_200600_302600_NS6detail15normal_iteratorINS9_10device_ptrIfEEEENS0_8identityIfEEEE10hipError_tT2_T3_mT4_P12ihipStream_tbEUlT_E_NS1_11comp_targetILNS1_3genE10ELNS1_11target_archE1200ELNS1_3gpuE4ELNS1_3repE0EEENS1_30default_config_static_selectorELNS0_4arch9wavefront6targetE0EEEvT1_.has_dyn_sized_stack, 0
	.set _ZN7rocprim17ROCPRIM_400000_NS6detail17trampoline_kernelINS0_14default_configENS1_25transform_config_selectorIfLb0EEEZNS1_14transform_implILb0ES3_S5_PfN6thrust23THRUST_200600_302600_NS6detail15normal_iteratorINS9_10device_ptrIfEEEENS0_8identityIfEEEE10hipError_tT2_T3_mT4_P12ihipStream_tbEUlT_E_NS1_11comp_targetILNS1_3genE10ELNS1_11target_archE1200ELNS1_3gpuE4ELNS1_3repE0EEENS1_30default_config_static_selectorELNS0_4arch9wavefront6targetE0EEEvT1_.has_recursion, 0
	.set _ZN7rocprim17ROCPRIM_400000_NS6detail17trampoline_kernelINS0_14default_configENS1_25transform_config_selectorIfLb0EEEZNS1_14transform_implILb0ES3_S5_PfN6thrust23THRUST_200600_302600_NS6detail15normal_iteratorINS9_10device_ptrIfEEEENS0_8identityIfEEEE10hipError_tT2_T3_mT4_P12ihipStream_tbEUlT_E_NS1_11comp_targetILNS1_3genE10ELNS1_11target_archE1200ELNS1_3gpuE4ELNS1_3repE0EEENS1_30default_config_static_selectorELNS0_4arch9wavefront6targetE0EEEvT1_.has_indirect_call, 0
	.section	.AMDGPU.csdata,"",@progbits
; Kernel info:
; codeLenInByte = 0
; TotalNumSgprs: 0
; NumVgprs: 0
; ScratchSize: 0
; MemoryBound: 0
; FloatMode: 240
; IeeeMode: 1
; LDSByteSize: 0 bytes/workgroup (compile time only)
; SGPRBlocks: 0
; VGPRBlocks: 0
; NumSGPRsForWavesPerEU: 1
; NumVGPRsForWavesPerEU: 1
; Occupancy: 16
; WaveLimiterHint : 0
; COMPUTE_PGM_RSRC2:SCRATCH_EN: 0
; COMPUTE_PGM_RSRC2:USER_SGPR: 6
; COMPUTE_PGM_RSRC2:TRAP_HANDLER: 0
; COMPUTE_PGM_RSRC2:TGID_X_EN: 1
; COMPUTE_PGM_RSRC2:TGID_Y_EN: 0
; COMPUTE_PGM_RSRC2:TGID_Z_EN: 0
; COMPUTE_PGM_RSRC2:TIDIG_COMP_CNT: 0
	.section	.text._ZN7rocprim17ROCPRIM_400000_NS6detail17trampoline_kernelINS0_14default_configENS1_25transform_config_selectorIfLb0EEEZNS1_14transform_implILb0ES3_S5_PfN6thrust23THRUST_200600_302600_NS6detail15normal_iteratorINS9_10device_ptrIfEEEENS0_8identityIfEEEE10hipError_tT2_T3_mT4_P12ihipStream_tbEUlT_E_NS1_11comp_targetILNS1_3genE9ELNS1_11target_archE1100ELNS1_3gpuE3ELNS1_3repE0EEENS1_30default_config_static_selectorELNS0_4arch9wavefront6targetE0EEEvT1_,"axG",@progbits,_ZN7rocprim17ROCPRIM_400000_NS6detail17trampoline_kernelINS0_14default_configENS1_25transform_config_selectorIfLb0EEEZNS1_14transform_implILb0ES3_S5_PfN6thrust23THRUST_200600_302600_NS6detail15normal_iteratorINS9_10device_ptrIfEEEENS0_8identityIfEEEE10hipError_tT2_T3_mT4_P12ihipStream_tbEUlT_E_NS1_11comp_targetILNS1_3genE9ELNS1_11target_archE1100ELNS1_3gpuE3ELNS1_3repE0EEENS1_30default_config_static_selectorELNS0_4arch9wavefront6targetE0EEEvT1_,comdat
	.protected	_ZN7rocprim17ROCPRIM_400000_NS6detail17trampoline_kernelINS0_14default_configENS1_25transform_config_selectorIfLb0EEEZNS1_14transform_implILb0ES3_S5_PfN6thrust23THRUST_200600_302600_NS6detail15normal_iteratorINS9_10device_ptrIfEEEENS0_8identityIfEEEE10hipError_tT2_T3_mT4_P12ihipStream_tbEUlT_E_NS1_11comp_targetILNS1_3genE9ELNS1_11target_archE1100ELNS1_3gpuE3ELNS1_3repE0EEENS1_30default_config_static_selectorELNS0_4arch9wavefront6targetE0EEEvT1_ ; -- Begin function _ZN7rocprim17ROCPRIM_400000_NS6detail17trampoline_kernelINS0_14default_configENS1_25transform_config_selectorIfLb0EEEZNS1_14transform_implILb0ES3_S5_PfN6thrust23THRUST_200600_302600_NS6detail15normal_iteratorINS9_10device_ptrIfEEEENS0_8identityIfEEEE10hipError_tT2_T3_mT4_P12ihipStream_tbEUlT_E_NS1_11comp_targetILNS1_3genE9ELNS1_11target_archE1100ELNS1_3gpuE3ELNS1_3repE0EEENS1_30default_config_static_selectorELNS0_4arch9wavefront6targetE0EEEvT1_
	.globl	_ZN7rocprim17ROCPRIM_400000_NS6detail17trampoline_kernelINS0_14default_configENS1_25transform_config_selectorIfLb0EEEZNS1_14transform_implILb0ES3_S5_PfN6thrust23THRUST_200600_302600_NS6detail15normal_iteratorINS9_10device_ptrIfEEEENS0_8identityIfEEEE10hipError_tT2_T3_mT4_P12ihipStream_tbEUlT_E_NS1_11comp_targetILNS1_3genE9ELNS1_11target_archE1100ELNS1_3gpuE3ELNS1_3repE0EEENS1_30default_config_static_selectorELNS0_4arch9wavefront6targetE0EEEvT1_
	.p2align	8
	.type	_ZN7rocprim17ROCPRIM_400000_NS6detail17trampoline_kernelINS0_14default_configENS1_25transform_config_selectorIfLb0EEEZNS1_14transform_implILb0ES3_S5_PfN6thrust23THRUST_200600_302600_NS6detail15normal_iteratorINS9_10device_ptrIfEEEENS0_8identityIfEEEE10hipError_tT2_T3_mT4_P12ihipStream_tbEUlT_E_NS1_11comp_targetILNS1_3genE9ELNS1_11target_archE1100ELNS1_3gpuE3ELNS1_3repE0EEENS1_30default_config_static_selectorELNS0_4arch9wavefront6targetE0EEEvT1_,@function
_ZN7rocprim17ROCPRIM_400000_NS6detail17trampoline_kernelINS0_14default_configENS1_25transform_config_selectorIfLb0EEEZNS1_14transform_implILb0ES3_S5_PfN6thrust23THRUST_200600_302600_NS6detail15normal_iteratorINS9_10device_ptrIfEEEENS0_8identityIfEEEE10hipError_tT2_T3_mT4_P12ihipStream_tbEUlT_E_NS1_11comp_targetILNS1_3genE9ELNS1_11target_archE1100ELNS1_3gpuE3ELNS1_3repE0EEENS1_30default_config_static_selectorELNS0_4arch9wavefront6targetE0EEEvT1_: ; @_ZN7rocprim17ROCPRIM_400000_NS6detail17trampoline_kernelINS0_14default_configENS1_25transform_config_selectorIfLb0EEEZNS1_14transform_implILb0ES3_S5_PfN6thrust23THRUST_200600_302600_NS6detail15normal_iteratorINS9_10device_ptrIfEEEENS0_8identityIfEEEE10hipError_tT2_T3_mT4_P12ihipStream_tbEUlT_E_NS1_11comp_targetILNS1_3genE9ELNS1_11target_archE1100ELNS1_3gpuE3ELNS1_3repE0EEENS1_30default_config_static_selectorELNS0_4arch9wavefront6targetE0EEEvT1_
; %bb.0:
	.section	.rodata,"a",@progbits
	.p2align	6, 0x0
	.amdhsa_kernel _ZN7rocprim17ROCPRIM_400000_NS6detail17trampoline_kernelINS0_14default_configENS1_25transform_config_selectorIfLb0EEEZNS1_14transform_implILb0ES3_S5_PfN6thrust23THRUST_200600_302600_NS6detail15normal_iteratorINS9_10device_ptrIfEEEENS0_8identityIfEEEE10hipError_tT2_T3_mT4_P12ihipStream_tbEUlT_E_NS1_11comp_targetILNS1_3genE9ELNS1_11target_archE1100ELNS1_3gpuE3ELNS1_3repE0EEENS1_30default_config_static_selectorELNS0_4arch9wavefront6targetE0EEEvT1_
		.amdhsa_group_segment_fixed_size 0
		.amdhsa_private_segment_fixed_size 0
		.amdhsa_kernarg_size 40
		.amdhsa_user_sgpr_count 6
		.amdhsa_user_sgpr_private_segment_buffer 1
		.amdhsa_user_sgpr_dispatch_ptr 0
		.amdhsa_user_sgpr_queue_ptr 0
		.amdhsa_user_sgpr_kernarg_segment_ptr 1
		.amdhsa_user_sgpr_dispatch_id 0
		.amdhsa_user_sgpr_flat_scratch_init 0
		.amdhsa_user_sgpr_private_segment_size 0
		.amdhsa_wavefront_size32 1
		.amdhsa_uses_dynamic_stack 0
		.amdhsa_system_sgpr_private_segment_wavefront_offset 0
		.amdhsa_system_sgpr_workgroup_id_x 1
		.amdhsa_system_sgpr_workgroup_id_y 0
		.amdhsa_system_sgpr_workgroup_id_z 0
		.amdhsa_system_sgpr_workgroup_info 0
		.amdhsa_system_vgpr_workitem_id 0
		.amdhsa_next_free_vgpr 1
		.amdhsa_next_free_sgpr 1
		.amdhsa_reserve_vcc 0
		.amdhsa_reserve_flat_scratch 0
		.amdhsa_float_round_mode_32 0
		.amdhsa_float_round_mode_16_64 0
		.amdhsa_float_denorm_mode_32 3
		.amdhsa_float_denorm_mode_16_64 3
		.amdhsa_dx10_clamp 1
		.amdhsa_ieee_mode 1
		.amdhsa_fp16_overflow 0
		.amdhsa_workgroup_processor_mode 1
		.amdhsa_memory_ordered 1
		.amdhsa_forward_progress 1
		.amdhsa_shared_vgpr_count 0
		.amdhsa_exception_fp_ieee_invalid_op 0
		.amdhsa_exception_fp_denorm_src 0
		.amdhsa_exception_fp_ieee_div_zero 0
		.amdhsa_exception_fp_ieee_overflow 0
		.amdhsa_exception_fp_ieee_underflow 0
		.amdhsa_exception_fp_ieee_inexact 0
		.amdhsa_exception_int_div_zero 0
	.end_amdhsa_kernel
	.section	.text._ZN7rocprim17ROCPRIM_400000_NS6detail17trampoline_kernelINS0_14default_configENS1_25transform_config_selectorIfLb0EEEZNS1_14transform_implILb0ES3_S5_PfN6thrust23THRUST_200600_302600_NS6detail15normal_iteratorINS9_10device_ptrIfEEEENS0_8identityIfEEEE10hipError_tT2_T3_mT4_P12ihipStream_tbEUlT_E_NS1_11comp_targetILNS1_3genE9ELNS1_11target_archE1100ELNS1_3gpuE3ELNS1_3repE0EEENS1_30default_config_static_selectorELNS0_4arch9wavefront6targetE0EEEvT1_,"axG",@progbits,_ZN7rocprim17ROCPRIM_400000_NS6detail17trampoline_kernelINS0_14default_configENS1_25transform_config_selectorIfLb0EEEZNS1_14transform_implILb0ES3_S5_PfN6thrust23THRUST_200600_302600_NS6detail15normal_iteratorINS9_10device_ptrIfEEEENS0_8identityIfEEEE10hipError_tT2_T3_mT4_P12ihipStream_tbEUlT_E_NS1_11comp_targetILNS1_3genE9ELNS1_11target_archE1100ELNS1_3gpuE3ELNS1_3repE0EEENS1_30default_config_static_selectorELNS0_4arch9wavefront6targetE0EEEvT1_,comdat
.Lfunc_end530:
	.size	_ZN7rocprim17ROCPRIM_400000_NS6detail17trampoline_kernelINS0_14default_configENS1_25transform_config_selectorIfLb0EEEZNS1_14transform_implILb0ES3_S5_PfN6thrust23THRUST_200600_302600_NS6detail15normal_iteratorINS9_10device_ptrIfEEEENS0_8identityIfEEEE10hipError_tT2_T3_mT4_P12ihipStream_tbEUlT_E_NS1_11comp_targetILNS1_3genE9ELNS1_11target_archE1100ELNS1_3gpuE3ELNS1_3repE0EEENS1_30default_config_static_selectorELNS0_4arch9wavefront6targetE0EEEvT1_, .Lfunc_end530-_ZN7rocprim17ROCPRIM_400000_NS6detail17trampoline_kernelINS0_14default_configENS1_25transform_config_selectorIfLb0EEEZNS1_14transform_implILb0ES3_S5_PfN6thrust23THRUST_200600_302600_NS6detail15normal_iteratorINS9_10device_ptrIfEEEENS0_8identityIfEEEE10hipError_tT2_T3_mT4_P12ihipStream_tbEUlT_E_NS1_11comp_targetILNS1_3genE9ELNS1_11target_archE1100ELNS1_3gpuE3ELNS1_3repE0EEENS1_30default_config_static_selectorELNS0_4arch9wavefront6targetE0EEEvT1_
                                        ; -- End function
	.set _ZN7rocprim17ROCPRIM_400000_NS6detail17trampoline_kernelINS0_14default_configENS1_25transform_config_selectorIfLb0EEEZNS1_14transform_implILb0ES3_S5_PfN6thrust23THRUST_200600_302600_NS6detail15normal_iteratorINS9_10device_ptrIfEEEENS0_8identityIfEEEE10hipError_tT2_T3_mT4_P12ihipStream_tbEUlT_E_NS1_11comp_targetILNS1_3genE9ELNS1_11target_archE1100ELNS1_3gpuE3ELNS1_3repE0EEENS1_30default_config_static_selectorELNS0_4arch9wavefront6targetE0EEEvT1_.num_vgpr, 0
	.set _ZN7rocprim17ROCPRIM_400000_NS6detail17trampoline_kernelINS0_14default_configENS1_25transform_config_selectorIfLb0EEEZNS1_14transform_implILb0ES3_S5_PfN6thrust23THRUST_200600_302600_NS6detail15normal_iteratorINS9_10device_ptrIfEEEENS0_8identityIfEEEE10hipError_tT2_T3_mT4_P12ihipStream_tbEUlT_E_NS1_11comp_targetILNS1_3genE9ELNS1_11target_archE1100ELNS1_3gpuE3ELNS1_3repE0EEENS1_30default_config_static_selectorELNS0_4arch9wavefront6targetE0EEEvT1_.num_agpr, 0
	.set _ZN7rocprim17ROCPRIM_400000_NS6detail17trampoline_kernelINS0_14default_configENS1_25transform_config_selectorIfLb0EEEZNS1_14transform_implILb0ES3_S5_PfN6thrust23THRUST_200600_302600_NS6detail15normal_iteratorINS9_10device_ptrIfEEEENS0_8identityIfEEEE10hipError_tT2_T3_mT4_P12ihipStream_tbEUlT_E_NS1_11comp_targetILNS1_3genE9ELNS1_11target_archE1100ELNS1_3gpuE3ELNS1_3repE0EEENS1_30default_config_static_selectorELNS0_4arch9wavefront6targetE0EEEvT1_.numbered_sgpr, 0
	.set _ZN7rocprim17ROCPRIM_400000_NS6detail17trampoline_kernelINS0_14default_configENS1_25transform_config_selectorIfLb0EEEZNS1_14transform_implILb0ES3_S5_PfN6thrust23THRUST_200600_302600_NS6detail15normal_iteratorINS9_10device_ptrIfEEEENS0_8identityIfEEEE10hipError_tT2_T3_mT4_P12ihipStream_tbEUlT_E_NS1_11comp_targetILNS1_3genE9ELNS1_11target_archE1100ELNS1_3gpuE3ELNS1_3repE0EEENS1_30default_config_static_selectorELNS0_4arch9wavefront6targetE0EEEvT1_.num_named_barrier, 0
	.set _ZN7rocprim17ROCPRIM_400000_NS6detail17trampoline_kernelINS0_14default_configENS1_25transform_config_selectorIfLb0EEEZNS1_14transform_implILb0ES3_S5_PfN6thrust23THRUST_200600_302600_NS6detail15normal_iteratorINS9_10device_ptrIfEEEENS0_8identityIfEEEE10hipError_tT2_T3_mT4_P12ihipStream_tbEUlT_E_NS1_11comp_targetILNS1_3genE9ELNS1_11target_archE1100ELNS1_3gpuE3ELNS1_3repE0EEENS1_30default_config_static_selectorELNS0_4arch9wavefront6targetE0EEEvT1_.private_seg_size, 0
	.set _ZN7rocprim17ROCPRIM_400000_NS6detail17trampoline_kernelINS0_14default_configENS1_25transform_config_selectorIfLb0EEEZNS1_14transform_implILb0ES3_S5_PfN6thrust23THRUST_200600_302600_NS6detail15normal_iteratorINS9_10device_ptrIfEEEENS0_8identityIfEEEE10hipError_tT2_T3_mT4_P12ihipStream_tbEUlT_E_NS1_11comp_targetILNS1_3genE9ELNS1_11target_archE1100ELNS1_3gpuE3ELNS1_3repE0EEENS1_30default_config_static_selectorELNS0_4arch9wavefront6targetE0EEEvT1_.uses_vcc, 0
	.set _ZN7rocprim17ROCPRIM_400000_NS6detail17trampoline_kernelINS0_14default_configENS1_25transform_config_selectorIfLb0EEEZNS1_14transform_implILb0ES3_S5_PfN6thrust23THRUST_200600_302600_NS6detail15normal_iteratorINS9_10device_ptrIfEEEENS0_8identityIfEEEE10hipError_tT2_T3_mT4_P12ihipStream_tbEUlT_E_NS1_11comp_targetILNS1_3genE9ELNS1_11target_archE1100ELNS1_3gpuE3ELNS1_3repE0EEENS1_30default_config_static_selectorELNS0_4arch9wavefront6targetE0EEEvT1_.uses_flat_scratch, 0
	.set _ZN7rocprim17ROCPRIM_400000_NS6detail17trampoline_kernelINS0_14default_configENS1_25transform_config_selectorIfLb0EEEZNS1_14transform_implILb0ES3_S5_PfN6thrust23THRUST_200600_302600_NS6detail15normal_iteratorINS9_10device_ptrIfEEEENS0_8identityIfEEEE10hipError_tT2_T3_mT4_P12ihipStream_tbEUlT_E_NS1_11comp_targetILNS1_3genE9ELNS1_11target_archE1100ELNS1_3gpuE3ELNS1_3repE0EEENS1_30default_config_static_selectorELNS0_4arch9wavefront6targetE0EEEvT1_.has_dyn_sized_stack, 0
	.set _ZN7rocprim17ROCPRIM_400000_NS6detail17trampoline_kernelINS0_14default_configENS1_25transform_config_selectorIfLb0EEEZNS1_14transform_implILb0ES3_S5_PfN6thrust23THRUST_200600_302600_NS6detail15normal_iteratorINS9_10device_ptrIfEEEENS0_8identityIfEEEE10hipError_tT2_T3_mT4_P12ihipStream_tbEUlT_E_NS1_11comp_targetILNS1_3genE9ELNS1_11target_archE1100ELNS1_3gpuE3ELNS1_3repE0EEENS1_30default_config_static_selectorELNS0_4arch9wavefront6targetE0EEEvT1_.has_recursion, 0
	.set _ZN7rocprim17ROCPRIM_400000_NS6detail17trampoline_kernelINS0_14default_configENS1_25transform_config_selectorIfLb0EEEZNS1_14transform_implILb0ES3_S5_PfN6thrust23THRUST_200600_302600_NS6detail15normal_iteratorINS9_10device_ptrIfEEEENS0_8identityIfEEEE10hipError_tT2_T3_mT4_P12ihipStream_tbEUlT_E_NS1_11comp_targetILNS1_3genE9ELNS1_11target_archE1100ELNS1_3gpuE3ELNS1_3repE0EEENS1_30default_config_static_selectorELNS0_4arch9wavefront6targetE0EEEvT1_.has_indirect_call, 0
	.section	.AMDGPU.csdata,"",@progbits
; Kernel info:
; codeLenInByte = 0
; TotalNumSgprs: 0
; NumVgprs: 0
; ScratchSize: 0
; MemoryBound: 0
; FloatMode: 240
; IeeeMode: 1
; LDSByteSize: 0 bytes/workgroup (compile time only)
; SGPRBlocks: 0
; VGPRBlocks: 0
; NumSGPRsForWavesPerEU: 1
; NumVGPRsForWavesPerEU: 1
; Occupancy: 16
; WaveLimiterHint : 0
; COMPUTE_PGM_RSRC2:SCRATCH_EN: 0
; COMPUTE_PGM_RSRC2:USER_SGPR: 6
; COMPUTE_PGM_RSRC2:TRAP_HANDLER: 0
; COMPUTE_PGM_RSRC2:TGID_X_EN: 1
; COMPUTE_PGM_RSRC2:TGID_Y_EN: 0
; COMPUTE_PGM_RSRC2:TGID_Z_EN: 0
; COMPUTE_PGM_RSRC2:TIDIG_COMP_CNT: 0
	.section	.text._ZN7rocprim17ROCPRIM_400000_NS6detail17trampoline_kernelINS0_14default_configENS1_25transform_config_selectorIfLb0EEEZNS1_14transform_implILb0ES3_S5_PfN6thrust23THRUST_200600_302600_NS6detail15normal_iteratorINS9_10device_ptrIfEEEENS0_8identityIfEEEE10hipError_tT2_T3_mT4_P12ihipStream_tbEUlT_E_NS1_11comp_targetILNS1_3genE8ELNS1_11target_archE1030ELNS1_3gpuE2ELNS1_3repE0EEENS1_30default_config_static_selectorELNS0_4arch9wavefront6targetE0EEEvT1_,"axG",@progbits,_ZN7rocprim17ROCPRIM_400000_NS6detail17trampoline_kernelINS0_14default_configENS1_25transform_config_selectorIfLb0EEEZNS1_14transform_implILb0ES3_S5_PfN6thrust23THRUST_200600_302600_NS6detail15normal_iteratorINS9_10device_ptrIfEEEENS0_8identityIfEEEE10hipError_tT2_T3_mT4_P12ihipStream_tbEUlT_E_NS1_11comp_targetILNS1_3genE8ELNS1_11target_archE1030ELNS1_3gpuE2ELNS1_3repE0EEENS1_30default_config_static_selectorELNS0_4arch9wavefront6targetE0EEEvT1_,comdat
	.protected	_ZN7rocprim17ROCPRIM_400000_NS6detail17trampoline_kernelINS0_14default_configENS1_25transform_config_selectorIfLb0EEEZNS1_14transform_implILb0ES3_S5_PfN6thrust23THRUST_200600_302600_NS6detail15normal_iteratorINS9_10device_ptrIfEEEENS0_8identityIfEEEE10hipError_tT2_T3_mT4_P12ihipStream_tbEUlT_E_NS1_11comp_targetILNS1_3genE8ELNS1_11target_archE1030ELNS1_3gpuE2ELNS1_3repE0EEENS1_30default_config_static_selectorELNS0_4arch9wavefront6targetE0EEEvT1_ ; -- Begin function _ZN7rocprim17ROCPRIM_400000_NS6detail17trampoline_kernelINS0_14default_configENS1_25transform_config_selectorIfLb0EEEZNS1_14transform_implILb0ES3_S5_PfN6thrust23THRUST_200600_302600_NS6detail15normal_iteratorINS9_10device_ptrIfEEEENS0_8identityIfEEEE10hipError_tT2_T3_mT4_P12ihipStream_tbEUlT_E_NS1_11comp_targetILNS1_3genE8ELNS1_11target_archE1030ELNS1_3gpuE2ELNS1_3repE0EEENS1_30default_config_static_selectorELNS0_4arch9wavefront6targetE0EEEvT1_
	.globl	_ZN7rocprim17ROCPRIM_400000_NS6detail17trampoline_kernelINS0_14default_configENS1_25transform_config_selectorIfLb0EEEZNS1_14transform_implILb0ES3_S5_PfN6thrust23THRUST_200600_302600_NS6detail15normal_iteratorINS9_10device_ptrIfEEEENS0_8identityIfEEEE10hipError_tT2_T3_mT4_P12ihipStream_tbEUlT_E_NS1_11comp_targetILNS1_3genE8ELNS1_11target_archE1030ELNS1_3gpuE2ELNS1_3repE0EEENS1_30default_config_static_selectorELNS0_4arch9wavefront6targetE0EEEvT1_
	.p2align	8
	.type	_ZN7rocprim17ROCPRIM_400000_NS6detail17trampoline_kernelINS0_14default_configENS1_25transform_config_selectorIfLb0EEEZNS1_14transform_implILb0ES3_S5_PfN6thrust23THRUST_200600_302600_NS6detail15normal_iteratorINS9_10device_ptrIfEEEENS0_8identityIfEEEE10hipError_tT2_T3_mT4_P12ihipStream_tbEUlT_E_NS1_11comp_targetILNS1_3genE8ELNS1_11target_archE1030ELNS1_3gpuE2ELNS1_3repE0EEENS1_30default_config_static_selectorELNS0_4arch9wavefront6targetE0EEEvT1_,@function
_ZN7rocprim17ROCPRIM_400000_NS6detail17trampoline_kernelINS0_14default_configENS1_25transform_config_selectorIfLb0EEEZNS1_14transform_implILb0ES3_S5_PfN6thrust23THRUST_200600_302600_NS6detail15normal_iteratorINS9_10device_ptrIfEEEENS0_8identityIfEEEE10hipError_tT2_T3_mT4_P12ihipStream_tbEUlT_E_NS1_11comp_targetILNS1_3genE8ELNS1_11target_archE1030ELNS1_3gpuE2ELNS1_3repE0EEENS1_30default_config_static_selectorELNS0_4arch9wavefront6targetE0EEEvT1_: ; @_ZN7rocprim17ROCPRIM_400000_NS6detail17trampoline_kernelINS0_14default_configENS1_25transform_config_selectorIfLb0EEEZNS1_14transform_implILb0ES3_S5_PfN6thrust23THRUST_200600_302600_NS6detail15normal_iteratorINS9_10device_ptrIfEEEENS0_8identityIfEEEE10hipError_tT2_T3_mT4_P12ihipStream_tbEUlT_E_NS1_11comp_targetILNS1_3genE8ELNS1_11target_archE1030ELNS1_3gpuE2ELNS1_3repE0EEENS1_30default_config_static_selectorELNS0_4arch9wavefront6targetE0EEEvT1_
; %bb.0:
	s_clause 0x1
	s_load_dword s0, s[4:5], 0x28
	s_load_dword s1, s[4:5], 0x10
	s_waitcnt lgkmcnt(0)
	s_add_i32 s2, s0, -1
	s_lshl_b32 s0, s6, 8
	s_cmp_lg_u32 s6, s2
	s_cselect_b32 s2, -1, 0
	s_sub_i32 s1, s1, s0
	v_cmp_gt_u32_e32 vcc_lo, s1, v0
	s_or_b32 s1, vcc_lo, s2
	s_and_saveexec_b32 s2, s1
	s_cbranch_execz .LBB531_2
; %bb.1:
	s_clause 0x1
	s_load_dwordx4 s[8:11], s[4:5], 0x0
	s_load_dwordx2 s[2:3], s[4:5], 0x18
	s_mov_b32 s1, 0
	v_lshlrev_b32_e32 v0, 2, v0
	s_waitcnt lgkmcnt(0)
	s_lshl_b64 s[4:5], s[10:11], 2
	s_add_u32 s6, s8, s4
	s_addc_u32 s7, s9, s5
	s_lshl_b64 s[0:1], s[0:1], 2
	s_add_u32 s6, s6, s0
	s_addc_u32 s7, s7, s1
	s_add_u32 s2, s2, s4
	global_load_dword v2, v0, s[6:7]
	s_addc_u32 s3, s3, s5
	s_add_u32 s0, s2, s0
	s_addc_u32 s1, s3, s1
	v_add_co_u32 v0, s0, s0, v0
	v_add_co_ci_u32_e64 v1, null, s1, 0, s0
	s_waitcnt vmcnt(0)
	flat_store_dword v[0:1], v2
.LBB531_2:
	s_endpgm
	.section	.rodata,"a",@progbits
	.p2align	6, 0x0
	.amdhsa_kernel _ZN7rocprim17ROCPRIM_400000_NS6detail17trampoline_kernelINS0_14default_configENS1_25transform_config_selectorIfLb0EEEZNS1_14transform_implILb0ES3_S5_PfN6thrust23THRUST_200600_302600_NS6detail15normal_iteratorINS9_10device_ptrIfEEEENS0_8identityIfEEEE10hipError_tT2_T3_mT4_P12ihipStream_tbEUlT_E_NS1_11comp_targetILNS1_3genE8ELNS1_11target_archE1030ELNS1_3gpuE2ELNS1_3repE0EEENS1_30default_config_static_selectorELNS0_4arch9wavefront6targetE0EEEvT1_
		.amdhsa_group_segment_fixed_size 0
		.amdhsa_private_segment_fixed_size 0
		.amdhsa_kernarg_size 296
		.amdhsa_user_sgpr_count 6
		.amdhsa_user_sgpr_private_segment_buffer 1
		.amdhsa_user_sgpr_dispatch_ptr 0
		.amdhsa_user_sgpr_queue_ptr 0
		.amdhsa_user_sgpr_kernarg_segment_ptr 1
		.amdhsa_user_sgpr_dispatch_id 0
		.amdhsa_user_sgpr_flat_scratch_init 0
		.amdhsa_user_sgpr_private_segment_size 0
		.amdhsa_wavefront_size32 1
		.amdhsa_uses_dynamic_stack 0
		.amdhsa_system_sgpr_private_segment_wavefront_offset 0
		.amdhsa_system_sgpr_workgroup_id_x 1
		.amdhsa_system_sgpr_workgroup_id_y 0
		.amdhsa_system_sgpr_workgroup_id_z 0
		.amdhsa_system_sgpr_workgroup_info 0
		.amdhsa_system_vgpr_workitem_id 0
		.amdhsa_next_free_vgpr 3
		.amdhsa_next_free_sgpr 12
		.amdhsa_reserve_vcc 1
		.amdhsa_reserve_flat_scratch 0
		.amdhsa_float_round_mode_32 0
		.amdhsa_float_round_mode_16_64 0
		.amdhsa_float_denorm_mode_32 3
		.amdhsa_float_denorm_mode_16_64 3
		.amdhsa_dx10_clamp 1
		.amdhsa_ieee_mode 1
		.amdhsa_fp16_overflow 0
		.amdhsa_workgroup_processor_mode 1
		.amdhsa_memory_ordered 1
		.amdhsa_forward_progress 1
		.amdhsa_shared_vgpr_count 0
		.amdhsa_exception_fp_ieee_invalid_op 0
		.amdhsa_exception_fp_denorm_src 0
		.amdhsa_exception_fp_ieee_div_zero 0
		.amdhsa_exception_fp_ieee_overflow 0
		.amdhsa_exception_fp_ieee_underflow 0
		.amdhsa_exception_fp_ieee_inexact 0
		.amdhsa_exception_int_div_zero 0
	.end_amdhsa_kernel
	.section	.text._ZN7rocprim17ROCPRIM_400000_NS6detail17trampoline_kernelINS0_14default_configENS1_25transform_config_selectorIfLb0EEEZNS1_14transform_implILb0ES3_S5_PfN6thrust23THRUST_200600_302600_NS6detail15normal_iteratorINS9_10device_ptrIfEEEENS0_8identityIfEEEE10hipError_tT2_T3_mT4_P12ihipStream_tbEUlT_E_NS1_11comp_targetILNS1_3genE8ELNS1_11target_archE1030ELNS1_3gpuE2ELNS1_3repE0EEENS1_30default_config_static_selectorELNS0_4arch9wavefront6targetE0EEEvT1_,"axG",@progbits,_ZN7rocprim17ROCPRIM_400000_NS6detail17trampoline_kernelINS0_14default_configENS1_25transform_config_selectorIfLb0EEEZNS1_14transform_implILb0ES3_S5_PfN6thrust23THRUST_200600_302600_NS6detail15normal_iteratorINS9_10device_ptrIfEEEENS0_8identityIfEEEE10hipError_tT2_T3_mT4_P12ihipStream_tbEUlT_E_NS1_11comp_targetILNS1_3genE8ELNS1_11target_archE1030ELNS1_3gpuE2ELNS1_3repE0EEENS1_30default_config_static_selectorELNS0_4arch9wavefront6targetE0EEEvT1_,comdat
.Lfunc_end531:
	.size	_ZN7rocprim17ROCPRIM_400000_NS6detail17trampoline_kernelINS0_14default_configENS1_25transform_config_selectorIfLb0EEEZNS1_14transform_implILb0ES3_S5_PfN6thrust23THRUST_200600_302600_NS6detail15normal_iteratorINS9_10device_ptrIfEEEENS0_8identityIfEEEE10hipError_tT2_T3_mT4_P12ihipStream_tbEUlT_E_NS1_11comp_targetILNS1_3genE8ELNS1_11target_archE1030ELNS1_3gpuE2ELNS1_3repE0EEENS1_30default_config_static_selectorELNS0_4arch9wavefront6targetE0EEEvT1_, .Lfunc_end531-_ZN7rocprim17ROCPRIM_400000_NS6detail17trampoline_kernelINS0_14default_configENS1_25transform_config_selectorIfLb0EEEZNS1_14transform_implILb0ES3_S5_PfN6thrust23THRUST_200600_302600_NS6detail15normal_iteratorINS9_10device_ptrIfEEEENS0_8identityIfEEEE10hipError_tT2_T3_mT4_P12ihipStream_tbEUlT_E_NS1_11comp_targetILNS1_3genE8ELNS1_11target_archE1030ELNS1_3gpuE2ELNS1_3repE0EEENS1_30default_config_static_selectorELNS0_4arch9wavefront6targetE0EEEvT1_
                                        ; -- End function
	.set _ZN7rocprim17ROCPRIM_400000_NS6detail17trampoline_kernelINS0_14default_configENS1_25transform_config_selectorIfLb0EEEZNS1_14transform_implILb0ES3_S5_PfN6thrust23THRUST_200600_302600_NS6detail15normal_iteratorINS9_10device_ptrIfEEEENS0_8identityIfEEEE10hipError_tT2_T3_mT4_P12ihipStream_tbEUlT_E_NS1_11comp_targetILNS1_3genE8ELNS1_11target_archE1030ELNS1_3gpuE2ELNS1_3repE0EEENS1_30default_config_static_selectorELNS0_4arch9wavefront6targetE0EEEvT1_.num_vgpr, 3
	.set _ZN7rocprim17ROCPRIM_400000_NS6detail17trampoline_kernelINS0_14default_configENS1_25transform_config_selectorIfLb0EEEZNS1_14transform_implILb0ES3_S5_PfN6thrust23THRUST_200600_302600_NS6detail15normal_iteratorINS9_10device_ptrIfEEEENS0_8identityIfEEEE10hipError_tT2_T3_mT4_P12ihipStream_tbEUlT_E_NS1_11comp_targetILNS1_3genE8ELNS1_11target_archE1030ELNS1_3gpuE2ELNS1_3repE0EEENS1_30default_config_static_selectorELNS0_4arch9wavefront6targetE0EEEvT1_.num_agpr, 0
	.set _ZN7rocprim17ROCPRIM_400000_NS6detail17trampoline_kernelINS0_14default_configENS1_25transform_config_selectorIfLb0EEEZNS1_14transform_implILb0ES3_S5_PfN6thrust23THRUST_200600_302600_NS6detail15normal_iteratorINS9_10device_ptrIfEEEENS0_8identityIfEEEE10hipError_tT2_T3_mT4_P12ihipStream_tbEUlT_E_NS1_11comp_targetILNS1_3genE8ELNS1_11target_archE1030ELNS1_3gpuE2ELNS1_3repE0EEENS1_30default_config_static_selectorELNS0_4arch9wavefront6targetE0EEEvT1_.numbered_sgpr, 12
	.set _ZN7rocprim17ROCPRIM_400000_NS6detail17trampoline_kernelINS0_14default_configENS1_25transform_config_selectorIfLb0EEEZNS1_14transform_implILb0ES3_S5_PfN6thrust23THRUST_200600_302600_NS6detail15normal_iteratorINS9_10device_ptrIfEEEENS0_8identityIfEEEE10hipError_tT2_T3_mT4_P12ihipStream_tbEUlT_E_NS1_11comp_targetILNS1_3genE8ELNS1_11target_archE1030ELNS1_3gpuE2ELNS1_3repE0EEENS1_30default_config_static_selectorELNS0_4arch9wavefront6targetE0EEEvT1_.num_named_barrier, 0
	.set _ZN7rocprim17ROCPRIM_400000_NS6detail17trampoline_kernelINS0_14default_configENS1_25transform_config_selectorIfLb0EEEZNS1_14transform_implILb0ES3_S5_PfN6thrust23THRUST_200600_302600_NS6detail15normal_iteratorINS9_10device_ptrIfEEEENS0_8identityIfEEEE10hipError_tT2_T3_mT4_P12ihipStream_tbEUlT_E_NS1_11comp_targetILNS1_3genE8ELNS1_11target_archE1030ELNS1_3gpuE2ELNS1_3repE0EEENS1_30default_config_static_selectorELNS0_4arch9wavefront6targetE0EEEvT1_.private_seg_size, 0
	.set _ZN7rocprim17ROCPRIM_400000_NS6detail17trampoline_kernelINS0_14default_configENS1_25transform_config_selectorIfLb0EEEZNS1_14transform_implILb0ES3_S5_PfN6thrust23THRUST_200600_302600_NS6detail15normal_iteratorINS9_10device_ptrIfEEEENS0_8identityIfEEEE10hipError_tT2_T3_mT4_P12ihipStream_tbEUlT_E_NS1_11comp_targetILNS1_3genE8ELNS1_11target_archE1030ELNS1_3gpuE2ELNS1_3repE0EEENS1_30default_config_static_selectorELNS0_4arch9wavefront6targetE0EEEvT1_.uses_vcc, 1
	.set _ZN7rocprim17ROCPRIM_400000_NS6detail17trampoline_kernelINS0_14default_configENS1_25transform_config_selectorIfLb0EEEZNS1_14transform_implILb0ES3_S5_PfN6thrust23THRUST_200600_302600_NS6detail15normal_iteratorINS9_10device_ptrIfEEEENS0_8identityIfEEEE10hipError_tT2_T3_mT4_P12ihipStream_tbEUlT_E_NS1_11comp_targetILNS1_3genE8ELNS1_11target_archE1030ELNS1_3gpuE2ELNS1_3repE0EEENS1_30default_config_static_selectorELNS0_4arch9wavefront6targetE0EEEvT1_.uses_flat_scratch, 0
	.set _ZN7rocprim17ROCPRIM_400000_NS6detail17trampoline_kernelINS0_14default_configENS1_25transform_config_selectorIfLb0EEEZNS1_14transform_implILb0ES3_S5_PfN6thrust23THRUST_200600_302600_NS6detail15normal_iteratorINS9_10device_ptrIfEEEENS0_8identityIfEEEE10hipError_tT2_T3_mT4_P12ihipStream_tbEUlT_E_NS1_11comp_targetILNS1_3genE8ELNS1_11target_archE1030ELNS1_3gpuE2ELNS1_3repE0EEENS1_30default_config_static_selectorELNS0_4arch9wavefront6targetE0EEEvT1_.has_dyn_sized_stack, 0
	.set _ZN7rocprim17ROCPRIM_400000_NS6detail17trampoline_kernelINS0_14default_configENS1_25transform_config_selectorIfLb0EEEZNS1_14transform_implILb0ES3_S5_PfN6thrust23THRUST_200600_302600_NS6detail15normal_iteratorINS9_10device_ptrIfEEEENS0_8identityIfEEEE10hipError_tT2_T3_mT4_P12ihipStream_tbEUlT_E_NS1_11comp_targetILNS1_3genE8ELNS1_11target_archE1030ELNS1_3gpuE2ELNS1_3repE0EEENS1_30default_config_static_selectorELNS0_4arch9wavefront6targetE0EEEvT1_.has_recursion, 0
	.set _ZN7rocprim17ROCPRIM_400000_NS6detail17trampoline_kernelINS0_14default_configENS1_25transform_config_selectorIfLb0EEEZNS1_14transform_implILb0ES3_S5_PfN6thrust23THRUST_200600_302600_NS6detail15normal_iteratorINS9_10device_ptrIfEEEENS0_8identityIfEEEE10hipError_tT2_T3_mT4_P12ihipStream_tbEUlT_E_NS1_11comp_targetILNS1_3genE8ELNS1_11target_archE1030ELNS1_3gpuE2ELNS1_3repE0EEENS1_30default_config_static_selectorELNS0_4arch9wavefront6targetE0EEEvT1_.has_indirect_call, 0
	.section	.AMDGPU.csdata,"",@progbits
; Kernel info:
; codeLenInByte = 172
; TotalNumSgprs: 14
; NumVgprs: 3
; ScratchSize: 0
; MemoryBound: 0
; FloatMode: 240
; IeeeMode: 1
; LDSByteSize: 0 bytes/workgroup (compile time only)
; SGPRBlocks: 0
; VGPRBlocks: 0
; NumSGPRsForWavesPerEU: 14
; NumVGPRsForWavesPerEU: 3
; Occupancy: 16
; WaveLimiterHint : 0
; COMPUTE_PGM_RSRC2:SCRATCH_EN: 0
; COMPUTE_PGM_RSRC2:USER_SGPR: 6
; COMPUTE_PGM_RSRC2:TRAP_HANDLER: 0
; COMPUTE_PGM_RSRC2:TGID_X_EN: 1
; COMPUTE_PGM_RSRC2:TGID_Y_EN: 0
; COMPUTE_PGM_RSRC2:TGID_Z_EN: 0
; COMPUTE_PGM_RSRC2:TIDIG_COMP_CNT: 0
	.section	.text._ZN7rocprim17ROCPRIM_400000_NS6detail17trampoline_kernelINS0_14default_configENS1_35radix_sort_onesweep_config_selectorIfNS0_10empty_typeEEEZNS1_34radix_sort_onesweep_global_offsetsIS3_Lb0EN6thrust23THRUST_200600_302600_NS6detail15normal_iteratorINS9_10device_ptrIfEEEEPS5_jNS0_19identity_decomposerEEE10hipError_tT1_T2_PT3_SK_jT4_jjP12ihipStream_tbEUlT_E_NS1_11comp_targetILNS1_3genE0ELNS1_11target_archE4294967295ELNS1_3gpuE0ELNS1_3repE0EEENS1_52radix_sort_onesweep_histogram_config_static_selectorELNS0_4arch9wavefront6targetE0EEEvSI_,"axG",@progbits,_ZN7rocprim17ROCPRIM_400000_NS6detail17trampoline_kernelINS0_14default_configENS1_35radix_sort_onesweep_config_selectorIfNS0_10empty_typeEEEZNS1_34radix_sort_onesweep_global_offsetsIS3_Lb0EN6thrust23THRUST_200600_302600_NS6detail15normal_iteratorINS9_10device_ptrIfEEEEPS5_jNS0_19identity_decomposerEEE10hipError_tT1_T2_PT3_SK_jT4_jjP12ihipStream_tbEUlT_E_NS1_11comp_targetILNS1_3genE0ELNS1_11target_archE4294967295ELNS1_3gpuE0ELNS1_3repE0EEENS1_52radix_sort_onesweep_histogram_config_static_selectorELNS0_4arch9wavefront6targetE0EEEvSI_,comdat
	.protected	_ZN7rocprim17ROCPRIM_400000_NS6detail17trampoline_kernelINS0_14default_configENS1_35radix_sort_onesweep_config_selectorIfNS0_10empty_typeEEEZNS1_34radix_sort_onesweep_global_offsetsIS3_Lb0EN6thrust23THRUST_200600_302600_NS6detail15normal_iteratorINS9_10device_ptrIfEEEEPS5_jNS0_19identity_decomposerEEE10hipError_tT1_T2_PT3_SK_jT4_jjP12ihipStream_tbEUlT_E_NS1_11comp_targetILNS1_3genE0ELNS1_11target_archE4294967295ELNS1_3gpuE0ELNS1_3repE0EEENS1_52radix_sort_onesweep_histogram_config_static_selectorELNS0_4arch9wavefront6targetE0EEEvSI_ ; -- Begin function _ZN7rocprim17ROCPRIM_400000_NS6detail17trampoline_kernelINS0_14default_configENS1_35radix_sort_onesweep_config_selectorIfNS0_10empty_typeEEEZNS1_34radix_sort_onesweep_global_offsetsIS3_Lb0EN6thrust23THRUST_200600_302600_NS6detail15normal_iteratorINS9_10device_ptrIfEEEEPS5_jNS0_19identity_decomposerEEE10hipError_tT1_T2_PT3_SK_jT4_jjP12ihipStream_tbEUlT_E_NS1_11comp_targetILNS1_3genE0ELNS1_11target_archE4294967295ELNS1_3gpuE0ELNS1_3repE0EEENS1_52radix_sort_onesweep_histogram_config_static_selectorELNS0_4arch9wavefront6targetE0EEEvSI_
	.globl	_ZN7rocprim17ROCPRIM_400000_NS6detail17trampoline_kernelINS0_14default_configENS1_35radix_sort_onesweep_config_selectorIfNS0_10empty_typeEEEZNS1_34radix_sort_onesweep_global_offsetsIS3_Lb0EN6thrust23THRUST_200600_302600_NS6detail15normal_iteratorINS9_10device_ptrIfEEEEPS5_jNS0_19identity_decomposerEEE10hipError_tT1_T2_PT3_SK_jT4_jjP12ihipStream_tbEUlT_E_NS1_11comp_targetILNS1_3genE0ELNS1_11target_archE4294967295ELNS1_3gpuE0ELNS1_3repE0EEENS1_52radix_sort_onesweep_histogram_config_static_selectorELNS0_4arch9wavefront6targetE0EEEvSI_
	.p2align	8
	.type	_ZN7rocprim17ROCPRIM_400000_NS6detail17trampoline_kernelINS0_14default_configENS1_35radix_sort_onesweep_config_selectorIfNS0_10empty_typeEEEZNS1_34radix_sort_onesweep_global_offsetsIS3_Lb0EN6thrust23THRUST_200600_302600_NS6detail15normal_iteratorINS9_10device_ptrIfEEEEPS5_jNS0_19identity_decomposerEEE10hipError_tT1_T2_PT3_SK_jT4_jjP12ihipStream_tbEUlT_E_NS1_11comp_targetILNS1_3genE0ELNS1_11target_archE4294967295ELNS1_3gpuE0ELNS1_3repE0EEENS1_52radix_sort_onesweep_histogram_config_static_selectorELNS0_4arch9wavefront6targetE0EEEvSI_,@function
_ZN7rocprim17ROCPRIM_400000_NS6detail17trampoline_kernelINS0_14default_configENS1_35radix_sort_onesweep_config_selectorIfNS0_10empty_typeEEEZNS1_34radix_sort_onesweep_global_offsetsIS3_Lb0EN6thrust23THRUST_200600_302600_NS6detail15normal_iteratorINS9_10device_ptrIfEEEEPS5_jNS0_19identity_decomposerEEE10hipError_tT1_T2_PT3_SK_jT4_jjP12ihipStream_tbEUlT_E_NS1_11comp_targetILNS1_3genE0ELNS1_11target_archE4294967295ELNS1_3gpuE0ELNS1_3repE0EEENS1_52radix_sort_onesweep_histogram_config_static_selectorELNS0_4arch9wavefront6targetE0EEEvSI_: ; @_ZN7rocprim17ROCPRIM_400000_NS6detail17trampoline_kernelINS0_14default_configENS1_35radix_sort_onesweep_config_selectorIfNS0_10empty_typeEEEZNS1_34radix_sort_onesweep_global_offsetsIS3_Lb0EN6thrust23THRUST_200600_302600_NS6detail15normal_iteratorINS9_10device_ptrIfEEEEPS5_jNS0_19identity_decomposerEEE10hipError_tT1_T2_PT3_SK_jT4_jjP12ihipStream_tbEUlT_E_NS1_11comp_targetILNS1_3genE0ELNS1_11target_archE4294967295ELNS1_3gpuE0ELNS1_3repE0EEENS1_52radix_sort_onesweep_histogram_config_static_selectorELNS0_4arch9wavefront6targetE0EEEvSI_
; %bb.0:
	.section	.rodata,"a",@progbits
	.p2align	6, 0x0
	.amdhsa_kernel _ZN7rocprim17ROCPRIM_400000_NS6detail17trampoline_kernelINS0_14default_configENS1_35radix_sort_onesweep_config_selectorIfNS0_10empty_typeEEEZNS1_34radix_sort_onesweep_global_offsetsIS3_Lb0EN6thrust23THRUST_200600_302600_NS6detail15normal_iteratorINS9_10device_ptrIfEEEEPS5_jNS0_19identity_decomposerEEE10hipError_tT1_T2_PT3_SK_jT4_jjP12ihipStream_tbEUlT_E_NS1_11comp_targetILNS1_3genE0ELNS1_11target_archE4294967295ELNS1_3gpuE0ELNS1_3repE0EEENS1_52radix_sort_onesweep_histogram_config_static_selectorELNS0_4arch9wavefront6targetE0EEEvSI_
		.amdhsa_group_segment_fixed_size 0
		.amdhsa_private_segment_fixed_size 0
		.amdhsa_kernarg_size 40
		.amdhsa_user_sgpr_count 6
		.amdhsa_user_sgpr_private_segment_buffer 1
		.amdhsa_user_sgpr_dispatch_ptr 0
		.amdhsa_user_sgpr_queue_ptr 0
		.amdhsa_user_sgpr_kernarg_segment_ptr 1
		.amdhsa_user_sgpr_dispatch_id 0
		.amdhsa_user_sgpr_flat_scratch_init 0
		.amdhsa_user_sgpr_private_segment_size 0
		.amdhsa_wavefront_size32 1
		.amdhsa_uses_dynamic_stack 0
		.amdhsa_system_sgpr_private_segment_wavefront_offset 0
		.amdhsa_system_sgpr_workgroup_id_x 1
		.amdhsa_system_sgpr_workgroup_id_y 0
		.amdhsa_system_sgpr_workgroup_id_z 0
		.amdhsa_system_sgpr_workgroup_info 0
		.amdhsa_system_vgpr_workitem_id 0
		.amdhsa_next_free_vgpr 1
		.amdhsa_next_free_sgpr 1
		.amdhsa_reserve_vcc 0
		.amdhsa_reserve_flat_scratch 0
		.amdhsa_float_round_mode_32 0
		.amdhsa_float_round_mode_16_64 0
		.amdhsa_float_denorm_mode_32 3
		.amdhsa_float_denorm_mode_16_64 3
		.amdhsa_dx10_clamp 1
		.amdhsa_ieee_mode 1
		.amdhsa_fp16_overflow 0
		.amdhsa_workgroup_processor_mode 1
		.amdhsa_memory_ordered 1
		.amdhsa_forward_progress 1
		.amdhsa_shared_vgpr_count 0
		.amdhsa_exception_fp_ieee_invalid_op 0
		.amdhsa_exception_fp_denorm_src 0
		.amdhsa_exception_fp_ieee_div_zero 0
		.amdhsa_exception_fp_ieee_overflow 0
		.amdhsa_exception_fp_ieee_underflow 0
		.amdhsa_exception_fp_ieee_inexact 0
		.amdhsa_exception_int_div_zero 0
	.end_amdhsa_kernel
	.section	.text._ZN7rocprim17ROCPRIM_400000_NS6detail17trampoline_kernelINS0_14default_configENS1_35radix_sort_onesweep_config_selectorIfNS0_10empty_typeEEEZNS1_34radix_sort_onesweep_global_offsetsIS3_Lb0EN6thrust23THRUST_200600_302600_NS6detail15normal_iteratorINS9_10device_ptrIfEEEEPS5_jNS0_19identity_decomposerEEE10hipError_tT1_T2_PT3_SK_jT4_jjP12ihipStream_tbEUlT_E_NS1_11comp_targetILNS1_3genE0ELNS1_11target_archE4294967295ELNS1_3gpuE0ELNS1_3repE0EEENS1_52radix_sort_onesweep_histogram_config_static_selectorELNS0_4arch9wavefront6targetE0EEEvSI_,"axG",@progbits,_ZN7rocprim17ROCPRIM_400000_NS6detail17trampoline_kernelINS0_14default_configENS1_35radix_sort_onesweep_config_selectorIfNS0_10empty_typeEEEZNS1_34radix_sort_onesweep_global_offsetsIS3_Lb0EN6thrust23THRUST_200600_302600_NS6detail15normal_iteratorINS9_10device_ptrIfEEEEPS5_jNS0_19identity_decomposerEEE10hipError_tT1_T2_PT3_SK_jT4_jjP12ihipStream_tbEUlT_E_NS1_11comp_targetILNS1_3genE0ELNS1_11target_archE4294967295ELNS1_3gpuE0ELNS1_3repE0EEENS1_52radix_sort_onesweep_histogram_config_static_selectorELNS0_4arch9wavefront6targetE0EEEvSI_,comdat
.Lfunc_end532:
	.size	_ZN7rocprim17ROCPRIM_400000_NS6detail17trampoline_kernelINS0_14default_configENS1_35radix_sort_onesweep_config_selectorIfNS0_10empty_typeEEEZNS1_34radix_sort_onesweep_global_offsetsIS3_Lb0EN6thrust23THRUST_200600_302600_NS6detail15normal_iteratorINS9_10device_ptrIfEEEEPS5_jNS0_19identity_decomposerEEE10hipError_tT1_T2_PT3_SK_jT4_jjP12ihipStream_tbEUlT_E_NS1_11comp_targetILNS1_3genE0ELNS1_11target_archE4294967295ELNS1_3gpuE0ELNS1_3repE0EEENS1_52radix_sort_onesweep_histogram_config_static_selectorELNS0_4arch9wavefront6targetE0EEEvSI_, .Lfunc_end532-_ZN7rocprim17ROCPRIM_400000_NS6detail17trampoline_kernelINS0_14default_configENS1_35radix_sort_onesweep_config_selectorIfNS0_10empty_typeEEEZNS1_34radix_sort_onesweep_global_offsetsIS3_Lb0EN6thrust23THRUST_200600_302600_NS6detail15normal_iteratorINS9_10device_ptrIfEEEEPS5_jNS0_19identity_decomposerEEE10hipError_tT1_T2_PT3_SK_jT4_jjP12ihipStream_tbEUlT_E_NS1_11comp_targetILNS1_3genE0ELNS1_11target_archE4294967295ELNS1_3gpuE0ELNS1_3repE0EEENS1_52radix_sort_onesweep_histogram_config_static_selectorELNS0_4arch9wavefront6targetE0EEEvSI_
                                        ; -- End function
	.set _ZN7rocprim17ROCPRIM_400000_NS6detail17trampoline_kernelINS0_14default_configENS1_35radix_sort_onesweep_config_selectorIfNS0_10empty_typeEEEZNS1_34radix_sort_onesweep_global_offsetsIS3_Lb0EN6thrust23THRUST_200600_302600_NS6detail15normal_iteratorINS9_10device_ptrIfEEEEPS5_jNS0_19identity_decomposerEEE10hipError_tT1_T2_PT3_SK_jT4_jjP12ihipStream_tbEUlT_E_NS1_11comp_targetILNS1_3genE0ELNS1_11target_archE4294967295ELNS1_3gpuE0ELNS1_3repE0EEENS1_52radix_sort_onesweep_histogram_config_static_selectorELNS0_4arch9wavefront6targetE0EEEvSI_.num_vgpr, 0
	.set _ZN7rocprim17ROCPRIM_400000_NS6detail17trampoline_kernelINS0_14default_configENS1_35radix_sort_onesweep_config_selectorIfNS0_10empty_typeEEEZNS1_34radix_sort_onesweep_global_offsetsIS3_Lb0EN6thrust23THRUST_200600_302600_NS6detail15normal_iteratorINS9_10device_ptrIfEEEEPS5_jNS0_19identity_decomposerEEE10hipError_tT1_T2_PT3_SK_jT4_jjP12ihipStream_tbEUlT_E_NS1_11comp_targetILNS1_3genE0ELNS1_11target_archE4294967295ELNS1_3gpuE0ELNS1_3repE0EEENS1_52radix_sort_onesweep_histogram_config_static_selectorELNS0_4arch9wavefront6targetE0EEEvSI_.num_agpr, 0
	.set _ZN7rocprim17ROCPRIM_400000_NS6detail17trampoline_kernelINS0_14default_configENS1_35radix_sort_onesweep_config_selectorIfNS0_10empty_typeEEEZNS1_34radix_sort_onesweep_global_offsetsIS3_Lb0EN6thrust23THRUST_200600_302600_NS6detail15normal_iteratorINS9_10device_ptrIfEEEEPS5_jNS0_19identity_decomposerEEE10hipError_tT1_T2_PT3_SK_jT4_jjP12ihipStream_tbEUlT_E_NS1_11comp_targetILNS1_3genE0ELNS1_11target_archE4294967295ELNS1_3gpuE0ELNS1_3repE0EEENS1_52radix_sort_onesweep_histogram_config_static_selectorELNS0_4arch9wavefront6targetE0EEEvSI_.numbered_sgpr, 0
	.set _ZN7rocprim17ROCPRIM_400000_NS6detail17trampoline_kernelINS0_14default_configENS1_35radix_sort_onesweep_config_selectorIfNS0_10empty_typeEEEZNS1_34radix_sort_onesweep_global_offsetsIS3_Lb0EN6thrust23THRUST_200600_302600_NS6detail15normal_iteratorINS9_10device_ptrIfEEEEPS5_jNS0_19identity_decomposerEEE10hipError_tT1_T2_PT3_SK_jT4_jjP12ihipStream_tbEUlT_E_NS1_11comp_targetILNS1_3genE0ELNS1_11target_archE4294967295ELNS1_3gpuE0ELNS1_3repE0EEENS1_52radix_sort_onesweep_histogram_config_static_selectorELNS0_4arch9wavefront6targetE0EEEvSI_.num_named_barrier, 0
	.set _ZN7rocprim17ROCPRIM_400000_NS6detail17trampoline_kernelINS0_14default_configENS1_35radix_sort_onesweep_config_selectorIfNS0_10empty_typeEEEZNS1_34radix_sort_onesweep_global_offsetsIS3_Lb0EN6thrust23THRUST_200600_302600_NS6detail15normal_iteratorINS9_10device_ptrIfEEEEPS5_jNS0_19identity_decomposerEEE10hipError_tT1_T2_PT3_SK_jT4_jjP12ihipStream_tbEUlT_E_NS1_11comp_targetILNS1_3genE0ELNS1_11target_archE4294967295ELNS1_3gpuE0ELNS1_3repE0EEENS1_52radix_sort_onesweep_histogram_config_static_selectorELNS0_4arch9wavefront6targetE0EEEvSI_.private_seg_size, 0
	.set _ZN7rocprim17ROCPRIM_400000_NS6detail17trampoline_kernelINS0_14default_configENS1_35radix_sort_onesweep_config_selectorIfNS0_10empty_typeEEEZNS1_34radix_sort_onesweep_global_offsetsIS3_Lb0EN6thrust23THRUST_200600_302600_NS6detail15normal_iteratorINS9_10device_ptrIfEEEEPS5_jNS0_19identity_decomposerEEE10hipError_tT1_T2_PT3_SK_jT4_jjP12ihipStream_tbEUlT_E_NS1_11comp_targetILNS1_3genE0ELNS1_11target_archE4294967295ELNS1_3gpuE0ELNS1_3repE0EEENS1_52radix_sort_onesweep_histogram_config_static_selectorELNS0_4arch9wavefront6targetE0EEEvSI_.uses_vcc, 0
	.set _ZN7rocprim17ROCPRIM_400000_NS6detail17trampoline_kernelINS0_14default_configENS1_35radix_sort_onesweep_config_selectorIfNS0_10empty_typeEEEZNS1_34radix_sort_onesweep_global_offsetsIS3_Lb0EN6thrust23THRUST_200600_302600_NS6detail15normal_iteratorINS9_10device_ptrIfEEEEPS5_jNS0_19identity_decomposerEEE10hipError_tT1_T2_PT3_SK_jT4_jjP12ihipStream_tbEUlT_E_NS1_11comp_targetILNS1_3genE0ELNS1_11target_archE4294967295ELNS1_3gpuE0ELNS1_3repE0EEENS1_52radix_sort_onesweep_histogram_config_static_selectorELNS0_4arch9wavefront6targetE0EEEvSI_.uses_flat_scratch, 0
	.set _ZN7rocprim17ROCPRIM_400000_NS6detail17trampoline_kernelINS0_14default_configENS1_35radix_sort_onesweep_config_selectorIfNS0_10empty_typeEEEZNS1_34radix_sort_onesweep_global_offsetsIS3_Lb0EN6thrust23THRUST_200600_302600_NS6detail15normal_iteratorINS9_10device_ptrIfEEEEPS5_jNS0_19identity_decomposerEEE10hipError_tT1_T2_PT3_SK_jT4_jjP12ihipStream_tbEUlT_E_NS1_11comp_targetILNS1_3genE0ELNS1_11target_archE4294967295ELNS1_3gpuE0ELNS1_3repE0EEENS1_52radix_sort_onesweep_histogram_config_static_selectorELNS0_4arch9wavefront6targetE0EEEvSI_.has_dyn_sized_stack, 0
	.set _ZN7rocprim17ROCPRIM_400000_NS6detail17trampoline_kernelINS0_14default_configENS1_35radix_sort_onesweep_config_selectorIfNS0_10empty_typeEEEZNS1_34radix_sort_onesweep_global_offsetsIS3_Lb0EN6thrust23THRUST_200600_302600_NS6detail15normal_iteratorINS9_10device_ptrIfEEEEPS5_jNS0_19identity_decomposerEEE10hipError_tT1_T2_PT3_SK_jT4_jjP12ihipStream_tbEUlT_E_NS1_11comp_targetILNS1_3genE0ELNS1_11target_archE4294967295ELNS1_3gpuE0ELNS1_3repE0EEENS1_52radix_sort_onesweep_histogram_config_static_selectorELNS0_4arch9wavefront6targetE0EEEvSI_.has_recursion, 0
	.set _ZN7rocprim17ROCPRIM_400000_NS6detail17trampoline_kernelINS0_14default_configENS1_35radix_sort_onesweep_config_selectorIfNS0_10empty_typeEEEZNS1_34radix_sort_onesweep_global_offsetsIS3_Lb0EN6thrust23THRUST_200600_302600_NS6detail15normal_iteratorINS9_10device_ptrIfEEEEPS5_jNS0_19identity_decomposerEEE10hipError_tT1_T2_PT3_SK_jT4_jjP12ihipStream_tbEUlT_E_NS1_11comp_targetILNS1_3genE0ELNS1_11target_archE4294967295ELNS1_3gpuE0ELNS1_3repE0EEENS1_52radix_sort_onesweep_histogram_config_static_selectorELNS0_4arch9wavefront6targetE0EEEvSI_.has_indirect_call, 0
	.section	.AMDGPU.csdata,"",@progbits
; Kernel info:
; codeLenInByte = 0
; TotalNumSgprs: 0
; NumVgprs: 0
; ScratchSize: 0
; MemoryBound: 0
; FloatMode: 240
; IeeeMode: 1
; LDSByteSize: 0 bytes/workgroup (compile time only)
; SGPRBlocks: 0
; VGPRBlocks: 0
; NumSGPRsForWavesPerEU: 1
; NumVGPRsForWavesPerEU: 1
; Occupancy: 16
; WaveLimiterHint : 0
; COMPUTE_PGM_RSRC2:SCRATCH_EN: 0
; COMPUTE_PGM_RSRC2:USER_SGPR: 6
; COMPUTE_PGM_RSRC2:TRAP_HANDLER: 0
; COMPUTE_PGM_RSRC2:TGID_X_EN: 1
; COMPUTE_PGM_RSRC2:TGID_Y_EN: 0
; COMPUTE_PGM_RSRC2:TGID_Z_EN: 0
; COMPUTE_PGM_RSRC2:TIDIG_COMP_CNT: 0
	.section	.text._ZN7rocprim17ROCPRIM_400000_NS6detail17trampoline_kernelINS0_14default_configENS1_35radix_sort_onesweep_config_selectorIfNS0_10empty_typeEEEZNS1_34radix_sort_onesweep_global_offsetsIS3_Lb0EN6thrust23THRUST_200600_302600_NS6detail15normal_iteratorINS9_10device_ptrIfEEEEPS5_jNS0_19identity_decomposerEEE10hipError_tT1_T2_PT3_SK_jT4_jjP12ihipStream_tbEUlT_E_NS1_11comp_targetILNS1_3genE6ELNS1_11target_archE950ELNS1_3gpuE13ELNS1_3repE0EEENS1_52radix_sort_onesweep_histogram_config_static_selectorELNS0_4arch9wavefront6targetE0EEEvSI_,"axG",@progbits,_ZN7rocprim17ROCPRIM_400000_NS6detail17trampoline_kernelINS0_14default_configENS1_35radix_sort_onesweep_config_selectorIfNS0_10empty_typeEEEZNS1_34radix_sort_onesweep_global_offsetsIS3_Lb0EN6thrust23THRUST_200600_302600_NS6detail15normal_iteratorINS9_10device_ptrIfEEEEPS5_jNS0_19identity_decomposerEEE10hipError_tT1_T2_PT3_SK_jT4_jjP12ihipStream_tbEUlT_E_NS1_11comp_targetILNS1_3genE6ELNS1_11target_archE950ELNS1_3gpuE13ELNS1_3repE0EEENS1_52radix_sort_onesweep_histogram_config_static_selectorELNS0_4arch9wavefront6targetE0EEEvSI_,comdat
	.protected	_ZN7rocprim17ROCPRIM_400000_NS6detail17trampoline_kernelINS0_14default_configENS1_35radix_sort_onesweep_config_selectorIfNS0_10empty_typeEEEZNS1_34radix_sort_onesweep_global_offsetsIS3_Lb0EN6thrust23THRUST_200600_302600_NS6detail15normal_iteratorINS9_10device_ptrIfEEEEPS5_jNS0_19identity_decomposerEEE10hipError_tT1_T2_PT3_SK_jT4_jjP12ihipStream_tbEUlT_E_NS1_11comp_targetILNS1_3genE6ELNS1_11target_archE950ELNS1_3gpuE13ELNS1_3repE0EEENS1_52radix_sort_onesweep_histogram_config_static_selectorELNS0_4arch9wavefront6targetE0EEEvSI_ ; -- Begin function _ZN7rocprim17ROCPRIM_400000_NS6detail17trampoline_kernelINS0_14default_configENS1_35radix_sort_onesweep_config_selectorIfNS0_10empty_typeEEEZNS1_34radix_sort_onesweep_global_offsetsIS3_Lb0EN6thrust23THRUST_200600_302600_NS6detail15normal_iteratorINS9_10device_ptrIfEEEEPS5_jNS0_19identity_decomposerEEE10hipError_tT1_T2_PT3_SK_jT4_jjP12ihipStream_tbEUlT_E_NS1_11comp_targetILNS1_3genE6ELNS1_11target_archE950ELNS1_3gpuE13ELNS1_3repE0EEENS1_52radix_sort_onesweep_histogram_config_static_selectorELNS0_4arch9wavefront6targetE0EEEvSI_
	.globl	_ZN7rocprim17ROCPRIM_400000_NS6detail17trampoline_kernelINS0_14default_configENS1_35radix_sort_onesweep_config_selectorIfNS0_10empty_typeEEEZNS1_34radix_sort_onesweep_global_offsetsIS3_Lb0EN6thrust23THRUST_200600_302600_NS6detail15normal_iteratorINS9_10device_ptrIfEEEEPS5_jNS0_19identity_decomposerEEE10hipError_tT1_T2_PT3_SK_jT4_jjP12ihipStream_tbEUlT_E_NS1_11comp_targetILNS1_3genE6ELNS1_11target_archE950ELNS1_3gpuE13ELNS1_3repE0EEENS1_52radix_sort_onesweep_histogram_config_static_selectorELNS0_4arch9wavefront6targetE0EEEvSI_
	.p2align	8
	.type	_ZN7rocprim17ROCPRIM_400000_NS6detail17trampoline_kernelINS0_14default_configENS1_35radix_sort_onesweep_config_selectorIfNS0_10empty_typeEEEZNS1_34radix_sort_onesweep_global_offsetsIS3_Lb0EN6thrust23THRUST_200600_302600_NS6detail15normal_iteratorINS9_10device_ptrIfEEEEPS5_jNS0_19identity_decomposerEEE10hipError_tT1_T2_PT3_SK_jT4_jjP12ihipStream_tbEUlT_E_NS1_11comp_targetILNS1_3genE6ELNS1_11target_archE950ELNS1_3gpuE13ELNS1_3repE0EEENS1_52radix_sort_onesweep_histogram_config_static_selectorELNS0_4arch9wavefront6targetE0EEEvSI_,@function
_ZN7rocprim17ROCPRIM_400000_NS6detail17trampoline_kernelINS0_14default_configENS1_35radix_sort_onesweep_config_selectorIfNS0_10empty_typeEEEZNS1_34radix_sort_onesweep_global_offsetsIS3_Lb0EN6thrust23THRUST_200600_302600_NS6detail15normal_iteratorINS9_10device_ptrIfEEEEPS5_jNS0_19identity_decomposerEEE10hipError_tT1_T2_PT3_SK_jT4_jjP12ihipStream_tbEUlT_E_NS1_11comp_targetILNS1_3genE6ELNS1_11target_archE950ELNS1_3gpuE13ELNS1_3repE0EEENS1_52radix_sort_onesweep_histogram_config_static_selectorELNS0_4arch9wavefront6targetE0EEEvSI_: ; @_ZN7rocprim17ROCPRIM_400000_NS6detail17trampoline_kernelINS0_14default_configENS1_35radix_sort_onesweep_config_selectorIfNS0_10empty_typeEEEZNS1_34radix_sort_onesweep_global_offsetsIS3_Lb0EN6thrust23THRUST_200600_302600_NS6detail15normal_iteratorINS9_10device_ptrIfEEEEPS5_jNS0_19identity_decomposerEEE10hipError_tT1_T2_PT3_SK_jT4_jjP12ihipStream_tbEUlT_E_NS1_11comp_targetILNS1_3genE6ELNS1_11target_archE950ELNS1_3gpuE13ELNS1_3repE0EEENS1_52radix_sort_onesweep_histogram_config_static_selectorELNS0_4arch9wavefront6targetE0EEEvSI_
; %bb.0:
	.section	.rodata,"a",@progbits
	.p2align	6, 0x0
	.amdhsa_kernel _ZN7rocprim17ROCPRIM_400000_NS6detail17trampoline_kernelINS0_14default_configENS1_35radix_sort_onesweep_config_selectorIfNS0_10empty_typeEEEZNS1_34radix_sort_onesweep_global_offsetsIS3_Lb0EN6thrust23THRUST_200600_302600_NS6detail15normal_iteratorINS9_10device_ptrIfEEEEPS5_jNS0_19identity_decomposerEEE10hipError_tT1_T2_PT3_SK_jT4_jjP12ihipStream_tbEUlT_E_NS1_11comp_targetILNS1_3genE6ELNS1_11target_archE950ELNS1_3gpuE13ELNS1_3repE0EEENS1_52radix_sort_onesweep_histogram_config_static_selectorELNS0_4arch9wavefront6targetE0EEEvSI_
		.amdhsa_group_segment_fixed_size 0
		.amdhsa_private_segment_fixed_size 0
		.amdhsa_kernarg_size 40
		.amdhsa_user_sgpr_count 6
		.amdhsa_user_sgpr_private_segment_buffer 1
		.amdhsa_user_sgpr_dispatch_ptr 0
		.amdhsa_user_sgpr_queue_ptr 0
		.amdhsa_user_sgpr_kernarg_segment_ptr 1
		.amdhsa_user_sgpr_dispatch_id 0
		.amdhsa_user_sgpr_flat_scratch_init 0
		.amdhsa_user_sgpr_private_segment_size 0
		.amdhsa_wavefront_size32 1
		.amdhsa_uses_dynamic_stack 0
		.amdhsa_system_sgpr_private_segment_wavefront_offset 0
		.amdhsa_system_sgpr_workgroup_id_x 1
		.amdhsa_system_sgpr_workgroup_id_y 0
		.amdhsa_system_sgpr_workgroup_id_z 0
		.amdhsa_system_sgpr_workgroup_info 0
		.amdhsa_system_vgpr_workitem_id 0
		.amdhsa_next_free_vgpr 1
		.amdhsa_next_free_sgpr 1
		.amdhsa_reserve_vcc 0
		.amdhsa_reserve_flat_scratch 0
		.amdhsa_float_round_mode_32 0
		.amdhsa_float_round_mode_16_64 0
		.amdhsa_float_denorm_mode_32 3
		.amdhsa_float_denorm_mode_16_64 3
		.amdhsa_dx10_clamp 1
		.amdhsa_ieee_mode 1
		.amdhsa_fp16_overflow 0
		.amdhsa_workgroup_processor_mode 1
		.amdhsa_memory_ordered 1
		.amdhsa_forward_progress 1
		.amdhsa_shared_vgpr_count 0
		.amdhsa_exception_fp_ieee_invalid_op 0
		.amdhsa_exception_fp_denorm_src 0
		.amdhsa_exception_fp_ieee_div_zero 0
		.amdhsa_exception_fp_ieee_overflow 0
		.amdhsa_exception_fp_ieee_underflow 0
		.amdhsa_exception_fp_ieee_inexact 0
		.amdhsa_exception_int_div_zero 0
	.end_amdhsa_kernel
	.section	.text._ZN7rocprim17ROCPRIM_400000_NS6detail17trampoline_kernelINS0_14default_configENS1_35radix_sort_onesweep_config_selectorIfNS0_10empty_typeEEEZNS1_34radix_sort_onesweep_global_offsetsIS3_Lb0EN6thrust23THRUST_200600_302600_NS6detail15normal_iteratorINS9_10device_ptrIfEEEEPS5_jNS0_19identity_decomposerEEE10hipError_tT1_T2_PT3_SK_jT4_jjP12ihipStream_tbEUlT_E_NS1_11comp_targetILNS1_3genE6ELNS1_11target_archE950ELNS1_3gpuE13ELNS1_3repE0EEENS1_52radix_sort_onesweep_histogram_config_static_selectorELNS0_4arch9wavefront6targetE0EEEvSI_,"axG",@progbits,_ZN7rocprim17ROCPRIM_400000_NS6detail17trampoline_kernelINS0_14default_configENS1_35radix_sort_onesweep_config_selectorIfNS0_10empty_typeEEEZNS1_34radix_sort_onesweep_global_offsetsIS3_Lb0EN6thrust23THRUST_200600_302600_NS6detail15normal_iteratorINS9_10device_ptrIfEEEEPS5_jNS0_19identity_decomposerEEE10hipError_tT1_T2_PT3_SK_jT4_jjP12ihipStream_tbEUlT_E_NS1_11comp_targetILNS1_3genE6ELNS1_11target_archE950ELNS1_3gpuE13ELNS1_3repE0EEENS1_52radix_sort_onesweep_histogram_config_static_selectorELNS0_4arch9wavefront6targetE0EEEvSI_,comdat
.Lfunc_end533:
	.size	_ZN7rocprim17ROCPRIM_400000_NS6detail17trampoline_kernelINS0_14default_configENS1_35radix_sort_onesweep_config_selectorIfNS0_10empty_typeEEEZNS1_34radix_sort_onesweep_global_offsetsIS3_Lb0EN6thrust23THRUST_200600_302600_NS6detail15normal_iteratorINS9_10device_ptrIfEEEEPS5_jNS0_19identity_decomposerEEE10hipError_tT1_T2_PT3_SK_jT4_jjP12ihipStream_tbEUlT_E_NS1_11comp_targetILNS1_3genE6ELNS1_11target_archE950ELNS1_3gpuE13ELNS1_3repE0EEENS1_52radix_sort_onesweep_histogram_config_static_selectorELNS0_4arch9wavefront6targetE0EEEvSI_, .Lfunc_end533-_ZN7rocprim17ROCPRIM_400000_NS6detail17trampoline_kernelINS0_14default_configENS1_35radix_sort_onesweep_config_selectorIfNS0_10empty_typeEEEZNS1_34radix_sort_onesweep_global_offsetsIS3_Lb0EN6thrust23THRUST_200600_302600_NS6detail15normal_iteratorINS9_10device_ptrIfEEEEPS5_jNS0_19identity_decomposerEEE10hipError_tT1_T2_PT3_SK_jT4_jjP12ihipStream_tbEUlT_E_NS1_11comp_targetILNS1_3genE6ELNS1_11target_archE950ELNS1_3gpuE13ELNS1_3repE0EEENS1_52radix_sort_onesweep_histogram_config_static_selectorELNS0_4arch9wavefront6targetE0EEEvSI_
                                        ; -- End function
	.set _ZN7rocprim17ROCPRIM_400000_NS6detail17trampoline_kernelINS0_14default_configENS1_35radix_sort_onesweep_config_selectorIfNS0_10empty_typeEEEZNS1_34radix_sort_onesweep_global_offsetsIS3_Lb0EN6thrust23THRUST_200600_302600_NS6detail15normal_iteratorINS9_10device_ptrIfEEEEPS5_jNS0_19identity_decomposerEEE10hipError_tT1_T2_PT3_SK_jT4_jjP12ihipStream_tbEUlT_E_NS1_11comp_targetILNS1_3genE6ELNS1_11target_archE950ELNS1_3gpuE13ELNS1_3repE0EEENS1_52radix_sort_onesweep_histogram_config_static_selectorELNS0_4arch9wavefront6targetE0EEEvSI_.num_vgpr, 0
	.set _ZN7rocprim17ROCPRIM_400000_NS6detail17trampoline_kernelINS0_14default_configENS1_35radix_sort_onesweep_config_selectorIfNS0_10empty_typeEEEZNS1_34radix_sort_onesweep_global_offsetsIS3_Lb0EN6thrust23THRUST_200600_302600_NS6detail15normal_iteratorINS9_10device_ptrIfEEEEPS5_jNS0_19identity_decomposerEEE10hipError_tT1_T2_PT3_SK_jT4_jjP12ihipStream_tbEUlT_E_NS1_11comp_targetILNS1_3genE6ELNS1_11target_archE950ELNS1_3gpuE13ELNS1_3repE0EEENS1_52radix_sort_onesweep_histogram_config_static_selectorELNS0_4arch9wavefront6targetE0EEEvSI_.num_agpr, 0
	.set _ZN7rocprim17ROCPRIM_400000_NS6detail17trampoline_kernelINS0_14default_configENS1_35radix_sort_onesweep_config_selectorIfNS0_10empty_typeEEEZNS1_34radix_sort_onesweep_global_offsetsIS3_Lb0EN6thrust23THRUST_200600_302600_NS6detail15normal_iteratorINS9_10device_ptrIfEEEEPS5_jNS0_19identity_decomposerEEE10hipError_tT1_T2_PT3_SK_jT4_jjP12ihipStream_tbEUlT_E_NS1_11comp_targetILNS1_3genE6ELNS1_11target_archE950ELNS1_3gpuE13ELNS1_3repE0EEENS1_52radix_sort_onesweep_histogram_config_static_selectorELNS0_4arch9wavefront6targetE0EEEvSI_.numbered_sgpr, 0
	.set _ZN7rocprim17ROCPRIM_400000_NS6detail17trampoline_kernelINS0_14default_configENS1_35radix_sort_onesweep_config_selectorIfNS0_10empty_typeEEEZNS1_34radix_sort_onesweep_global_offsetsIS3_Lb0EN6thrust23THRUST_200600_302600_NS6detail15normal_iteratorINS9_10device_ptrIfEEEEPS5_jNS0_19identity_decomposerEEE10hipError_tT1_T2_PT3_SK_jT4_jjP12ihipStream_tbEUlT_E_NS1_11comp_targetILNS1_3genE6ELNS1_11target_archE950ELNS1_3gpuE13ELNS1_3repE0EEENS1_52radix_sort_onesweep_histogram_config_static_selectorELNS0_4arch9wavefront6targetE0EEEvSI_.num_named_barrier, 0
	.set _ZN7rocprim17ROCPRIM_400000_NS6detail17trampoline_kernelINS0_14default_configENS1_35radix_sort_onesweep_config_selectorIfNS0_10empty_typeEEEZNS1_34radix_sort_onesweep_global_offsetsIS3_Lb0EN6thrust23THRUST_200600_302600_NS6detail15normal_iteratorINS9_10device_ptrIfEEEEPS5_jNS0_19identity_decomposerEEE10hipError_tT1_T2_PT3_SK_jT4_jjP12ihipStream_tbEUlT_E_NS1_11comp_targetILNS1_3genE6ELNS1_11target_archE950ELNS1_3gpuE13ELNS1_3repE0EEENS1_52radix_sort_onesweep_histogram_config_static_selectorELNS0_4arch9wavefront6targetE0EEEvSI_.private_seg_size, 0
	.set _ZN7rocprim17ROCPRIM_400000_NS6detail17trampoline_kernelINS0_14default_configENS1_35radix_sort_onesweep_config_selectorIfNS0_10empty_typeEEEZNS1_34radix_sort_onesweep_global_offsetsIS3_Lb0EN6thrust23THRUST_200600_302600_NS6detail15normal_iteratorINS9_10device_ptrIfEEEEPS5_jNS0_19identity_decomposerEEE10hipError_tT1_T2_PT3_SK_jT4_jjP12ihipStream_tbEUlT_E_NS1_11comp_targetILNS1_3genE6ELNS1_11target_archE950ELNS1_3gpuE13ELNS1_3repE0EEENS1_52radix_sort_onesweep_histogram_config_static_selectorELNS0_4arch9wavefront6targetE0EEEvSI_.uses_vcc, 0
	.set _ZN7rocprim17ROCPRIM_400000_NS6detail17trampoline_kernelINS0_14default_configENS1_35radix_sort_onesweep_config_selectorIfNS0_10empty_typeEEEZNS1_34radix_sort_onesweep_global_offsetsIS3_Lb0EN6thrust23THRUST_200600_302600_NS6detail15normal_iteratorINS9_10device_ptrIfEEEEPS5_jNS0_19identity_decomposerEEE10hipError_tT1_T2_PT3_SK_jT4_jjP12ihipStream_tbEUlT_E_NS1_11comp_targetILNS1_3genE6ELNS1_11target_archE950ELNS1_3gpuE13ELNS1_3repE0EEENS1_52radix_sort_onesweep_histogram_config_static_selectorELNS0_4arch9wavefront6targetE0EEEvSI_.uses_flat_scratch, 0
	.set _ZN7rocprim17ROCPRIM_400000_NS6detail17trampoline_kernelINS0_14default_configENS1_35radix_sort_onesweep_config_selectorIfNS0_10empty_typeEEEZNS1_34radix_sort_onesweep_global_offsetsIS3_Lb0EN6thrust23THRUST_200600_302600_NS6detail15normal_iteratorINS9_10device_ptrIfEEEEPS5_jNS0_19identity_decomposerEEE10hipError_tT1_T2_PT3_SK_jT4_jjP12ihipStream_tbEUlT_E_NS1_11comp_targetILNS1_3genE6ELNS1_11target_archE950ELNS1_3gpuE13ELNS1_3repE0EEENS1_52radix_sort_onesweep_histogram_config_static_selectorELNS0_4arch9wavefront6targetE0EEEvSI_.has_dyn_sized_stack, 0
	.set _ZN7rocprim17ROCPRIM_400000_NS6detail17trampoline_kernelINS0_14default_configENS1_35radix_sort_onesweep_config_selectorIfNS0_10empty_typeEEEZNS1_34radix_sort_onesweep_global_offsetsIS3_Lb0EN6thrust23THRUST_200600_302600_NS6detail15normal_iteratorINS9_10device_ptrIfEEEEPS5_jNS0_19identity_decomposerEEE10hipError_tT1_T2_PT3_SK_jT4_jjP12ihipStream_tbEUlT_E_NS1_11comp_targetILNS1_3genE6ELNS1_11target_archE950ELNS1_3gpuE13ELNS1_3repE0EEENS1_52radix_sort_onesweep_histogram_config_static_selectorELNS0_4arch9wavefront6targetE0EEEvSI_.has_recursion, 0
	.set _ZN7rocprim17ROCPRIM_400000_NS6detail17trampoline_kernelINS0_14default_configENS1_35radix_sort_onesweep_config_selectorIfNS0_10empty_typeEEEZNS1_34radix_sort_onesweep_global_offsetsIS3_Lb0EN6thrust23THRUST_200600_302600_NS6detail15normal_iteratorINS9_10device_ptrIfEEEEPS5_jNS0_19identity_decomposerEEE10hipError_tT1_T2_PT3_SK_jT4_jjP12ihipStream_tbEUlT_E_NS1_11comp_targetILNS1_3genE6ELNS1_11target_archE950ELNS1_3gpuE13ELNS1_3repE0EEENS1_52radix_sort_onesweep_histogram_config_static_selectorELNS0_4arch9wavefront6targetE0EEEvSI_.has_indirect_call, 0
	.section	.AMDGPU.csdata,"",@progbits
; Kernel info:
; codeLenInByte = 0
; TotalNumSgprs: 0
; NumVgprs: 0
; ScratchSize: 0
; MemoryBound: 0
; FloatMode: 240
; IeeeMode: 1
; LDSByteSize: 0 bytes/workgroup (compile time only)
; SGPRBlocks: 0
; VGPRBlocks: 0
; NumSGPRsForWavesPerEU: 1
; NumVGPRsForWavesPerEU: 1
; Occupancy: 16
; WaveLimiterHint : 0
; COMPUTE_PGM_RSRC2:SCRATCH_EN: 0
; COMPUTE_PGM_RSRC2:USER_SGPR: 6
; COMPUTE_PGM_RSRC2:TRAP_HANDLER: 0
; COMPUTE_PGM_RSRC2:TGID_X_EN: 1
; COMPUTE_PGM_RSRC2:TGID_Y_EN: 0
; COMPUTE_PGM_RSRC2:TGID_Z_EN: 0
; COMPUTE_PGM_RSRC2:TIDIG_COMP_CNT: 0
	.section	.text._ZN7rocprim17ROCPRIM_400000_NS6detail17trampoline_kernelINS0_14default_configENS1_35radix_sort_onesweep_config_selectorIfNS0_10empty_typeEEEZNS1_34radix_sort_onesweep_global_offsetsIS3_Lb0EN6thrust23THRUST_200600_302600_NS6detail15normal_iteratorINS9_10device_ptrIfEEEEPS5_jNS0_19identity_decomposerEEE10hipError_tT1_T2_PT3_SK_jT4_jjP12ihipStream_tbEUlT_E_NS1_11comp_targetILNS1_3genE5ELNS1_11target_archE942ELNS1_3gpuE9ELNS1_3repE0EEENS1_52radix_sort_onesweep_histogram_config_static_selectorELNS0_4arch9wavefront6targetE0EEEvSI_,"axG",@progbits,_ZN7rocprim17ROCPRIM_400000_NS6detail17trampoline_kernelINS0_14default_configENS1_35radix_sort_onesweep_config_selectorIfNS0_10empty_typeEEEZNS1_34radix_sort_onesweep_global_offsetsIS3_Lb0EN6thrust23THRUST_200600_302600_NS6detail15normal_iteratorINS9_10device_ptrIfEEEEPS5_jNS0_19identity_decomposerEEE10hipError_tT1_T2_PT3_SK_jT4_jjP12ihipStream_tbEUlT_E_NS1_11comp_targetILNS1_3genE5ELNS1_11target_archE942ELNS1_3gpuE9ELNS1_3repE0EEENS1_52radix_sort_onesweep_histogram_config_static_selectorELNS0_4arch9wavefront6targetE0EEEvSI_,comdat
	.protected	_ZN7rocprim17ROCPRIM_400000_NS6detail17trampoline_kernelINS0_14default_configENS1_35radix_sort_onesweep_config_selectorIfNS0_10empty_typeEEEZNS1_34radix_sort_onesweep_global_offsetsIS3_Lb0EN6thrust23THRUST_200600_302600_NS6detail15normal_iteratorINS9_10device_ptrIfEEEEPS5_jNS0_19identity_decomposerEEE10hipError_tT1_T2_PT3_SK_jT4_jjP12ihipStream_tbEUlT_E_NS1_11comp_targetILNS1_3genE5ELNS1_11target_archE942ELNS1_3gpuE9ELNS1_3repE0EEENS1_52radix_sort_onesweep_histogram_config_static_selectorELNS0_4arch9wavefront6targetE0EEEvSI_ ; -- Begin function _ZN7rocprim17ROCPRIM_400000_NS6detail17trampoline_kernelINS0_14default_configENS1_35radix_sort_onesweep_config_selectorIfNS0_10empty_typeEEEZNS1_34radix_sort_onesweep_global_offsetsIS3_Lb0EN6thrust23THRUST_200600_302600_NS6detail15normal_iteratorINS9_10device_ptrIfEEEEPS5_jNS0_19identity_decomposerEEE10hipError_tT1_T2_PT3_SK_jT4_jjP12ihipStream_tbEUlT_E_NS1_11comp_targetILNS1_3genE5ELNS1_11target_archE942ELNS1_3gpuE9ELNS1_3repE0EEENS1_52radix_sort_onesweep_histogram_config_static_selectorELNS0_4arch9wavefront6targetE0EEEvSI_
	.globl	_ZN7rocprim17ROCPRIM_400000_NS6detail17trampoline_kernelINS0_14default_configENS1_35radix_sort_onesweep_config_selectorIfNS0_10empty_typeEEEZNS1_34radix_sort_onesweep_global_offsetsIS3_Lb0EN6thrust23THRUST_200600_302600_NS6detail15normal_iteratorINS9_10device_ptrIfEEEEPS5_jNS0_19identity_decomposerEEE10hipError_tT1_T2_PT3_SK_jT4_jjP12ihipStream_tbEUlT_E_NS1_11comp_targetILNS1_3genE5ELNS1_11target_archE942ELNS1_3gpuE9ELNS1_3repE0EEENS1_52radix_sort_onesweep_histogram_config_static_selectorELNS0_4arch9wavefront6targetE0EEEvSI_
	.p2align	8
	.type	_ZN7rocprim17ROCPRIM_400000_NS6detail17trampoline_kernelINS0_14default_configENS1_35radix_sort_onesweep_config_selectorIfNS0_10empty_typeEEEZNS1_34radix_sort_onesweep_global_offsetsIS3_Lb0EN6thrust23THRUST_200600_302600_NS6detail15normal_iteratorINS9_10device_ptrIfEEEEPS5_jNS0_19identity_decomposerEEE10hipError_tT1_T2_PT3_SK_jT4_jjP12ihipStream_tbEUlT_E_NS1_11comp_targetILNS1_3genE5ELNS1_11target_archE942ELNS1_3gpuE9ELNS1_3repE0EEENS1_52radix_sort_onesweep_histogram_config_static_selectorELNS0_4arch9wavefront6targetE0EEEvSI_,@function
_ZN7rocprim17ROCPRIM_400000_NS6detail17trampoline_kernelINS0_14default_configENS1_35radix_sort_onesweep_config_selectorIfNS0_10empty_typeEEEZNS1_34radix_sort_onesweep_global_offsetsIS3_Lb0EN6thrust23THRUST_200600_302600_NS6detail15normal_iteratorINS9_10device_ptrIfEEEEPS5_jNS0_19identity_decomposerEEE10hipError_tT1_T2_PT3_SK_jT4_jjP12ihipStream_tbEUlT_E_NS1_11comp_targetILNS1_3genE5ELNS1_11target_archE942ELNS1_3gpuE9ELNS1_3repE0EEENS1_52radix_sort_onesweep_histogram_config_static_selectorELNS0_4arch9wavefront6targetE0EEEvSI_: ; @_ZN7rocprim17ROCPRIM_400000_NS6detail17trampoline_kernelINS0_14default_configENS1_35radix_sort_onesweep_config_selectorIfNS0_10empty_typeEEEZNS1_34radix_sort_onesweep_global_offsetsIS3_Lb0EN6thrust23THRUST_200600_302600_NS6detail15normal_iteratorINS9_10device_ptrIfEEEEPS5_jNS0_19identity_decomposerEEE10hipError_tT1_T2_PT3_SK_jT4_jjP12ihipStream_tbEUlT_E_NS1_11comp_targetILNS1_3genE5ELNS1_11target_archE942ELNS1_3gpuE9ELNS1_3repE0EEENS1_52radix_sort_onesweep_histogram_config_static_selectorELNS0_4arch9wavefront6targetE0EEEvSI_
; %bb.0:
	.section	.rodata,"a",@progbits
	.p2align	6, 0x0
	.amdhsa_kernel _ZN7rocprim17ROCPRIM_400000_NS6detail17trampoline_kernelINS0_14default_configENS1_35radix_sort_onesweep_config_selectorIfNS0_10empty_typeEEEZNS1_34radix_sort_onesweep_global_offsetsIS3_Lb0EN6thrust23THRUST_200600_302600_NS6detail15normal_iteratorINS9_10device_ptrIfEEEEPS5_jNS0_19identity_decomposerEEE10hipError_tT1_T2_PT3_SK_jT4_jjP12ihipStream_tbEUlT_E_NS1_11comp_targetILNS1_3genE5ELNS1_11target_archE942ELNS1_3gpuE9ELNS1_3repE0EEENS1_52radix_sort_onesweep_histogram_config_static_selectorELNS0_4arch9wavefront6targetE0EEEvSI_
		.amdhsa_group_segment_fixed_size 0
		.amdhsa_private_segment_fixed_size 0
		.amdhsa_kernarg_size 40
		.amdhsa_user_sgpr_count 6
		.amdhsa_user_sgpr_private_segment_buffer 1
		.amdhsa_user_sgpr_dispatch_ptr 0
		.amdhsa_user_sgpr_queue_ptr 0
		.amdhsa_user_sgpr_kernarg_segment_ptr 1
		.amdhsa_user_sgpr_dispatch_id 0
		.amdhsa_user_sgpr_flat_scratch_init 0
		.amdhsa_user_sgpr_private_segment_size 0
		.amdhsa_wavefront_size32 1
		.amdhsa_uses_dynamic_stack 0
		.amdhsa_system_sgpr_private_segment_wavefront_offset 0
		.amdhsa_system_sgpr_workgroup_id_x 1
		.amdhsa_system_sgpr_workgroup_id_y 0
		.amdhsa_system_sgpr_workgroup_id_z 0
		.amdhsa_system_sgpr_workgroup_info 0
		.amdhsa_system_vgpr_workitem_id 0
		.amdhsa_next_free_vgpr 1
		.amdhsa_next_free_sgpr 1
		.amdhsa_reserve_vcc 0
		.amdhsa_reserve_flat_scratch 0
		.amdhsa_float_round_mode_32 0
		.amdhsa_float_round_mode_16_64 0
		.amdhsa_float_denorm_mode_32 3
		.amdhsa_float_denorm_mode_16_64 3
		.amdhsa_dx10_clamp 1
		.amdhsa_ieee_mode 1
		.amdhsa_fp16_overflow 0
		.amdhsa_workgroup_processor_mode 1
		.amdhsa_memory_ordered 1
		.amdhsa_forward_progress 1
		.amdhsa_shared_vgpr_count 0
		.amdhsa_exception_fp_ieee_invalid_op 0
		.amdhsa_exception_fp_denorm_src 0
		.amdhsa_exception_fp_ieee_div_zero 0
		.amdhsa_exception_fp_ieee_overflow 0
		.amdhsa_exception_fp_ieee_underflow 0
		.amdhsa_exception_fp_ieee_inexact 0
		.amdhsa_exception_int_div_zero 0
	.end_amdhsa_kernel
	.section	.text._ZN7rocprim17ROCPRIM_400000_NS6detail17trampoline_kernelINS0_14default_configENS1_35radix_sort_onesweep_config_selectorIfNS0_10empty_typeEEEZNS1_34radix_sort_onesweep_global_offsetsIS3_Lb0EN6thrust23THRUST_200600_302600_NS6detail15normal_iteratorINS9_10device_ptrIfEEEEPS5_jNS0_19identity_decomposerEEE10hipError_tT1_T2_PT3_SK_jT4_jjP12ihipStream_tbEUlT_E_NS1_11comp_targetILNS1_3genE5ELNS1_11target_archE942ELNS1_3gpuE9ELNS1_3repE0EEENS1_52radix_sort_onesweep_histogram_config_static_selectorELNS0_4arch9wavefront6targetE0EEEvSI_,"axG",@progbits,_ZN7rocprim17ROCPRIM_400000_NS6detail17trampoline_kernelINS0_14default_configENS1_35radix_sort_onesweep_config_selectorIfNS0_10empty_typeEEEZNS1_34radix_sort_onesweep_global_offsetsIS3_Lb0EN6thrust23THRUST_200600_302600_NS6detail15normal_iteratorINS9_10device_ptrIfEEEEPS5_jNS0_19identity_decomposerEEE10hipError_tT1_T2_PT3_SK_jT4_jjP12ihipStream_tbEUlT_E_NS1_11comp_targetILNS1_3genE5ELNS1_11target_archE942ELNS1_3gpuE9ELNS1_3repE0EEENS1_52radix_sort_onesweep_histogram_config_static_selectorELNS0_4arch9wavefront6targetE0EEEvSI_,comdat
.Lfunc_end534:
	.size	_ZN7rocprim17ROCPRIM_400000_NS6detail17trampoline_kernelINS0_14default_configENS1_35radix_sort_onesweep_config_selectorIfNS0_10empty_typeEEEZNS1_34radix_sort_onesweep_global_offsetsIS3_Lb0EN6thrust23THRUST_200600_302600_NS6detail15normal_iteratorINS9_10device_ptrIfEEEEPS5_jNS0_19identity_decomposerEEE10hipError_tT1_T2_PT3_SK_jT4_jjP12ihipStream_tbEUlT_E_NS1_11comp_targetILNS1_3genE5ELNS1_11target_archE942ELNS1_3gpuE9ELNS1_3repE0EEENS1_52radix_sort_onesweep_histogram_config_static_selectorELNS0_4arch9wavefront6targetE0EEEvSI_, .Lfunc_end534-_ZN7rocprim17ROCPRIM_400000_NS6detail17trampoline_kernelINS0_14default_configENS1_35radix_sort_onesweep_config_selectorIfNS0_10empty_typeEEEZNS1_34radix_sort_onesweep_global_offsetsIS3_Lb0EN6thrust23THRUST_200600_302600_NS6detail15normal_iteratorINS9_10device_ptrIfEEEEPS5_jNS0_19identity_decomposerEEE10hipError_tT1_T2_PT3_SK_jT4_jjP12ihipStream_tbEUlT_E_NS1_11comp_targetILNS1_3genE5ELNS1_11target_archE942ELNS1_3gpuE9ELNS1_3repE0EEENS1_52radix_sort_onesweep_histogram_config_static_selectorELNS0_4arch9wavefront6targetE0EEEvSI_
                                        ; -- End function
	.set _ZN7rocprim17ROCPRIM_400000_NS6detail17trampoline_kernelINS0_14default_configENS1_35radix_sort_onesweep_config_selectorIfNS0_10empty_typeEEEZNS1_34radix_sort_onesweep_global_offsetsIS3_Lb0EN6thrust23THRUST_200600_302600_NS6detail15normal_iteratorINS9_10device_ptrIfEEEEPS5_jNS0_19identity_decomposerEEE10hipError_tT1_T2_PT3_SK_jT4_jjP12ihipStream_tbEUlT_E_NS1_11comp_targetILNS1_3genE5ELNS1_11target_archE942ELNS1_3gpuE9ELNS1_3repE0EEENS1_52radix_sort_onesweep_histogram_config_static_selectorELNS0_4arch9wavefront6targetE0EEEvSI_.num_vgpr, 0
	.set _ZN7rocprim17ROCPRIM_400000_NS6detail17trampoline_kernelINS0_14default_configENS1_35radix_sort_onesweep_config_selectorIfNS0_10empty_typeEEEZNS1_34radix_sort_onesweep_global_offsetsIS3_Lb0EN6thrust23THRUST_200600_302600_NS6detail15normal_iteratorINS9_10device_ptrIfEEEEPS5_jNS0_19identity_decomposerEEE10hipError_tT1_T2_PT3_SK_jT4_jjP12ihipStream_tbEUlT_E_NS1_11comp_targetILNS1_3genE5ELNS1_11target_archE942ELNS1_3gpuE9ELNS1_3repE0EEENS1_52radix_sort_onesweep_histogram_config_static_selectorELNS0_4arch9wavefront6targetE0EEEvSI_.num_agpr, 0
	.set _ZN7rocprim17ROCPRIM_400000_NS6detail17trampoline_kernelINS0_14default_configENS1_35radix_sort_onesweep_config_selectorIfNS0_10empty_typeEEEZNS1_34radix_sort_onesweep_global_offsetsIS3_Lb0EN6thrust23THRUST_200600_302600_NS6detail15normal_iteratorINS9_10device_ptrIfEEEEPS5_jNS0_19identity_decomposerEEE10hipError_tT1_T2_PT3_SK_jT4_jjP12ihipStream_tbEUlT_E_NS1_11comp_targetILNS1_3genE5ELNS1_11target_archE942ELNS1_3gpuE9ELNS1_3repE0EEENS1_52radix_sort_onesweep_histogram_config_static_selectorELNS0_4arch9wavefront6targetE0EEEvSI_.numbered_sgpr, 0
	.set _ZN7rocprim17ROCPRIM_400000_NS6detail17trampoline_kernelINS0_14default_configENS1_35radix_sort_onesweep_config_selectorIfNS0_10empty_typeEEEZNS1_34radix_sort_onesweep_global_offsetsIS3_Lb0EN6thrust23THRUST_200600_302600_NS6detail15normal_iteratorINS9_10device_ptrIfEEEEPS5_jNS0_19identity_decomposerEEE10hipError_tT1_T2_PT3_SK_jT4_jjP12ihipStream_tbEUlT_E_NS1_11comp_targetILNS1_3genE5ELNS1_11target_archE942ELNS1_3gpuE9ELNS1_3repE0EEENS1_52radix_sort_onesweep_histogram_config_static_selectorELNS0_4arch9wavefront6targetE0EEEvSI_.num_named_barrier, 0
	.set _ZN7rocprim17ROCPRIM_400000_NS6detail17trampoline_kernelINS0_14default_configENS1_35radix_sort_onesweep_config_selectorIfNS0_10empty_typeEEEZNS1_34radix_sort_onesweep_global_offsetsIS3_Lb0EN6thrust23THRUST_200600_302600_NS6detail15normal_iteratorINS9_10device_ptrIfEEEEPS5_jNS0_19identity_decomposerEEE10hipError_tT1_T2_PT3_SK_jT4_jjP12ihipStream_tbEUlT_E_NS1_11comp_targetILNS1_3genE5ELNS1_11target_archE942ELNS1_3gpuE9ELNS1_3repE0EEENS1_52radix_sort_onesweep_histogram_config_static_selectorELNS0_4arch9wavefront6targetE0EEEvSI_.private_seg_size, 0
	.set _ZN7rocprim17ROCPRIM_400000_NS6detail17trampoline_kernelINS0_14default_configENS1_35radix_sort_onesweep_config_selectorIfNS0_10empty_typeEEEZNS1_34radix_sort_onesweep_global_offsetsIS3_Lb0EN6thrust23THRUST_200600_302600_NS6detail15normal_iteratorINS9_10device_ptrIfEEEEPS5_jNS0_19identity_decomposerEEE10hipError_tT1_T2_PT3_SK_jT4_jjP12ihipStream_tbEUlT_E_NS1_11comp_targetILNS1_3genE5ELNS1_11target_archE942ELNS1_3gpuE9ELNS1_3repE0EEENS1_52radix_sort_onesweep_histogram_config_static_selectorELNS0_4arch9wavefront6targetE0EEEvSI_.uses_vcc, 0
	.set _ZN7rocprim17ROCPRIM_400000_NS6detail17trampoline_kernelINS0_14default_configENS1_35radix_sort_onesweep_config_selectorIfNS0_10empty_typeEEEZNS1_34radix_sort_onesweep_global_offsetsIS3_Lb0EN6thrust23THRUST_200600_302600_NS6detail15normal_iteratorINS9_10device_ptrIfEEEEPS5_jNS0_19identity_decomposerEEE10hipError_tT1_T2_PT3_SK_jT4_jjP12ihipStream_tbEUlT_E_NS1_11comp_targetILNS1_3genE5ELNS1_11target_archE942ELNS1_3gpuE9ELNS1_3repE0EEENS1_52radix_sort_onesweep_histogram_config_static_selectorELNS0_4arch9wavefront6targetE0EEEvSI_.uses_flat_scratch, 0
	.set _ZN7rocprim17ROCPRIM_400000_NS6detail17trampoline_kernelINS0_14default_configENS1_35radix_sort_onesweep_config_selectorIfNS0_10empty_typeEEEZNS1_34radix_sort_onesweep_global_offsetsIS3_Lb0EN6thrust23THRUST_200600_302600_NS6detail15normal_iteratorINS9_10device_ptrIfEEEEPS5_jNS0_19identity_decomposerEEE10hipError_tT1_T2_PT3_SK_jT4_jjP12ihipStream_tbEUlT_E_NS1_11comp_targetILNS1_3genE5ELNS1_11target_archE942ELNS1_3gpuE9ELNS1_3repE0EEENS1_52radix_sort_onesweep_histogram_config_static_selectorELNS0_4arch9wavefront6targetE0EEEvSI_.has_dyn_sized_stack, 0
	.set _ZN7rocprim17ROCPRIM_400000_NS6detail17trampoline_kernelINS0_14default_configENS1_35radix_sort_onesweep_config_selectorIfNS0_10empty_typeEEEZNS1_34radix_sort_onesweep_global_offsetsIS3_Lb0EN6thrust23THRUST_200600_302600_NS6detail15normal_iteratorINS9_10device_ptrIfEEEEPS5_jNS0_19identity_decomposerEEE10hipError_tT1_T2_PT3_SK_jT4_jjP12ihipStream_tbEUlT_E_NS1_11comp_targetILNS1_3genE5ELNS1_11target_archE942ELNS1_3gpuE9ELNS1_3repE0EEENS1_52radix_sort_onesweep_histogram_config_static_selectorELNS0_4arch9wavefront6targetE0EEEvSI_.has_recursion, 0
	.set _ZN7rocprim17ROCPRIM_400000_NS6detail17trampoline_kernelINS0_14default_configENS1_35radix_sort_onesweep_config_selectorIfNS0_10empty_typeEEEZNS1_34radix_sort_onesweep_global_offsetsIS3_Lb0EN6thrust23THRUST_200600_302600_NS6detail15normal_iteratorINS9_10device_ptrIfEEEEPS5_jNS0_19identity_decomposerEEE10hipError_tT1_T2_PT3_SK_jT4_jjP12ihipStream_tbEUlT_E_NS1_11comp_targetILNS1_3genE5ELNS1_11target_archE942ELNS1_3gpuE9ELNS1_3repE0EEENS1_52radix_sort_onesweep_histogram_config_static_selectorELNS0_4arch9wavefront6targetE0EEEvSI_.has_indirect_call, 0
	.section	.AMDGPU.csdata,"",@progbits
; Kernel info:
; codeLenInByte = 0
; TotalNumSgprs: 0
; NumVgprs: 0
; ScratchSize: 0
; MemoryBound: 0
; FloatMode: 240
; IeeeMode: 1
; LDSByteSize: 0 bytes/workgroup (compile time only)
; SGPRBlocks: 0
; VGPRBlocks: 0
; NumSGPRsForWavesPerEU: 1
; NumVGPRsForWavesPerEU: 1
; Occupancy: 16
; WaveLimiterHint : 0
; COMPUTE_PGM_RSRC2:SCRATCH_EN: 0
; COMPUTE_PGM_RSRC2:USER_SGPR: 6
; COMPUTE_PGM_RSRC2:TRAP_HANDLER: 0
; COMPUTE_PGM_RSRC2:TGID_X_EN: 1
; COMPUTE_PGM_RSRC2:TGID_Y_EN: 0
; COMPUTE_PGM_RSRC2:TGID_Z_EN: 0
; COMPUTE_PGM_RSRC2:TIDIG_COMP_CNT: 0
	.section	.text._ZN7rocprim17ROCPRIM_400000_NS6detail17trampoline_kernelINS0_14default_configENS1_35radix_sort_onesweep_config_selectorIfNS0_10empty_typeEEEZNS1_34radix_sort_onesweep_global_offsetsIS3_Lb0EN6thrust23THRUST_200600_302600_NS6detail15normal_iteratorINS9_10device_ptrIfEEEEPS5_jNS0_19identity_decomposerEEE10hipError_tT1_T2_PT3_SK_jT4_jjP12ihipStream_tbEUlT_E_NS1_11comp_targetILNS1_3genE2ELNS1_11target_archE906ELNS1_3gpuE6ELNS1_3repE0EEENS1_52radix_sort_onesweep_histogram_config_static_selectorELNS0_4arch9wavefront6targetE0EEEvSI_,"axG",@progbits,_ZN7rocprim17ROCPRIM_400000_NS6detail17trampoline_kernelINS0_14default_configENS1_35radix_sort_onesweep_config_selectorIfNS0_10empty_typeEEEZNS1_34radix_sort_onesweep_global_offsetsIS3_Lb0EN6thrust23THRUST_200600_302600_NS6detail15normal_iteratorINS9_10device_ptrIfEEEEPS5_jNS0_19identity_decomposerEEE10hipError_tT1_T2_PT3_SK_jT4_jjP12ihipStream_tbEUlT_E_NS1_11comp_targetILNS1_3genE2ELNS1_11target_archE906ELNS1_3gpuE6ELNS1_3repE0EEENS1_52radix_sort_onesweep_histogram_config_static_selectorELNS0_4arch9wavefront6targetE0EEEvSI_,comdat
	.protected	_ZN7rocprim17ROCPRIM_400000_NS6detail17trampoline_kernelINS0_14default_configENS1_35radix_sort_onesweep_config_selectorIfNS0_10empty_typeEEEZNS1_34radix_sort_onesweep_global_offsetsIS3_Lb0EN6thrust23THRUST_200600_302600_NS6detail15normal_iteratorINS9_10device_ptrIfEEEEPS5_jNS0_19identity_decomposerEEE10hipError_tT1_T2_PT3_SK_jT4_jjP12ihipStream_tbEUlT_E_NS1_11comp_targetILNS1_3genE2ELNS1_11target_archE906ELNS1_3gpuE6ELNS1_3repE0EEENS1_52radix_sort_onesweep_histogram_config_static_selectorELNS0_4arch9wavefront6targetE0EEEvSI_ ; -- Begin function _ZN7rocprim17ROCPRIM_400000_NS6detail17trampoline_kernelINS0_14default_configENS1_35radix_sort_onesweep_config_selectorIfNS0_10empty_typeEEEZNS1_34radix_sort_onesweep_global_offsetsIS3_Lb0EN6thrust23THRUST_200600_302600_NS6detail15normal_iteratorINS9_10device_ptrIfEEEEPS5_jNS0_19identity_decomposerEEE10hipError_tT1_T2_PT3_SK_jT4_jjP12ihipStream_tbEUlT_E_NS1_11comp_targetILNS1_3genE2ELNS1_11target_archE906ELNS1_3gpuE6ELNS1_3repE0EEENS1_52radix_sort_onesweep_histogram_config_static_selectorELNS0_4arch9wavefront6targetE0EEEvSI_
	.globl	_ZN7rocprim17ROCPRIM_400000_NS6detail17trampoline_kernelINS0_14default_configENS1_35radix_sort_onesweep_config_selectorIfNS0_10empty_typeEEEZNS1_34radix_sort_onesweep_global_offsetsIS3_Lb0EN6thrust23THRUST_200600_302600_NS6detail15normal_iteratorINS9_10device_ptrIfEEEEPS5_jNS0_19identity_decomposerEEE10hipError_tT1_T2_PT3_SK_jT4_jjP12ihipStream_tbEUlT_E_NS1_11comp_targetILNS1_3genE2ELNS1_11target_archE906ELNS1_3gpuE6ELNS1_3repE0EEENS1_52radix_sort_onesweep_histogram_config_static_selectorELNS0_4arch9wavefront6targetE0EEEvSI_
	.p2align	8
	.type	_ZN7rocprim17ROCPRIM_400000_NS6detail17trampoline_kernelINS0_14default_configENS1_35radix_sort_onesweep_config_selectorIfNS0_10empty_typeEEEZNS1_34radix_sort_onesweep_global_offsetsIS3_Lb0EN6thrust23THRUST_200600_302600_NS6detail15normal_iteratorINS9_10device_ptrIfEEEEPS5_jNS0_19identity_decomposerEEE10hipError_tT1_T2_PT3_SK_jT4_jjP12ihipStream_tbEUlT_E_NS1_11comp_targetILNS1_3genE2ELNS1_11target_archE906ELNS1_3gpuE6ELNS1_3repE0EEENS1_52radix_sort_onesweep_histogram_config_static_selectorELNS0_4arch9wavefront6targetE0EEEvSI_,@function
_ZN7rocprim17ROCPRIM_400000_NS6detail17trampoline_kernelINS0_14default_configENS1_35radix_sort_onesweep_config_selectorIfNS0_10empty_typeEEEZNS1_34radix_sort_onesweep_global_offsetsIS3_Lb0EN6thrust23THRUST_200600_302600_NS6detail15normal_iteratorINS9_10device_ptrIfEEEEPS5_jNS0_19identity_decomposerEEE10hipError_tT1_T2_PT3_SK_jT4_jjP12ihipStream_tbEUlT_E_NS1_11comp_targetILNS1_3genE2ELNS1_11target_archE906ELNS1_3gpuE6ELNS1_3repE0EEENS1_52radix_sort_onesweep_histogram_config_static_selectorELNS0_4arch9wavefront6targetE0EEEvSI_: ; @_ZN7rocprim17ROCPRIM_400000_NS6detail17trampoline_kernelINS0_14default_configENS1_35radix_sort_onesweep_config_selectorIfNS0_10empty_typeEEEZNS1_34radix_sort_onesweep_global_offsetsIS3_Lb0EN6thrust23THRUST_200600_302600_NS6detail15normal_iteratorINS9_10device_ptrIfEEEEPS5_jNS0_19identity_decomposerEEE10hipError_tT1_T2_PT3_SK_jT4_jjP12ihipStream_tbEUlT_E_NS1_11comp_targetILNS1_3genE2ELNS1_11target_archE906ELNS1_3gpuE6ELNS1_3repE0EEENS1_52radix_sort_onesweep_histogram_config_static_selectorELNS0_4arch9wavefront6targetE0EEEvSI_
; %bb.0:
	.section	.rodata,"a",@progbits
	.p2align	6, 0x0
	.amdhsa_kernel _ZN7rocprim17ROCPRIM_400000_NS6detail17trampoline_kernelINS0_14default_configENS1_35radix_sort_onesweep_config_selectorIfNS0_10empty_typeEEEZNS1_34radix_sort_onesweep_global_offsetsIS3_Lb0EN6thrust23THRUST_200600_302600_NS6detail15normal_iteratorINS9_10device_ptrIfEEEEPS5_jNS0_19identity_decomposerEEE10hipError_tT1_T2_PT3_SK_jT4_jjP12ihipStream_tbEUlT_E_NS1_11comp_targetILNS1_3genE2ELNS1_11target_archE906ELNS1_3gpuE6ELNS1_3repE0EEENS1_52radix_sort_onesweep_histogram_config_static_selectorELNS0_4arch9wavefront6targetE0EEEvSI_
		.amdhsa_group_segment_fixed_size 0
		.amdhsa_private_segment_fixed_size 0
		.amdhsa_kernarg_size 40
		.amdhsa_user_sgpr_count 6
		.amdhsa_user_sgpr_private_segment_buffer 1
		.amdhsa_user_sgpr_dispatch_ptr 0
		.amdhsa_user_sgpr_queue_ptr 0
		.amdhsa_user_sgpr_kernarg_segment_ptr 1
		.amdhsa_user_sgpr_dispatch_id 0
		.amdhsa_user_sgpr_flat_scratch_init 0
		.amdhsa_user_sgpr_private_segment_size 0
		.amdhsa_wavefront_size32 1
		.amdhsa_uses_dynamic_stack 0
		.amdhsa_system_sgpr_private_segment_wavefront_offset 0
		.amdhsa_system_sgpr_workgroup_id_x 1
		.amdhsa_system_sgpr_workgroup_id_y 0
		.amdhsa_system_sgpr_workgroup_id_z 0
		.amdhsa_system_sgpr_workgroup_info 0
		.amdhsa_system_vgpr_workitem_id 0
		.amdhsa_next_free_vgpr 1
		.amdhsa_next_free_sgpr 1
		.amdhsa_reserve_vcc 0
		.amdhsa_reserve_flat_scratch 0
		.amdhsa_float_round_mode_32 0
		.amdhsa_float_round_mode_16_64 0
		.amdhsa_float_denorm_mode_32 3
		.amdhsa_float_denorm_mode_16_64 3
		.amdhsa_dx10_clamp 1
		.amdhsa_ieee_mode 1
		.amdhsa_fp16_overflow 0
		.amdhsa_workgroup_processor_mode 1
		.amdhsa_memory_ordered 1
		.amdhsa_forward_progress 1
		.amdhsa_shared_vgpr_count 0
		.amdhsa_exception_fp_ieee_invalid_op 0
		.amdhsa_exception_fp_denorm_src 0
		.amdhsa_exception_fp_ieee_div_zero 0
		.amdhsa_exception_fp_ieee_overflow 0
		.amdhsa_exception_fp_ieee_underflow 0
		.amdhsa_exception_fp_ieee_inexact 0
		.amdhsa_exception_int_div_zero 0
	.end_amdhsa_kernel
	.section	.text._ZN7rocprim17ROCPRIM_400000_NS6detail17trampoline_kernelINS0_14default_configENS1_35radix_sort_onesweep_config_selectorIfNS0_10empty_typeEEEZNS1_34radix_sort_onesweep_global_offsetsIS3_Lb0EN6thrust23THRUST_200600_302600_NS6detail15normal_iteratorINS9_10device_ptrIfEEEEPS5_jNS0_19identity_decomposerEEE10hipError_tT1_T2_PT3_SK_jT4_jjP12ihipStream_tbEUlT_E_NS1_11comp_targetILNS1_3genE2ELNS1_11target_archE906ELNS1_3gpuE6ELNS1_3repE0EEENS1_52radix_sort_onesweep_histogram_config_static_selectorELNS0_4arch9wavefront6targetE0EEEvSI_,"axG",@progbits,_ZN7rocprim17ROCPRIM_400000_NS6detail17trampoline_kernelINS0_14default_configENS1_35radix_sort_onesweep_config_selectorIfNS0_10empty_typeEEEZNS1_34radix_sort_onesweep_global_offsetsIS3_Lb0EN6thrust23THRUST_200600_302600_NS6detail15normal_iteratorINS9_10device_ptrIfEEEEPS5_jNS0_19identity_decomposerEEE10hipError_tT1_T2_PT3_SK_jT4_jjP12ihipStream_tbEUlT_E_NS1_11comp_targetILNS1_3genE2ELNS1_11target_archE906ELNS1_3gpuE6ELNS1_3repE0EEENS1_52radix_sort_onesweep_histogram_config_static_selectorELNS0_4arch9wavefront6targetE0EEEvSI_,comdat
.Lfunc_end535:
	.size	_ZN7rocprim17ROCPRIM_400000_NS6detail17trampoline_kernelINS0_14default_configENS1_35radix_sort_onesweep_config_selectorIfNS0_10empty_typeEEEZNS1_34radix_sort_onesweep_global_offsetsIS3_Lb0EN6thrust23THRUST_200600_302600_NS6detail15normal_iteratorINS9_10device_ptrIfEEEEPS5_jNS0_19identity_decomposerEEE10hipError_tT1_T2_PT3_SK_jT4_jjP12ihipStream_tbEUlT_E_NS1_11comp_targetILNS1_3genE2ELNS1_11target_archE906ELNS1_3gpuE6ELNS1_3repE0EEENS1_52radix_sort_onesweep_histogram_config_static_selectorELNS0_4arch9wavefront6targetE0EEEvSI_, .Lfunc_end535-_ZN7rocprim17ROCPRIM_400000_NS6detail17trampoline_kernelINS0_14default_configENS1_35radix_sort_onesweep_config_selectorIfNS0_10empty_typeEEEZNS1_34radix_sort_onesweep_global_offsetsIS3_Lb0EN6thrust23THRUST_200600_302600_NS6detail15normal_iteratorINS9_10device_ptrIfEEEEPS5_jNS0_19identity_decomposerEEE10hipError_tT1_T2_PT3_SK_jT4_jjP12ihipStream_tbEUlT_E_NS1_11comp_targetILNS1_3genE2ELNS1_11target_archE906ELNS1_3gpuE6ELNS1_3repE0EEENS1_52radix_sort_onesweep_histogram_config_static_selectorELNS0_4arch9wavefront6targetE0EEEvSI_
                                        ; -- End function
	.set _ZN7rocprim17ROCPRIM_400000_NS6detail17trampoline_kernelINS0_14default_configENS1_35radix_sort_onesweep_config_selectorIfNS0_10empty_typeEEEZNS1_34radix_sort_onesweep_global_offsetsIS3_Lb0EN6thrust23THRUST_200600_302600_NS6detail15normal_iteratorINS9_10device_ptrIfEEEEPS5_jNS0_19identity_decomposerEEE10hipError_tT1_T2_PT3_SK_jT4_jjP12ihipStream_tbEUlT_E_NS1_11comp_targetILNS1_3genE2ELNS1_11target_archE906ELNS1_3gpuE6ELNS1_3repE0EEENS1_52radix_sort_onesweep_histogram_config_static_selectorELNS0_4arch9wavefront6targetE0EEEvSI_.num_vgpr, 0
	.set _ZN7rocprim17ROCPRIM_400000_NS6detail17trampoline_kernelINS0_14default_configENS1_35radix_sort_onesweep_config_selectorIfNS0_10empty_typeEEEZNS1_34radix_sort_onesweep_global_offsetsIS3_Lb0EN6thrust23THRUST_200600_302600_NS6detail15normal_iteratorINS9_10device_ptrIfEEEEPS5_jNS0_19identity_decomposerEEE10hipError_tT1_T2_PT3_SK_jT4_jjP12ihipStream_tbEUlT_E_NS1_11comp_targetILNS1_3genE2ELNS1_11target_archE906ELNS1_3gpuE6ELNS1_3repE0EEENS1_52radix_sort_onesweep_histogram_config_static_selectorELNS0_4arch9wavefront6targetE0EEEvSI_.num_agpr, 0
	.set _ZN7rocprim17ROCPRIM_400000_NS6detail17trampoline_kernelINS0_14default_configENS1_35radix_sort_onesweep_config_selectorIfNS0_10empty_typeEEEZNS1_34radix_sort_onesweep_global_offsetsIS3_Lb0EN6thrust23THRUST_200600_302600_NS6detail15normal_iteratorINS9_10device_ptrIfEEEEPS5_jNS0_19identity_decomposerEEE10hipError_tT1_T2_PT3_SK_jT4_jjP12ihipStream_tbEUlT_E_NS1_11comp_targetILNS1_3genE2ELNS1_11target_archE906ELNS1_3gpuE6ELNS1_3repE0EEENS1_52radix_sort_onesweep_histogram_config_static_selectorELNS0_4arch9wavefront6targetE0EEEvSI_.numbered_sgpr, 0
	.set _ZN7rocprim17ROCPRIM_400000_NS6detail17trampoline_kernelINS0_14default_configENS1_35radix_sort_onesweep_config_selectorIfNS0_10empty_typeEEEZNS1_34radix_sort_onesweep_global_offsetsIS3_Lb0EN6thrust23THRUST_200600_302600_NS6detail15normal_iteratorINS9_10device_ptrIfEEEEPS5_jNS0_19identity_decomposerEEE10hipError_tT1_T2_PT3_SK_jT4_jjP12ihipStream_tbEUlT_E_NS1_11comp_targetILNS1_3genE2ELNS1_11target_archE906ELNS1_3gpuE6ELNS1_3repE0EEENS1_52radix_sort_onesweep_histogram_config_static_selectorELNS0_4arch9wavefront6targetE0EEEvSI_.num_named_barrier, 0
	.set _ZN7rocprim17ROCPRIM_400000_NS6detail17trampoline_kernelINS0_14default_configENS1_35radix_sort_onesweep_config_selectorIfNS0_10empty_typeEEEZNS1_34radix_sort_onesweep_global_offsetsIS3_Lb0EN6thrust23THRUST_200600_302600_NS6detail15normal_iteratorINS9_10device_ptrIfEEEEPS5_jNS0_19identity_decomposerEEE10hipError_tT1_T2_PT3_SK_jT4_jjP12ihipStream_tbEUlT_E_NS1_11comp_targetILNS1_3genE2ELNS1_11target_archE906ELNS1_3gpuE6ELNS1_3repE0EEENS1_52radix_sort_onesweep_histogram_config_static_selectorELNS0_4arch9wavefront6targetE0EEEvSI_.private_seg_size, 0
	.set _ZN7rocprim17ROCPRIM_400000_NS6detail17trampoline_kernelINS0_14default_configENS1_35radix_sort_onesweep_config_selectorIfNS0_10empty_typeEEEZNS1_34radix_sort_onesweep_global_offsetsIS3_Lb0EN6thrust23THRUST_200600_302600_NS6detail15normal_iteratorINS9_10device_ptrIfEEEEPS5_jNS0_19identity_decomposerEEE10hipError_tT1_T2_PT3_SK_jT4_jjP12ihipStream_tbEUlT_E_NS1_11comp_targetILNS1_3genE2ELNS1_11target_archE906ELNS1_3gpuE6ELNS1_3repE0EEENS1_52radix_sort_onesweep_histogram_config_static_selectorELNS0_4arch9wavefront6targetE0EEEvSI_.uses_vcc, 0
	.set _ZN7rocprim17ROCPRIM_400000_NS6detail17trampoline_kernelINS0_14default_configENS1_35radix_sort_onesweep_config_selectorIfNS0_10empty_typeEEEZNS1_34radix_sort_onesweep_global_offsetsIS3_Lb0EN6thrust23THRUST_200600_302600_NS6detail15normal_iteratorINS9_10device_ptrIfEEEEPS5_jNS0_19identity_decomposerEEE10hipError_tT1_T2_PT3_SK_jT4_jjP12ihipStream_tbEUlT_E_NS1_11comp_targetILNS1_3genE2ELNS1_11target_archE906ELNS1_3gpuE6ELNS1_3repE0EEENS1_52radix_sort_onesweep_histogram_config_static_selectorELNS0_4arch9wavefront6targetE0EEEvSI_.uses_flat_scratch, 0
	.set _ZN7rocprim17ROCPRIM_400000_NS6detail17trampoline_kernelINS0_14default_configENS1_35radix_sort_onesweep_config_selectorIfNS0_10empty_typeEEEZNS1_34radix_sort_onesweep_global_offsetsIS3_Lb0EN6thrust23THRUST_200600_302600_NS6detail15normal_iteratorINS9_10device_ptrIfEEEEPS5_jNS0_19identity_decomposerEEE10hipError_tT1_T2_PT3_SK_jT4_jjP12ihipStream_tbEUlT_E_NS1_11comp_targetILNS1_3genE2ELNS1_11target_archE906ELNS1_3gpuE6ELNS1_3repE0EEENS1_52radix_sort_onesweep_histogram_config_static_selectorELNS0_4arch9wavefront6targetE0EEEvSI_.has_dyn_sized_stack, 0
	.set _ZN7rocprim17ROCPRIM_400000_NS6detail17trampoline_kernelINS0_14default_configENS1_35radix_sort_onesweep_config_selectorIfNS0_10empty_typeEEEZNS1_34radix_sort_onesweep_global_offsetsIS3_Lb0EN6thrust23THRUST_200600_302600_NS6detail15normal_iteratorINS9_10device_ptrIfEEEEPS5_jNS0_19identity_decomposerEEE10hipError_tT1_T2_PT3_SK_jT4_jjP12ihipStream_tbEUlT_E_NS1_11comp_targetILNS1_3genE2ELNS1_11target_archE906ELNS1_3gpuE6ELNS1_3repE0EEENS1_52radix_sort_onesweep_histogram_config_static_selectorELNS0_4arch9wavefront6targetE0EEEvSI_.has_recursion, 0
	.set _ZN7rocprim17ROCPRIM_400000_NS6detail17trampoline_kernelINS0_14default_configENS1_35radix_sort_onesweep_config_selectorIfNS0_10empty_typeEEEZNS1_34radix_sort_onesweep_global_offsetsIS3_Lb0EN6thrust23THRUST_200600_302600_NS6detail15normal_iteratorINS9_10device_ptrIfEEEEPS5_jNS0_19identity_decomposerEEE10hipError_tT1_T2_PT3_SK_jT4_jjP12ihipStream_tbEUlT_E_NS1_11comp_targetILNS1_3genE2ELNS1_11target_archE906ELNS1_3gpuE6ELNS1_3repE0EEENS1_52radix_sort_onesweep_histogram_config_static_selectorELNS0_4arch9wavefront6targetE0EEEvSI_.has_indirect_call, 0
	.section	.AMDGPU.csdata,"",@progbits
; Kernel info:
; codeLenInByte = 0
; TotalNumSgprs: 0
; NumVgprs: 0
; ScratchSize: 0
; MemoryBound: 0
; FloatMode: 240
; IeeeMode: 1
; LDSByteSize: 0 bytes/workgroup (compile time only)
; SGPRBlocks: 0
; VGPRBlocks: 0
; NumSGPRsForWavesPerEU: 1
; NumVGPRsForWavesPerEU: 1
; Occupancy: 16
; WaveLimiterHint : 0
; COMPUTE_PGM_RSRC2:SCRATCH_EN: 0
; COMPUTE_PGM_RSRC2:USER_SGPR: 6
; COMPUTE_PGM_RSRC2:TRAP_HANDLER: 0
; COMPUTE_PGM_RSRC2:TGID_X_EN: 1
; COMPUTE_PGM_RSRC2:TGID_Y_EN: 0
; COMPUTE_PGM_RSRC2:TGID_Z_EN: 0
; COMPUTE_PGM_RSRC2:TIDIG_COMP_CNT: 0
	.section	.text._ZN7rocprim17ROCPRIM_400000_NS6detail17trampoline_kernelINS0_14default_configENS1_35radix_sort_onesweep_config_selectorIfNS0_10empty_typeEEEZNS1_34radix_sort_onesweep_global_offsetsIS3_Lb0EN6thrust23THRUST_200600_302600_NS6detail15normal_iteratorINS9_10device_ptrIfEEEEPS5_jNS0_19identity_decomposerEEE10hipError_tT1_T2_PT3_SK_jT4_jjP12ihipStream_tbEUlT_E_NS1_11comp_targetILNS1_3genE4ELNS1_11target_archE910ELNS1_3gpuE8ELNS1_3repE0EEENS1_52radix_sort_onesweep_histogram_config_static_selectorELNS0_4arch9wavefront6targetE0EEEvSI_,"axG",@progbits,_ZN7rocprim17ROCPRIM_400000_NS6detail17trampoline_kernelINS0_14default_configENS1_35radix_sort_onesweep_config_selectorIfNS0_10empty_typeEEEZNS1_34radix_sort_onesweep_global_offsetsIS3_Lb0EN6thrust23THRUST_200600_302600_NS6detail15normal_iteratorINS9_10device_ptrIfEEEEPS5_jNS0_19identity_decomposerEEE10hipError_tT1_T2_PT3_SK_jT4_jjP12ihipStream_tbEUlT_E_NS1_11comp_targetILNS1_3genE4ELNS1_11target_archE910ELNS1_3gpuE8ELNS1_3repE0EEENS1_52radix_sort_onesweep_histogram_config_static_selectorELNS0_4arch9wavefront6targetE0EEEvSI_,comdat
	.protected	_ZN7rocprim17ROCPRIM_400000_NS6detail17trampoline_kernelINS0_14default_configENS1_35radix_sort_onesweep_config_selectorIfNS0_10empty_typeEEEZNS1_34radix_sort_onesweep_global_offsetsIS3_Lb0EN6thrust23THRUST_200600_302600_NS6detail15normal_iteratorINS9_10device_ptrIfEEEEPS5_jNS0_19identity_decomposerEEE10hipError_tT1_T2_PT3_SK_jT4_jjP12ihipStream_tbEUlT_E_NS1_11comp_targetILNS1_3genE4ELNS1_11target_archE910ELNS1_3gpuE8ELNS1_3repE0EEENS1_52radix_sort_onesweep_histogram_config_static_selectorELNS0_4arch9wavefront6targetE0EEEvSI_ ; -- Begin function _ZN7rocprim17ROCPRIM_400000_NS6detail17trampoline_kernelINS0_14default_configENS1_35radix_sort_onesweep_config_selectorIfNS0_10empty_typeEEEZNS1_34radix_sort_onesweep_global_offsetsIS3_Lb0EN6thrust23THRUST_200600_302600_NS6detail15normal_iteratorINS9_10device_ptrIfEEEEPS5_jNS0_19identity_decomposerEEE10hipError_tT1_T2_PT3_SK_jT4_jjP12ihipStream_tbEUlT_E_NS1_11comp_targetILNS1_3genE4ELNS1_11target_archE910ELNS1_3gpuE8ELNS1_3repE0EEENS1_52radix_sort_onesweep_histogram_config_static_selectorELNS0_4arch9wavefront6targetE0EEEvSI_
	.globl	_ZN7rocprim17ROCPRIM_400000_NS6detail17trampoline_kernelINS0_14default_configENS1_35radix_sort_onesweep_config_selectorIfNS0_10empty_typeEEEZNS1_34radix_sort_onesweep_global_offsetsIS3_Lb0EN6thrust23THRUST_200600_302600_NS6detail15normal_iteratorINS9_10device_ptrIfEEEEPS5_jNS0_19identity_decomposerEEE10hipError_tT1_T2_PT3_SK_jT4_jjP12ihipStream_tbEUlT_E_NS1_11comp_targetILNS1_3genE4ELNS1_11target_archE910ELNS1_3gpuE8ELNS1_3repE0EEENS1_52radix_sort_onesweep_histogram_config_static_selectorELNS0_4arch9wavefront6targetE0EEEvSI_
	.p2align	8
	.type	_ZN7rocprim17ROCPRIM_400000_NS6detail17trampoline_kernelINS0_14default_configENS1_35radix_sort_onesweep_config_selectorIfNS0_10empty_typeEEEZNS1_34radix_sort_onesweep_global_offsetsIS3_Lb0EN6thrust23THRUST_200600_302600_NS6detail15normal_iteratorINS9_10device_ptrIfEEEEPS5_jNS0_19identity_decomposerEEE10hipError_tT1_T2_PT3_SK_jT4_jjP12ihipStream_tbEUlT_E_NS1_11comp_targetILNS1_3genE4ELNS1_11target_archE910ELNS1_3gpuE8ELNS1_3repE0EEENS1_52radix_sort_onesweep_histogram_config_static_selectorELNS0_4arch9wavefront6targetE0EEEvSI_,@function
_ZN7rocprim17ROCPRIM_400000_NS6detail17trampoline_kernelINS0_14default_configENS1_35radix_sort_onesweep_config_selectorIfNS0_10empty_typeEEEZNS1_34radix_sort_onesweep_global_offsetsIS3_Lb0EN6thrust23THRUST_200600_302600_NS6detail15normal_iteratorINS9_10device_ptrIfEEEEPS5_jNS0_19identity_decomposerEEE10hipError_tT1_T2_PT3_SK_jT4_jjP12ihipStream_tbEUlT_E_NS1_11comp_targetILNS1_3genE4ELNS1_11target_archE910ELNS1_3gpuE8ELNS1_3repE0EEENS1_52radix_sort_onesweep_histogram_config_static_selectorELNS0_4arch9wavefront6targetE0EEEvSI_: ; @_ZN7rocprim17ROCPRIM_400000_NS6detail17trampoline_kernelINS0_14default_configENS1_35radix_sort_onesweep_config_selectorIfNS0_10empty_typeEEEZNS1_34radix_sort_onesweep_global_offsetsIS3_Lb0EN6thrust23THRUST_200600_302600_NS6detail15normal_iteratorINS9_10device_ptrIfEEEEPS5_jNS0_19identity_decomposerEEE10hipError_tT1_T2_PT3_SK_jT4_jjP12ihipStream_tbEUlT_E_NS1_11comp_targetILNS1_3genE4ELNS1_11target_archE910ELNS1_3gpuE8ELNS1_3repE0EEENS1_52radix_sort_onesweep_histogram_config_static_selectorELNS0_4arch9wavefront6targetE0EEEvSI_
; %bb.0:
	.section	.rodata,"a",@progbits
	.p2align	6, 0x0
	.amdhsa_kernel _ZN7rocprim17ROCPRIM_400000_NS6detail17trampoline_kernelINS0_14default_configENS1_35radix_sort_onesweep_config_selectorIfNS0_10empty_typeEEEZNS1_34radix_sort_onesweep_global_offsetsIS3_Lb0EN6thrust23THRUST_200600_302600_NS6detail15normal_iteratorINS9_10device_ptrIfEEEEPS5_jNS0_19identity_decomposerEEE10hipError_tT1_T2_PT3_SK_jT4_jjP12ihipStream_tbEUlT_E_NS1_11comp_targetILNS1_3genE4ELNS1_11target_archE910ELNS1_3gpuE8ELNS1_3repE0EEENS1_52radix_sort_onesweep_histogram_config_static_selectorELNS0_4arch9wavefront6targetE0EEEvSI_
		.amdhsa_group_segment_fixed_size 0
		.amdhsa_private_segment_fixed_size 0
		.amdhsa_kernarg_size 40
		.amdhsa_user_sgpr_count 6
		.amdhsa_user_sgpr_private_segment_buffer 1
		.amdhsa_user_sgpr_dispatch_ptr 0
		.amdhsa_user_sgpr_queue_ptr 0
		.amdhsa_user_sgpr_kernarg_segment_ptr 1
		.amdhsa_user_sgpr_dispatch_id 0
		.amdhsa_user_sgpr_flat_scratch_init 0
		.amdhsa_user_sgpr_private_segment_size 0
		.amdhsa_wavefront_size32 1
		.amdhsa_uses_dynamic_stack 0
		.amdhsa_system_sgpr_private_segment_wavefront_offset 0
		.amdhsa_system_sgpr_workgroup_id_x 1
		.amdhsa_system_sgpr_workgroup_id_y 0
		.amdhsa_system_sgpr_workgroup_id_z 0
		.amdhsa_system_sgpr_workgroup_info 0
		.amdhsa_system_vgpr_workitem_id 0
		.amdhsa_next_free_vgpr 1
		.amdhsa_next_free_sgpr 1
		.amdhsa_reserve_vcc 0
		.amdhsa_reserve_flat_scratch 0
		.amdhsa_float_round_mode_32 0
		.amdhsa_float_round_mode_16_64 0
		.amdhsa_float_denorm_mode_32 3
		.amdhsa_float_denorm_mode_16_64 3
		.amdhsa_dx10_clamp 1
		.amdhsa_ieee_mode 1
		.amdhsa_fp16_overflow 0
		.amdhsa_workgroup_processor_mode 1
		.amdhsa_memory_ordered 1
		.amdhsa_forward_progress 1
		.amdhsa_shared_vgpr_count 0
		.amdhsa_exception_fp_ieee_invalid_op 0
		.amdhsa_exception_fp_denorm_src 0
		.amdhsa_exception_fp_ieee_div_zero 0
		.amdhsa_exception_fp_ieee_overflow 0
		.amdhsa_exception_fp_ieee_underflow 0
		.amdhsa_exception_fp_ieee_inexact 0
		.amdhsa_exception_int_div_zero 0
	.end_amdhsa_kernel
	.section	.text._ZN7rocprim17ROCPRIM_400000_NS6detail17trampoline_kernelINS0_14default_configENS1_35radix_sort_onesweep_config_selectorIfNS0_10empty_typeEEEZNS1_34radix_sort_onesweep_global_offsetsIS3_Lb0EN6thrust23THRUST_200600_302600_NS6detail15normal_iteratorINS9_10device_ptrIfEEEEPS5_jNS0_19identity_decomposerEEE10hipError_tT1_T2_PT3_SK_jT4_jjP12ihipStream_tbEUlT_E_NS1_11comp_targetILNS1_3genE4ELNS1_11target_archE910ELNS1_3gpuE8ELNS1_3repE0EEENS1_52radix_sort_onesweep_histogram_config_static_selectorELNS0_4arch9wavefront6targetE0EEEvSI_,"axG",@progbits,_ZN7rocprim17ROCPRIM_400000_NS6detail17trampoline_kernelINS0_14default_configENS1_35radix_sort_onesweep_config_selectorIfNS0_10empty_typeEEEZNS1_34radix_sort_onesweep_global_offsetsIS3_Lb0EN6thrust23THRUST_200600_302600_NS6detail15normal_iteratorINS9_10device_ptrIfEEEEPS5_jNS0_19identity_decomposerEEE10hipError_tT1_T2_PT3_SK_jT4_jjP12ihipStream_tbEUlT_E_NS1_11comp_targetILNS1_3genE4ELNS1_11target_archE910ELNS1_3gpuE8ELNS1_3repE0EEENS1_52radix_sort_onesweep_histogram_config_static_selectorELNS0_4arch9wavefront6targetE0EEEvSI_,comdat
.Lfunc_end536:
	.size	_ZN7rocprim17ROCPRIM_400000_NS6detail17trampoline_kernelINS0_14default_configENS1_35radix_sort_onesweep_config_selectorIfNS0_10empty_typeEEEZNS1_34radix_sort_onesweep_global_offsetsIS3_Lb0EN6thrust23THRUST_200600_302600_NS6detail15normal_iteratorINS9_10device_ptrIfEEEEPS5_jNS0_19identity_decomposerEEE10hipError_tT1_T2_PT3_SK_jT4_jjP12ihipStream_tbEUlT_E_NS1_11comp_targetILNS1_3genE4ELNS1_11target_archE910ELNS1_3gpuE8ELNS1_3repE0EEENS1_52radix_sort_onesweep_histogram_config_static_selectorELNS0_4arch9wavefront6targetE0EEEvSI_, .Lfunc_end536-_ZN7rocprim17ROCPRIM_400000_NS6detail17trampoline_kernelINS0_14default_configENS1_35radix_sort_onesweep_config_selectorIfNS0_10empty_typeEEEZNS1_34radix_sort_onesweep_global_offsetsIS3_Lb0EN6thrust23THRUST_200600_302600_NS6detail15normal_iteratorINS9_10device_ptrIfEEEEPS5_jNS0_19identity_decomposerEEE10hipError_tT1_T2_PT3_SK_jT4_jjP12ihipStream_tbEUlT_E_NS1_11comp_targetILNS1_3genE4ELNS1_11target_archE910ELNS1_3gpuE8ELNS1_3repE0EEENS1_52radix_sort_onesweep_histogram_config_static_selectorELNS0_4arch9wavefront6targetE0EEEvSI_
                                        ; -- End function
	.set _ZN7rocprim17ROCPRIM_400000_NS6detail17trampoline_kernelINS0_14default_configENS1_35radix_sort_onesweep_config_selectorIfNS0_10empty_typeEEEZNS1_34radix_sort_onesweep_global_offsetsIS3_Lb0EN6thrust23THRUST_200600_302600_NS6detail15normal_iteratorINS9_10device_ptrIfEEEEPS5_jNS0_19identity_decomposerEEE10hipError_tT1_T2_PT3_SK_jT4_jjP12ihipStream_tbEUlT_E_NS1_11comp_targetILNS1_3genE4ELNS1_11target_archE910ELNS1_3gpuE8ELNS1_3repE0EEENS1_52radix_sort_onesweep_histogram_config_static_selectorELNS0_4arch9wavefront6targetE0EEEvSI_.num_vgpr, 0
	.set _ZN7rocprim17ROCPRIM_400000_NS6detail17trampoline_kernelINS0_14default_configENS1_35radix_sort_onesweep_config_selectorIfNS0_10empty_typeEEEZNS1_34radix_sort_onesweep_global_offsetsIS3_Lb0EN6thrust23THRUST_200600_302600_NS6detail15normal_iteratorINS9_10device_ptrIfEEEEPS5_jNS0_19identity_decomposerEEE10hipError_tT1_T2_PT3_SK_jT4_jjP12ihipStream_tbEUlT_E_NS1_11comp_targetILNS1_3genE4ELNS1_11target_archE910ELNS1_3gpuE8ELNS1_3repE0EEENS1_52radix_sort_onesweep_histogram_config_static_selectorELNS0_4arch9wavefront6targetE0EEEvSI_.num_agpr, 0
	.set _ZN7rocprim17ROCPRIM_400000_NS6detail17trampoline_kernelINS0_14default_configENS1_35radix_sort_onesweep_config_selectorIfNS0_10empty_typeEEEZNS1_34radix_sort_onesweep_global_offsetsIS3_Lb0EN6thrust23THRUST_200600_302600_NS6detail15normal_iteratorINS9_10device_ptrIfEEEEPS5_jNS0_19identity_decomposerEEE10hipError_tT1_T2_PT3_SK_jT4_jjP12ihipStream_tbEUlT_E_NS1_11comp_targetILNS1_3genE4ELNS1_11target_archE910ELNS1_3gpuE8ELNS1_3repE0EEENS1_52radix_sort_onesweep_histogram_config_static_selectorELNS0_4arch9wavefront6targetE0EEEvSI_.numbered_sgpr, 0
	.set _ZN7rocprim17ROCPRIM_400000_NS6detail17trampoline_kernelINS0_14default_configENS1_35radix_sort_onesweep_config_selectorIfNS0_10empty_typeEEEZNS1_34radix_sort_onesweep_global_offsetsIS3_Lb0EN6thrust23THRUST_200600_302600_NS6detail15normal_iteratorINS9_10device_ptrIfEEEEPS5_jNS0_19identity_decomposerEEE10hipError_tT1_T2_PT3_SK_jT4_jjP12ihipStream_tbEUlT_E_NS1_11comp_targetILNS1_3genE4ELNS1_11target_archE910ELNS1_3gpuE8ELNS1_3repE0EEENS1_52radix_sort_onesweep_histogram_config_static_selectorELNS0_4arch9wavefront6targetE0EEEvSI_.num_named_barrier, 0
	.set _ZN7rocprim17ROCPRIM_400000_NS6detail17trampoline_kernelINS0_14default_configENS1_35radix_sort_onesweep_config_selectorIfNS0_10empty_typeEEEZNS1_34radix_sort_onesweep_global_offsetsIS3_Lb0EN6thrust23THRUST_200600_302600_NS6detail15normal_iteratorINS9_10device_ptrIfEEEEPS5_jNS0_19identity_decomposerEEE10hipError_tT1_T2_PT3_SK_jT4_jjP12ihipStream_tbEUlT_E_NS1_11comp_targetILNS1_3genE4ELNS1_11target_archE910ELNS1_3gpuE8ELNS1_3repE0EEENS1_52radix_sort_onesweep_histogram_config_static_selectorELNS0_4arch9wavefront6targetE0EEEvSI_.private_seg_size, 0
	.set _ZN7rocprim17ROCPRIM_400000_NS6detail17trampoline_kernelINS0_14default_configENS1_35radix_sort_onesweep_config_selectorIfNS0_10empty_typeEEEZNS1_34radix_sort_onesweep_global_offsetsIS3_Lb0EN6thrust23THRUST_200600_302600_NS6detail15normal_iteratorINS9_10device_ptrIfEEEEPS5_jNS0_19identity_decomposerEEE10hipError_tT1_T2_PT3_SK_jT4_jjP12ihipStream_tbEUlT_E_NS1_11comp_targetILNS1_3genE4ELNS1_11target_archE910ELNS1_3gpuE8ELNS1_3repE0EEENS1_52radix_sort_onesweep_histogram_config_static_selectorELNS0_4arch9wavefront6targetE0EEEvSI_.uses_vcc, 0
	.set _ZN7rocprim17ROCPRIM_400000_NS6detail17trampoline_kernelINS0_14default_configENS1_35radix_sort_onesweep_config_selectorIfNS0_10empty_typeEEEZNS1_34radix_sort_onesweep_global_offsetsIS3_Lb0EN6thrust23THRUST_200600_302600_NS6detail15normal_iteratorINS9_10device_ptrIfEEEEPS5_jNS0_19identity_decomposerEEE10hipError_tT1_T2_PT3_SK_jT4_jjP12ihipStream_tbEUlT_E_NS1_11comp_targetILNS1_3genE4ELNS1_11target_archE910ELNS1_3gpuE8ELNS1_3repE0EEENS1_52radix_sort_onesweep_histogram_config_static_selectorELNS0_4arch9wavefront6targetE0EEEvSI_.uses_flat_scratch, 0
	.set _ZN7rocprim17ROCPRIM_400000_NS6detail17trampoline_kernelINS0_14default_configENS1_35radix_sort_onesweep_config_selectorIfNS0_10empty_typeEEEZNS1_34radix_sort_onesweep_global_offsetsIS3_Lb0EN6thrust23THRUST_200600_302600_NS6detail15normal_iteratorINS9_10device_ptrIfEEEEPS5_jNS0_19identity_decomposerEEE10hipError_tT1_T2_PT3_SK_jT4_jjP12ihipStream_tbEUlT_E_NS1_11comp_targetILNS1_3genE4ELNS1_11target_archE910ELNS1_3gpuE8ELNS1_3repE0EEENS1_52radix_sort_onesweep_histogram_config_static_selectorELNS0_4arch9wavefront6targetE0EEEvSI_.has_dyn_sized_stack, 0
	.set _ZN7rocprim17ROCPRIM_400000_NS6detail17trampoline_kernelINS0_14default_configENS1_35radix_sort_onesweep_config_selectorIfNS0_10empty_typeEEEZNS1_34radix_sort_onesweep_global_offsetsIS3_Lb0EN6thrust23THRUST_200600_302600_NS6detail15normal_iteratorINS9_10device_ptrIfEEEEPS5_jNS0_19identity_decomposerEEE10hipError_tT1_T2_PT3_SK_jT4_jjP12ihipStream_tbEUlT_E_NS1_11comp_targetILNS1_3genE4ELNS1_11target_archE910ELNS1_3gpuE8ELNS1_3repE0EEENS1_52radix_sort_onesweep_histogram_config_static_selectorELNS0_4arch9wavefront6targetE0EEEvSI_.has_recursion, 0
	.set _ZN7rocprim17ROCPRIM_400000_NS6detail17trampoline_kernelINS0_14default_configENS1_35radix_sort_onesweep_config_selectorIfNS0_10empty_typeEEEZNS1_34radix_sort_onesweep_global_offsetsIS3_Lb0EN6thrust23THRUST_200600_302600_NS6detail15normal_iteratorINS9_10device_ptrIfEEEEPS5_jNS0_19identity_decomposerEEE10hipError_tT1_T2_PT3_SK_jT4_jjP12ihipStream_tbEUlT_E_NS1_11comp_targetILNS1_3genE4ELNS1_11target_archE910ELNS1_3gpuE8ELNS1_3repE0EEENS1_52radix_sort_onesweep_histogram_config_static_selectorELNS0_4arch9wavefront6targetE0EEEvSI_.has_indirect_call, 0
	.section	.AMDGPU.csdata,"",@progbits
; Kernel info:
; codeLenInByte = 0
; TotalNumSgprs: 0
; NumVgprs: 0
; ScratchSize: 0
; MemoryBound: 0
; FloatMode: 240
; IeeeMode: 1
; LDSByteSize: 0 bytes/workgroup (compile time only)
; SGPRBlocks: 0
; VGPRBlocks: 0
; NumSGPRsForWavesPerEU: 1
; NumVGPRsForWavesPerEU: 1
; Occupancy: 16
; WaveLimiterHint : 0
; COMPUTE_PGM_RSRC2:SCRATCH_EN: 0
; COMPUTE_PGM_RSRC2:USER_SGPR: 6
; COMPUTE_PGM_RSRC2:TRAP_HANDLER: 0
; COMPUTE_PGM_RSRC2:TGID_X_EN: 1
; COMPUTE_PGM_RSRC2:TGID_Y_EN: 0
; COMPUTE_PGM_RSRC2:TGID_Z_EN: 0
; COMPUTE_PGM_RSRC2:TIDIG_COMP_CNT: 0
	.section	.text._ZN7rocprim17ROCPRIM_400000_NS6detail17trampoline_kernelINS0_14default_configENS1_35radix_sort_onesweep_config_selectorIfNS0_10empty_typeEEEZNS1_34radix_sort_onesweep_global_offsetsIS3_Lb0EN6thrust23THRUST_200600_302600_NS6detail15normal_iteratorINS9_10device_ptrIfEEEEPS5_jNS0_19identity_decomposerEEE10hipError_tT1_T2_PT3_SK_jT4_jjP12ihipStream_tbEUlT_E_NS1_11comp_targetILNS1_3genE3ELNS1_11target_archE908ELNS1_3gpuE7ELNS1_3repE0EEENS1_52radix_sort_onesweep_histogram_config_static_selectorELNS0_4arch9wavefront6targetE0EEEvSI_,"axG",@progbits,_ZN7rocprim17ROCPRIM_400000_NS6detail17trampoline_kernelINS0_14default_configENS1_35radix_sort_onesweep_config_selectorIfNS0_10empty_typeEEEZNS1_34radix_sort_onesweep_global_offsetsIS3_Lb0EN6thrust23THRUST_200600_302600_NS6detail15normal_iteratorINS9_10device_ptrIfEEEEPS5_jNS0_19identity_decomposerEEE10hipError_tT1_T2_PT3_SK_jT4_jjP12ihipStream_tbEUlT_E_NS1_11comp_targetILNS1_3genE3ELNS1_11target_archE908ELNS1_3gpuE7ELNS1_3repE0EEENS1_52radix_sort_onesweep_histogram_config_static_selectorELNS0_4arch9wavefront6targetE0EEEvSI_,comdat
	.protected	_ZN7rocprim17ROCPRIM_400000_NS6detail17trampoline_kernelINS0_14default_configENS1_35radix_sort_onesweep_config_selectorIfNS0_10empty_typeEEEZNS1_34radix_sort_onesweep_global_offsetsIS3_Lb0EN6thrust23THRUST_200600_302600_NS6detail15normal_iteratorINS9_10device_ptrIfEEEEPS5_jNS0_19identity_decomposerEEE10hipError_tT1_T2_PT3_SK_jT4_jjP12ihipStream_tbEUlT_E_NS1_11comp_targetILNS1_3genE3ELNS1_11target_archE908ELNS1_3gpuE7ELNS1_3repE0EEENS1_52radix_sort_onesweep_histogram_config_static_selectorELNS0_4arch9wavefront6targetE0EEEvSI_ ; -- Begin function _ZN7rocprim17ROCPRIM_400000_NS6detail17trampoline_kernelINS0_14default_configENS1_35radix_sort_onesweep_config_selectorIfNS0_10empty_typeEEEZNS1_34radix_sort_onesweep_global_offsetsIS3_Lb0EN6thrust23THRUST_200600_302600_NS6detail15normal_iteratorINS9_10device_ptrIfEEEEPS5_jNS0_19identity_decomposerEEE10hipError_tT1_T2_PT3_SK_jT4_jjP12ihipStream_tbEUlT_E_NS1_11comp_targetILNS1_3genE3ELNS1_11target_archE908ELNS1_3gpuE7ELNS1_3repE0EEENS1_52radix_sort_onesweep_histogram_config_static_selectorELNS0_4arch9wavefront6targetE0EEEvSI_
	.globl	_ZN7rocprim17ROCPRIM_400000_NS6detail17trampoline_kernelINS0_14default_configENS1_35radix_sort_onesweep_config_selectorIfNS0_10empty_typeEEEZNS1_34radix_sort_onesweep_global_offsetsIS3_Lb0EN6thrust23THRUST_200600_302600_NS6detail15normal_iteratorINS9_10device_ptrIfEEEEPS5_jNS0_19identity_decomposerEEE10hipError_tT1_T2_PT3_SK_jT4_jjP12ihipStream_tbEUlT_E_NS1_11comp_targetILNS1_3genE3ELNS1_11target_archE908ELNS1_3gpuE7ELNS1_3repE0EEENS1_52radix_sort_onesweep_histogram_config_static_selectorELNS0_4arch9wavefront6targetE0EEEvSI_
	.p2align	8
	.type	_ZN7rocprim17ROCPRIM_400000_NS6detail17trampoline_kernelINS0_14default_configENS1_35radix_sort_onesweep_config_selectorIfNS0_10empty_typeEEEZNS1_34radix_sort_onesweep_global_offsetsIS3_Lb0EN6thrust23THRUST_200600_302600_NS6detail15normal_iteratorINS9_10device_ptrIfEEEEPS5_jNS0_19identity_decomposerEEE10hipError_tT1_T2_PT3_SK_jT4_jjP12ihipStream_tbEUlT_E_NS1_11comp_targetILNS1_3genE3ELNS1_11target_archE908ELNS1_3gpuE7ELNS1_3repE0EEENS1_52radix_sort_onesweep_histogram_config_static_selectorELNS0_4arch9wavefront6targetE0EEEvSI_,@function
_ZN7rocprim17ROCPRIM_400000_NS6detail17trampoline_kernelINS0_14default_configENS1_35radix_sort_onesweep_config_selectorIfNS0_10empty_typeEEEZNS1_34radix_sort_onesweep_global_offsetsIS3_Lb0EN6thrust23THRUST_200600_302600_NS6detail15normal_iteratorINS9_10device_ptrIfEEEEPS5_jNS0_19identity_decomposerEEE10hipError_tT1_T2_PT3_SK_jT4_jjP12ihipStream_tbEUlT_E_NS1_11comp_targetILNS1_3genE3ELNS1_11target_archE908ELNS1_3gpuE7ELNS1_3repE0EEENS1_52radix_sort_onesweep_histogram_config_static_selectorELNS0_4arch9wavefront6targetE0EEEvSI_: ; @_ZN7rocprim17ROCPRIM_400000_NS6detail17trampoline_kernelINS0_14default_configENS1_35radix_sort_onesweep_config_selectorIfNS0_10empty_typeEEEZNS1_34radix_sort_onesweep_global_offsetsIS3_Lb0EN6thrust23THRUST_200600_302600_NS6detail15normal_iteratorINS9_10device_ptrIfEEEEPS5_jNS0_19identity_decomposerEEE10hipError_tT1_T2_PT3_SK_jT4_jjP12ihipStream_tbEUlT_E_NS1_11comp_targetILNS1_3genE3ELNS1_11target_archE908ELNS1_3gpuE7ELNS1_3repE0EEENS1_52radix_sort_onesweep_histogram_config_static_selectorELNS0_4arch9wavefront6targetE0EEEvSI_
; %bb.0:
	.section	.rodata,"a",@progbits
	.p2align	6, 0x0
	.amdhsa_kernel _ZN7rocprim17ROCPRIM_400000_NS6detail17trampoline_kernelINS0_14default_configENS1_35radix_sort_onesweep_config_selectorIfNS0_10empty_typeEEEZNS1_34radix_sort_onesweep_global_offsetsIS3_Lb0EN6thrust23THRUST_200600_302600_NS6detail15normal_iteratorINS9_10device_ptrIfEEEEPS5_jNS0_19identity_decomposerEEE10hipError_tT1_T2_PT3_SK_jT4_jjP12ihipStream_tbEUlT_E_NS1_11comp_targetILNS1_3genE3ELNS1_11target_archE908ELNS1_3gpuE7ELNS1_3repE0EEENS1_52radix_sort_onesweep_histogram_config_static_selectorELNS0_4arch9wavefront6targetE0EEEvSI_
		.amdhsa_group_segment_fixed_size 0
		.amdhsa_private_segment_fixed_size 0
		.amdhsa_kernarg_size 40
		.amdhsa_user_sgpr_count 6
		.amdhsa_user_sgpr_private_segment_buffer 1
		.amdhsa_user_sgpr_dispatch_ptr 0
		.amdhsa_user_sgpr_queue_ptr 0
		.amdhsa_user_sgpr_kernarg_segment_ptr 1
		.amdhsa_user_sgpr_dispatch_id 0
		.amdhsa_user_sgpr_flat_scratch_init 0
		.amdhsa_user_sgpr_private_segment_size 0
		.amdhsa_wavefront_size32 1
		.amdhsa_uses_dynamic_stack 0
		.amdhsa_system_sgpr_private_segment_wavefront_offset 0
		.amdhsa_system_sgpr_workgroup_id_x 1
		.amdhsa_system_sgpr_workgroup_id_y 0
		.amdhsa_system_sgpr_workgroup_id_z 0
		.amdhsa_system_sgpr_workgroup_info 0
		.amdhsa_system_vgpr_workitem_id 0
		.amdhsa_next_free_vgpr 1
		.amdhsa_next_free_sgpr 1
		.amdhsa_reserve_vcc 0
		.amdhsa_reserve_flat_scratch 0
		.amdhsa_float_round_mode_32 0
		.amdhsa_float_round_mode_16_64 0
		.amdhsa_float_denorm_mode_32 3
		.amdhsa_float_denorm_mode_16_64 3
		.amdhsa_dx10_clamp 1
		.amdhsa_ieee_mode 1
		.amdhsa_fp16_overflow 0
		.amdhsa_workgroup_processor_mode 1
		.amdhsa_memory_ordered 1
		.amdhsa_forward_progress 1
		.amdhsa_shared_vgpr_count 0
		.amdhsa_exception_fp_ieee_invalid_op 0
		.amdhsa_exception_fp_denorm_src 0
		.amdhsa_exception_fp_ieee_div_zero 0
		.amdhsa_exception_fp_ieee_overflow 0
		.amdhsa_exception_fp_ieee_underflow 0
		.amdhsa_exception_fp_ieee_inexact 0
		.amdhsa_exception_int_div_zero 0
	.end_amdhsa_kernel
	.section	.text._ZN7rocprim17ROCPRIM_400000_NS6detail17trampoline_kernelINS0_14default_configENS1_35radix_sort_onesweep_config_selectorIfNS0_10empty_typeEEEZNS1_34radix_sort_onesweep_global_offsetsIS3_Lb0EN6thrust23THRUST_200600_302600_NS6detail15normal_iteratorINS9_10device_ptrIfEEEEPS5_jNS0_19identity_decomposerEEE10hipError_tT1_T2_PT3_SK_jT4_jjP12ihipStream_tbEUlT_E_NS1_11comp_targetILNS1_3genE3ELNS1_11target_archE908ELNS1_3gpuE7ELNS1_3repE0EEENS1_52radix_sort_onesweep_histogram_config_static_selectorELNS0_4arch9wavefront6targetE0EEEvSI_,"axG",@progbits,_ZN7rocprim17ROCPRIM_400000_NS6detail17trampoline_kernelINS0_14default_configENS1_35radix_sort_onesweep_config_selectorIfNS0_10empty_typeEEEZNS1_34radix_sort_onesweep_global_offsetsIS3_Lb0EN6thrust23THRUST_200600_302600_NS6detail15normal_iteratorINS9_10device_ptrIfEEEEPS5_jNS0_19identity_decomposerEEE10hipError_tT1_T2_PT3_SK_jT4_jjP12ihipStream_tbEUlT_E_NS1_11comp_targetILNS1_3genE3ELNS1_11target_archE908ELNS1_3gpuE7ELNS1_3repE0EEENS1_52radix_sort_onesweep_histogram_config_static_selectorELNS0_4arch9wavefront6targetE0EEEvSI_,comdat
.Lfunc_end537:
	.size	_ZN7rocprim17ROCPRIM_400000_NS6detail17trampoline_kernelINS0_14default_configENS1_35radix_sort_onesweep_config_selectorIfNS0_10empty_typeEEEZNS1_34radix_sort_onesweep_global_offsetsIS3_Lb0EN6thrust23THRUST_200600_302600_NS6detail15normal_iteratorINS9_10device_ptrIfEEEEPS5_jNS0_19identity_decomposerEEE10hipError_tT1_T2_PT3_SK_jT4_jjP12ihipStream_tbEUlT_E_NS1_11comp_targetILNS1_3genE3ELNS1_11target_archE908ELNS1_3gpuE7ELNS1_3repE0EEENS1_52radix_sort_onesweep_histogram_config_static_selectorELNS0_4arch9wavefront6targetE0EEEvSI_, .Lfunc_end537-_ZN7rocprim17ROCPRIM_400000_NS6detail17trampoline_kernelINS0_14default_configENS1_35radix_sort_onesweep_config_selectorIfNS0_10empty_typeEEEZNS1_34radix_sort_onesweep_global_offsetsIS3_Lb0EN6thrust23THRUST_200600_302600_NS6detail15normal_iteratorINS9_10device_ptrIfEEEEPS5_jNS0_19identity_decomposerEEE10hipError_tT1_T2_PT3_SK_jT4_jjP12ihipStream_tbEUlT_E_NS1_11comp_targetILNS1_3genE3ELNS1_11target_archE908ELNS1_3gpuE7ELNS1_3repE0EEENS1_52radix_sort_onesweep_histogram_config_static_selectorELNS0_4arch9wavefront6targetE0EEEvSI_
                                        ; -- End function
	.set _ZN7rocprim17ROCPRIM_400000_NS6detail17trampoline_kernelINS0_14default_configENS1_35radix_sort_onesweep_config_selectorIfNS0_10empty_typeEEEZNS1_34radix_sort_onesweep_global_offsetsIS3_Lb0EN6thrust23THRUST_200600_302600_NS6detail15normal_iteratorINS9_10device_ptrIfEEEEPS5_jNS0_19identity_decomposerEEE10hipError_tT1_T2_PT3_SK_jT4_jjP12ihipStream_tbEUlT_E_NS1_11comp_targetILNS1_3genE3ELNS1_11target_archE908ELNS1_3gpuE7ELNS1_3repE0EEENS1_52radix_sort_onesweep_histogram_config_static_selectorELNS0_4arch9wavefront6targetE0EEEvSI_.num_vgpr, 0
	.set _ZN7rocprim17ROCPRIM_400000_NS6detail17trampoline_kernelINS0_14default_configENS1_35radix_sort_onesweep_config_selectorIfNS0_10empty_typeEEEZNS1_34radix_sort_onesweep_global_offsetsIS3_Lb0EN6thrust23THRUST_200600_302600_NS6detail15normal_iteratorINS9_10device_ptrIfEEEEPS5_jNS0_19identity_decomposerEEE10hipError_tT1_T2_PT3_SK_jT4_jjP12ihipStream_tbEUlT_E_NS1_11comp_targetILNS1_3genE3ELNS1_11target_archE908ELNS1_3gpuE7ELNS1_3repE0EEENS1_52radix_sort_onesweep_histogram_config_static_selectorELNS0_4arch9wavefront6targetE0EEEvSI_.num_agpr, 0
	.set _ZN7rocprim17ROCPRIM_400000_NS6detail17trampoline_kernelINS0_14default_configENS1_35radix_sort_onesweep_config_selectorIfNS0_10empty_typeEEEZNS1_34radix_sort_onesweep_global_offsetsIS3_Lb0EN6thrust23THRUST_200600_302600_NS6detail15normal_iteratorINS9_10device_ptrIfEEEEPS5_jNS0_19identity_decomposerEEE10hipError_tT1_T2_PT3_SK_jT4_jjP12ihipStream_tbEUlT_E_NS1_11comp_targetILNS1_3genE3ELNS1_11target_archE908ELNS1_3gpuE7ELNS1_3repE0EEENS1_52radix_sort_onesweep_histogram_config_static_selectorELNS0_4arch9wavefront6targetE0EEEvSI_.numbered_sgpr, 0
	.set _ZN7rocprim17ROCPRIM_400000_NS6detail17trampoline_kernelINS0_14default_configENS1_35radix_sort_onesweep_config_selectorIfNS0_10empty_typeEEEZNS1_34radix_sort_onesweep_global_offsetsIS3_Lb0EN6thrust23THRUST_200600_302600_NS6detail15normal_iteratorINS9_10device_ptrIfEEEEPS5_jNS0_19identity_decomposerEEE10hipError_tT1_T2_PT3_SK_jT4_jjP12ihipStream_tbEUlT_E_NS1_11comp_targetILNS1_3genE3ELNS1_11target_archE908ELNS1_3gpuE7ELNS1_3repE0EEENS1_52radix_sort_onesweep_histogram_config_static_selectorELNS0_4arch9wavefront6targetE0EEEvSI_.num_named_barrier, 0
	.set _ZN7rocprim17ROCPRIM_400000_NS6detail17trampoline_kernelINS0_14default_configENS1_35radix_sort_onesweep_config_selectorIfNS0_10empty_typeEEEZNS1_34radix_sort_onesweep_global_offsetsIS3_Lb0EN6thrust23THRUST_200600_302600_NS6detail15normal_iteratorINS9_10device_ptrIfEEEEPS5_jNS0_19identity_decomposerEEE10hipError_tT1_T2_PT3_SK_jT4_jjP12ihipStream_tbEUlT_E_NS1_11comp_targetILNS1_3genE3ELNS1_11target_archE908ELNS1_3gpuE7ELNS1_3repE0EEENS1_52radix_sort_onesweep_histogram_config_static_selectorELNS0_4arch9wavefront6targetE0EEEvSI_.private_seg_size, 0
	.set _ZN7rocprim17ROCPRIM_400000_NS6detail17trampoline_kernelINS0_14default_configENS1_35radix_sort_onesweep_config_selectorIfNS0_10empty_typeEEEZNS1_34radix_sort_onesweep_global_offsetsIS3_Lb0EN6thrust23THRUST_200600_302600_NS6detail15normal_iteratorINS9_10device_ptrIfEEEEPS5_jNS0_19identity_decomposerEEE10hipError_tT1_T2_PT3_SK_jT4_jjP12ihipStream_tbEUlT_E_NS1_11comp_targetILNS1_3genE3ELNS1_11target_archE908ELNS1_3gpuE7ELNS1_3repE0EEENS1_52radix_sort_onesweep_histogram_config_static_selectorELNS0_4arch9wavefront6targetE0EEEvSI_.uses_vcc, 0
	.set _ZN7rocprim17ROCPRIM_400000_NS6detail17trampoline_kernelINS0_14default_configENS1_35radix_sort_onesweep_config_selectorIfNS0_10empty_typeEEEZNS1_34radix_sort_onesweep_global_offsetsIS3_Lb0EN6thrust23THRUST_200600_302600_NS6detail15normal_iteratorINS9_10device_ptrIfEEEEPS5_jNS0_19identity_decomposerEEE10hipError_tT1_T2_PT3_SK_jT4_jjP12ihipStream_tbEUlT_E_NS1_11comp_targetILNS1_3genE3ELNS1_11target_archE908ELNS1_3gpuE7ELNS1_3repE0EEENS1_52radix_sort_onesweep_histogram_config_static_selectorELNS0_4arch9wavefront6targetE0EEEvSI_.uses_flat_scratch, 0
	.set _ZN7rocprim17ROCPRIM_400000_NS6detail17trampoline_kernelINS0_14default_configENS1_35radix_sort_onesweep_config_selectorIfNS0_10empty_typeEEEZNS1_34radix_sort_onesweep_global_offsetsIS3_Lb0EN6thrust23THRUST_200600_302600_NS6detail15normal_iteratorINS9_10device_ptrIfEEEEPS5_jNS0_19identity_decomposerEEE10hipError_tT1_T2_PT3_SK_jT4_jjP12ihipStream_tbEUlT_E_NS1_11comp_targetILNS1_3genE3ELNS1_11target_archE908ELNS1_3gpuE7ELNS1_3repE0EEENS1_52radix_sort_onesweep_histogram_config_static_selectorELNS0_4arch9wavefront6targetE0EEEvSI_.has_dyn_sized_stack, 0
	.set _ZN7rocprim17ROCPRIM_400000_NS6detail17trampoline_kernelINS0_14default_configENS1_35radix_sort_onesweep_config_selectorIfNS0_10empty_typeEEEZNS1_34radix_sort_onesweep_global_offsetsIS3_Lb0EN6thrust23THRUST_200600_302600_NS6detail15normal_iteratorINS9_10device_ptrIfEEEEPS5_jNS0_19identity_decomposerEEE10hipError_tT1_T2_PT3_SK_jT4_jjP12ihipStream_tbEUlT_E_NS1_11comp_targetILNS1_3genE3ELNS1_11target_archE908ELNS1_3gpuE7ELNS1_3repE0EEENS1_52radix_sort_onesweep_histogram_config_static_selectorELNS0_4arch9wavefront6targetE0EEEvSI_.has_recursion, 0
	.set _ZN7rocprim17ROCPRIM_400000_NS6detail17trampoline_kernelINS0_14default_configENS1_35radix_sort_onesweep_config_selectorIfNS0_10empty_typeEEEZNS1_34radix_sort_onesweep_global_offsetsIS3_Lb0EN6thrust23THRUST_200600_302600_NS6detail15normal_iteratorINS9_10device_ptrIfEEEEPS5_jNS0_19identity_decomposerEEE10hipError_tT1_T2_PT3_SK_jT4_jjP12ihipStream_tbEUlT_E_NS1_11comp_targetILNS1_3genE3ELNS1_11target_archE908ELNS1_3gpuE7ELNS1_3repE0EEENS1_52radix_sort_onesweep_histogram_config_static_selectorELNS0_4arch9wavefront6targetE0EEEvSI_.has_indirect_call, 0
	.section	.AMDGPU.csdata,"",@progbits
; Kernel info:
; codeLenInByte = 0
; TotalNumSgprs: 0
; NumVgprs: 0
; ScratchSize: 0
; MemoryBound: 0
; FloatMode: 240
; IeeeMode: 1
; LDSByteSize: 0 bytes/workgroup (compile time only)
; SGPRBlocks: 0
; VGPRBlocks: 0
; NumSGPRsForWavesPerEU: 1
; NumVGPRsForWavesPerEU: 1
; Occupancy: 16
; WaveLimiterHint : 0
; COMPUTE_PGM_RSRC2:SCRATCH_EN: 0
; COMPUTE_PGM_RSRC2:USER_SGPR: 6
; COMPUTE_PGM_RSRC2:TRAP_HANDLER: 0
; COMPUTE_PGM_RSRC2:TGID_X_EN: 1
; COMPUTE_PGM_RSRC2:TGID_Y_EN: 0
; COMPUTE_PGM_RSRC2:TGID_Z_EN: 0
; COMPUTE_PGM_RSRC2:TIDIG_COMP_CNT: 0
	.section	.text._ZN7rocprim17ROCPRIM_400000_NS6detail17trampoline_kernelINS0_14default_configENS1_35radix_sort_onesweep_config_selectorIfNS0_10empty_typeEEEZNS1_34radix_sort_onesweep_global_offsetsIS3_Lb0EN6thrust23THRUST_200600_302600_NS6detail15normal_iteratorINS9_10device_ptrIfEEEEPS5_jNS0_19identity_decomposerEEE10hipError_tT1_T2_PT3_SK_jT4_jjP12ihipStream_tbEUlT_E_NS1_11comp_targetILNS1_3genE10ELNS1_11target_archE1201ELNS1_3gpuE5ELNS1_3repE0EEENS1_52radix_sort_onesweep_histogram_config_static_selectorELNS0_4arch9wavefront6targetE0EEEvSI_,"axG",@progbits,_ZN7rocprim17ROCPRIM_400000_NS6detail17trampoline_kernelINS0_14default_configENS1_35radix_sort_onesweep_config_selectorIfNS0_10empty_typeEEEZNS1_34radix_sort_onesweep_global_offsetsIS3_Lb0EN6thrust23THRUST_200600_302600_NS6detail15normal_iteratorINS9_10device_ptrIfEEEEPS5_jNS0_19identity_decomposerEEE10hipError_tT1_T2_PT3_SK_jT4_jjP12ihipStream_tbEUlT_E_NS1_11comp_targetILNS1_3genE10ELNS1_11target_archE1201ELNS1_3gpuE5ELNS1_3repE0EEENS1_52radix_sort_onesweep_histogram_config_static_selectorELNS0_4arch9wavefront6targetE0EEEvSI_,comdat
	.protected	_ZN7rocprim17ROCPRIM_400000_NS6detail17trampoline_kernelINS0_14default_configENS1_35radix_sort_onesweep_config_selectorIfNS0_10empty_typeEEEZNS1_34radix_sort_onesweep_global_offsetsIS3_Lb0EN6thrust23THRUST_200600_302600_NS6detail15normal_iteratorINS9_10device_ptrIfEEEEPS5_jNS0_19identity_decomposerEEE10hipError_tT1_T2_PT3_SK_jT4_jjP12ihipStream_tbEUlT_E_NS1_11comp_targetILNS1_3genE10ELNS1_11target_archE1201ELNS1_3gpuE5ELNS1_3repE0EEENS1_52radix_sort_onesweep_histogram_config_static_selectorELNS0_4arch9wavefront6targetE0EEEvSI_ ; -- Begin function _ZN7rocprim17ROCPRIM_400000_NS6detail17trampoline_kernelINS0_14default_configENS1_35radix_sort_onesweep_config_selectorIfNS0_10empty_typeEEEZNS1_34radix_sort_onesweep_global_offsetsIS3_Lb0EN6thrust23THRUST_200600_302600_NS6detail15normal_iteratorINS9_10device_ptrIfEEEEPS5_jNS0_19identity_decomposerEEE10hipError_tT1_T2_PT3_SK_jT4_jjP12ihipStream_tbEUlT_E_NS1_11comp_targetILNS1_3genE10ELNS1_11target_archE1201ELNS1_3gpuE5ELNS1_3repE0EEENS1_52radix_sort_onesweep_histogram_config_static_selectorELNS0_4arch9wavefront6targetE0EEEvSI_
	.globl	_ZN7rocprim17ROCPRIM_400000_NS6detail17trampoline_kernelINS0_14default_configENS1_35radix_sort_onesweep_config_selectorIfNS0_10empty_typeEEEZNS1_34radix_sort_onesweep_global_offsetsIS3_Lb0EN6thrust23THRUST_200600_302600_NS6detail15normal_iteratorINS9_10device_ptrIfEEEEPS5_jNS0_19identity_decomposerEEE10hipError_tT1_T2_PT3_SK_jT4_jjP12ihipStream_tbEUlT_E_NS1_11comp_targetILNS1_3genE10ELNS1_11target_archE1201ELNS1_3gpuE5ELNS1_3repE0EEENS1_52radix_sort_onesweep_histogram_config_static_selectorELNS0_4arch9wavefront6targetE0EEEvSI_
	.p2align	8
	.type	_ZN7rocprim17ROCPRIM_400000_NS6detail17trampoline_kernelINS0_14default_configENS1_35radix_sort_onesweep_config_selectorIfNS0_10empty_typeEEEZNS1_34radix_sort_onesweep_global_offsetsIS3_Lb0EN6thrust23THRUST_200600_302600_NS6detail15normal_iteratorINS9_10device_ptrIfEEEEPS5_jNS0_19identity_decomposerEEE10hipError_tT1_T2_PT3_SK_jT4_jjP12ihipStream_tbEUlT_E_NS1_11comp_targetILNS1_3genE10ELNS1_11target_archE1201ELNS1_3gpuE5ELNS1_3repE0EEENS1_52radix_sort_onesweep_histogram_config_static_selectorELNS0_4arch9wavefront6targetE0EEEvSI_,@function
_ZN7rocprim17ROCPRIM_400000_NS6detail17trampoline_kernelINS0_14default_configENS1_35radix_sort_onesweep_config_selectorIfNS0_10empty_typeEEEZNS1_34radix_sort_onesweep_global_offsetsIS3_Lb0EN6thrust23THRUST_200600_302600_NS6detail15normal_iteratorINS9_10device_ptrIfEEEEPS5_jNS0_19identity_decomposerEEE10hipError_tT1_T2_PT3_SK_jT4_jjP12ihipStream_tbEUlT_E_NS1_11comp_targetILNS1_3genE10ELNS1_11target_archE1201ELNS1_3gpuE5ELNS1_3repE0EEENS1_52radix_sort_onesweep_histogram_config_static_selectorELNS0_4arch9wavefront6targetE0EEEvSI_: ; @_ZN7rocprim17ROCPRIM_400000_NS6detail17trampoline_kernelINS0_14default_configENS1_35radix_sort_onesweep_config_selectorIfNS0_10empty_typeEEEZNS1_34radix_sort_onesweep_global_offsetsIS3_Lb0EN6thrust23THRUST_200600_302600_NS6detail15normal_iteratorINS9_10device_ptrIfEEEEPS5_jNS0_19identity_decomposerEEE10hipError_tT1_T2_PT3_SK_jT4_jjP12ihipStream_tbEUlT_E_NS1_11comp_targetILNS1_3genE10ELNS1_11target_archE1201ELNS1_3gpuE5ELNS1_3repE0EEENS1_52radix_sort_onesweep_histogram_config_static_selectorELNS0_4arch9wavefront6targetE0EEEvSI_
; %bb.0:
	.section	.rodata,"a",@progbits
	.p2align	6, 0x0
	.amdhsa_kernel _ZN7rocprim17ROCPRIM_400000_NS6detail17trampoline_kernelINS0_14default_configENS1_35radix_sort_onesweep_config_selectorIfNS0_10empty_typeEEEZNS1_34radix_sort_onesweep_global_offsetsIS3_Lb0EN6thrust23THRUST_200600_302600_NS6detail15normal_iteratorINS9_10device_ptrIfEEEEPS5_jNS0_19identity_decomposerEEE10hipError_tT1_T2_PT3_SK_jT4_jjP12ihipStream_tbEUlT_E_NS1_11comp_targetILNS1_3genE10ELNS1_11target_archE1201ELNS1_3gpuE5ELNS1_3repE0EEENS1_52radix_sort_onesweep_histogram_config_static_selectorELNS0_4arch9wavefront6targetE0EEEvSI_
		.amdhsa_group_segment_fixed_size 0
		.amdhsa_private_segment_fixed_size 0
		.amdhsa_kernarg_size 40
		.amdhsa_user_sgpr_count 6
		.amdhsa_user_sgpr_private_segment_buffer 1
		.amdhsa_user_sgpr_dispatch_ptr 0
		.amdhsa_user_sgpr_queue_ptr 0
		.amdhsa_user_sgpr_kernarg_segment_ptr 1
		.amdhsa_user_sgpr_dispatch_id 0
		.amdhsa_user_sgpr_flat_scratch_init 0
		.amdhsa_user_sgpr_private_segment_size 0
		.amdhsa_wavefront_size32 1
		.amdhsa_uses_dynamic_stack 0
		.amdhsa_system_sgpr_private_segment_wavefront_offset 0
		.amdhsa_system_sgpr_workgroup_id_x 1
		.amdhsa_system_sgpr_workgroup_id_y 0
		.amdhsa_system_sgpr_workgroup_id_z 0
		.amdhsa_system_sgpr_workgroup_info 0
		.amdhsa_system_vgpr_workitem_id 0
		.amdhsa_next_free_vgpr 1
		.amdhsa_next_free_sgpr 1
		.amdhsa_reserve_vcc 0
		.amdhsa_reserve_flat_scratch 0
		.amdhsa_float_round_mode_32 0
		.amdhsa_float_round_mode_16_64 0
		.amdhsa_float_denorm_mode_32 3
		.amdhsa_float_denorm_mode_16_64 3
		.amdhsa_dx10_clamp 1
		.amdhsa_ieee_mode 1
		.amdhsa_fp16_overflow 0
		.amdhsa_workgroup_processor_mode 1
		.amdhsa_memory_ordered 1
		.amdhsa_forward_progress 1
		.amdhsa_shared_vgpr_count 0
		.amdhsa_exception_fp_ieee_invalid_op 0
		.amdhsa_exception_fp_denorm_src 0
		.amdhsa_exception_fp_ieee_div_zero 0
		.amdhsa_exception_fp_ieee_overflow 0
		.amdhsa_exception_fp_ieee_underflow 0
		.amdhsa_exception_fp_ieee_inexact 0
		.amdhsa_exception_int_div_zero 0
	.end_amdhsa_kernel
	.section	.text._ZN7rocprim17ROCPRIM_400000_NS6detail17trampoline_kernelINS0_14default_configENS1_35radix_sort_onesweep_config_selectorIfNS0_10empty_typeEEEZNS1_34radix_sort_onesweep_global_offsetsIS3_Lb0EN6thrust23THRUST_200600_302600_NS6detail15normal_iteratorINS9_10device_ptrIfEEEEPS5_jNS0_19identity_decomposerEEE10hipError_tT1_T2_PT3_SK_jT4_jjP12ihipStream_tbEUlT_E_NS1_11comp_targetILNS1_3genE10ELNS1_11target_archE1201ELNS1_3gpuE5ELNS1_3repE0EEENS1_52radix_sort_onesweep_histogram_config_static_selectorELNS0_4arch9wavefront6targetE0EEEvSI_,"axG",@progbits,_ZN7rocprim17ROCPRIM_400000_NS6detail17trampoline_kernelINS0_14default_configENS1_35radix_sort_onesweep_config_selectorIfNS0_10empty_typeEEEZNS1_34radix_sort_onesweep_global_offsetsIS3_Lb0EN6thrust23THRUST_200600_302600_NS6detail15normal_iteratorINS9_10device_ptrIfEEEEPS5_jNS0_19identity_decomposerEEE10hipError_tT1_T2_PT3_SK_jT4_jjP12ihipStream_tbEUlT_E_NS1_11comp_targetILNS1_3genE10ELNS1_11target_archE1201ELNS1_3gpuE5ELNS1_3repE0EEENS1_52radix_sort_onesweep_histogram_config_static_selectorELNS0_4arch9wavefront6targetE0EEEvSI_,comdat
.Lfunc_end538:
	.size	_ZN7rocprim17ROCPRIM_400000_NS6detail17trampoline_kernelINS0_14default_configENS1_35radix_sort_onesweep_config_selectorIfNS0_10empty_typeEEEZNS1_34radix_sort_onesweep_global_offsetsIS3_Lb0EN6thrust23THRUST_200600_302600_NS6detail15normal_iteratorINS9_10device_ptrIfEEEEPS5_jNS0_19identity_decomposerEEE10hipError_tT1_T2_PT3_SK_jT4_jjP12ihipStream_tbEUlT_E_NS1_11comp_targetILNS1_3genE10ELNS1_11target_archE1201ELNS1_3gpuE5ELNS1_3repE0EEENS1_52radix_sort_onesweep_histogram_config_static_selectorELNS0_4arch9wavefront6targetE0EEEvSI_, .Lfunc_end538-_ZN7rocprim17ROCPRIM_400000_NS6detail17trampoline_kernelINS0_14default_configENS1_35radix_sort_onesweep_config_selectorIfNS0_10empty_typeEEEZNS1_34radix_sort_onesweep_global_offsetsIS3_Lb0EN6thrust23THRUST_200600_302600_NS6detail15normal_iteratorINS9_10device_ptrIfEEEEPS5_jNS0_19identity_decomposerEEE10hipError_tT1_T2_PT3_SK_jT4_jjP12ihipStream_tbEUlT_E_NS1_11comp_targetILNS1_3genE10ELNS1_11target_archE1201ELNS1_3gpuE5ELNS1_3repE0EEENS1_52radix_sort_onesweep_histogram_config_static_selectorELNS0_4arch9wavefront6targetE0EEEvSI_
                                        ; -- End function
	.set _ZN7rocprim17ROCPRIM_400000_NS6detail17trampoline_kernelINS0_14default_configENS1_35radix_sort_onesweep_config_selectorIfNS0_10empty_typeEEEZNS1_34radix_sort_onesweep_global_offsetsIS3_Lb0EN6thrust23THRUST_200600_302600_NS6detail15normal_iteratorINS9_10device_ptrIfEEEEPS5_jNS0_19identity_decomposerEEE10hipError_tT1_T2_PT3_SK_jT4_jjP12ihipStream_tbEUlT_E_NS1_11comp_targetILNS1_3genE10ELNS1_11target_archE1201ELNS1_3gpuE5ELNS1_3repE0EEENS1_52radix_sort_onesweep_histogram_config_static_selectorELNS0_4arch9wavefront6targetE0EEEvSI_.num_vgpr, 0
	.set _ZN7rocprim17ROCPRIM_400000_NS6detail17trampoline_kernelINS0_14default_configENS1_35radix_sort_onesweep_config_selectorIfNS0_10empty_typeEEEZNS1_34radix_sort_onesweep_global_offsetsIS3_Lb0EN6thrust23THRUST_200600_302600_NS6detail15normal_iteratorINS9_10device_ptrIfEEEEPS5_jNS0_19identity_decomposerEEE10hipError_tT1_T2_PT3_SK_jT4_jjP12ihipStream_tbEUlT_E_NS1_11comp_targetILNS1_3genE10ELNS1_11target_archE1201ELNS1_3gpuE5ELNS1_3repE0EEENS1_52radix_sort_onesweep_histogram_config_static_selectorELNS0_4arch9wavefront6targetE0EEEvSI_.num_agpr, 0
	.set _ZN7rocprim17ROCPRIM_400000_NS6detail17trampoline_kernelINS0_14default_configENS1_35radix_sort_onesweep_config_selectorIfNS0_10empty_typeEEEZNS1_34radix_sort_onesweep_global_offsetsIS3_Lb0EN6thrust23THRUST_200600_302600_NS6detail15normal_iteratorINS9_10device_ptrIfEEEEPS5_jNS0_19identity_decomposerEEE10hipError_tT1_T2_PT3_SK_jT4_jjP12ihipStream_tbEUlT_E_NS1_11comp_targetILNS1_3genE10ELNS1_11target_archE1201ELNS1_3gpuE5ELNS1_3repE0EEENS1_52radix_sort_onesweep_histogram_config_static_selectorELNS0_4arch9wavefront6targetE0EEEvSI_.numbered_sgpr, 0
	.set _ZN7rocprim17ROCPRIM_400000_NS6detail17trampoline_kernelINS0_14default_configENS1_35radix_sort_onesweep_config_selectorIfNS0_10empty_typeEEEZNS1_34radix_sort_onesweep_global_offsetsIS3_Lb0EN6thrust23THRUST_200600_302600_NS6detail15normal_iteratorINS9_10device_ptrIfEEEEPS5_jNS0_19identity_decomposerEEE10hipError_tT1_T2_PT3_SK_jT4_jjP12ihipStream_tbEUlT_E_NS1_11comp_targetILNS1_3genE10ELNS1_11target_archE1201ELNS1_3gpuE5ELNS1_3repE0EEENS1_52radix_sort_onesweep_histogram_config_static_selectorELNS0_4arch9wavefront6targetE0EEEvSI_.num_named_barrier, 0
	.set _ZN7rocprim17ROCPRIM_400000_NS6detail17trampoline_kernelINS0_14default_configENS1_35radix_sort_onesweep_config_selectorIfNS0_10empty_typeEEEZNS1_34radix_sort_onesweep_global_offsetsIS3_Lb0EN6thrust23THRUST_200600_302600_NS6detail15normal_iteratorINS9_10device_ptrIfEEEEPS5_jNS0_19identity_decomposerEEE10hipError_tT1_T2_PT3_SK_jT4_jjP12ihipStream_tbEUlT_E_NS1_11comp_targetILNS1_3genE10ELNS1_11target_archE1201ELNS1_3gpuE5ELNS1_3repE0EEENS1_52radix_sort_onesweep_histogram_config_static_selectorELNS0_4arch9wavefront6targetE0EEEvSI_.private_seg_size, 0
	.set _ZN7rocprim17ROCPRIM_400000_NS6detail17trampoline_kernelINS0_14default_configENS1_35radix_sort_onesweep_config_selectorIfNS0_10empty_typeEEEZNS1_34radix_sort_onesweep_global_offsetsIS3_Lb0EN6thrust23THRUST_200600_302600_NS6detail15normal_iteratorINS9_10device_ptrIfEEEEPS5_jNS0_19identity_decomposerEEE10hipError_tT1_T2_PT3_SK_jT4_jjP12ihipStream_tbEUlT_E_NS1_11comp_targetILNS1_3genE10ELNS1_11target_archE1201ELNS1_3gpuE5ELNS1_3repE0EEENS1_52radix_sort_onesweep_histogram_config_static_selectorELNS0_4arch9wavefront6targetE0EEEvSI_.uses_vcc, 0
	.set _ZN7rocprim17ROCPRIM_400000_NS6detail17trampoline_kernelINS0_14default_configENS1_35radix_sort_onesweep_config_selectorIfNS0_10empty_typeEEEZNS1_34radix_sort_onesweep_global_offsetsIS3_Lb0EN6thrust23THRUST_200600_302600_NS6detail15normal_iteratorINS9_10device_ptrIfEEEEPS5_jNS0_19identity_decomposerEEE10hipError_tT1_T2_PT3_SK_jT4_jjP12ihipStream_tbEUlT_E_NS1_11comp_targetILNS1_3genE10ELNS1_11target_archE1201ELNS1_3gpuE5ELNS1_3repE0EEENS1_52radix_sort_onesweep_histogram_config_static_selectorELNS0_4arch9wavefront6targetE0EEEvSI_.uses_flat_scratch, 0
	.set _ZN7rocprim17ROCPRIM_400000_NS6detail17trampoline_kernelINS0_14default_configENS1_35radix_sort_onesweep_config_selectorIfNS0_10empty_typeEEEZNS1_34radix_sort_onesweep_global_offsetsIS3_Lb0EN6thrust23THRUST_200600_302600_NS6detail15normal_iteratorINS9_10device_ptrIfEEEEPS5_jNS0_19identity_decomposerEEE10hipError_tT1_T2_PT3_SK_jT4_jjP12ihipStream_tbEUlT_E_NS1_11comp_targetILNS1_3genE10ELNS1_11target_archE1201ELNS1_3gpuE5ELNS1_3repE0EEENS1_52radix_sort_onesweep_histogram_config_static_selectorELNS0_4arch9wavefront6targetE0EEEvSI_.has_dyn_sized_stack, 0
	.set _ZN7rocprim17ROCPRIM_400000_NS6detail17trampoline_kernelINS0_14default_configENS1_35radix_sort_onesweep_config_selectorIfNS0_10empty_typeEEEZNS1_34radix_sort_onesweep_global_offsetsIS3_Lb0EN6thrust23THRUST_200600_302600_NS6detail15normal_iteratorINS9_10device_ptrIfEEEEPS5_jNS0_19identity_decomposerEEE10hipError_tT1_T2_PT3_SK_jT4_jjP12ihipStream_tbEUlT_E_NS1_11comp_targetILNS1_3genE10ELNS1_11target_archE1201ELNS1_3gpuE5ELNS1_3repE0EEENS1_52radix_sort_onesweep_histogram_config_static_selectorELNS0_4arch9wavefront6targetE0EEEvSI_.has_recursion, 0
	.set _ZN7rocprim17ROCPRIM_400000_NS6detail17trampoline_kernelINS0_14default_configENS1_35radix_sort_onesweep_config_selectorIfNS0_10empty_typeEEEZNS1_34radix_sort_onesweep_global_offsetsIS3_Lb0EN6thrust23THRUST_200600_302600_NS6detail15normal_iteratorINS9_10device_ptrIfEEEEPS5_jNS0_19identity_decomposerEEE10hipError_tT1_T2_PT3_SK_jT4_jjP12ihipStream_tbEUlT_E_NS1_11comp_targetILNS1_3genE10ELNS1_11target_archE1201ELNS1_3gpuE5ELNS1_3repE0EEENS1_52radix_sort_onesweep_histogram_config_static_selectorELNS0_4arch9wavefront6targetE0EEEvSI_.has_indirect_call, 0
	.section	.AMDGPU.csdata,"",@progbits
; Kernel info:
; codeLenInByte = 0
; TotalNumSgprs: 0
; NumVgprs: 0
; ScratchSize: 0
; MemoryBound: 0
; FloatMode: 240
; IeeeMode: 1
; LDSByteSize: 0 bytes/workgroup (compile time only)
; SGPRBlocks: 0
; VGPRBlocks: 0
; NumSGPRsForWavesPerEU: 1
; NumVGPRsForWavesPerEU: 1
; Occupancy: 16
; WaveLimiterHint : 0
; COMPUTE_PGM_RSRC2:SCRATCH_EN: 0
; COMPUTE_PGM_RSRC2:USER_SGPR: 6
; COMPUTE_PGM_RSRC2:TRAP_HANDLER: 0
; COMPUTE_PGM_RSRC2:TGID_X_EN: 1
; COMPUTE_PGM_RSRC2:TGID_Y_EN: 0
; COMPUTE_PGM_RSRC2:TGID_Z_EN: 0
; COMPUTE_PGM_RSRC2:TIDIG_COMP_CNT: 0
	.section	.text._ZN7rocprim17ROCPRIM_400000_NS6detail17trampoline_kernelINS0_14default_configENS1_35radix_sort_onesweep_config_selectorIfNS0_10empty_typeEEEZNS1_34radix_sort_onesweep_global_offsetsIS3_Lb0EN6thrust23THRUST_200600_302600_NS6detail15normal_iteratorINS9_10device_ptrIfEEEEPS5_jNS0_19identity_decomposerEEE10hipError_tT1_T2_PT3_SK_jT4_jjP12ihipStream_tbEUlT_E_NS1_11comp_targetILNS1_3genE9ELNS1_11target_archE1100ELNS1_3gpuE3ELNS1_3repE0EEENS1_52radix_sort_onesweep_histogram_config_static_selectorELNS0_4arch9wavefront6targetE0EEEvSI_,"axG",@progbits,_ZN7rocprim17ROCPRIM_400000_NS6detail17trampoline_kernelINS0_14default_configENS1_35radix_sort_onesweep_config_selectorIfNS0_10empty_typeEEEZNS1_34radix_sort_onesweep_global_offsetsIS3_Lb0EN6thrust23THRUST_200600_302600_NS6detail15normal_iteratorINS9_10device_ptrIfEEEEPS5_jNS0_19identity_decomposerEEE10hipError_tT1_T2_PT3_SK_jT4_jjP12ihipStream_tbEUlT_E_NS1_11comp_targetILNS1_3genE9ELNS1_11target_archE1100ELNS1_3gpuE3ELNS1_3repE0EEENS1_52radix_sort_onesweep_histogram_config_static_selectorELNS0_4arch9wavefront6targetE0EEEvSI_,comdat
	.protected	_ZN7rocprim17ROCPRIM_400000_NS6detail17trampoline_kernelINS0_14default_configENS1_35radix_sort_onesweep_config_selectorIfNS0_10empty_typeEEEZNS1_34radix_sort_onesweep_global_offsetsIS3_Lb0EN6thrust23THRUST_200600_302600_NS6detail15normal_iteratorINS9_10device_ptrIfEEEEPS5_jNS0_19identity_decomposerEEE10hipError_tT1_T2_PT3_SK_jT4_jjP12ihipStream_tbEUlT_E_NS1_11comp_targetILNS1_3genE9ELNS1_11target_archE1100ELNS1_3gpuE3ELNS1_3repE0EEENS1_52radix_sort_onesweep_histogram_config_static_selectorELNS0_4arch9wavefront6targetE0EEEvSI_ ; -- Begin function _ZN7rocprim17ROCPRIM_400000_NS6detail17trampoline_kernelINS0_14default_configENS1_35radix_sort_onesweep_config_selectorIfNS0_10empty_typeEEEZNS1_34radix_sort_onesweep_global_offsetsIS3_Lb0EN6thrust23THRUST_200600_302600_NS6detail15normal_iteratorINS9_10device_ptrIfEEEEPS5_jNS0_19identity_decomposerEEE10hipError_tT1_T2_PT3_SK_jT4_jjP12ihipStream_tbEUlT_E_NS1_11comp_targetILNS1_3genE9ELNS1_11target_archE1100ELNS1_3gpuE3ELNS1_3repE0EEENS1_52radix_sort_onesweep_histogram_config_static_selectorELNS0_4arch9wavefront6targetE0EEEvSI_
	.globl	_ZN7rocprim17ROCPRIM_400000_NS6detail17trampoline_kernelINS0_14default_configENS1_35radix_sort_onesweep_config_selectorIfNS0_10empty_typeEEEZNS1_34radix_sort_onesweep_global_offsetsIS3_Lb0EN6thrust23THRUST_200600_302600_NS6detail15normal_iteratorINS9_10device_ptrIfEEEEPS5_jNS0_19identity_decomposerEEE10hipError_tT1_T2_PT3_SK_jT4_jjP12ihipStream_tbEUlT_E_NS1_11comp_targetILNS1_3genE9ELNS1_11target_archE1100ELNS1_3gpuE3ELNS1_3repE0EEENS1_52radix_sort_onesweep_histogram_config_static_selectorELNS0_4arch9wavefront6targetE0EEEvSI_
	.p2align	8
	.type	_ZN7rocprim17ROCPRIM_400000_NS6detail17trampoline_kernelINS0_14default_configENS1_35radix_sort_onesweep_config_selectorIfNS0_10empty_typeEEEZNS1_34radix_sort_onesweep_global_offsetsIS3_Lb0EN6thrust23THRUST_200600_302600_NS6detail15normal_iteratorINS9_10device_ptrIfEEEEPS5_jNS0_19identity_decomposerEEE10hipError_tT1_T2_PT3_SK_jT4_jjP12ihipStream_tbEUlT_E_NS1_11comp_targetILNS1_3genE9ELNS1_11target_archE1100ELNS1_3gpuE3ELNS1_3repE0EEENS1_52radix_sort_onesweep_histogram_config_static_selectorELNS0_4arch9wavefront6targetE0EEEvSI_,@function
_ZN7rocprim17ROCPRIM_400000_NS6detail17trampoline_kernelINS0_14default_configENS1_35radix_sort_onesweep_config_selectorIfNS0_10empty_typeEEEZNS1_34radix_sort_onesweep_global_offsetsIS3_Lb0EN6thrust23THRUST_200600_302600_NS6detail15normal_iteratorINS9_10device_ptrIfEEEEPS5_jNS0_19identity_decomposerEEE10hipError_tT1_T2_PT3_SK_jT4_jjP12ihipStream_tbEUlT_E_NS1_11comp_targetILNS1_3genE9ELNS1_11target_archE1100ELNS1_3gpuE3ELNS1_3repE0EEENS1_52radix_sort_onesweep_histogram_config_static_selectorELNS0_4arch9wavefront6targetE0EEEvSI_: ; @_ZN7rocprim17ROCPRIM_400000_NS6detail17trampoline_kernelINS0_14default_configENS1_35radix_sort_onesweep_config_selectorIfNS0_10empty_typeEEEZNS1_34radix_sort_onesweep_global_offsetsIS3_Lb0EN6thrust23THRUST_200600_302600_NS6detail15normal_iteratorINS9_10device_ptrIfEEEEPS5_jNS0_19identity_decomposerEEE10hipError_tT1_T2_PT3_SK_jT4_jjP12ihipStream_tbEUlT_E_NS1_11comp_targetILNS1_3genE9ELNS1_11target_archE1100ELNS1_3gpuE3ELNS1_3repE0EEENS1_52radix_sort_onesweep_histogram_config_static_selectorELNS0_4arch9wavefront6targetE0EEEvSI_
; %bb.0:
	.section	.rodata,"a",@progbits
	.p2align	6, 0x0
	.amdhsa_kernel _ZN7rocprim17ROCPRIM_400000_NS6detail17trampoline_kernelINS0_14default_configENS1_35radix_sort_onesweep_config_selectorIfNS0_10empty_typeEEEZNS1_34radix_sort_onesweep_global_offsetsIS3_Lb0EN6thrust23THRUST_200600_302600_NS6detail15normal_iteratorINS9_10device_ptrIfEEEEPS5_jNS0_19identity_decomposerEEE10hipError_tT1_T2_PT3_SK_jT4_jjP12ihipStream_tbEUlT_E_NS1_11comp_targetILNS1_3genE9ELNS1_11target_archE1100ELNS1_3gpuE3ELNS1_3repE0EEENS1_52radix_sort_onesweep_histogram_config_static_selectorELNS0_4arch9wavefront6targetE0EEEvSI_
		.amdhsa_group_segment_fixed_size 0
		.amdhsa_private_segment_fixed_size 0
		.amdhsa_kernarg_size 40
		.amdhsa_user_sgpr_count 6
		.amdhsa_user_sgpr_private_segment_buffer 1
		.amdhsa_user_sgpr_dispatch_ptr 0
		.amdhsa_user_sgpr_queue_ptr 0
		.amdhsa_user_sgpr_kernarg_segment_ptr 1
		.amdhsa_user_sgpr_dispatch_id 0
		.amdhsa_user_sgpr_flat_scratch_init 0
		.amdhsa_user_sgpr_private_segment_size 0
		.amdhsa_wavefront_size32 1
		.amdhsa_uses_dynamic_stack 0
		.amdhsa_system_sgpr_private_segment_wavefront_offset 0
		.amdhsa_system_sgpr_workgroup_id_x 1
		.amdhsa_system_sgpr_workgroup_id_y 0
		.amdhsa_system_sgpr_workgroup_id_z 0
		.amdhsa_system_sgpr_workgroup_info 0
		.amdhsa_system_vgpr_workitem_id 0
		.amdhsa_next_free_vgpr 1
		.amdhsa_next_free_sgpr 1
		.amdhsa_reserve_vcc 0
		.amdhsa_reserve_flat_scratch 0
		.amdhsa_float_round_mode_32 0
		.amdhsa_float_round_mode_16_64 0
		.amdhsa_float_denorm_mode_32 3
		.amdhsa_float_denorm_mode_16_64 3
		.amdhsa_dx10_clamp 1
		.amdhsa_ieee_mode 1
		.amdhsa_fp16_overflow 0
		.amdhsa_workgroup_processor_mode 1
		.amdhsa_memory_ordered 1
		.amdhsa_forward_progress 1
		.amdhsa_shared_vgpr_count 0
		.amdhsa_exception_fp_ieee_invalid_op 0
		.amdhsa_exception_fp_denorm_src 0
		.amdhsa_exception_fp_ieee_div_zero 0
		.amdhsa_exception_fp_ieee_overflow 0
		.amdhsa_exception_fp_ieee_underflow 0
		.amdhsa_exception_fp_ieee_inexact 0
		.amdhsa_exception_int_div_zero 0
	.end_amdhsa_kernel
	.section	.text._ZN7rocprim17ROCPRIM_400000_NS6detail17trampoline_kernelINS0_14default_configENS1_35radix_sort_onesweep_config_selectorIfNS0_10empty_typeEEEZNS1_34radix_sort_onesweep_global_offsetsIS3_Lb0EN6thrust23THRUST_200600_302600_NS6detail15normal_iteratorINS9_10device_ptrIfEEEEPS5_jNS0_19identity_decomposerEEE10hipError_tT1_T2_PT3_SK_jT4_jjP12ihipStream_tbEUlT_E_NS1_11comp_targetILNS1_3genE9ELNS1_11target_archE1100ELNS1_3gpuE3ELNS1_3repE0EEENS1_52radix_sort_onesweep_histogram_config_static_selectorELNS0_4arch9wavefront6targetE0EEEvSI_,"axG",@progbits,_ZN7rocprim17ROCPRIM_400000_NS6detail17trampoline_kernelINS0_14default_configENS1_35radix_sort_onesweep_config_selectorIfNS0_10empty_typeEEEZNS1_34radix_sort_onesweep_global_offsetsIS3_Lb0EN6thrust23THRUST_200600_302600_NS6detail15normal_iteratorINS9_10device_ptrIfEEEEPS5_jNS0_19identity_decomposerEEE10hipError_tT1_T2_PT3_SK_jT4_jjP12ihipStream_tbEUlT_E_NS1_11comp_targetILNS1_3genE9ELNS1_11target_archE1100ELNS1_3gpuE3ELNS1_3repE0EEENS1_52radix_sort_onesweep_histogram_config_static_selectorELNS0_4arch9wavefront6targetE0EEEvSI_,comdat
.Lfunc_end539:
	.size	_ZN7rocprim17ROCPRIM_400000_NS6detail17trampoline_kernelINS0_14default_configENS1_35radix_sort_onesweep_config_selectorIfNS0_10empty_typeEEEZNS1_34radix_sort_onesweep_global_offsetsIS3_Lb0EN6thrust23THRUST_200600_302600_NS6detail15normal_iteratorINS9_10device_ptrIfEEEEPS5_jNS0_19identity_decomposerEEE10hipError_tT1_T2_PT3_SK_jT4_jjP12ihipStream_tbEUlT_E_NS1_11comp_targetILNS1_3genE9ELNS1_11target_archE1100ELNS1_3gpuE3ELNS1_3repE0EEENS1_52radix_sort_onesweep_histogram_config_static_selectorELNS0_4arch9wavefront6targetE0EEEvSI_, .Lfunc_end539-_ZN7rocprim17ROCPRIM_400000_NS6detail17trampoline_kernelINS0_14default_configENS1_35radix_sort_onesweep_config_selectorIfNS0_10empty_typeEEEZNS1_34radix_sort_onesweep_global_offsetsIS3_Lb0EN6thrust23THRUST_200600_302600_NS6detail15normal_iteratorINS9_10device_ptrIfEEEEPS5_jNS0_19identity_decomposerEEE10hipError_tT1_T2_PT3_SK_jT4_jjP12ihipStream_tbEUlT_E_NS1_11comp_targetILNS1_3genE9ELNS1_11target_archE1100ELNS1_3gpuE3ELNS1_3repE0EEENS1_52radix_sort_onesweep_histogram_config_static_selectorELNS0_4arch9wavefront6targetE0EEEvSI_
                                        ; -- End function
	.set _ZN7rocprim17ROCPRIM_400000_NS6detail17trampoline_kernelINS0_14default_configENS1_35radix_sort_onesweep_config_selectorIfNS0_10empty_typeEEEZNS1_34radix_sort_onesweep_global_offsetsIS3_Lb0EN6thrust23THRUST_200600_302600_NS6detail15normal_iteratorINS9_10device_ptrIfEEEEPS5_jNS0_19identity_decomposerEEE10hipError_tT1_T2_PT3_SK_jT4_jjP12ihipStream_tbEUlT_E_NS1_11comp_targetILNS1_3genE9ELNS1_11target_archE1100ELNS1_3gpuE3ELNS1_3repE0EEENS1_52radix_sort_onesweep_histogram_config_static_selectorELNS0_4arch9wavefront6targetE0EEEvSI_.num_vgpr, 0
	.set _ZN7rocprim17ROCPRIM_400000_NS6detail17trampoline_kernelINS0_14default_configENS1_35radix_sort_onesweep_config_selectorIfNS0_10empty_typeEEEZNS1_34radix_sort_onesweep_global_offsetsIS3_Lb0EN6thrust23THRUST_200600_302600_NS6detail15normal_iteratorINS9_10device_ptrIfEEEEPS5_jNS0_19identity_decomposerEEE10hipError_tT1_T2_PT3_SK_jT4_jjP12ihipStream_tbEUlT_E_NS1_11comp_targetILNS1_3genE9ELNS1_11target_archE1100ELNS1_3gpuE3ELNS1_3repE0EEENS1_52radix_sort_onesweep_histogram_config_static_selectorELNS0_4arch9wavefront6targetE0EEEvSI_.num_agpr, 0
	.set _ZN7rocprim17ROCPRIM_400000_NS6detail17trampoline_kernelINS0_14default_configENS1_35radix_sort_onesweep_config_selectorIfNS0_10empty_typeEEEZNS1_34radix_sort_onesweep_global_offsetsIS3_Lb0EN6thrust23THRUST_200600_302600_NS6detail15normal_iteratorINS9_10device_ptrIfEEEEPS5_jNS0_19identity_decomposerEEE10hipError_tT1_T2_PT3_SK_jT4_jjP12ihipStream_tbEUlT_E_NS1_11comp_targetILNS1_3genE9ELNS1_11target_archE1100ELNS1_3gpuE3ELNS1_3repE0EEENS1_52radix_sort_onesweep_histogram_config_static_selectorELNS0_4arch9wavefront6targetE0EEEvSI_.numbered_sgpr, 0
	.set _ZN7rocprim17ROCPRIM_400000_NS6detail17trampoline_kernelINS0_14default_configENS1_35radix_sort_onesweep_config_selectorIfNS0_10empty_typeEEEZNS1_34radix_sort_onesweep_global_offsetsIS3_Lb0EN6thrust23THRUST_200600_302600_NS6detail15normal_iteratorINS9_10device_ptrIfEEEEPS5_jNS0_19identity_decomposerEEE10hipError_tT1_T2_PT3_SK_jT4_jjP12ihipStream_tbEUlT_E_NS1_11comp_targetILNS1_3genE9ELNS1_11target_archE1100ELNS1_3gpuE3ELNS1_3repE0EEENS1_52radix_sort_onesweep_histogram_config_static_selectorELNS0_4arch9wavefront6targetE0EEEvSI_.num_named_barrier, 0
	.set _ZN7rocprim17ROCPRIM_400000_NS6detail17trampoline_kernelINS0_14default_configENS1_35radix_sort_onesweep_config_selectorIfNS0_10empty_typeEEEZNS1_34radix_sort_onesweep_global_offsetsIS3_Lb0EN6thrust23THRUST_200600_302600_NS6detail15normal_iteratorINS9_10device_ptrIfEEEEPS5_jNS0_19identity_decomposerEEE10hipError_tT1_T2_PT3_SK_jT4_jjP12ihipStream_tbEUlT_E_NS1_11comp_targetILNS1_3genE9ELNS1_11target_archE1100ELNS1_3gpuE3ELNS1_3repE0EEENS1_52radix_sort_onesweep_histogram_config_static_selectorELNS0_4arch9wavefront6targetE0EEEvSI_.private_seg_size, 0
	.set _ZN7rocprim17ROCPRIM_400000_NS6detail17trampoline_kernelINS0_14default_configENS1_35radix_sort_onesweep_config_selectorIfNS0_10empty_typeEEEZNS1_34radix_sort_onesweep_global_offsetsIS3_Lb0EN6thrust23THRUST_200600_302600_NS6detail15normal_iteratorINS9_10device_ptrIfEEEEPS5_jNS0_19identity_decomposerEEE10hipError_tT1_T2_PT3_SK_jT4_jjP12ihipStream_tbEUlT_E_NS1_11comp_targetILNS1_3genE9ELNS1_11target_archE1100ELNS1_3gpuE3ELNS1_3repE0EEENS1_52radix_sort_onesweep_histogram_config_static_selectorELNS0_4arch9wavefront6targetE0EEEvSI_.uses_vcc, 0
	.set _ZN7rocprim17ROCPRIM_400000_NS6detail17trampoline_kernelINS0_14default_configENS1_35radix_sort_onesweep_config_selectorIfNS0_10empty_typeEEEZNS1_34radix_sort_onesweep_global_offsetsIS3_Lb0EN6thrust23THRUST_200600_302600_NS6detail15normal_iteratorINS9_10device_ptrIfEEEEPS5_jNS0_19identity_decomposerEEE10hipError_tT1_T2_PT3_SK_jT4_jjP12ihipStream_tbEUlT_E_NS1_11comp_targetILNS1_3genE9ELNS1_11target_archE1100ELNS1_3gpuE3ELNS1_3repE0EEENS1_52radix_sort_onesweep_histogram_config_static_selectorELNS0_4arch9wavefront6targetE0EEEvSI_.uses_flat_scratch, 0
	.set _ZN7rocprim17ROCPRIM_400000_NS6detail17trampoline_kernelINS0_14default_configENS1_35radix_sort_onesweep_config_selectorIfNS0_10empty_typeEEEZNS1_34radix_sort_onesweep_global_offsetsIS3_Lb0EN6thrust23THRUST_200600_302600_NS6detail15normal_iteratorINS9_10device_ptrIfEEEEPS5_jNS0_19identity_decomposerEEE10hipError_tT1_T2_PT3_SK_jT4_jjP12ihipStream_tbEUlT_E_NS1_11comp_targetILNS1_3genE9ELNS1_11target_archE1100ELNS1_3gpuE3ELNS1_3repE0EEENS1_52radix_sort_onesweep_histogram_config_static_selectorELNS0_4arch9wavefront6targetE0EEEvSI_.has_dyn_sized_stack, 0
	.set _ZN7rocprim17ROCPRIM_400000_NS6detail17trampoline_kernelINS0_14default_configENS1_35radix_sort_onesweep_config_selectorIfNS0_10empty_typeEEEZNS1_34radix_sort_onesweep_global_offsetsIS3_Lb0EN6thrust23THRUST_200600_302600_NS6detail15normal_iteratorINS9_10device_ptrIfEEEEPS5_jNS0_19identity_decomposerEEE10hipError_tT1_T2_PT3_SK_jT4_jjP12ihipStream_tbEUlT_E_NS1_11comp_targetILNS1_3genE9ELNS1_11target_archE1100ELNS1_3gpuE3ELNS1_3repE0EEENS1_52radix_sort_onesweep_histogram_config_static_selectorELNS0_4arch9wavefront6targetE0EEEvSI_.has_recursion, 0
	.set _ZN7rocprim17ROCPRIM_400000_NS6detail17trampoline_kernelINS0_14default_configENS1_35radix_sort_onesweep_config_selectorIfNS0_10empty_typeEEEZNS1_34radix_sort_onesweep_global_offsetsIS3_Lb0EN6thrust23THRUST_200600_302600_NS6detail15normal_iteratorINS9_10device_ptrIfEEEEPS5_jNS0_19identity_decomposerEEE10hipError_tT1_T2_PT3_SK_jT4_jjP12ihipStream_tbEUlT_E_NS1_11comp_targetILNS1_3genE9ELNS1_11target_archE1100ELNS1_3gpuE3ELNS1_3repE0EEENS1_52radix_sort_onesweep_histogram_config_static_selectorELNS0_4arch9wavefront6targetE0EEEvSI_.has_indirect_call, 0
	.section	.AMDGPU.csdata,"",@progbits
; Kernel info:
; codeLenInByte = 0
; TotalNumSgprs: 0
; NumVgprs: 0
; ScratchSize: 0
; MemoryBound: 0
; FloatMode: 240
; IeeeMode: 1
; LDSByteSize: 0 bytes/workgroup (compile time only)
; SGPRBlocks: 0
; VGPRBlocks: 0
; NumSGPRsForWavesPerEU: 1
; NumVGPRsForWavesPerEU: 1
; Occupancy: 16
; WaveLimiterHint : 0
; COMPUTE_PGM_RSRC2:SCRATCH_EN: 0
; COMPUTE_PGM_RSRC2:USER_SGPR: 6
; COMPUTE_PGM_RSRC2:TRAP_HANDLER: 0
; COMPUTE_PGM_RSRC2:TGID_X_EN: 1
; COMPUTE_PGM_RSRC2:TGID_Y_EN: 0
; COMPUTE_PGM_RSRC2:TGID_Z_EN: 0
; COMPUTE_PGM_RSRC2:TIDIG_COMP_CNT: 0
	.section	.text._ZN7rocprim17ROCPRIM_400000_NS6detail17trampoline_kernelINS0_14default_configENS1_35radix_sort_onesweep_config_selectorIfNS0_10empty_typeEEEZNS1_34radix_sort_onesweep_global_offsetsIS3_Lb0EN6thrust23THRUST_200600_302600_NS6detail15normal_iteratorINS9_10device_ptrIfEEEEPS5_jNS0_19identity_decomposerEEE10hipError_tT1_T2_PT3_SK_jT4_jjP12ihipStream_tbEUlT_E_NS1_11comp_targetILNS1_3genE8ELNS1_11target_archE1030ELNS1_3gpuE2ELNS1_3repE0EEENS1_52radix_sort_onesweep_histogram_config_static_selectorELNS0_4arch9wavefront6targetE0EEEvSI_,"axG",@progbits,_ZN7rocprim17ROCPRIM_400000_NS6detail17trampoline_kernelINS0_14default_configENS1_35radix_sort_onesweep_config_selectorIfNS0_10empty_typeEEEZNS1_34radix_sort_onesweep_global_offsetsIS3_Lb0EN6thrust23THRUST_200600_302600_NS6detail15normal_iteratorINS9_10device_ptrIfEEEEPS5_jNS0_19identity_decomposerEEE10hipError_tT1_T2_PT3_SK_jT4_jjP12ihipStream_tbEUlT_E_NS1_11comp_targetILNS1_3genE8ELNS1_11target_archE1030ELNS1_3gpuE2ELNS1_3repE0EEENS1_52radix_sort_onesweep_histogram_config_static_selectorELNS0_4arch9wavefront6targetE0EEEvSI_,comdat
	.protected	_ZN7rocprim17ROCPRIM_400000_NS6detail17trampoline_kernelINS0_14default_configENS1_35radix_sort_onesweep_config_selectorIfNS0_10empty_typeEEEZNS1_34radix_sort_onesweep_global_offsetsIS3_Lb0EN6thrust23THRUST_200600_302600_NS6detail15normal_iteratorINS9_10device_ptrIfEEEEPS5_jNS0_19identity_decomposerEEE10hipError_tT1_T2_PT3_SK_jT4_jjP12ihipStream_tbEUlT_E_NS1_11comp_targetILNS1_3genE8ELNS1_11target_archE1030ELNS1_3gpuE2ELNS1_3repE0EEENS1_52radix_sort_onesweep_histogram_config_static_selectorELNS0_4arch9wavefront6targetE0EEEvSI_ ; -- Begin function _ZN7rocprim17ROCPRIM_400000_NS6detail17trampoline_kernelINS0_14default_configENS1_35radix_sort_onesweep_config_selectorIfNS0_10empty_typeEEEZNS1_34radix_sort_onesweep_global_offsetsIS3_Lb0EN6thrust23THRUST_200600_302600_NS6detail15normal_iteratorINS9_10device_ptrIfEEEEPS5_jNS0_19identity_decomposerEEE10hipError_tT1_T2_PT3_SK_jT4_jjP12ihipStream_tbEUlT_E_NS1_11comp_targetILNS1_3genE8ELNS1_11target_archE1030ELNS1_3gpuE2ELNS1_3repE0EEENS1_52radix_sort_onesweep_histogram_config_static_selectorELNS0_4arch9wavefront6targetE0EEEvSI_
	.globl	_ZN7rocprim17ROCPRIM_400000_NS6detail17trampoline_kernelINS0_14default_configENS1_35radix_sort_onesweep_config_selectorIfNS0_10empty_typeEEEZNS1_34radix_sort_onesweep_global_offsetsIS3_Lb0EN6thrust23THRUST_200600_302600_NS6detail15normal_iteratorINS9_10device_ptrIfEEEEPS5_jNS0_19identity_decomposerEEE10hipError_tT1_T2_PT3_SK_jT4_jjP12ihipStream_tbEUlT_E_NS1_11comp_targetILNS1_3genE8ELNS1_11target_archE1030ELNS1_3gpuE2ELNS1_3repE0EEENS1_52radix_sort_onesweep_histogram_config_static_selectorELNS0_4arch9wavefront6targetE0EEEvSI_
	.p2align	8
	.type	_ZN7rocprim17ROCPRIM_400000_NS6detail17trampoline_kernelINS0_14default_configENS1_35radix_sort_onesweep_config_selectorIfNS0_10empty_typeEEEZNS1_34radix_sort_onesweep_global_offsetsIS3_Lb0EN6thrust23THRUST_200600_302600_NS6detail15normal_iteratorINS9_10device_ptrIfEEEEPS5_jNS0_19identity_decomposerEEE10hipError_tT1_T2_PT3_SK_jT4_jjP12ihipStream_tbEUlT_E_NS1_11comp_targetILNS1_3genE8ELNS1_11target_archE1030ELNS1_3gpuE2ELNS1_3repE0EEENS1_52radix_sort_onesweep_histogram_config_static_selectorELNS0_4arch9wavefront6targetE0EEEvSI_,@function
_ZN7rocprim17ROCPRIM_400000_NS6detail17trampoline_kernelINS0_14default_configENS1_35radix_sort_onesweep_config_selectorIfNS0_10empty_typeEEEZNS1_34radix_sort_onesweep_global_offsetsIS3_Lb0EN6thrust23THRUST_200600_302600_NS6detail15normal_iteratorINS9_10device_ptrIfEEEEPS5_jNS0_19identity_decomposerEEE10hipError_tT1_T2_PT3_SK_jT4_jjP12ihipStream_tbEUlT_E_NS1_11comp_targetILNS1_3genE8ELNS1_11target_archE1030ELNS1_3gpuE2ELNS1_3repE0EEENS1_52radix_sort_onesweep_histogram_config_static_selectorELNS0_4arch9wavefront6targetE0EEEvSI_: ; @_ZN7rocprim17ROCPRIM_400000_NS6detail17trampoline_kernelINS0_14default_configENS1_35radix_sort_onesweep_config_selectorIfNS0_10empty_typeEEEZNS1_34radix_sort_onesweep_global_offsetsIS3_Lb0EN6thrust23THRUST_200600_302600_NS6detail15normal_iteratorINS9_10device_ptrIfEEEEPS5_jNS0_19identity_decomposerEEE10hipError_tT1_T2_PT3_SK_jT4_jjP12ihipStream_tbEUlT_E_NS1_11comp_targetILNS1_3genE8ELNS1_11target_archE1030ELNS1_3gpuE2ELNS1_3repE0EEENS1_52radix_sort_onesweep_histogram_config_static_selectorELNS0_4arch9wavefront6targetE0EEEvSI_
; %bb.0:
	s_clause 0x2
	s_load_dword s0, s[4:5], 0x14
	s_load_dwordx4 s[8:11], s[4:5], 0x0
	s_load_dwordx2 s[2:3], s[4:5], 0x1c
	s_mul_i32 s12, s6, 0x1800
	s_mov_b32 s1, -1
	s_waitcnt lgkmcnt(0)
	s_cmp_ge_u32 s6, s0
	s_cbranch_scc0 .LBB540_123
; %bb.1:
	s_load_dword s4, s[4:5], 0x10
	v_mov_b32_e32 v1, 0
	s_mov_b32 s13, 0
	s_mul_i32 s5, s0, 0xffffe800
	s_lshl_b64 s[0:1], s[12:13], 2
	v_mov_b32_e32 v2, v1
	v_mov_b32_e32 v3, v1
	;; [unrolled: 1-line block ×5, first 2 shown]
	s_waitcnt lgkmcnt(0)
	s_add_i32 s4, s4, s5
	s_add_u32 s0, s8, s0
	s_addc_u32 s1, s9, s1
	s_mov_b32 s5, exec_lo
	v_cmpx_gt_u32_e64 s4, v0
	s_cbranch_execz .LBB540_3
; %bb.2:
	v_lshlrev_b32_e32 v2, 2, v0
	v_mov_b32_e32 v7, v1
	v_mov_b32_e32 v3, v1
	;; [unrolled: 1-line block ×4, first 2 shown]
	global_load_dword v2, v2, s[0:1]
	v_mov_b32_e32 v6, v1
	s_waitcnt vmcnt(0)
	v_mov_b32_e32 v1, v2
	v_mov_b32_e32 v2, v3
	;; [unrolled: 1-line block ×6, first 2 shown]
.LBB540_3:
	s_or_b32 exec_lo, exec_lo, s5
	v_or_b32_e32 v12, 0x400, v0
	s_mov_b32 s5, exec_lo
	v_cmpx_gt_u32_e64 s4, v12
	s_cbranch_execz .LBB540_5
; %bb.4:
	v_lshlrev_b32_e32 v2, 2, v12
	global_load_dword v2, v2, s[0:1]
.LBB540_5:
	s_or_b32 exec_lo, exec_lo, s5
	v_or_b32_e32 v11, 0x800, v0
	s_mov_b32 s5, exec_lo
	v_cmpx_gt_u32_e64 s4, v11
	s_cbranch_execz .LBB540_7
; %bb.6:
	v_lshlrev_b32_e32 v3, 2, v11
	global_load_dword v3, v3, s[0:1]
.LBB540_7:
	;; [unrolled: 9-line block ×5, first 2 shown]
	s_or_b32 exec_lo, exec_lo, s5
	v_or_b32_e32 v7, 0xfffffc00, v0
	v_lshlrev_b32_e32 v13, 2, v0
	v_mov_b32_e32 v14, 0
	s_mov_b32 s0, 0
.LBB540_14:                             ; =>This Inner Loop Header: Depth=1
	v_add_nc_u32_e32 v7, 0x400, v7
	ds_write_b32 v13, v14
	v_add_nc_u32_e32 v13, 0x1000, v13
	v_cmp_lt_u32_e32 vcc_lo, 0xbff, v7
	s_or_b32 s0, vcc_lo, s0
	s_andn2_b32 exec_lo, exec_lo, s0
	s_cbranch_execnz .LBB540_14
; %bb.15:
	s_or_b32 exec_lo, exec_lo, s0
	v_cmp_lt_i32_e32 vcc_lo, -1, v1
	s_cmp_le_u32 s3, s2
	v_and_b32_e32 v7, 3, v0
	s_cselect_b32 s1, -1, 0
	s_waitcnt vmcnt(0) lgkmcnt(0)
	v_cndmask_b32_e64 v13, -1, 0x80000000, vcc_lo
	s_and_b32 s0, s1, exec_lo
	v_cmp_le_u32_e32 vcc_lo, s4, v0
	s_cselect_b32 s5, 8, 10
	s_barrier
	v_xor_b32_e32 v1, v13, v1
	v_mov_b32_e32 v13, s5
	s_nor_b32 s6, s1, vcc_lo
	buffer_gl0_inv
	v_cmp_ne_u32_e64 s0, 0x7fffffff, v1
	v_cndmask_b32_e64 v1, 0x80000000, v1, s0
	s_and_saveexec_b32 s0, s6
	s_cbranch_execz .LBB540_17
; %bb.16:
	v_lshrrev_b32_e32 v13, s2, v1
	s_sub_i32 s6, s3, s2
	v_lshlrev_b32_e32 v14, 2, v7
	s_min_u32 s6, s6, 8
	v_bfe_u32 v13, v13, 0, s6
	v_lshl_or_b32 v13, v13, 4, v14
	v_mov_b32_e32 v14, 1
	ds_add_u32 v13, v14
	v_mov_b32_e32 v13, 0
.LBB540_17:
	s_or_b32 exec_lo, exec_lo, s0
	s_mov_b32 s7, -1
	s_mov_b32 s6, exec_lo
	v_cmpx_gt_i32_e32 10, v13
; %bb.18:
	v_cmp_eq_u32_e64 s0, 0, v13
	s_orn2_b32 s7, s0, exec_lo
; %bb.19:
	s_or_b32 exec_lo, exec_lo, s6
	s_and_saveexec_b32 s6, s7
	s_cbranch_execz .LBB540_32
; %bb.20:
	s_add_i32 s7, s2, 8
	s_cmp_le_u32 s3, s7
	s_cselect_b32 s0, -1, 0
	s_and_b32 s13, s0, exec_lo
	s_cselect_b32 s13, 8, 10
	v_mov_b32_e32 v13, s13
	s_nor_b32 s13, s0, vcc_lo
	s_and_saveexec_b32 s0, s13
	s_cbranch_execz .LBB540_22
; %bb.21:
	v_lshrrev_b32_e32 v13, s7, v1
	s_sub_i32 s7, s3, s7
	v_lshlrev_b32_e32 v14, 2, v7
	s_min_u32 s7, s7, 8
	v_bfe_u32 v13, v13, 0, s7
	v_lshl_or_b32 v13, v13, 4, v14
	v_mov_b32_e32 v14, 1
	ds_add_u32 v13, v14 offset:4096
	v_mov_b32_e32 v13, 0
.LBB540_22:
	s_or_b32 exec_lo, exec_lo, s0
	s_mov_b32 s7, -1
	s_mov_b32 s13, exec_lo
	v_cmpx_gt_i32_e32 10, v13
; %bb.23:
	v_cmp_eq_u32_e64 s0, 0, v13
	s_orn2_b32 s7, s0, exec_lo
; %bb.24:
	s_or_b32 exec_lo, exec_lo, s13
	s_and_b32 exec_lo, exec_lo, s7
	s_cbranch_execz .LBB540_32
; %bb.25:
	s_add_i32 s7, s2, 16
	s_cmp_le_u32 s3, s7
	s_cselect_b32 s0, -1, 0
	s_and_b32 s13, s0, exec_lo
	s_cselect_b32 s13, 8, 10
	v_mov_b32_e32 v13, s13
	s_nor_b32 s13, s0, vcc_lo
	s_and_saveexec_b32 s0, s13
	s_cbranch_execz .LBB540_27
; %bb.26:
	v_lshrrev_b32_e32 v13, s7, v1
	s_sub_i32 s7, s3, s7
	v_lshlrev_b32_e32 v14, 2, v7
	s_min_u32 s7, s7, 8
	v_bfe_u32 v13, v13, 0, s7
	v_lshl_or_b32 v13, v13, 4, v14
	v_mov_b32_e32 v14, 1
	ds_add_u32 v13, v14 offset:8192
	v_mov_b32_e32 v13, 0
.LBB540_27:
	s_or_b32 exec_lo, exec_lo, s0
	s_mov_b32 s7, -1
	s_mov_b32 s13, exec_lo
	v_cmpx_gt_i32_e32 10, v13
; %bb.28:
	v_cmp_eq_u32_e64 s0, 0, v13
	s_orn2_b32 s7, s0, exec_lo
; %bb.29:
	s_or_b32 exec_lo, exec_lo, s13
	s_and_b32 exec_lo, exec_lo, s7
	s_cbranch_execz .LBB540_32
; %bb.30:
	s_add_i32 s0, s2, 24
	s_cmp_gt_u32 s3, s0
	s_cselect_b32 s7, -1, 0
	s_xor_b32 s13, vcc_lo, -1
	s_and_b32 s7, s7, s13
	s_and_b32 exec_lo, exec_lo, s7
	s_cbranch_execz .LBB540_32
; %bb.31:
	v_lshrrev_b32_e32 v1, s0, v1
	s_sub_i32 s0, s3, s0
	v_lshlrev_b32_e32 v13, 2, v7
	s_min_u32 s0, s0, 8
	v_bfe_u32 v1, v1, 0, s0
	v_lshl_or_b32 v1, v1, 4, v13
	v_mov_b32_e32 v13, 1
	ds_add_u32 v1, v13 offset:12288
.LBB540_32:
	s_or_b32 exec_lo, exec_lo, s6
	v_cmp_lt_i32_e32 vcc_lo, -1, v2
	v_cndmask_b32_e64 v1, -1, 0x80000000, vcc_lo
	v_cmp_le_u32_e32 vcc_lo, s4, v12
	v_xor_b32_e32 v1, v1, v2
	v_mov_b32_e32 v2, s5
	s_nor_b32 s6, s1, vcc_lo
	v_cmp_ne_u32_e64 s0, 0x7fffffff, v1
	v_cndmask_b32_e64 v1, 0x80000000, v1, s0
	s_and_saveexec_b32 s0, s6
	s_cbranch_execz .LBB540_34
; %bb.33:
	v_lshrrev_b32_e32 v2, s2, v1
	s_sub_i32 s6, s3, s2
	v_lshlrev_b32_e32 v12, 2, v7
	s_min_u32 s6, s6, 8
	v_bfe_u32 v2, v2, 0, s6
	v_lshl_or_b32 v2, v2, 4, v12
	v_mov_b32_e32 v12, 1
	ds_add_u32 v2, v12
	v_mov_b32_e32 v2, 0
.LBB540_34:
	s_or_b32 exec_lo, exec_lo, s0
	s_mov_b32 s7, -1
	s_mov_b32 s6, exec_lo
	v_cmpx_gt_i32_e32 10, v2
; %bb.35:
	v_cmp_eq_u32_e64 s0, 0, v2
	s_orn2_b32 s7, s0, exec_lo
; %bb.36:
	s_or_b32 exec_lo, exec_lo, s6
	s_and_saveexec_b32 s6, s7
	s_cbranch_execz .LBB540_49
; %bb.37:
	s_add_i32 s7, s2, 8
	s_cmp_le_u32 s3, s7
	s_cselect_b32 s0, -1, 0
	s_and_b32 s13, s0, exec_lo
	s_cselect_b32 s13, 8, 10
	v_mov_b32_e32 v2, s13
	s_nor_b32 s13, s0, vcc_lo
	s_and_saveexec_b32 s0, s13
	s_cbranch_execz .LBB540_39
; %bb.38:
	v_lshrrev_b32_e32 v2, s7, v1
	s_sub_i32 s7, s3, s7
	v_lshlrev_b32_e32 v12, 2, v7
	s_min_u32 s7, s7, 8
	v_bfe_u32 v2, v2, 0, s7
	v_lshl_or_b32 v2, v2, 4, v12
	v_mov_b32_e32 v12, 1
	ds_add_u32 v2, v12 offset:4096
	v_mov_b32_e32 v2, 0
.LBB540_39:
	s_or_b32 exec_lo, exec_lo, s0
	s_mov_b32 s7, -1
	s_mov_b32 s13, exec_lo
	v_cmpx_gt_i32_e32 10, v2
; %bb.40:
	v_cmp_eq_u32_e64 s0, 0, v2
	s_orn2_b32 s7, s0, exec_lo
; %bb.41:
	s_or_b32 exec_lo, exec_lo, s13
	s_and_b32 exec_lo, exec_lo, s7
	s_cbranch_execz .LBB540_49
; %bb.42:
	s_add_i32 s7, s2, 16
	s_cmp_le_u32 s3, s7
	s_cselect_b32 s0, -1, 0
	s_and_b32 s13, s0, exec_lo
	s_cselect_b32 s13, 8, 10
	v_mov_b32_e32 v2, s13
	s_nor_b32 s13, s0, vcc_lo
	s_and_saveexec_b32 s0, s13
	s_cbranch_execz .LBB540_44
; %bb.43:
	v_lshrrev_b32_e32 v2, s7, v1
	s_sub_i32 s7, s3, s7
	v_lshlrev_b32_e32 v12, 2, v7
	s_min_u32 s7, s7, 8
	v_bfe_u32 v2, v2, 0, s7
	v_lshl_or_b32 v2, v2, 4, v12
	v_mov_b32_e32 v12, 1
	ds_add_u32 v2, v12 offset:8192
	v_mov_b32_e32 v2, 0
.LBB540_44:
	s_or_b32 exec_lo, exec_lo, s0
	s_mov_b32 s7, -1
	s_mov_b32 s13, exec_lo
	v_cmpx_gt_i32_e32 10, v2
; %bb.45:
	v_cmp_eq_u32_e64 s0, 0, v2
	s_orn2_b32 s7, s0, exec_lo
; %bb.46:
	s_or_b32 exec_lo, exec_lo, s13
	s_and_b32 exec_lo, exec_lo, s7
	s_cbranch_execz .LBB540_49
; %bb.47:
	s_add_i32 s0, s2, 24
	s_cmp_gt_u32 s3, s0
	s_cselect_b32 s7, -1, 0
	s_xor_b32 s13, vcc_lo, -1
	s_and_b32 s7, s7, s13
	s_and_b32 exec_lo, exec_lo, s7
	s_cbranch_execz .LBB540_49
; %bb.48:
	v_lshrrev_b32_e32 v1, s0, v1
	s_sub_i32 s0, s3, s0
	v_lshlrev_b32_e32 v2, 2, v7
	s_min_u32 s0, s0, 8
	v_bfe_u32 v1, v1, 0, s0
	v_lshl_or_b32 v1, v1, 4, v2
	v_mov_b32_e32 v2, 1
	ds_add_u32 v1, v2 offset:12288
.LBB540_49:
	s_or_b32 exec_lo, exec_lo, s6
	v_cmp_lt_i32_e32 vcc_lo, -1, v3
	v_mov_b32_e32 v2, s5
	v_cndmask_b32_e64 v1, -1, 0x80000000, vcc_lo
	v_cmp_le_u32_e32 vcc_lo, s4, v11
	v_xor_b32_e32 v1, v1, v3
	s_nor_b32 s6, s1, vcc_lo
	v_cmp_ne_u32_e64 s0, 0x7fffffff, v1
	v_cndmask_b32_e64 v1, 0x80000000, v1, s0
	s_and_saveexec_b32 s0, s6
	s_cbranch_execz .LBB540_51
; %bb.50:
	v_lshrrev_b32_e32 v2, s2, v1
	s_sub_i32 s6, s3, s2
	v_lshlrev_b32_e32 v3, 2, v7
	s_min_u32 s6, s6, 8
	v_bfe_u32 v2, v2, 0, s6
	v_lshl_or_b32 v2, v2, 4, v3
	v_mov_b32_e32 v3, 1
	ds_add_u32 v2, v3
	v_mov_b32_e32 v2, 0
.LBB540_51:
	s_or_b32 exec_lo, exec_lo, s0
	s_mov_b32 s7, -1
	s_mov_b32 s6, exec_lo
	v_cmpx_gt_i32_e32 10, v2
; %bb.52:
	v_cmp_eq_u32_e64 s0, 0, v2
	s_orn2_b32 s7, s0, exec_lo
; %bb.53:
	s_or_b32 exec_lo, exec_lo, s6
	s_and_saveexec_b32 s6, s7
	s_cbranch_execz .LBB540_66
; %bb.54:
	s_add_i32 s7, s2, 8
	s_cmp_le_u32 s3, s7
	s_cselect_b32 s0, -1, 0
	s_and_b32 s13, s0, exec_lo
	s_cselect_b32 s13, 8, 10
	v_mov_b32_e32 v2, s13
	s_nor_b32 s13, s0, vcc_lo
	s_and_saveexec_b32 s0, s13
	s_cbranch_execz .LBB540_56
; %bb.55:
	v_lshrrev_b32_e32 v2, s7, v1
	s_sub_i32 s7, s3, s7
	v_lshlrev_b32_e32 v3, 2, v7
	s_min_u32 s7, s7, 8
	v_bfe_u32 v2, v2, 0, s7
	v_lshl_or_b32 v2, v2, 4, v3
	v_mov_b32_e32 v3, 1
	ds_add_u32 v2, v3 offset:4096
	v_mov_b32_e32 v2, 0
.LBB540_56:
	s_or_b32 exec_lo, exec_lo, s0
	s_mov_b32 s7, -1
	s_mov_b32 s13, exec_lo
	v_cmpx_gt_i32_e32 10, v2
; %bb.57:
	v_cmp_eq_u32_e64 s0, 0, v2
	s_orn2_b32 s7, s0, exec_lo
; %bb.58:
	s_or_b32 exec_lo, exec_lo, s13
	s_and_b32 exec_lo, exec_lo, s7
	s_cbranch_execz .LBB540_66
; %bb.59:
	s_add_i32 s7, s2, 16
	s_cmp_le_u32 s3, s7
	s_cselect_b32 s0, -1, 0
	s_and_b32 s13, s0, exec_lo
	s_cselect_b32 s13, 8, 10
	v_mov_b32_e32 v2, s13
	s_nor_b32 s13, s0, vcc_lo
	s_and_saveexec_b32 s0, s13
	s_cbranch_execz .LBB540_61
; %bb.60:
	v_lshrrev_b32_e32 v2, s7, v1
	s_sub_i32 s7, s3, s7
	v_lshlrev_b32_e32 v3, 2, v7
	s_min_u32 s7, s7, 8
	v_bfe_u32 v2, v2, 0, s7
	v_lshl_or_b32 v2, v2, 4, v3
	v_mov_b32_e32 v3, 1
	ds_add_u32 v2, v3 offset:8192
	v_mov_b32_e32 v2, 0
.LBB540_61:
	s_or_b32 exec_lo, exec_lo, s0
	s_mov_b32 s7, -1
	s_mov_b32 s13, exec_lo
	v_cmpx_gt_i32_e32 10, v2
; %bb.62:
	v_cmp_eq_u32_e64 s0, 0, v2
	s_orn2_b32 s7, s0, exec_lo
; %bb.63:
	s_or_b32 exec_lo, exec_lo, s13
	s_and_b32 exec_lo, exec_lo, s7
	s_cbranch_execz .LBB540_66
; %bb.64:
	s_add_i32 s0, s2, 24
	s_cmp_gt_u32 s3, s0
	s_cselect_b32 s7, -1, 0
	s_xor_b32 s13, vcc_lo, -1
	s_and_b32 s7, s7, s13
	s_and_b32 exec_lo, exec_lo, s7
	s_cbranch_execz .LBB540_66
; %bb.65:
	v_lshrrev_b32_e32 v1, s0, v1
	s_sub_i32 s0, s3, s0
	v_lshlrev_b32_e32 v2, 2, v7
	s_min_u32 s0, s0, 8
	v_bfe_u32 v1, v1, 0, s0
	v_lshl_or_b32 v1, v1, 4, v2
	v_mov_b32_e32 v2, 1
	ds_add_u32 v1, v2 offset:12288
.LBB540_66:
	s_or_b32 exec_lo, exec_lo, s6
	v_cmp_lt_i32_e32 vcc_lo, -1, v4
	v_mov_b32_e32 v2, s5
	v_cndmask_b32_e64 v1, -1, 0x80000000, vcc_lo
	v_cmp_le_u32_e32 vcc_lo, s4, v10
	v_xor_b32_e32 v1, v1, v4
	s_nor_b32 s6, s1, vcc_lo
	v_cmp_ne_u32_e64 s0, 0x7fffffff, v1
	v_cndmask_b32_e64 v1, 0x80000000, v1, s0
	s_and_saveexec_b32 s0, s6
	s_cbranch_execz .LBB540_68
; %bb.67:
	v_lshrrev_b32_e32 v2, s2, v1
	s_sub_i32 s6, s3, s2
	v_lshlrev_b32_e32 v3, 2, v7
	s_min_u32 s6, s6, 8
	v_bfe_u32 v2, v2, 0, s6
	v_lshl_or_b32 v2, v2, 4, v3
	v_mov_b32_e32 v3, 1
	ds_add_u32 v2, v3
	v_mov_b32_e32 v2, 0
.LBB540_68:
	s_or_b32 exec_lo, exec_lo, s0
	s_mov_b32 s7, -1
	s_mov_b32 s6, exec_lo
	v_cmpx_gt_i32_e32 10, v2
; %bb.69:
	v_cmp_eq_u32_e64 s0, 0, v2
	s_orn2_b32 s7, s0, exec_lo
; %bb.70:
	s_or_b32 exec_lo, exec_lo, s6
	s_and_saveexec_b32 s6, s7
	s_cbranch_execz .LBB540_83
; %bb.71:
	s_add_i32 s7, s2, 8
	s_cmp_le_u32 s3, s7
	s_cselect_b32 s0, -1, 0
	s_and_b32 s13, s0, exec_lo
	s_cselect_b32 s13, 8, 10
	v_mov_b32_e32 v2, s13
	s_nor_b32 s13, s0, vcc_lo
	s_and_saveexec_b32 s0, s13
	s_cbranch_execz .LBB540_73
; %bb.72:
	v_lshrrev_b32_e32 v2, s7, v1
	s_sub_i32 s7, s3, s7
	v_lshlrev_b32_e32 v3, 2, v7
	s_min_u32 s7, s7, 8
	v_bfe_u32 v2, v2, 0, s7
	v_lshl_or_b32 v2, v2, 4, v3
	v_mov_b32_e32 v3, 1
	ds_add_u32 v2, v3 offset:4096
	v_mov_b32_e32 v2, 0
.LBB540_73:
	s_or_b32 exec_lo, exec_lo, s0
	s_mov_b32 s7, -1
	s_mov_b32 s13, exec_lo
	v_cmpx_gt_i32_e32 10, v2
; %bb.74:
	v_cmp_eq_u32_e64 s0, 0, v2
	s_orn2_b32 s7, s0, exec_lo
; %bb.75:
	s_or_b32 exec_lo, exec_lo, s13
	s_and_b32 exec_lo, exec_lo, s7
	s_cbranch_execz .LBB540_83
; %bb.76:
	s_add_i32 s7, s2, 16
	s_cmp_le_u32 s3, s7
	s_cselect_b32 s0, -1, 0
	s_and_b32 s13, s0, exec_lo
	s_cselect_b32 s13, 8, 10
	v_mov_b32_e32 v2, s13
	s_nor_b32 s13, s0, vcc_lo
	s_and_saveexec_b32 s0, s13
	s_cbranch_execz .LBB540_78
; %bb.77:
	v_lshrrev_b32_e32 v2, s7, v1
	s_sub_i32 s7, s3, s7
	v_lshlrev_b32_e32 v3, 2, v7
	s_min_u32 s7, s7, 8
	v_bfe_u32 v2, v2, 0, s7
	v_lshl_or_b32 v2, v2, 4, v3
	v_mov_b32_e32 v3, 1
	ds_add_u32 v2, v3 offset:8192
	v_mov_b32_e32 v2, 0
.LBB540_78:
	s_or_b32 exec_lo, exec_lo, s0
	s_mov_b32 s7, -1
	s_mov_b32 s13, exec_lo
	v_cmpx_gt_i32_e32 10, v2
; %bb.79:
	v_cmp_eq_u32_e64 s0, 0, v2
	s_orn2_b32 s7, s0, exec_lo
; %bb.80:
	s_or_b32 exec_lo, exec_lo, s13
	s_and_b32 exec_lo, exec_lo, s7
	s_cbranch_execz .LBB540_83
; %bb.81:
	s_add_i32 s0, s2, 24
	s_cmp_gt_u32 s3, s0
	s_cselect_b32 s7, -1, 0
	s_xor_b32 s13, vcc_lo, -1
	s_and_b32 s7, s7, s13
	s_and_b32 exec_lo, exec_lo, s7
	s_cbranch_execz .LBB540_83
; %bb.82:
	v_lshrrev_b32_e32 v1, s0, v1
	s_sub_i32 s0, s3, s0
	v_lshlrev_b32_e32 v2, 2, v7
	s_min_u32 s0, s0, 8
	v_bfe_u32 v1, v1, 0, s0
	v_lshl_or_b32 v1, v1, 4, v2
	v_mov_b32_e32 v2, 1
	ds_add_u32 v1, v2 offset:12288
.LBB540_83:
	s_or_b32 exec_lo, exec_lo, s6
	v_cmp_lt_i32_e32 vcc_lo, -1, v5
	v_mov_b32_e32 v2, s5
	v_cndmask_b32_e64 v1, -1, 0x80000000, vcc_lo
	v_cmp_le_u32_e32 vcc_lo, s4, v9
	v_xor_b32_e32 v1, v1, v5
	s_nor_b32 s6, s1, vcc_lo
	v_cmp_ne_u32_e64 s0, 0x7fffffff, v1
	v_cndmask_b32_e64 v1, 0x80000000, v1, s0
	s_and_saveexec_b32 s0, s6
	s_cbranch_execz .LBB540_85
; %bb.84:
	v_lshrrev_b32_e32 v2, s2, v1
	s_sub_i32 s6, s3, s2
	v_lshlrev_b32_e32 v3, 2, v7
	s_min_u32 s6, s6, 8
	v_bfe_u32 v2, v2, 0, s6
	v_lshl_or_b32 v2, v2, 4, v3
	v_mov_b32_e32 v3, 1
	ds_add_u32 v2, v3
	v_mov_b32_e32 v2, 0
.LBB540_85:
	s_or_b32 exec_lo, exec_lo, s0
	s_mov_b32 s7, -1
	s_mov_b32 s6, exec_lo
	v_cmpx_gt_i32_e32 10, v2
; %bb.86:
	v_cmp_eq_u32_e64 s0, 0, v2
	s_orn2_b32 s7, s0, exec_lo
; %bb.87:
	s_or_b32 exec_lo, exec_lo, s6
	s_and_saveexec_b32 s6, s7
	s_cbranch_execz .LBB540_100
; %bb.88:
	s_add_i32 s7, s2, 8
	s_cmp_le_u32 s3, s7
	s_cselect_b32 s0, -1, 0
	s_and_b32 s13, s0, exec_lo
	s_cselect_b32 s13, 8, 10
	v_mov_b32_e32 v2, s13
	s_nor_b32 s13, s0, vcc_lo
	s_and_saveexec_b32 s0, s13
	s_cbranch_execz .LBB540_90
; %bb.89:
	v_lshrrev_b32_e32 v2, s7, v1
	s_sub_i32 s7, s3, s7
	v_lshlrev_b32_e32 v3, 2, v7
	s_min_u32 s7, s7, 8
	v_bfe_u32 v2, v2, 0, s7
	v_lshl_or_b32 v2, v2, 4, v3
	v_mov_b32_e32 v3, 1
	ds_add_u32 v2, v3 offset:4096
	v_mov_b32_e32 v2, 0
.LBB540_90:
	s_or_b32 exec_lo, exec_lo, s0
	s_mov_b32 s7, -1
	s_mov_b32 s13, exec_lo
	v_cmpx_gt_i32_e32 10, v2
; %bb.91:
	v_cmp_eq_u32_e64 s0, 0, v2
	s_orn2_b32 s7, s0, exec_lo
; %bb.92:
	s_or_b32 exec_lo, exec_lo, s13
	s_and_b32 exec_lo, exec_lo, s7
	s_cbranch_execz .LBB540_100
; %bb.93:
	s_add_i32 s7, s2, 16
	s_cmp_le_u32 s3, s7
	s_cselect_b32 s0, -1, 0
	s_and_b32 s13, s0, exec_lo
	s_cselect_b32 s13, 8, 10
	v_mov_b32_e32 v2, s13
	s_nor_b32 s13, s0, vcc_lo
	s_and_saveexec_b32 s0, s13
	s_cbranch_execz .LBB540_95
; %bb.94:
	v_lshrrev_b32_e32 v2, s7, v1
	s_sub_i32 s7, s3, s7
	v_lshlrev_b32_e32 v3, 2, v7
	s_min_u32 s7, s7, 8
	v_bfe_u32 v2, v2, 0, s7
	v_lshl_or_b32 v2, v2, 4, v3
	v_mov_b32_e32 v3, 1
	ds_add_u32 v2, v3 offset:8192
	v_mov_b32_e32 v2, 0
.LBB540_95:
	s_or_b32 exec_lo, exec_lo, s0
	s_mov_b32 s7, -1
	s_mov_b32 s13, exec_lo
	v_cmpx_gt_i32_e32 10, v2
; %bb.96:
	v_cmp_eq_u32_e64 s0, 0, v2
	s_orn2_b32 s7, s0, exec_lo
; %bb.97:
	s_or_b32 exec_lo, exec_lo, s13
	s_and_b32 exec_lo, exec_lo, s7
	s_cbranch_execz .LBB540_100
; %bb.98:
	s_add_i32 s0, s2, 24
	s_cmp_gt_u32 s3, s0
	s_cselect_b32 s7, -1, 0
	s_xor_b32 s13, vcc_lo, -1
	s_and_b32 s7, s7, s13
	s_and_b32 exec_lo, exec_lo, s7
	s_cbranch_execz .LBB540_100
; %bb.99:
	v_lshrrev_b32_e32 v1, s0, v1
	s_sub_i32 s0, s3, s0
	v_lshlrev_b32_e32 v2, 2, v7
	s_min_u32 s0, s0, 8
	v_bfe_u32 v1, v1, 0, s0
	v_lshl_or_b32 v1, v1, 4, v2
	v_mov_b32_e32 v2, 1
	ds_add_u32 v1, v2 offset:12288
.LBB540_100:
	s_or_b32 exec_lo, exec_lo, s6
	v_cmp_lt_i32_e32 vcc_lo, -1, v6
	v_mov_b32_e32 v2, s5
	v_cndmask_b32_e64 v1, -1, 0x80000000, vcc_lo
	v_cmp_le_u32_e32 vcc_lo, s4, v8
	v_xor_b32_e32 v1, v1, v6
	s_nor_b32 s1, s1, vcc_lo
	v_cmp_ne_u32_e64 s0, 0x7fffffff, v1
	v_cndmask_b32_e64 v1, 0x80000000, v1, s0
	s_and_saveexec_b32 s0, s1
	s_cbranch_execz .LBB540_102
; %bb.101:
	v_lshrrev_b32_e32 v2, s2, v1
	s_sub_i32 s1, s3, s2
	v_lshlrev_b32_e32 v3, 2, v7
	s_min_u32 s1, s1, 8
	v_bfe_u32 v2, v2, 0, s1
	v_lshl_or_b32 v2, v2, 4, v3
	v_mov_b32_e32 v3, 1
	ds_add_u32 v2, v3
	v_mov_b32_e32 v2, 0
.LBB540_102:
	s_or_b32 exec_lo, exec_lo, s0
	s_mov_b32 s4, -1
	s_mov_b32 s1, exec_lo
	v_cmpx_gt_i32_e32 10, v2
; %bb.103:
	v_cmp_eq_u32_e64 s0, 0, v2
	s_orn2_b32 s4, s0, exec_lo
; %bb.104:
	s_or_b32 exec_lo, exec_lo, s1
	s_and_saveexec_b32 s1, s4
	s_cbranch_execz .LBB540_117
; %bb.105:
	s_add_i32 s4, s2, 8
	s_cmp_le_u32 s3, s4
	s_cselect_b32 s0, -1, 0
	s_and_b32 s5, s0, exec_lo
	s_cselect_b32 s5, 8, 10
	v_mov_b32_e32 v2, s5
	s_nor_b32 s5, s0, vcc_lo
	s_and_saveexec_b32 s0, s5
	s_cbranch_execz .LBB540_107
; %bb.106:
	v_lshrrev_b32_e32 v2, s4, v1
	s_sub_i32 s4, s3, s4
	v_lshlrev_b32_e32 v3, 2, v7
	s_min_u32 s4, s4, 8
	v_bfe_u32 v2, v2, 0, s4
	v_lshl_or_b32 v2, v2, 4, v3
	v_mov_b32_e32 v3, 1
	ds_add_u32 v2, v3 offset:4096
	v_mov_b32_e32 v2, 0
.LBB540_107:
	s_or_b32 exec_lo, exec_lo, s0
	s_mov_b32 s4, -1
	s_mov_b32 s5, exec_lo
	v_cmpx_gt_i32_e32 10, v2
; %bb.108:
	v_cmp_eq_u32_e64 s0, 0, v2
	s_orn2_b32 s4, s0, exec_lo
; %bb.109:
	s_or_b32 exec_lo, exec_lo, s5
	s_and_b32 exec_lo, exec_lo, s4
	s_cbranch_execz .LBB540_117
; %bb.110:
	s_add_i32 s4, s2, 16
	s_cmp_le_u32 s3, s4
	s_cselect_b32 s0, -1, 0
	s_and_b32 s5, s0, exec_lo
	s_cselect_b32 s5, 8, 10
	v_mov_b32_e32 v2, s5
	s_nor_b32 s5, s0, vcc_lo
	s_and_saveexec_b32 s0, s5
	s_cbranch_execz .LBB540_112
; %bb.111:
	v_lshrrev_b32_e32 v2, s4, v1
	s_sub_i32 s4, s3, s4
	v_lshlrev_b32_e32 v3, 2, v7
	s_min_u32 s4, s4, 8
	v_bfe_u32 v2, v2, 0, s4
	v_lshl_or_b32 v2, v2, 4, v3
	v_mov_b32_e32 v3, 1
	ds_add_u32 v2, v3 offset:8192
	v_mov_b32_e32 v2, 0
.LBB540_112:
	s_or_b32 exec_lo, exec_lo, s0
	s_mov_b32 s4, -1
	s_mov_b32 s5, exec_lo
	v_cmpx_gt_i32_e32 10, v2
; %bb.113:
	v_cmp_eq_u32_e64 s0, 0, v2
	s_orn2_b32 s4, s0, exec_lo
; %bb.114:
	s_or_b32 exec_lo, exec_lo, s5
	s_and_b32 exec_lo, exec_lo, s4
	s_cbranch_execz .LBB540_117
; %bb.115:
	s_add_i32 s0, s2, 24
	s_cmp_gt_u32 s3, s0
	s_cselect_b32 s4, -1, 0
	s_xor_b32 s5, vcc_lo, -1
	s_and_b32 s4, s4, s5
	s_and_b32 exec_lo, exec_lo, s4
	s_cbranch_execz .LBB540_117
; %bb.116:
	v_lshrrev_b32_e32 v1, s0, v1
	s_sub_i32 s0, s3, s0
	v_lshlrev_b32_e32 v2, 2, v7
	s_min_u32 s0, s0, 8
	v_bfe_u32 v1, v1, 0, s0
	v_lshl_or_b32 v1, v1, 4, v2
	v_mov_b32_e32 v2, 1
	ds_add_u32 v1, v2 offset:12288
.LBB540_117:
	s_or_b32 exec_lo, exec_lo, s1
	s_cmp_gt_u32 s3, s2
	s_waitcnt lgkmcnt(0)
	s_barrier
	buffer_gl0_inv
	s_cbranch_scc0 .LBB540_122
; %bb.118:
	v_lshlrev_b32_e32 v3, 4, v0
	v_mov_b32_e32 v2, 0
	v_mov_b32_e32 v1, v0
	s_mov_b32 s1, s2
	v_cmp_gt_u32_e32 vcc_lo, 0x100, v0
	s_inst_prefetch 0x1
	s_branch .LBB540_120
	.p2align	6
.LBB540_119:                            ;   in Loop: Header=BB540_120 Depth=1
	s_or_b32 exec_lo, exec_lo, s4
	v_add_nc_u32_e32 v1, 0x100, v1
	v_add_nc_u32_e32 v3, 0x1000, v3
	s_add_i32 s1, s1, 8
	s_cmp_lt_u32 s1, s3
	s_cbranch_scc0 .LBB540_122
.LBB540_120:                            ; =>This Inner Loop Header: Depth=1
	s_and_saveexec_b32 s4, vcc_lo
	s_cbranch_execz .LBB540_119
; %bb.121:                              ;   in Loop: Header=BB540_120 Depth=1
	ds_read2_b32 v[4:5], v3 offset1:1
	ds_read2_b32 v[6:7], v3 offset0:2 offset1:3
	s_waitcnt lgkmcnt(1)
	v_add_nc_u32_e32 v8, v5, v4
	v_lshlrev_b64 v[4:5], 2, v[1:2]
	s_waitcnt lgkmcnt(0)
	v_add3_u32 v6, v8, v6, v7
	v_add_co_u32 v4, s0, s10, v4
	v_add_co_ci_u32_e64 v5, null, s11, v5, s0
	global_atomic_add v[4:5], v6, off
	s_branch .LBB540_119
.LBB540_122:
	s_inst_prefetch 0x2
	s_mov_b32 s1, 0
.LBB540_123:
	s_and_b32 vcc_lo, exec_lo, s1
	s_cbranch_vccz .LBB540_175
; %bb.124:
	s_cmp_eq_u32 s2, 0
	s_mov_b32 s13, 0
	s_cselect_b32 s4, -1, 0
	s_cmp_eq_u32 s3, 32
	v_lshlrev_b32_e32 v1, 2, v0
	s_cselect_b32 s5, -1, 0
	s_lshl_b64 s[0:1], s[12:13], 2
	s_and_b32 s4, s4, s5
	s_add_u32 s0, s8, s0
	s_addc_u32 s1, s9, s1
	v_add_co_u32 v6, s5, s0, v1
	v_add_co_ci_u32_e64 v7, null, s1, 0, s5
	v_add_co_u32 v2, vcc_lo, 0x1000, v6
	v_add_co_ci_u32_e64 v3, null, 0, v7, vcc_lo
	v_add_co_u32 v4, vcc_lo, 0x2000, v6
	v_add_co_ci_u32_e64 v5, null, 0, v7, vcc_lo
	v_add_co_u32 v9, vcc_lo, 0x3000, v6
	v_add_co_ci_u32_e64 v10, null, 0, v7, vcc_lo
	v_add_co_u32 v11, vcc_lo, 0x4000, v6
	v_add_co_ci_u32_e64 v12, null, 0, v7, vcc_lo
	v_add_co_u32 v13, vcc_lo, 0x5000, v6
	v_add_co_ci_u32_e64 v14, null, 0, v7, vcc_lo
	s_clause 0x5
	global_load_dword v6, v1, s[0:1]
	global_load_dword v7, v[2:3], off
	global_load_dword v8, v[4:5], off
	;; [unrolled: 1-line block ×5, first 2 shown]
	v_mov_b32_e32 v2, 0
	v_or_b32_e32 v9, 0xfffffc00, v0
	s_and_b32 vcc_lo, exec_lo, s4
	s_mov_b32 s0, -1
	s_cbranch_vccnz .LBB540_170
; %bb.125:
	v_or_b32_e32 v10, 0xfffffc00, v0
.LBB540_126:                            ; =>This Inner Loop Header: Depth=1
	v_add_nc_u32_e32 v10, 0x400, v10
	ds_write_b32 v1, v2
	v_add_nc_u32_e32 v1, 0x1000, v1
	v_cmp_lt_u32_e32 vcc_lo, 0xbff, v10
	s_or_b32 s13, vcc_lo, s13
	s_andn2_b32 exec_lo, exec_lo, s13
	s_cbranch_execnz .LBB540_126
; %bb.127:
	s_or_b32 exec_lo, exec_lo, s13
	s_cmp_gt_u32 s3, s2
	s_waitcnt vmcnt(0) lgkmcnt(0)
	s_waitcnt_vscnt null, 0x0
	s_cselect_b32 s1, -1, 0
	s_barrier
	s_and_b32 vcc_lo, exec_lo, s1
	buffer_gl0_inv
	s_cbranch_vccz .LBB540_164
; %bb.128:
	v_cmp_lt_i32_e32 vcc_lo, -1, v6
	s_sub_i32 s0, s3, s2
	v_mov_b32_e32 v12, 1
	s_min_u32 s0, s0, 8
	s_add_i32 s5, s2, 8
	v_cndmask_b32_e64 v1, -1, 0x80000000, vcc_lo
	s_lshl_b32 s0, -1, s0
	s_mov_b32 s7, -1
	s_not_b32 s4, s0
	s_cmp_le_u32 s3, s5
	v_xor_b32_e32 v1, v1, v6
	s_cselect_b32 s6, -1, 0
	v_cmp_ne_u32_e32 vcc_lo, 0x7fffffff, v1
	v_cndmask_b32_e32 v10, 0x80000000, v1, vcc_lo
	v_and_b32_e32 v1, 3, v0
	v_cmp_lt_i32_e32 vcc_lo, -1, v7
	v_lshrrev_b32_e32 v11, s2, v10
	v_lshlrev_b32_e32 v2, 2, v1
	v_and_b32_e32 v11, s4, v11
	v_lshl_or_b32 v11, v11, 4, v2
	ds_add_u32 v11, v12
	v_cndmask_b32_e64 v11, -1, 0x80000000, vcc_lo
	s_and_b32 vcc_lo, exec_lo, s6
	v_xor_b32_e32 v11, v11, v7
	v_cmp_ne_u32_e64 s0, 0x7fffffff, v11
	s_cbranch_vccz .LBB540_130
; %bb.129:
	v_cndmask_b32_e64 v12, 0x80000000, v11, s0
	s_mov_b32 s0, -1
	v_lshrrev_b32_e32 v12, s2, v12
	v_and_b32_e32 v12, s4, v12
	v_lshlrev_b32_e32 v12, 4, v12
	s_cbranch_execz .LBB540_131
	s_branch .LBB540_138
.LBB540_130:
	s_mov_b32 s0, 0
                                        ; implicit-def: $vgpr12
	s_andn2_b32 vcc_lo, exec_lo, s7
	s_cbranch_vccnz .LBB540_138
.LBB540_131:
	s_sub_i32 s7, s3, s5
	v_lshrrev_b32_e32 v12, s5, v10
	s_min_u32 s7, s7, 8
	s_lshl_b32 s7, -1, s7
	s_not_b32 s8, s7
	s_add_i32 s7, s2, 16
	v_and_b32_e32 v12, s8, v12
	s_cmp_gt_u32 s3, s7
	s_cselect_b32 s9, -1, 0
	s_cmp_le_u32 s3, s7
	v_lshl_or_b32 v13, v12, 4, v2
	v_mov_b32_e32 v12, 1
	ds_add_u32 v13, v12 offset:4096
	s_cbranch_scc1 .LBB540_134
; %bb.132:
	v_lshrrev_b32_e32 v13, s7, v10
	s_sub_i32 s12, s3, s7
	s_min_u32 s12, s12, 8
	v_bfe_u32 v13, v13, 0, s12
	s_add_i32 s12, s2, 24
	s_cmp_le_u32 s3, s12
	v_lshl_or_b32 v13, v13, 4, v2
	ds_add_u32 v13, v12 offset:8192
	s_cbranch_scc1 .LBB540_134
; %bb.133:
	v_lshrrev_b32_e32 v10, s12, v10
	s_sub_i32 s12, s3, s12
	v_mov_b32_e32 v13, 1
	s_min_u32 s12, s12, 8
	v_bfe_u32 v10, v10, 0, s12
	v_lshl_or_b32 v10, v10, 4, v2
	ds_add_u32 v10, v13 offset:12288
.LBB540_134:
	v_cmp_ne_u32_e32 vcc_lo, 0x7fffffff, v11
	v_cndmask_b32_e32 v10, 0x80000000, v11, vcc_lo
	s_andn2_b32 vcc_lo, exec_lo, s9
	v_lshrrev_b32_e32 v11, s2, v10
	v_lshrrev_b32_e32 v13, s5, v10
	v_and_b32_e32 v11, s4, v11
	v_and_b32_e32 v13, s8, v13
	v_lshl_or_b32 v11, v11, 4, v2
	v_lshl_or_b32 v13, v13, 4, v2
	ds_add_u32 v11, v12
	ds_add_u32 v13, v12 offset:4096
	s_cbranch_vccnz .LBB540_137
; %bb.135:
	v_lshrrev_b32_e32 v11, s7, v10
	s_sub_i32 s7, s3, s7
	v_mov_b32_e32 v12, 1
	s_min_u32 s7, s7, 8
	v_bfe_u32 v11, v11, 0, s7
	s_add_i32 s7, s2, 24
	s_cmp_gt_u32 s3, s7
	v_lshl_or_b32 v11, v11, 4, v2
	ds_add_u32 v11, v12 offset:8192
                                        ; implicit-def: $vgpr12
	s_cbranch_scc0 .LBB540_138
; %bb.136:
	v_lshrrev_b32_e32 v10, s7, v10
	s_sub_i32 s0, s3, s7
	s_min_u32 s0, s0, 8
	v_bfe_u32 v10, v10, 0, s0
	s_mov_b32 s0, -1
	v_lshl_add_u32 v12, v10, 4, 0x3000
	s_branch .LBB540_138
.LBB540_137:
                                        ; implicit-def: $vgpr12
.LBB540_138:
	s_and_b32 vcc_lo, exec_lo, s0
	s_cbranch_vccz .LBB540_140
; %bb.139:
	v_lshl_add_u32 v10, v1, 2, v12
	v_mov_b32_e32 v11, 1
	ds_add_u32 v10, v11
.LBB540_140:
	v_cmp_lt_i32_e32 vcc_lo, -1, v8
	v_mov_b32_e32 v12, 1
	s_mov_b32 s7, -1
	v_cndmask_b32_e64 v10, -1, 0x80000000, vcc_lo
	v_xor_b32_e32 v10, v10, v8
	v_cmp_ne_u32_e32 vcc_lo, 0x7fffffff, v10
	v_cndmask_b32_e32 v11, 0x80000000, v10, vcc_lo
	v_cmp_lt_i32_e32 vcc_lo, -1, v3
	v_lshrrev_b32_e32 v10, s2, v11
	v_and_b32_e32 v10, s4, v10
	v_lshl_or_b32 v10, v10, 4, v2
	ds_add_u32 v10, v12
	v_cndmask_b32_e64 v10, -1, 0x80000000, vcc_lo
	s_and_b32 vcc_lo, exec_lo, s6
	v_xor_b32_e32 v10, v10, v3
	v_cmp_ne_u32_e64 s0, 0x7fffffff, v10
	s_cbranch_vccz .LBB540_142
; %bb.141:
	v_cndmask_b32_e64 v12, 0x80000000, v10, s0
	s_mov_b32 s0, -1
	v_lshrrev_b32_e32 v12, s2, v12
	v_and_b32_e32 v12, s4, v12
	v_lshlrev_b32_e32 v12, 4, v12
	s_cbranch_execz .LBB540_143
	s_branch .LBB540_150
.LBB540_142:
	s_mov_b32 s0, 0
                                        ; implicit-def: $vgpr12
	s_andn2_b32 vcc_lo, exec_lo, s7
	s_cbranch_vccnz .LBB540_150
.LBB540_143:
	s_sub_i32 s7, s3, s5
	v_lshrrev_b32_e32 v12, s5, v11
	s_min_u32 s7, s7, 8
	s_lshl_b32 s7, -1, s7
	s_not_b32 s8, s7
	s_add_i32 s7, s2, 16
	v_and_b32_e32 v12, s8, v12
	s_cmp_gt_u32 s3, s7
	s_cselect_b32 s9, -1, 0
	s_cmp_le_u32 s3, s7
	v_lshl_or_b32 v13, v12, 4, v2
	v_mov_b32_e32 v12, 1
	ds_add_u32 v13, v12 offset:4096
	s_cbranch_scc1 .LBB540_146
; %bb.144:
	v_lshrrev_b32_e32 v13, s7, v11
	s_sub_i32 s12, s3, s7
	s_min_u32 s12, s12, 8
	v_bfe_u32 v13, v13, 0, s12
	s_add_i32 s12, s2, 24
	s_cmp_le_u32 s3, s12
	v_lshl_or_b32 v13, v13, 4, v2
	ds_add_u32 v13, v12 offset:8192
	s_cbranch_scc1 .LBB540_146
; %bb.145:
	v_lshrrev_b32_e32 v11, s12, v11
	s_sub_i32 s12, s3, s12
	v_mov_b32_e32 v13, 1
	s_min_u32 s12, s12, 8
	v_bfe_u32 v11, v11, 0, s12
	v_lshl_or_b32 v11, v11, 4, v2
	ds_add_u32 v11, v13 offset:12288
.LBB540_146:
	v_cmp_ne_u32_e32 vcc_lo, 0x7fffffff, v10
	v_cndmask_b32_e32 v10, 0x80000000, v10, vcc_lo
	s_andn2_b32 vcc_lo, exec_lo, s9
	v_lshrrev_b32_e32 v11, s2, v10
	v_lshrrev_b32_e32 v13, s5, v10
	v_and_b32_e32 v11, s4, v11
	v_and_b32_e32 v13, s8, v13
	v_lshl_or_b32 v11, v11, 4, v2
	v_lshl_or_b32 v13, v13, 4, v2
	ds_add_u32 v11, v12
	ds_add_u32 v13, v12 offset:4096
	s_cbranch_vccnz .LBB540_149
; %bb.147:
	v_lshrrev_b32_e32 v11, s7, v10
	s_sub_i32 s7, s3, s7
	v_mov_b32_e32 v12, 1
	s_min_u32 s7, s7, 8
	v_bfe_u32 v11, v11, 0, s7
	s_add_i32 s7, s2, 24
	s_cmp_gt_u32 s3, s7
	v_lshl_or_b32 v11, v11, 4, v2
	ds_add_u32 v11, v12 offset:8192
                                        ; implicit-def: $vgpr12
	s_cbranch_scc0 .LBB540_150
; %bb.148:
	v_lshrrev_b32_e32 v10, s7, v10
	s_sub_i32 s0, s3, s7
	s_min_u32 s0, s0, 8
	v_bfe_u32 v10, v10, 0, s0
	s_mov_b32 s0, -1
	v_lshl_add_u32 v12, v10, 4, 0x3000
	s_branch .LBB540_150
.LBB540_149:
                                        ; implicit-def: $vgpr12
.LBB540_150:
	s_and_b32 vcc_lo, exec_lo, s0
	s_cbranch_vccz .LBB540_152
; %bb.151:
	v_lshl_add_u32 v10, v1, 2, v12
	v_mov_b32_e32 v11, 1
	ds_add_u32 v10, v11
.LBB540_152:
	v_cmp_lt_i32_e32 vcc_lo, -1, v4
	v_mov_b32_e32 v12, 1
	v_cndmask_b32_e64 v10, -1, 0x80000000, vcc_lo
	v_xor_b32_e32 v10, v10, v4
	v_cmp_ne_u32_e32 vcc_lo, 0x7fffffff, v10
	v_cndmask_b32_e32 v11, 0x80000000, v10, vcc_lo
	v_cmp_lt_i32_e32 vcc_lo, -1, v5
	v_lshrrev_b32_e32 v10, s2, v11
	v_and_b32_e32 v10, s4, v10
	v_lshl_or_b32 v10, v10, 4, v2
	ds_add_u32 v10, v12
	v_cndmask_b32_e64 v10, -1, 0x80000000, vcc_lo
	s_and_b32 vcc_lo, exec_lo, s6
	s_mov_b32 s6, -1
	v_xor_b32_e32 v10, v10, v5
	v_cmp_ne_u32_e64 s0, 0x7fffffff, v10
	s_cbranch_vccz .LBB540_154
; %bb.153:
	v_cndmask_b32_e64 v12, 0x80000000, v10, s0
	s_mov_b32 s0, -1
	v_lshrrev_b32_e32 v12, s2, v12
	v_and_b32_e32 v12, s4, v12
	v_lshlrev_b32_e32 v12, 4, v12
	s_cbranch_execz .LBB540_155
	s_branch .LBB540_162
.LBB540_154:
	s_mov_b32 s0, 0
                                        ; implicit-def: $vgpr12
	s_andn2_b32 vcc_lo, exec_lo, s6
	s_cbranch_vccnz .LBB540_162
.LBB540_155:
	s_sub_i32 s6, s3, s5
	v_lshrrev_b32_e32 v12, s5, v11
	s_min_u32 s6, s6, 8
	s_lshl_b32 s6, -1, s6
	s_not_b32 s7, s6
	s_add_i32 s6, s2, 16
	v_and_b32_e32 v12, s7, v12
	s_cmp_gt_u32 s3, s6
	s_cselect_b32 s8, -1, 0
	s_cmp_le_u32 s3, s6
	v_lshl_or_b32 v13, v12, 4, v2
	v_mov_b32_e32 v12, 1
	ds_add_u32 v13, v12 offset:4096
	s_cbranch_scc1 .LBB540_158
; %bb.156:
	v_lshrrev_b32_e32 v13, s6, v11
	s_sub_i32 s9, s3, s6
	s_min_u32 s9, s9, 8
	v_bfe_u32 v13, v13, 0, s9
	s_add_i32 s9, s2, 24
	s_cmp_le_u32 s3, s9
	v_lshl_or_b32 v13, v13, 4, v2
	ds_add_u32 v13, v12 offset:8192
	s_cbranch_scc1 .LBB540_158
; %bb.157:
	v_lshrrev_b32_e32 v11, s9, v11
	s_sub_i32 s9, s3, s9
	v_mov_b32_e32 v13, 1
	s_min_u32 s9, s9, 8
	v_bfe_u32 v11, v11, 0, s9
	v_lshl_or_b32 v11, v11, 4, v2
	ds_add_u32 v11, v13 offset:12288
.LBB540_158:
	v_cmp_ne_u32_e32 vcc_lo, 0x7fffffff, v10
	v_cndmask_b32_e32 v10, 0x80000000, v10, vcc_lo
	s_andn2_b32 vcc_lo, exec_lo, s8
	v_lshrrev_b32_e32 v11, s2, v10
	v_lshrrev_b32_e32 v13, s5, v10
	v_and_b32_e32 v11, s4, v11
	v_and_b32_e32 v13, s7, v13
	v_lshl_or_b32 v11, v11, 4, v2
	v_lshl_or_b32 v13, v13, 4, v2
	ds_add_u32 v11, v12
	ds_add_u32 v13, v12 offset:4096
	s_cbranch_vccnz .LBB540_161
; %bb.159:
	v_lshrrev_b32_e32 v11, s6, v10
	s_sub_i32 s4, s3, s6
                                        ; implicit-def: $vgpr12
	s_min_u32 s4, s4, 8
	v_bfe_u32 v11, v11, 0, s4
	s_add_i32 s4, s2, 24
	s_cmp_gt_u32 s3, s4
	v_lshl_or_b32 v2, v11, 4, v2
	v_mov_b32_e32 v11, 1
	ds_add_u32 v2, v11 offset:8192
	s_cbranch_scc0 .LBB540_162
; %bb.160:
	v_lshrrev_b32_e32 v2, s4, v10
	s_sub_i32 s0, s3, s4
	s_min_u32 s0, s0, 8
	v_bfe_u32 v2, v2, 0, s0
	s_mov_b32 s0, -1
	v_lshl_add_u32 v12, v2, 4, 0x3000
	s_branch .LBB540_162
.LBB540_161:
                                        ; implicit-def: $vgpr12
.LBB540_162:
	s_and_b32 vcc_lo, exec_lo, s0
	s_cbranch_vccz .LBB540_164
; %bb.163:
	v_lshl_add_u32 v1, v1, 2, v12
	v_mov_b32_e32 v2, 1
	ds_add_u32 v1, v2
.LBB540_164:
	s_and_b32 vcc_lo, exec_lo, s1
	s_waitcnt lgkmcnt(0)
	s_barrier
	buffer_gl0_inv
	s_cbranch_vccz .LBB540_169
; %bb.165:
	v_lshlrev_b32_e32 v10, 4, v0
	v_mov_b32_e32 v2, 0
	v_mov_b32_e32 v1, v0
	v_cmp_gt_u32_e32 vcc_lo, 0x100, v0
	s_inst_prefetch 0x1
	s_branch .LBB540_167
	.p2align	6
.LBB540_166:                            ;   in Loop: Header=BB540_167 Depth=1
	s_or_b32 exec_lo, exec_lo, s1
	v_add_nc_u32_e32 v1, 0x100, v1
	v_add_nc_u32_e32 v10, 0x1000, v10
	s_add_i32 s2, s2, 8
	s_cmp_ge_u32 s2, s3
	s_cbranch_scc1 .LBB540_169
.LBB540_167:                            ; =>This Inner Loop Header: Depth=1
	s_and_saveexec_b32 s1, vcc_lo
	s_cbranch_execz .LBB540_166
; %bb.168:                              ;   in Loop: Header=BB540_167 Depth=1
	ds_read2_b32 v[11:12], v10 offset1:1
	ds_read2_b32 v[13:14], v10 offset0:2 offset1:3
	s_waitcnt lgkmcnt(1)
	v_add_nc_u32_e32 v15, v12, v11
	v_lshlrev_b64 v[11:12], 2, v[1:2]
	s_waitcnt lgkmcnt(0)
	v_add3_u32 v13, v15, v13, v14
	v_add_co_u32 v11, s0, s10, v11
	v_add_co_ci_u32_e64 v12, null, s11, v12, s0
	global_atomic_add v[11:12], v13, off
	s_branch .LBB540_166
.LBB540_169:
	s_inst_prefetch 0x2
	s_mov_b32 s0, 0
.LBB540_170:
	s_and_b32 vcc_lo, exec_lo, s0
	s_cbranch_vccz .LBB540_175
; %bb.171:
	v_lshlrev_b32_e32 v1, 2, v0
	v_mov_b32_e32 v2, 0
	s_mov_b32 s0, 0
.LBB540_172:                            ; =>This Inner Loop Header: Depth=1
	v_add_nc_u32_e32 v9, 0x400, v9
	ds_write_b32 v1, v2
	v_add_nc_u32_e32 v1, 0x1000, v1
	v_cmp_lt_u32_e32 vcc_lo, 0xbff, v9
	s_or_b32 s0, vcc_lo, s0
	s_andn2_b32 exec_lo, exec_lo, s0
	s_cbranch_execnz .LBB540_172
; %bb.173:
	s_or_b32 exec_lo, exec_lo, s0
	s_waitcnt vmcnt(5)
	v_cmp_lt_i32_e32 vcc_lo, -1, v6
	v_mov_b32_e32 v11, 1
	s_waitcnt vmcnt(0) lgkmcnt(0)
	s_waitcnt_vscnt null, 0x0
	s_barrier
	buffer_gl0_inv
	v_cndmask_b32_e64 v1, -1, 0x80000000, vcc_lo
	v_cmp_lt_i32_e32 vcc_lo, -1, v7
	s_mov_b32 s0, exec_lo
	v_xor_b32_e32 v1, v1, v6
	v_cndmask_b32_e64 v2, -1, 0x80000000, vcc_lo
	v_cmp_lt_i32_e32 vcc_lo, -1, v8
	v_xor_b32_e32 v2, v2, v7
	v_cndmask_b32_e64 v9, -1, 0x80000000, vcc_lo
	v_cmp_lt_i32_e32 vcc_lo, -1, v3
	;; [unrolled: 3-line block ×3, first 2 shown]
	v_and_b32_e32 v9, 3, v0
	v_xor_b32_e32 v3, v7, v3
	v_cndmask_b32_e64 v8, -1, 0x80000000, vcc_lo
	v_cmp_ne_u32_e32 vcc_lo, 0x7fffffff, v1
	v_xor_b32_e32 v4, v8, v4
	v_cndmask_b32_e32 v1, 0x80000000, v1, vcc_lo
	v_cmp_lt_i32_e32 vcc_lo, -1, v5
	v_lshlrev_b32_e32 v8, 2, v9
	v_lshlrev_b32_e32 v7, 4, v1
	v_cndmask_b32_e64 v10, -1, 0x80000000, vcc_lo
	v_cmp_ne_u32_e32 vcc_lo, 0x7fffffff, v2
	v_bfe_u32 v9, v1, 8, 8
	v_and_or_b32 v7, 0xff0, v7, v8
	v_xor_b32_e32 v5, v10, v5
	v_bfe_u32 v10, v1, 16, 8
	v_lshrrev_b32_e32 v1, 24, v1
	v_cndmask_b32_e32 v2, 0x80000000, v2, vcc_lo
	v_cmp_ne_u32_e32 vcc_lo, 0x7fffffff, v6
	v_lshl_or_b32 v9, v9, 4, v8
	v_lshl_or_b32 v10, v10, 4, v8
	;; [unrolled: 1-line block ×3, first 2 shown]
	ds_add_u32 v7, v11
	ds_add_u32 v9, v11 offset:4096
	ds_add_u32 v10, v11 offset:8192
	;; [unrolled: 1-line block ×3, first 2 shown]
	v_lshlrev_b32_e32 v1, 4, v2
	v_cndmask_b32_e32 v6, 0x80000000, v6, vcc_lo
	v_bfe_u32 v7, v2, 8, 8
	v_bfe_u32 v9, v2, 16, 8
	v_lshrrev_b32_e32 v2, 24, v2
	v_and_or_b32 v1, 0xff0, v1, v8
	v_lshlrev_b32_e32 v10, 4, v6
	v_cmp_ne_u32_e32 vcc_lo, 0x7fffffff, v3
	v_lshl_or_b32 v7, v7, 4, v8
	v_lshl_or_b32 v9, v9, 4, v8
	;; [unrolled: 1-line block ×3, first 2 shown]
	ds_add_u32 v1, v11
	ds_add_u32 v7, v11 offset:4096
	ds_add_u32 v9, v11 offset:8192
	;; [unrolled: 1-line block ×3, first 2 shown]
	v_and_or_b32 v1, 0xff0, v10, v8
	v_bfe_u32 v2, v6, 8, 8
	v_bfe_u32 v7, v6, 16, 8
	v_cndmask_b32_e32 v3, 0x80000000, v3, vcc_lo
	v_lshrrev_b32_e32 v6, 24, v6
	ds_add_u32 v1, v11
	v_lshl_or_b32 v1, v2, 4, v8
	v_lshl_or_b32 v2, v7, 4, v8
	v_lshlrev_b32_e32 v7, 4, v3
	v_cmp_ne_u32_e32 vcc_lo, 0x7fffffff, v4
	v_bfe_u32 v9, v3, 8, 8
	v_lshl_or_b32 v6, v6, 4, v8
	ds_add_u32 v1, v11 offset:4096
	ds_add_u32 v2, v11 offset:8192
	ds_add_u32 v6, v11 offset:12288
	v_and_or_b32 v1, 0xff0, v7, v8
	v_bfe_u32 v6, v3, 16, 8
	v_lshrrev_b32_e32 v3, 24, v3
	v_cndmask_b32_e32 v4, 0x80000000, v4, vcc_lo
	v_lshl_or_b32 v2, v9, 4, v8
	ds_add_u32 v1, v11
	ds_add_u32 v2, v11 offset:4096
	v_lshl_or_b32 v1, v6, 4, v8
	v_lshl_or_b32 v2, v3, 4, v8
	v_lshlrev_b32_e32 v3, 4, v4
	v_bfe_u32 v6, v4, 8, 8
	v_cmp_ne_u32_e32 vcc_lo, 0x7fffffff, v5
	v_bfe_u32 v7, v4, 16, 8
	ds_add_u32 v1, v11 offset:8192
	ds_add_u32 v2, v11 offset:12288
	v_and_or_b32 v1, 0xff0, v3, v8
	v_lshl_or_b32 v2, v6, 4, v8
	v_cndmask_b32_e32 v5, 0x80000000, v5, vcc_lo
	v_lshl_or_b32 v3, v7, 4, v8
	ds_add_u32 v1, v11
	ds_add_u32 v2, v11 offset:4096
	ds_add_u32 v3, v11 offset:8192
	v_lshrrev_b32_e32 v1, 24, v4
	v_lshlrev_b32_e32 v2, 4, v5
	v_bfe_u32 v3, v5, 8, 8
	v_bfe_u32 v4, v5, 16, 8
	v_lshrrev_b32_e32 v5, 24, v5
	v_lshl_or_b32 v1, v1, 4, v8
	v_and_or_b32 v2, 0xff0, v2, v8
	v_lshl_or_b32 v3, v3, 4, v8
	v_lshl_or_b32 v4, v4, 4, v8
	;; [unrolled: 1-line block ×3, first 2 shown]
	ds_add_u32 v1, v11 offset:12288
	ds_add_u32 v2, v11
	ds_add_u32 v3, v11 offset:4096
	ds_add_u32 v4, v11 offset:8192
	;; [unrolled: 1-line block ×3, first 2 shown]
	s_waitcnt lgkmcnt(0)
	s_barrier
	buffer_gl0_inv
	v_cmpx_gt_u32_e32 0x100, v0
	s_cbranch_execz .LBB540_175
; %bb.174:
	v_lshlrev_b32_e32 v5, 4, v0
	v_lshlrev_b32_e32 v6, 2, v0
	ds_read2_b32 v[1:2], v5 offset1:1
	ds_read2_b32 v[3:4], v5 offset0:2 offset1:3
	s_waitcnt lgkmcnt(1)
	v_add_nc_u32_e32 v1, v2, v1
	v_add_nc_u32_e32 v2, 0x1008, v5
	s_waitcnt lgkmcnt(0)
	v_add3_u32 v0, v1, v3, v4
	v_add_nc_u32_e32 v1, 0x1000, v5
	v_add_co_u32 v4, s0, s10, v6
	global_atomic_add v6, v0, s[10:11]
	ds_read2_b32 v[0:1], v1 offset1:1
	ds_read2_b32 v[2:3], v2 offset1:1
	s_waitcnt lgkmcnt(1)
	v_add_nc_u32_e32 v0, v1, v0
	v_add_nc_u32_e32 v1, 0x2000, v5
	s_waitcnt lgkmcnt(0)
	v_add3_u32 v0, v0, v2, v3
	v_add_nc_u32_e32 v2, 0x2008, v5
	global_atomic_add v6, v0, s[10:11] offset:1024
	ds_read2_b32 v[0:1], v1 offset1:1
	ds_read2_b32 v[2:3], v2 offset1:1
	v_add_co_ci_u32_e64 v6, null, s11, 0, s0
	s_waitcnt lgkmcnt(1)
	v_add_nc_u32_e32 v7, v1, v0
	v_add_co_u32 v0, vcc_lo, 0x800, v4
	v_add_co_ci_u32_e64 v1, null, 0, v6, vcc_lo
	s_waitcnt lgkmcnt(0)
	v_add3_u32 v2, v7, v2, v3
	v_add_nc_u32_e32 v3, 0x3000, v5
	v_add_nc_u32_e32 v4, 0x3008, v5
	global_atomic_add v[0:1], v2, off
	ds_read2_b32 v[2:3], v3 offset1:1
	ds_read2_b32 v[4:5], v4 offset1:1
	s_waitcnt lgkmcnt(1)
	v_add_nc_u32_e32 v2, v3, v2
	s_waitcnt lgkmcnt(0)
	v_add3_u32 v2, v2, v4, v5
	global_atomic_add v[0:1], v2, off offset:1024
.LBB540_175:
	s_endpgm
	.section	.rodata,"a",@progbits
	.p2align	6, 0x0
	.amdhsa_kernel _ZN7rocprim17ROCPRIM_400000_NS6detail17trampoline_kernelINS0_14default_configENS1_35radix_sort_onesweep_config_selectorIfNS0_10empty_typeEEEZNS1_34radix_sort_onesweep_global_offsetsIS3_Lb0EN6thrust23THRUST_200600_302600_NS6detail15normal_iteratorINS9_10device_ptrIfEEEEPS5_jNS0_19identity_decomposerEEE10hipError_tT1_T2_PT3_SK_jT4_jjP12ihipStream_tbEUlT_E_NS1_11comp_targetILNS1_3genE8ELNS1_11target_archE1030ELNS1_3gpuE2ELNS1_3repE0EEENS1_52radix_sort_onesweep_histogram_config_static_selectorELNS0_4arch9wavefront6targetE0EEEvSI_
		.amdhsa_group_segment_fixed_size 16384
		.amdhsa_private_segment_fixed_size 0
		.amdhsa_kernarg_size 40
		.amdhsa_user_sgpr_count 6
		.amdhsa_user_sgpr_private_segment_buffer 1
		.amdhsa_user_sgpr_dispatch_ptr 0
		.amdhsa_user_sgpr_queue_ptr 0
		.amdhsa_user_sgpr_kernarg_segment_ptr 1
		.amdhsa_user_sgpr_dispatch_id 0
		.amdhsa_user_sgpr_flat_scratch_init 0
		.amdhsa_user_sgpr_private_segment_size 0
		.amdhsa_wavefront_size32 1
		.amdhsa_uses_dynamic_stack 0
		.amdhsa_system_sgpr_private_segment_wavefront_offset 0
		.amdhsa_system_sgpr_workgroup_id_x 1
		.amdhsa_system_sgpr_workgroup_id_y 0
		.amdhsa_system_sgpr_workgroup_id_z 0
		.amdhsa_system_sgpr_workgroup_info 0
		.amdhsa_system_vgpr_workitem_id 0
		.amdhsa_next_free_vgpr 16
		.amdhsa_next_free_sgpr 14
		.amdhsa_reserve_vcc 1
		.amdhsa_reserve_flat_scratch 0
		.amdhsa_float_round_mode_32 0
		.amdhsa_float_round_mode_16_64 0
		.amdhsa_float_denorm_mode_32 3
		.amdhsa_float_denorm_mode_16_64 3
		.amdhsa_dx10_clamp 1
		.amdhsa_ieee_mode 1
		.amdhsa_fp16_overflow 0
		.amdhsa_workgroup_processor_mode 1
		.amdhsa_memory_ordered 1
		.amdhsa_forward_progress 1
		.amdhsa_shared_vgpr_count 0
		.amdhsa_exception_fp_ieee_invalid_op 0
		.amdhsa_exception_fp_denorm_src 0
		.amdhsa_exception_fp_ieee_div_zero 0
		.amdhsa_exception_fp_ieee_overflow 0
		.amdhsa_exception_fp_ieee_underflow 0
		.amdhsa_exception_fp_ieee_inexact 0
		.amdhsa_exception_int_div_zero 0
	.end_amdhsa_kernel
	.section	.text._ZN7rocprim17ROCPRIM_400000_NS6detail17trampoline_kernelINS0_14default_configENS1_35radix_sort_onesweep_config_selectorIfNS0_10empty_typeEEEZNS1_34radix_sort_onesweep_global_offsetsIS3_Lb0EN6thrust23THRUST_200600_302600_NS6detail15normal_iteratorINS9_10device_ptrIfEEEEPS5_jNS0_19identity_decomposerEEE10hipError_tT1_T2_PT3_SK_jT4_jjP12ihipStream_tbEUlT_E_NS1_11comp_targetILNS1_3genE8ELNS1_11target_archE1030ELNS1_3gpuE2ELNS1_3repE0EEENS1_52radix_sort_onesweep_histogram_config_static_selectorELNS0_4arch9wavefront6targetE0EEEvSI_,"axG",@progbits,_ZN7rocprim17ROCPRIM_400000_NS6detail17trampoline_kernelINS0_14default_configENS1_35radix_sort_onesweep_config_selectorIfNS0_10empty_typeEEEZNS1_34radix_sort_onesweep_global_offsetsIS3_Lb0EN6thrust23THRUST_200600_302600_NS6detail15normal_iteratorINS9_10device_ptrIfEEEEPS5_jNS0_19identity_decomposerEEE10hipError_tT1_T2_PT3_SK_jT4_jjP12ihipStream_tbEUlT_E_NS1_11comp_targetILNS1_3genE8ELNS1_11target_archE1030ELNS1_3gpuE2ELNS1_3repE0EEENS1_52radix_sort_onesweep_histogram_config_static_selectorELNS0_4arch9wavefront6targetE0EEEvSI_,comdat
.Lfunc_end540:
	.size	_ZN7rocprim17ROCPRIM_400000_NS6detail17trampoline_kernelINS0_14default_configENS1_35radix_sort_onesweep_config_selectorIfNS0_10empty_typeEEEZNS1_34radix_sort_onesweep_global_offsetsIS3_Lb0EN6thrust23THRUST_200600_302600_NS6detail15normal_iteratorINS9_10device_ptrIfEEEEPS5_jNS0_19identity_decomposerEEE10hipError_tT1_T2_PT3_SK_jT4_jjP12ihipStream_tbEUlT_E_NS1_11comp_targetILNS1_3genE8ELNS1_11target_archE1030ELNS1_3gpuE2ELNS1_3repE0EEENS1_52radix_sort_onesweep_histogram_config_static_selectorELNS0_4arch9wavefront6targetE0EEEvSI_, .Lfunc_end540-_ZN7rocprim17ROCPRIM_400000_NS6detail17trampoline_kernelINS0_14default_configENS1_35radix_sort_onesweep_config_selectorIfNS0_10empty_typeEEEZNS1_34radix_sort_onesweep_global_offsetsIS3_Lb0EN6thrust23THRUST_200600_302600_NS6detail15normal_iteratorINS9_10device_ptrIfEEEEPS5_jNS0_19identity_decomposerEEE10hipError_tT1_T2_PT3_SK_jT4_jjP12ihipStream_tbEUlT_E_NS1_11comp_targetILNS1_3genE8ELNS1_11target_archE1030ELNS1_3gpuE2ELNS1_3repE0EEENS1_52radix_sort_onesweep_histogram_config_static_selectorELNS0_4arch9wavefront6targetE0EEEvSI_
                                        ; -- End function
	.set _ZN7rocprim17ROCPRIM_400000_NS6detail17trampoline_kernelINS0_14default_configENS1_35radix_sort_onesweep_config_selectorIfNS0_10empty_typeEEEZNS1_34radix_sort_onesweep_global_offsetsIS3_Lb0EN6thrust23THRUST_200600_302600_NS6detail15normal_iteratorINS9_10device_ptrIfEEEEPS5_jNS0_19identity_decomposerEEE10hipError_tT1_T2_PT3_SK_jT4_jjP12ihipStream_tbEUlT_E_NS1_11comp_targetILNS1_3genE8ELNS1_11target_archE1030ELNS1_3gpuE2ELNS1_3repE0EEENS1_52radix_sort_onesweep_histogram_config_static_selectorELNS0_4arch9wavefront6targetE0EEEvSI_.num_vgpr, 16
	.set _ZN7rocprim17ROCPRIM_400000_NS6detail17trampoline_kernelINS0_14default_configENS1_35radix_sort_onesweep_config_selectorIfNS0_10empty_typeEEEZNS1_34radix_sort_onesweep_global_offsetsIS3_Lb0EN6thrust23THRUST_200600_302600_NS6detail15normal_iteratorINS9_10device_ptrIfEEEEPS5_jNS0_19identity_decomposerEEE10hipError_tT1_T2_PT3_SK_jT4_jjP12ihipStream_tbEUlT_E_NS1_11comp_targetILNS1_3genE8ELNS1_11target_archE1030ELNS1_3gpuE2ELNS1_3repE0EEENS1_52radix_sort_onesweep_histogram_config_static_selectorELNS0_4arch9wavefront6targetE0EEEvSI_.num_agpr, 0
	.set _ZN7rocprim17ROCPRIM_400000_NS6detail17trampoline_kernelINS0_14default_configENS1_35radix_sort_onesweep_config_selectorIfNS0_10empty_typeEEEZNS1_34radix_sort_onesweep_global_offsetsIS3_Lb0EN6thrust23THRUST_200600_302600_NS6detail15normal_iteratorINS9_10device_ptrIfEEEEPS5_jNS0_19identity_decomposerEEE10hipError_tT1_T2_PT3_SK_jT4_jjP12ihipStream_tbEUlT_E_NS1_11comp_targetILNS1_3genE8ELNS1_11target_archE1030ELNS1_3gpuE2ELNS1_3repE0EEENS1_52radix_sort_onesweep_histogram_config_static_selectorELNS0_4arch9wavefront6targetE0EEEvSI_.numbered_sgpr, 14
	.set _ZN7rocprim17ROCPRIM_400000_NS6detail17trampoline_kernelINS0_14default_configENS1_35radix_sort_onesweep_config_selectorIfNS0_10empty_typeEEEZNS1_34radix_sort_onesweep_global_offsetsIS3_Lb0EN6thrust23THRUST_200600_302600_NS6detail15normal_iteratorINS9_10device_ptrIfEEEEPS5_jNS0_19identity_decomposerEEE10hipError_tT1_T2_PT3_SK_jT4_jjP12ihipStream_tbEUlT_E_NS1_11comp_targetILNS1_3genE8ELNS1_11target_archE1030ELNS1_3gpuE2ELNS1_3repE0EEENS1_52radix_sort_onesweep_histogram_config_static_selectorELNS0_4arch9wavefront6targetE0EEEvSI_.num_named_barrier, 0
	.set _ZN7rocprim17ROCPRIM_400000_NS6detail17trampoline_kernelINS0_14default_configENS1_35radix_sort_onesweep_config_selectorIfNS0_10empty_typeEEEZNS1_34radix_sort_onesweep_global_offsetsIS3_Lb0EN6thrust23THRUST_200600_302600_NS6detail15normal_iteratorINS9_10device_ptrIfEEEEPS5_jNS0_19identity_decomposerEEE10hipError_tT1_T2_PT3_SK_jT4_jjP12ihipStream_tbEUlT_E_NS1_11comp_targetILNS1_3genE8ELNS1_11target_archE1030ELNS1_3gpuE2ELNS1_3repE0EEENS1_52radix_sort_onesweep_histogram_config_static_selectorELNS0_4arch9wavefront6targetE0EEEvSI_.private_seg_size, 0
	.set _ZN7rocprim17ROCPRIM_400000_NS6detail17trampoline_kernelINS0_14default_configENS1_35radix_sort_onesweep_config_selectorIfNS0_10empty_typeEEEZNS1_34radix_sort_onesweep_global_offsetsIS3_Lb0EN6thrust23THRUST_200600_302600_NS6detail15normal_iteratorINS9_10device_ptrIfEEEEPS5_jNS0_19identity_decomposerEEE10hipError_tT1_T2_PT3_SK_jT4_jjP12ihipStream_tbEUlT_E_NS1_11comp_targetILNS1_3genE8ELNS1_11target_archE1030ELNS1_3gpuE2ELNS1_3repE0EEENS1_52radix_sort_onesweep_histogram_config_static_selectorELNS0_4arch9wavefront6targetE0EEEvSI_.uses_vcc, 1
	.set _ZN7rocprim17ROCPRIM_400000_NS6detail17trampoline_kernelINS0_14default_configENS1_35radix_sort_onesweep_config_selectorIfNS0_10empty_typeEEEZNS1_34radix_sort_onesweep_global_offsetsIS3_Lb0EN6thrust23THRUST_200600_302600_NS6detail15normal_iteratorINS9_10device_ptrIfEEEEPS5_jNS0_19identity_decomposerEEE10hipError_tT1_T2_PT3_SK_jT4_jjP12ihipStream_tbEUlT_E_NS1_11comp_targetILNS1_3genE8ELNS1_11target_archE1030ELNS1_3gpuE2ELNS1_3repE0EEENS1_52radix_sort_onesweep_histogram_config_static_selectorELNS0_4arch9wavefront6targetE0EEEvSI_.uses_flat_scratch, 0
	.set _ZN7rocprim17ROCPRIM_400000_NS6detail17trampoline_kernelINS0_14default_configENS1_35radix_sort_onesweep_config_selectorIfNS0_10empty_typeEEEZNS1_34radix_sort_onesweep_global_offsetsIS3_Lb0EN6thrust23THRUST_200600_302600_NS6detail15normal_iteratorINS9_10device_ptrIfEEEEPS5_jNS0_19identity_decomposerEEE10hipError_tT1_T2_PT3_SK_jT4_jjP12ihipStream_tbEUlT_E_NS1_11comp_targetILNS1_3genE8ELNS1_11target_archE1030ELNS1_3gpuE2ELNS1_3repE0EEENS1_52radix_sort_onesweep_histogram_config_static_selectorELNS0_4arch9wavefront6targetE0EEEvSI_.has_dyn_sized_stack, 0
	.set _ZN7rocprim17ROCPRIM_400000_NS6detail17trampoline_kernelINS0_14default_configENS1_35radix_sort_onesweep_config_selectorIfNS0_10empty_typeEEEZNS1_34radix_sort_onesweep_global_offsetsIS3_Lb0EN6thrust23THRUST_200600_302600_NS6detail15normal_iteratorINS9_10device_ptrIfEEEEPS5_jNS0_19identity_decomposerEEE10hipError_tT1_T2_PT3_SK_jT4_jjP12ihipStream_tbEUlT_E_NS1_11comp_targetILNS1_3genE8ELNS1_11target_archE1030ELNS1_3gpuE2ELNS1_3repE0EEENS1_52radix_sort_onesweep_histogram_config_static_selectorELNS0_4arch9wavefront6targetE0EEEvSI_.has_recursion, 0
	.set _ZN7rocprim17ROCPRIM_400000_NS6detail17trampoline_kernelINS0_14default_configENS1_35radix_sort_onesweep_config_selectorIfNS0_10empty_typeEEEZNS1_34radix_sort_onesweep_global_offsetsIS3_Lb0EN6thrust23THRUST_200600_302600_NS6detail15normal_iteratorINS9_10device_ptrIfEEEEPS5_jNS0_19identity_decomposerEEE10hipError_tT1_T2_PT3_SK_jT4_jjP12ihipStream_tbEUlT_E_NS1_11comp_targetILNS1_3genE8ELNS1_11target_archE1030ELNS1_3gpuE2ELNS1_3repE0EEENS1_52radix_sort_onesweep_histogram_config_static_selectorELNS0_4arch9wavefront6targetE0EEEvSI_.has_indirect_call, 0
	.section	.AMDGPU.csdata,"",@progbits
; Kernel info:
; codeLenInByte = 6800
; TotalNumSgprs: 16
; NumVgprs: 16
; ScratchSize: 0
; MemoryBound: 0
; FloatMode: 240
; IeeeMode: 1
; LDSByteSize: 16384 bytes/workgroup (compile time only)
; SGPRBlocks: 0
; VGPRBlocks: 1
; NumSGPRsForWavesPerEU: 16
; NumVGPRsForWavesPerEU: 16
; Occupancy: 16
; WaveLimiterHint : 1
; COMPUTE_PGM_RSRC2:SCRATCH_EN: 0
; COMPUTE_PGM_RSRC2:USER_SGPR: 6
; COMPUTE_PGM_RSRC2:TRAP_HANDLER: 0
; COMPUTE_PGM_RSRC2:TGID_X_EN: 1
; COMPUTE_PGM_RSRC2:TGID_Y_EN: 0
; COMPUTE_PGM_RSRC2:TGID_Z_EN: 0
; COMPUTE_PGM_RSRC2:TIDIG_COMP_CNT: 0
	.section	.text._ZN7rocprim17ROCPRIM_400000_NS6detail17trampoline_kernelINS0_14default_configENS1_35radix_sort_onesweep_config_selectorIfNS0_10empty_typeEEEZNS1_34radix_sort_onesweep_global_offsetsIS3_Lb0EN6thrust23THRUST_200600_302600_NS6detail15normal_iteratorINS9_10device_ptrIfEEEEPS5_jNS0_19identity_decomposerEEE10hipError_tT1_T2_PT3_SK_jT4_jjP12ihipStream_tbEUlT_E0_NS1_11comp_targetILNS1_3genE0ELNS1_11target_archE4294967295ELNS1_3gpuE0ELNS1_3repE0EEENS1_52radix_sort_onesweep_histogram_config_static_selectorELNS0_4arch9wavefront6targetE0EEEvSI_,"axG",@progbits,_ZN7rocprim17ROCPRIM_400000_NS6detail17trampoline_kernelINS0_14default_configENS1_35radix_sort_onesweep_config_selectorIfNS0_10empty_typeEEEZNS1_34radix_sort_onesweep_global_offsetsIS3_Lb0EN6thrust23THRUST_200600_302600_NS6detail15normal_iteratorINS9_10device_ptrIfEEEEPS5_jNS0_19identity_decomposerEEE10hipError_tT1_T2_PT3_SK_jT4_jjP12ihipStream_tbEUlT_E0_NS1_11comp_targetILNS1_3genE0ELNS1_11target_archE4294967295ELNS1_3gpuE0ELNS1_3repE0EEENS1_52radix_sort_onesweep_histogram_config_static_selectorELNS0_4arch9wavefront6targetE0EEEvSI_,comdat
	.protected	_ZN7rocprim17ROCPRIM_400000_NS6detail17trampoline_kernelINS0_14default_configENS1_35radix_sort_onesweep_config_selectorIfNS0_10empty_typeEEEZNS1_34radix_sort_onesweep_global_offsetsIS3_Lb0EN6thrust23THRUST_200600_302600_NS6detail15normal_iteratorINS9_10device_ptrIfEEEEPS5_jNS0_19identity_decomposerEEE10hipError_tT1_T2_PT3_SK_jT4_jjP12ihipStream_tbEUlT_E0_NS1_11comp_targetILNS1_3genE0ELNS1_11target_archE4294967295ELNS1_3gpuE0ELNS1_3repE0EEENS1_52radix_sort_onesweep_histogram_config_static_selectorELNS0_4arch9wavefront6targetE0EEEvSI_ ; -- Begin function _ZN7rocprim17ROCPRIM_400000_NS6detail17trampoline_kernelINS0_14default_configENS1_35radix_sort_onesweep_config_selectorIfNS0_10empty_typeEEEZNS1_34radix_sort_onesweep_global_offsetsIS3_Lb0EN6thrust23THRUST_200600_302600_NS6detail15normal_iteratorINS9_10device_ptrIfEEEEPS5_jNS0_19identity_decomposerEEE10hipError_tT1_T2_PT3_SK_jT4_jjP12ihipStream_tbEUlT_E0_NS1_11comp_targetILNS1_3genE0ELNS1_11target_archE4294967295ELNS1_3gpuE0ELNS1_3repE0EEENS1_52radix_sort_onesweep_histogram_config_static_selectorELNS0_4arch9wavefront6targetE0EEEvSI_
	.globl	_ZN7rocprim17ROCPRIM_400000_NS6detail17trampoline_kernelINS0_14default_configENS1_35radix_sort_onesweep_config_selectorIfNS0_10empty_typeEEEZNS1_34radix_sort_onesweep_global_offsetsIS3_Lb0EN6thrust23THRUST_200600_302600_NS6detail15normal_iteratorINS9_10device_ptrIfEEEEPS5_jNS0_19identity_decomposerEEE10hipError_tT1_T2_PT3_SK_jT4_jjP12ihipStream_tbEUlT_E0_NS1_11comp_targetILNS1_3genE0ELNS1_11target_archE4294967295ELNS1_3gpuE0ELNS1_3repE0EEENS1_52radix_sort_onesweep_histogram_config_static_selectorELNS0_4arch9wavefront6targetE0EEEvSI_
	.p2align	8
	.type	_ZN7rocprim17ROCPRIM_400000_NS6detail17trampoline_kernelINS0_14default_configENS1_35radix_sort_onesweep_config_selectorIfNS0_10empty_typeEEEZNS1_34radix_sort_onesweep_global_offsetsIS3_Lb0EN6thrust23THRUST_200600_302600_NS6detail15normal_iteratorINS9_10device_ptrIfEEEEPS5_jNS0_19identity_decomposerEEE10hipError_tT1_T2_PT3_SK_jT4_jjP12ihipStream_tbEUlT_E0_NS1_11comp_targetILNS1_3genE0ELNS1_11target_archE4294967295ELNS1_3gpuE0ELNS1_3repE0EEENS1_52radix_sort_onesweep_histogram_config_static_selectorELNS0_4arch9wavefront6targetE0EEEvSI_,@function
_ZN7rocprim17ROCPRIM_400000_NS6detail17trampoline_kernelINS0_14default_configENS1_35radix_sort_onesweep_config_selectorIfNS0_10empty_typeEEEZNS1_34radix_sort_onesweep_global_offsetsIS3_Lb0EN6thrust23THRUST_200600_302600_NS6detail15normal_iteratorINS9_10device_ptrIfEEEEPS5_jNS0_19identity_decomposerEEE10hipError_tT1_T2_PT3_SK_jT4_jjP12ihipStream_tbEUlT_E0_NS1_11comp_targetILNS1_3genE0ELNS1_11target_archE4294967295ELNS1_3gpuE0ELNS1_3repE0EEENS1_52radix_sort_onesweep_histogram_config_static_selectorELNS0_4arch9wavefront6targetE0EEEvSI_: ; @_ZN7rocprim17ROCPRIM_400000_NS6detail17trampoline_kernelINS0_14default_configENS1_35radix_sort_onesweep_config_selectorIfNS0_10empty_typeEEEZNS1_34radix_sort_onesweep_global_offsetsIS3_Lb0EN6thrust23THRUST_200600_302600_NS6detail15normal_iteratorINS9_10device_ptrIfEEEEPS5_jNS0_19identity_decomposerEEE10hipError_tT1_T2_PT3_SK_jT4_jjP12ihipStream_tbEUlT_E0_NS1_11comp_targetILNS1_3genE0ELNS1_11target_archE4294967295ELNS1_3gpuE0ELNS1_3repE0EEENS1_52radix_sort_onesweep_histogram_config_static_selectorELNS0_4arch9wavefront6targetE0EEEvSI_
; %bb.0:
	.section	.rodata,"a",@progbits
	.p2align	6, 0x0
	.amdhsa_kernel _ZN7rocprim17ROCPRIM_400000_NS6detail17trampoline_kernelINS0_14default_configENS1_35radix_sort_onesweep_config_selectorIfNS0_10empty_typeEEEZNS1_34radix_sort_onesweep_global_offsetsIS3_Lb0EN6thrust23THRUST_200600_302600_NS6detail15normal_iteratorINS9_10device_ptrIfEEEEPS5_jNS0_19identity_decomposerEEE10hipError_tT1_T2_PT3_SK_jT4_jjP12ihipStream_tbEUlT_E0_NS1_11comp_targetILNS1_3genE0ELNS1_11target_archE4294967295ELNS1_3gpuE0ELNS1_3repE0EEENS1_52radix_sort_onesweep_histogram_config_static_selectorELNS0_4arch9wavefront6targetE0EEEvSI_
		.amdhsa_group_segment_fixed_size 0
		.amdhsa_private_segment_fixed_size 0
		.amdhsa_kernarg_size 8
		.amdhsa_user_sgpr_count 6
		.amdhsa_user_sgpr_private_segment_buffer 1
		.amdhsa_user_sgpr_dispatch_ptr 0
		.amdhsa_user_sgpr_queue_ptr 0
		.amdhsa_user_sgpr_kernarg_segment_ptr 1
		.amdhsa_user_sgpr_dispatch_id 0
		.amdhsa_user_sgpr_flat_scratch_init 0
		.amdhsa_user_sgpr_private_segment_size 0
		.amdhsa_wavefront_size32 1
		.amdhsa_uses_dynamic_stack 0
		.amdhsa_system_sgpr_private_segment_wavefront_offset 0
		.amdhsa_system_sgpr_workgroup_id_x 1
		.amdhsa_system_sgpr_workgroup_id_y 0
		.amdhsa_system_sgpr_workgroup_id_z 0
		.amdhsa_system_sgpr_workgroup_info 0
		.amdhsa_system_vgpr_workitem_id 0
		.amdhsa_next_free_vgpr 1
		.amdhsa_next_free_sgpr 1
		.amdhsa_reserve_vcc 0
		.amdhsa_reserve_flat_scratch 0
		.amdhsa_float_round_mode_32 0
		.amdhsa_float_round_mode_16_64 0
		.amdhsa_float_denorm_mode_32 3
		.amdhsa_float_denorm_mode_16_64 3
		.amdhsa_dx10_clamp 1
		.amdhsa_ieee_mode 1
		.amdhsa_fp16_overflow 0
		.amdhsa_workgroup_processor_mode 1
		.amdhsa_memory_ordered 1
		.amdhsa_forward_progress 1
		.amdhsa_shared_vgpr_count 0
		.amdhsa_exception_fp_ieee_invalid_op 0
		.amdhsa_exception_fp_denorm_src 0
		.amdhsa_exception_fp_ieee_div_zero 0
		.amdhsa_exception_fp_ieee_overflow 0
		.amdhsa_exception_fp_ieee_underflow 0
		.amdhsa_exception_fp_ieee_inexact 0
		.amdhsa_exception_int_div_zero 0
	.end_amdhsa_kernel
	.section	.text._ZN7rocprim17ROCPRIM_400000_NS6detail17trampoline_kernelINS0_14default_configENS1_35radix_sort_onesweep_config_selectorIfNS0_10empty_typeEEEZNS1_34radix_sort_onesweep_global_offsetsIS3_Lb0EN6thrust23THRUST_200600_302600_NS6detail15normal_iteratorINS9_10device_ptrIfEEEEPS5_jNS0_19identity_decomposerEEE10hipError_tT1_T2_PT3_SK_jT4_jjP12ihipStream_tbEUlT_E0_NS1_11comp_targetILNS1_3genE0ELNS1_11target_archE4294967295ELNS1_3gpuE0ELNS1_3repE0EEENS1_52radix_sort_onesweep_histogram_config_static_selectorELNS0_4arch9wavefront6targetE0EEEvSI_,"axG",@progbits,_ZN7rocprim17ROCPRIM_400000_NS6detail17trampoline_kernelINS0_14default_configENS1_35radix_sort_onesweep_config_selectorIfNS0_10empty_typeEEEZNS1_34radix_sort_onesweep_global_offsetsIS3_Lb0EN6thrust23THRUST_200600_302600_NS6detail15normal_iteratorINS9_10device_ptrIfEEEEPS5_jNS0_19identity_decomposerEEE10hipError_tT1_T2_PT3_SK_jT4_jjP12ihipStream_tbEUlT_E0_NS1_11comp_targetILNS1_3genE0ELNS1_11target_archE4294967295ELNS1_3gpuE0ELNS1_3repE0EEENS1_52radix_sort_onesweep_histogram_config_static_selectorELNS0_4arch9wavefront6targetE0EEEvSI_,comdat
.Lfunc_end541:
	.size	_ZN7rocprim17ROCPRIM_400000_NS6detail17trampoline_kernelINS0_14default_configENS1_35radix_sort_onesweep_config_selectorIfNS0_10empty_typeEEEZNS1_34radix_sort_onesweep_global_offsetsIS3_Lb0EN6thrust23THRUST_200600_302600_NS6detail15normal_iteratorINS9_10device_ptrIfEEEEPS5_jNS0_19identity_decomposerEEE10hipError_tT1_T2_PT3_SK_jT4_jjP12ihipStream_tbEUlT_E0_NS1_11comp_targetILNS1_3genE0ELNS1_11target_archE4294967295ELNS1_3gpuE0ELNS1_3repE0EEENS1_52radix_sort_onesweep_histogram_config_static_selectorELNS0_4arch9wavefront6targetE0EEEvSI_, .Lfunc_end541-_ZN7rocprim17ROCPRIM_400000_NS6detail17trampoline_kernelINS0_14default_configENS1_35radix_sort_onesweep_config_selectorIfNS0_10empty_typeEEEZNS1_34radix_sort_onesweep_global_offsetsIS3_Lb0EN6thrust23THRUST_200600_302600_NS6detail15normal_iteratorINS9_10device_ptrIfEEEEPS5_jNS0_19identity_decomposerEEE10hipError_tT1_T2_PT3_SK_jT4_jjP12ihipStream_tbEUlT_E0_NS1_11comp_targetILNS1_3genE0ELNS1_11target_archE4294967295ELNS1_3gpuE0ELNS1_3repE0EEENS1_52radix_sort_onesweep_histogram_config_static_selectorELNS0_4arch9wavefront6targetE0EEEvSI_
                                        ; -- End function
	.set _ZN7rocprim17ROCPRIM_400000_NS6detail17trampoline_kernelINS0_14default_configENS1_35radix_sort_onesweep_config_selectorIfNS0_10empty_typeEEEZNS1_34radix_sort_onesweep_global_offsetsIS3_Lb0EN6thrust23THRUST_200600_302600_NS6detail15normal_iteratorINS9_10device_ptrIfEEEEPS5_jNS0_19identity_decomposerEEE10hipError_tT1_T2_PT3_SK_jT4_jjP12ihipStream_tbEUlT_E0_NS1_11comp_targetILNS1_3genE0ELNS1_11target_archE4294967295ELNS1_3gpuE0ELNS1_3repE0EEENS1_52radix_sort_onesweep_histogram_config_static_selectorELNS0_4arch9wavefront6targetE0EEEvSI_.num_vgpr, 0
	.set _ZN7rocprim17ROCPRIM_400000_NS6detail17trampoline_kernelINS0_14default_configENS1_35radix_sort_onesweep_config_selectorIfNS0_10empty_typeEEEZNS1_34radix_sort_onesweep_global_offsetsIS3_Lb0EN6thrust23THRUST_200600_302600_NS6detail15normal_iteratorINS9_10device_ptrIfEEEEPS5_jNS0_19identity_decomposerEEE10hipError_tT1_T2_PT3_SK_jT4_jjP12ihipStream_tbEUlT_E0_NS1_11comp_targetILNS1_3genE0ELNS1_11target_archE4294967295ELNS1_3gpuE0ELNS1_3repE0EEENS1_52radix_sort_onesweep_histogram_config_static_selectorELNS0_4arch9wavefront6targetE0EEEvSI_.num_agpr, 0
	.set _ZN7rocprim17ROCPRIM_400000_NS6detail17trampoline_kernelINS0_14default_configENS1_35radix_sort_onesweep_config_selectorIfNS0_10empty_typeEEEZNS1_34radix_sort_onesweep_global_offsetsIS3_Lb0EN6thrust23THRUST_200600_302600_NS6detail15normal_iteratorINS9_10device_ptrIfEEEEPS5_jNS0_19identity_decomposerEEE10hipError_tT1_T2_PT3_SK_jT4_jjP12ihipStream_tbEUlT_E0_NS1_11comp_targetILNS1_3genE0ELNS1_11target_archE4294967295ELNS1_3gpuE0ELNS1_3repE0EEENS1_52radix_sort_onesweep_histogram_config_static_selectorELNS0_4arch9wavefront6targetE0EEEvSI_.numbered_sgpr, 0
	.set _ZN7rocprim17ROCPRIM_400000_NS6detail17trampoline_kernelINS0_14default_configENS1_35radix_sort_onesweep_config_selectorIfNS0_10empty_typeEEEZNS1_34radix_sort_onesweep_global_offsetsIS3_Lb0EN6thrust23THRUST_200600_302600_NS6detail15normal_iteratorINS9_10device_ptrIfEEEEPS5_jNS0_19identity_decomposerEEE10hipError_tT1_T2_PT3_SK_jT4_jjP12ihipStream_tbEUlT_E0_NS1_11comp_targetILNS1_3genE0ELNS1_11target_archE4294967295ELNS1_3gpuE0ELNS1_3repE0EEENS1_52radix_sort_onesweep_histogram_config_static_selectorELNS0_4arch9wavefront6targetE0EEEvSI_.num_named_barrier, 0
	.set _ZN7rocprim17ROCPRIM_400000_NS6detail17trampoline_kernelINS0_14default_configENS1_35radix_sort_onesweep_config_selectorIfNS0_10empty_typeEEEZNS1_34radix_sort_onesweep_global_offsetsIS3_Lb0EN6thrust23THRUST_200600_302600_NS6detail15normal_iteratorINS9_10device_ptrIfEEEEPS5_jNS0_19identity_decomposerEEE10hipError_tT1_T2_PT3_SK_jT4_jjP12ihipStream_tbEUlT_E0_NS1_11comp_targetILNS1_3genE0ELNS1_11target_archE4294967295ELNS1_3gpuE0ELNS1_3repE0EEENS1_52radix_sort_onesweep_histogram_config_static_selectorELNS0_4arch9wavefront6targetE0EEEvSI_.private_seg_size, 0
	.set _ZN7rocprim17ROCPRIM_400000_NS6detail17trampoline_kernelINS0_14default_configENS1_35radix_sort_onesweep_config_selectorIfNS0_10empty_typeEEEZNS1_34radix_sort_onesweep_global_offsetsIS3_Lb0EN6thrust23THRUST_200600_302600_NS6detail15normal_iteratorINS9_10device_ptrIfEEEEPS5_jNS0_19identity_decomposerEEE10hipError_tT1_T2_PT3_SK_jT4_jjP12ihipStream_tbEUlT_E0_NS1_11comp_targetILNS1_3genE0ELNS1_11target_archE4294967295ELNS1_3gpuE0ELNS1_3repE0EEENS1_52radix_sort_onesweep_histogram_config_static_selectorELNS0_4arch9wavefront6targetE0EEEvSI_.uses_vcc, 0
	.set _ZN7rocprim17ROCPRIM_400000_NS6detail17trampoline_kernelINS0_14default_configENS1_35radix_sort_onesweep_config_selectorIfNS0_10empty_typeEEEZNS1_34radix_sort_onesweep_global_offsetsIS3_Lb0EN6thrust23THRUST_200600_302600_NS6detail15normal_iteratorINS9_10device_ptrIfEEEEPS5_jNS0_19identity_decomposerEEE10hipError_tT1_T2_PT3_SK_jT4_jjP12ihipStream_tbEUlT_E0_NS1_11comp_targetILNS1_3genE0ELNS1_11target_archE4294967295ELNS1_3gpuE0ELNS1_3repE0EEENS1_52radix_sort_onesweep_histogram_config_static_selectorELNS0_4arch9wavefront6targetE0EEEvSI_.uses_flat_scratch, 0
	.set _ZN7rocprim17ROCPRIM_400000_NS6detail17trampoline_kernelINS0_14default_configENS1_35radix_sort_onesweep_config_selectorIfNS0_10empty_typeEEEZNS1_34radix_sort_onesweep_global_offsetsIS3_Lb0EN6thrust23THRUST_200600_302600_NS6detail15normal_iteratorINS9_10device_ptrIfEEEEPS5_jNS0_19identity_decomposerEEE10hipError_tT1_T2_PT3_SK_jT4_jjP12ihipStream_tbEUlT_E0_NS1_11comp_targetILNS1_3genE0ELNS1_11target_archE4294967295ELNS1_3gpuE0ELNS1_3repE0EEENS1_52radix_sort_onesweep_histogram_config_static_selectorELNS0_4arch9wavefront6targetE0EEEvSI_.has_dyn_sized_stack, 0
	.set _ZN7rocprim17ROCPRIM_400000_NS6detail17trampoline_kernelINS0_14default_configENS1_35radix_sort_onesweep_config_selectorIfNS0_10empty_typeEEEZNS1_34radix_sort_onesweep_global_offsetsIS3_Lb0EN6thrust23THRUST_200600_302600_NS6detail15normal_iteratorINS9_10device_ptrIfEEEEPS5_jNS0_19identity_decomposerEEE10hipError_tT1_T2_PT3_SK_jT4_jjP12ihipStream_tbEUlT_E0_NS1_11comp_targetILNS1_3genE0ELNS1_11target_archE4294967295ELNS1_3gpuE0ELNS1_3repE0EEENS1_52radix_sort_onesweep_histogram_config_static_selectorELNS0_4arch9wavefront6targetE0EEEvSI_.has_recursion, 0
	.set _ZN7rocprim17ROCPRIM_400000_NS6detail17trampoline_kernelINS0_14default_configENS1_35radix_sort_onesweep_config_selectorIfNS0_10empty_typeEEEZNS1_34radix_sort_onesweep_global_offsetsIS3_Lb0EN6thrust23THRUST_200600_302600_NS6detail15normal_iteratorINS9_10device_ptrIfEEEEPS5_jNS0_19identity_decomposerEEE10hipError_tT1_T2_PT3_SK_jT4_jjP12ihipStream_tbEUlT_E0_NS1_11comp_targetILNS1_3genE0ELNS1_11target_archE4294967295ELNS1_3gpuE0ELNS1_3repE0EEENS1_52radix_sort_onesweep_histogram_config_static_selectorELNS0_4arch9wavefront6targetE0EEEvSI_.has_indirect_call, 0
	.section	.AMDGPU.csdata,"",@progbits
; Kernel info:
; codeLenInByte = 0
; TotalNumSgprs: 0
; NumVgprs: 0
; ScratchSize: 0
; MemoryBound: 0
; FloatMode: 240
; IeeeMode: 1
; LDSByteSize: 0 bytes/workgroup (compile time only)
; SGPRBlocks: 0
; VGPRBlocks: 0
; NumSGPRsForWavesPerEU: 1
; NumVGPRsForWavesPerEU: 1
; Occupancy: 16
; WaveLimiterHint : 0
; COMPUTE_PGM_RSRC2:SCRATCH_EN: 0
; COMPUTE_PGM_RSRC2:USER_SGPR: 6
; COMPUTE_PGM_RSRC2:TRAP_HANDLER: 0
; COMPUTE_PGM_RSRC2:TGID_X_EN: 1
; COMPUTE_PGM_RSRC2:TGID_Y_EN: 0
; COMPUTE_PGM_RSRC2:TGID_Z_EN: 0
; COMPUTE_PGM_RSRC2:TIDIG_COMP_CNT: 0
	.section	.text._ZN7rocprim17ROCPRIM_400000_NS6detail17trampoline_kernelINS0_14default_configENS1_35radix_sort_onesweep_config_selectorIfNS0_10empty_typeEEEZNS1_34radix_sort_onesweep_global_offsetsIS3_Lb0EN6thrust23THRUST_200600_302600_NS6detail15normal_iteratorINS9_10device_ptrIfEEEEPS5_jNS0_19identity_decomposerEEE10hipError_tT1_T2_PT3_SK_jT4_jjP12ihipStream_tbEUlT_E0_NS1_11comp_targetILNS1_3genE6ELNS1_11target_archE950ELNS1_3gpuE13ELNS1_3repE0EEENS1_52radix_sort_onesweep_histogram_config_static_selectorELNS0_4arch9wavefront6targetE0EEEvSI_,"axG",@progbits,_ZN7rocprim17ROCPRIM_400000_NS6detail17trampoline_kernelINS0_14default_configENS1_35radix_sort_onesweep_config_selectorIfNS0_10empty_typeEEEZNS1_34radix_sort_onesweep_global_offsetsIS3_Lb0EN6thrust23THRUST_200600_302600_NS6detail15normal_iteratorINS9_10device_ptrIfEEEEPS5_jNS0_19identity_decomposerEEE10hipError_tT1_T2_PT3_SK_jT4_jjP12ihipStream_tbEUlT_E0_NS1_11comp_targetILNS1_3genE6ELNS1_11target_archE950ELNS1_3gpuE13ELNS1_3repE0EEENS1_52radix_sort_onesweep_histogram_config_static_selectorELNS0_4arch9wavefront6targetE0EEEvSI_,comdat
	.protected	_ZN7rocprim17ROCPRIM_400000_NS6detail17trampoline_kernelINS0_14default_configENS1_35radix_sort_onesweep_config_selectorIfNS0_10empty_typeEEEZNS1_34radix_sort_onesweep_global_offsetsIS3_Lb0EN6thrust23THRUST_200600_302600_NS6detail15normal_iteratorINS9_10device_ptrIfEEEEPS5_jNS0_19identity_decomposerEEE10hipError_tT1_T2_PT3_SK_jT4_jjP12ihipStream_tbEUlT_E0_NS1_11comp_targetILNS1_3genE6ELNS1_11target_archE950ELNS1_3gpuE13ELNS1_3repE0EEENS1_52radix_sort_onesweep_histogram_config_static_selectorELNS0_4arch9wavefront6targetE0EEEvSI_ ; -- Begin function _ZN7rocprim17ROCPRIM_400000_NS6detail17trampoline_kernelINS0_14default_configENS1_35radix_sort_onesweep_config_selectorIfNS0_10empty_typeEEEZNS1_34radix_sort_onesweep_global_offsetsIS3_Lb0EN6thrust23THRUST_200600_302600_NS6detail15normal_iteratorINS9_10device_ptrIfEEEEPS5_jNS0_19identity_decomposerEEE10hipError_tT1_T2_PT3_SK_jT4_jjP12ihipStream_tbEUlT_E0_NS1_11comp_targetILNS1_3genE6ELNS1_11target_archE950ELNS1_3gpuE13ELNS1_3repE0EEENS1_52radix_sort_onesweep_histogram_config_static_selectorELNS0_4arch9wavefront6targetE0EEEvSI_
	.globl	_ZN7rocprim17ROCPRIM_400000_NS6detail17trampoline_kernelINS0_14default_configENS1_35radix_sort_onesweep_config_selectorIfNS0_10empty_typeEEEZNS1_34radix_sort_onesweep_global_offsetsIS3_Lb0EN6thrust23THRUST_200600_302600_NS6detail15normal_iteratorINS9_10device_ptrIfEEEEPS5_jNS0_19identity_decomposerEEE10hipError_tT1_T2_PT3_SK_jT4_jjP12ihipStream_tbEUlT_E0_NS1_11comp_targetILNS1_3genE6ELNS1_11target_archE950ELNS1_3gpuE13ELNS1_3repE0EEENS1_52radix_sort_onesweep_histogram_config_static_selectorELNS0_4arch9wavefront6targetE0EEEvSI_
	.p2align	8
	.type	_ZN7rocprim17ROCPRIM_400000_NS6detail17trampoline_kernelINS0_14default_configENS1_35radix_sort_onesweep_config_selectorIfNS0_10empty_typeEEEZNS1_34radix_sort_onesweep_global_offsetsIS3_Lb0EN6thrust23THRUST_200600_302600_NS6detail15normal_iteratorINS9_10device_ptrIfEEEEPS5_jNS0_19identity_decomposerEEE10hipError_tT1_T2_PT3_SK_jT4_jjP12ihipStream_tbEUlT_E0_NS1_11comp_targetILNS1_3genE6ELNS1_11target_archE950ELNS1_3gpuE13ELNS1_3repE0EEENS1_52radix_sort_onesweep_histogram_config_static_selectorELNS0_4arch9wavefront6targetE0EEEvSI_,@function
_ZN7rocprim17ROCPRIM_400000_NS6detail17trampoline_kernelINS0_14default_configENS1_35radix_sort_onesweep_config_selectorIfNS0_10empty_typeEEEZNS1_34radix_sort_onesweep_global_offsetsIS3_Lb0EN6thrust23THRUST_200600_302600_NS6detail15normal_iteratorINS9_10device_ptrIfEEEEPS5_jNS0_19identity_decomposerEEE10hipError_tT1_T2_PT3_SK_jT4_jjP12ihipStream_tbEUlT_E0_NS1_11comp_targetILNS1_3genE6ELNS1_11target_archE950ELNS1_3gpuE13ELNS1_3repE0EEENS1_52radix_sort_onesweep_histogram_config_static_selectorELNS0_4arch9wavefront6targetE0EEEvSI_: ; @_ZN7rocprim17ROCPRIM_400000_NS6detail17trampoline_kernelINS0_14default_configENS1_35radix_sort_onesweep_config_selectorIfNS0_10empty_typeEEEZNS1_34radix_sort_onesweep_global_offsetsIS3_Lb0EN6thrust23THRUST_200600_302600_NS6detail15normal_iteratorINS9_10device_ptrIfEEEEPS5_jNS0_19identity_decomposerEEE10hipError_tT1_T2_PT3_SK_jT4_jjP12ihipStream_tbEUlT_E0_NS1_11comp_targetILNS1_3genE6ELNS1_11target_archE950ELNS1_3gpuE13ELNS1_3repE0EEENS1_52radix_sort_onesweep_histogram_config_static_selectorELNS0_4arch9wavefront6targetE0EEEvSI_
; %bb.0:
	.section	.rodata,"a",@progbits
	.p2align	6, 0x0
	.amdhsa_kernel _ZN7rocprim17ROCPRIM_400000_NS6detail17trampoline_kernelINS0_14default_configENS1_35radix_sort_onesweep_config_selectorIfNS0_10empty_typeEEEZNS1_34radix_sort_onesweep_global_offsetsIS3_Lb0EN6thrust23THRUST_200600_302600_NS6detail15normal_iteratorINS9_10device_ptrIfEEEEPS5_jNS0_19identity_decomposerEEE10hipError_tT1_T2_PT3_SK_jT4_jjP12ihipStream_tbEUlT_E0_NS1_11comp_targetILNS1_3genE6ELNS1_11target_archE950ELNS1_3gpuE13ELNS1_3repE0EEENS1_52radix_sort_onesweep_histogram_config_static_selectorELNS0_4arch9wavefront6targetE0EEEvSI_
		.amdhsa_group_segment_fixed_size 0
		.amdhsa_private_segment_fixed_size 0
		.amdhsa_kernarg_size 8
		.amdhsa_user_sgpr_count 6
		.amdhsa_user_sgpr_private_segment_buffer 1
		.amdhsa_user_sgpr_dispatch_ptr 0
		.amdhsa_user_sgpr_queue_ptr 0
		.amdhsa_user_sgpr_kernarg_segment_ptr 1
		.amdhsa_user_sgpr_dispatch_id 0
		.amdhsa_user_sgpr_flat_scratch_init 0
		.amdhsa_user_sgpr_private_segment_size 0
		.amdhsa_wavefront_size32 1
		.amdhsa_uses_dynamic_stack 0
		.amdhsa_system_sgpr_private_segment_wavefront_offset 0
		.amdhsa_system_sgpr_workgroup_id_x 1
		.amdhsa_system_sgpr_workgroup_id_y 0
		.amdhsa_system_sgpr_workgroup_id_z 0
		.amdhsa_system_sgpr_workgroup_info 0
		.amdhsa_system_vgpr_workitem_id 0
		.amdhsa_next_free_vgpr 1
		.amdhsa_next_free_sgpr 1
		.amdhsa_reserve_vcc 0
		.amdhsa_reserve_flat_scratch 0
		.amdhsa_float_round_mode_32 0
		.amdhsa_float_round_mode_16_64 0
		.amdhsa_float_denorm_mode_32 3
		.amdhsa_float_denorm_mode_16_64 3
		.amdhsa_dx10_clamp 1
		.amdhsa_ieee_mode 1
		.amdhsa_fp16_overflow 0
		.amdhsa_workgroup_processor_mode 1
		.amdhsa_memory_ordered 1
		.amdhsa_forward_progress 1
		.amdhsa_shared_vgpr_count 0
		.amdhsa_exception_fp_ieee_invalid_op 0
		.amdhsa_exception_fp_denorm_src 0
		.amdhsa_exception_fp_ieee_div_zero 0
		.amdhsa_exception_fp_ieee_overflow 0
		.amdhsa_exception_fp_ieee_underflow 0
		.amdhsa_exception_fp_ieee_inexact 0
		.amdhsa_exception_int_div_zero 0
	.end_amdhsa_kernel
	.section	.text._ZN7rocprim17ROCPRIM_400000_NS6detail17trampoline_kernelINS0_14default_configENS1_35radix_sort_onesweep_config_selectorIfNS0_10empty_typeEEEZNS1_34radix_sort_onesweep_global_offsetsIS3_Lb0EN6thrust23THRUST_200600_302600_NS6detail15normal_iteratorINS9_10device_ptrIfEEEEPS5_jNS0_19identity_decomposerEEE10hipError_tT1_T2_PT3_SK_jT4_jjP12ihipStream_tbEUlT_E0_NS1_11comp_targetILNS1_3genE6ELNS1_11target_archE950ELNS1_3gpuE13ELNS1_3repE0EEENS1_52radix_sort_onesweep_histogram_config_static_selectorELNS0_4arch9wavefront6targetE0EEEvSI_,"axG",@progbits,_ZN7rocprim17ROCPRIM_400000_NS6detail17trampoline_kernelINS0_14default_configENS1_35radix_sort_onesweep_config_selectorIfNS0_10empty_typeEEEZNS1_34radix_sort_onesweep_global_offsetsIS3_Lb0EN6thrust23THRUST_200600_302600_NS6detail15normal_iteratorINS9_10device_ptrIfEEEEPS5_jNS0_19identity_decomposerEEE10hipError_tT1_T2_PT3_SK_jT4_jjP12ihipStream_tbEUlT_E0_NS1_11comp_targetILNS1_3genE6ELNS1_11target_archE950ELNS1_3gpuE13ELNS1_3repE0EEENS1_52radix_sort_onesweep_histogram_config_static_selectorELNS0_4arch9wavefront6targetE0EEEvSI_,comdat
.Lfunc_end542:
	.size	_ZN7rocprim17ROCPRIM_400000_NS6detail17trampoline_kernelINS0_14default_configENS1_35radix_sort_onesweep_config_selectorIfNS0_10empty_typeEEEZNS1_34radix_sort_onesweep_global_offsetsIS3_Lb0EN6thrust23THRUST_200600_302600_NS6detail15normal_iteratorINS9_10device_ptrIfEEEEPS5_jNS0_19identity_decomposerEEE10hipError_tT1_T2_PT3_SK_jT4_jjP12ihipStream_tbEUlT_E0_NS1_11comp_targetILNS1_3genE6ELNS1_11target_archE950ELNS1_3gpuE13ELNS1_3repE0EEENS1_52radix_sort_onesweep_histogram_config_static_selectorELNS0_4arch9wavefront6targetE0EEEvSI_, .Lfunc_end542-_ZN7rocprim17ROCPRIM_400000_NS6detail17trampoline_kernelINS0_14default_configENS1_35radix_sort_onesweep_config_selectorIfNS0_10empty_typeEEEZNS1_34radix_sort_onesweep_global_offsetsIS3_Lb0EN6thrust23THRUST_200600_302600_NS6detail15normal_iteratorINS9_10device_ptrIfEEEEPS5_jNS0_19identity_decomposerEEE10hipError_tT1_T2_PT3_SK_jT4_jjP12ihipStream_tbEUlT_E0_NS1_11comp_targetILNS1_3genE6ELNS1_11target_archE950ELNS1_3gpuE13ELNS1_3repE0EEENS1_52radix_sort_onesweep_histogram_config_static_selectorELNS0_4arch9wavefront6targetE0EEEvSI_
                                        ; -- End function
	.set _ZN7rocprim17ROCPRIM_400000_NS6detail17trampoline_kernelINS0_14default_configENS1_35radix_sort_onesweep_config_selectorIfNS0_10empty_typeEEEZNS1_34radix_sort_onesweep_global_offsetsIS3_Lb0EN6thrust23THRUST_200600_302600_NS6detail15normal_iteratorINS9_10device_ptrIfEEEEPS5_jNS0_19identity_decomposerEEE10hipError_tT1_T2_PT3_SK_jT4_jjP12ihipStream_tbEUlT_E0_NS1_11comp_targetILNS1_3genE6ELNS1_11target_archE950ELNS1_3gpuE13ELNS1_3repE0EEENS1_52radix_sort_onesweep_histogram_config_static_selectorELNS0_4arch9wavefront6targetE0EEEvSI_.num_vgpr, 0
	.set _ZN7rocprim17ROCPRIM_400000_NS6detail17trampoline_kernelINS0_14default_configENS1_35radix_sort_onesweep_config_selectorIfNS0_10empty_typeEEEZNS1_34radix_sort_onesweep_global_offsetsIS3_Lb0EN6thrust23THRUST_200600_302600_NS6detail15normal_iteratorINS9_10device_ptrIfEEEEPS5_jNS0_19identity_decomposerEEE10hipError_tT1_T2_PT3_SK_jT4_jjP12ihipStream_tbEUlT_E0_NS1_11comp_targetILNS1_3genE6ELNS1_11target_archE950ELNS1_3gpuE13ELNS1_3repE0EEENS1_52radix_sort_onesweep_histogram_config_static_selectorELNS0_4arch9wavefront6targetE0EEEvSI_.num_agpr, 0
	.set _ZN7rocprim17ROCPRIM_400000_NS6detail17trampoline_kernelINS0_14default_configENS1_35radix_sort_onesweep_config_selectorIfNS0_10empty_typeEEEZNS1_34radix_sort_onesweep_global_offsetsIS3_Lb0EN6thrust23THRUST_200600_302600_NS6detail15normal_iteratorINS9_10device_ptrIfEEEEPS5_jNS0_19identity_decomposerEEE10hipError_tT1_T2_PT3_SK_jT4_jjP12ihipStream_tbEUlT_E0_NS1_11comp_targetILNS1_3genE6ELNS1_11target_archE950ELNS1_3gpuE13ELNS1_3repE0EEENS1_52radix_sort_onesweep_histogram_config_static_selectorELNS0_4arch9wavefront6targetE0EEEvSI_.numbered_sgpr, 0
	.set _ZN7rocprim17ROCPRIM_400000_NS6detail17trampoline_kernelINS0_14default_configENS1_35radix_sort_onesweep_config_selectorIfNS0_10empty_typeEEEZNS1_34radix_sort_onesweep_global_offsetsIS3_Lb0EN6thrust23THRUST_200600_302600_NS6detail15normal_iteratorINS9_10device_ptrIfEEEEPS5_jNS0_19identity_decomposerEEE10hipError_tT1_T2_PT3_SK_jT4_jjP12ihipStream_tbEUlT_E0_NS1_11comp_targetILNS1_3genE6ELNS1_11target_archE950ELNS1_3gpuE13ELNS1_3repE0EEENS1_52radix_sort_onesweep_histogram_config_static_selectorELNS0_4arch9wavefront6targetE0EEEvSI_.num_named_barrier, 0
	.set _ZN7rocprim17ROCPRIM_400000_NS6detail17trampoline_kernelINS0_14default_configENS1_35radix_sort_onesweep_config_selectorIfNS0_10empty_typeEEEZNS1_34radix_sort_onesweep_global_offsetsIS3_Lb0EN6thrust23THRUST_200600_302600_NS6detail15normal_iteratorINS9_10device_ptrIfEEEEPS5_jNS0_19identity_decomposerEEE10hipError_tT1_T2_PT3_SK_jT4_jjP12ihipStream_tbEUlT_E0_NS1_11comp_targetILNS1_3genE6ELNS1_11target_archE950ELNS1_3gpuE13ELNS1_3repE0EEENS1_52radix_sort_onesweep_histogram_config_static_selectorELNS0_4arch9wavefront6targetE0EEEvSI_.private_seg_size, 0
	.set _ZN7rocprim17ROCPRIM_400000_NS6detail17trampoline_kernelINS0_14default_configENS1_35radix_sort_onesweep_config_selectorIfNS0_10empty_typeEEEZNS1_34radix_sort_onesweep_global_offsetsIS3_Lb0EN6thrust23THRUST_200600_302600_NS6detail15normal_iteratorINS9_10device_ptrIfEEEEPS5_jNS0_19identity_decomposerEEE10hipError_tT1_T2_PT3_SK_jT4_jjP12ihipStream_tbEUlT_E0_NS1_11comp_targetILNS1_3genE6ELNS1_11target_archE950ELNS1_3gpuE13ELNS1_3repE0EEENS1_52radix_sort_onesweep_histogram_config_static_selectorELNS0_4arch9wavefront6targetE0EEEvSI_.uses_vcc, 0
	.set _ZN7rocprim17ROCPRIM_400000_NS6detail17trampoline_kernelINS0_14default_configENS1_35radix_sort_onesweep_config_selectorIfNS0_10empty_typeEEEZNS1_34radix_sort_onesweep_global_offsetsIS3_Lb0EN6thrust23THRUST_200600_302600_NS6detail15normal_iteratorINS9_10device_ptrIfEEEEPS5_jNS0_19identity_decomposerEEE10hipError_tT1_T2_PT3_SK_jT4_jjP12ihipStream_tbEUlT_E0_NS1_11comp_targetILNS1_3genE6ELNS1_11target_archE950ELNS1_3gpuE13ELNS1_3repE0EEENS1_52radix_sort_onesweep_histogram_config_static_selectorELNS0_4arch9wavefront6targetE0EEEvSI_.uses_flat_scratch, 0
	.set _ZN7rocprim17ROCPRIM_400000_NS6detail17trampoline_kernelINS0_14default_configENS1_35radix_sort_onesweep_config_selectorIfNS0_10empty_typeEEEZNS1_34radix_sort_onesweep_global_offsetsIS3_Lb0EN6thrust23THRUST_200600_302600_NS6detail15normal_iteratorINS9_10device_ptrIfEEEEPS5_jNS0_19identity_decomposerEEE10hipError_tT1_T2_PT3_SK_jT4_jjP12ihipStream_tbEUlT_E0_NS1_11comp_targetILNS1_3genE6ELNS1_11target_archE950ELNS1_3gpuE13ELNS1_3repE0EEENS1_52radix_sort_onesweep_histogram_config_static_selectorELNS0_4arch9wavefront6targetE0EEEvSI_.has_dyn_sized_stack, 0
	.set _ZN7rocprim17ROCPRIM_400000_NS6detail17trampoline_kernelINS0_14default_configENS1_35radix_sort_onesweep_config_selectorIfNS0_10empty_typeEEEZNS1_34radix_sort_onesweep_global_offsetsIS3_Lb0EN6thrust23THRUST_200600_302600_NS6detail15normal_iteratorINS9_10device_ptrIfEEEEPS5_jNS0_19identity_decomposerEEE10hipError_tT1_T2_PT3_SK_jT4_jjP12ihipStream_tbEUlT_E0_NS1_11comp_targetILNS1_3genE6ELNS1_11target_archE950ELNS1_3gpuE13ELNS1_3repE0EEENS1_52radix_sort_onesweep_histogram_config_static_selectorELNS0_4arch9wavefront6targetE0EEEvSI_.has_recursion, 0
	.set _ZN7rocprim17ROCPRIM_400000_NS6detail17trampoline_kernelINS0_14default_configENS1_35radix_sort_onesweep_config_selectorIfNS0_10empty_typeEEEZNS1_34radix_sort_onesweep_global_offsetsIS3_Lb0EN6thrust23THRUST_200600_302600_NS6detail15normal_iteratorINS9_10device_ptrIfEEEEPS5_jNS0_19identity_decomposerEEE10hipError_tT1_T2_PT3_SK_jT4_jjP12ihipStream_tbEUlT_E0_NS1_11comp_targetILNS1_3genE6ELNS1_11target_archE950ELNS1_3gpuE13ELNS1_3repE0EEENS1_52radix_sort_onesweep_histogram_config_static_selectorELNS0_4arch9wavefront6targetE0EEEvSI_.has_indirect_call, 0
	.section	.AMDGPU.csdata,"",@progbits
; Kernel info:
; codeLenInByte = 0
; TotalNumSgprs: 0
; NumVgprs: 0
; ScratchSize: 0
; MemoryBound: 0
; FloatMode: 240
; IeeeMode: 1
; LDSByteSize: 0 bytes/workgroup (compile time only)
; SGPRBlocks: 0
; VGPRBlocks: 0
; NumSGPRsForWavesPerEU: 1
; NumVGPRsForWavesPerEU: 1
; Occupancy: 16
; WaveLimiterHint : 0
; COMPUTE_PGM_RSRC2:SCRATCH_EN: 0
; COMPUTE_PGM_RSRC2:USER_SGPR: 6
; COMPUTE_PGM_RSRC2:TRAP_HANDLER: 0
; COMPUTE_PGM_RSRC2:TGID_X_EN: 1
; COMPUTE_PGM_RSRC2:TGID_Y_EN: 0
; COMPUTE_PGM_RSRC2:TGID_Z_EN: 0
; COMPUTE_PGM_RSRC2:TIDIG_COMP_CNT: 0
	.section	.text._ZN7rocprim17ROCPRIM_400000_NS6detail17trampoline_kernelINS0_14default_configENS1_35radix_sort_onesweep_config_selectorIfNS0_10empty_typeEEEZNS1_34radix_sort_onesweep_global_offsetsIS3_Lb0EN6thrust23THRUST_200600_302600_NS6detail15normal_iteratorINS9_10device_ptrIfEEEEPS5_jNS0_19identity_decomposerEEE10hipError_tT1_T2_PT3_SK_jT4_jjP12ihipStream_tbEUlT_E0_NS1_11comp_targetILNS1_3genE5ELNS1_11target_archE942ELNS1_3gpuE9ELNS1_3repE0EEENS1_52radix_sort_onesweep_histogram_config_static_selectorELNS0_4arch9wavefront6targetE0EEEvSI_,"axG",@progbits,_ZN7rocprim17ROCPRIM_400000_NS6detail17trampoline_kernelINS0_14default_configENS1_35radix_sort_onesweep_config_selectorIfNS0_10empty_typeEEEZNS1_34radix_sort_onesweep_global_offsetsIS3_Lb0EN6thrust23THRUST_200600_302600_NS6detail15normal_iteratorINS9_10device_ptrIfEEEEPS5_jNS0_19identity_decomposerEEE10hipError_tT1_T2_PT3_SK_jT4_jjP12ihipStream_tbEUlT_E0_NS1_11comp_targetILNS1_3genE5ELNS1_11target_archE942ELNS1_3gpuE9ELNS1_3repE0EEENS1_52radix_sort_onesweep_histogram_config_static_selectorELNS0_4arch9wavefront6targetE0EEEvSI_,comdat
	.protected	_ZN7rocprim17ROCPRIM_400000_NS6detail17trampoline_kernelINS0_14default_configENS1_35radix_sort_onesweep_config_selectorIfNS0_10empty_typeEEEZNS1_34radix_sort_onesweep_global_offsetsIS3_Lb0EN6thrust23THRUST_200600_302600_NS6detail15normal_iteratorINS9_10device_ptrIfEEEEPS5_jNS0_19identity_decomposerEEE10hipError_tT1_T2_PT3_SK_jT4_jjP12ihipStream_tbEUlT_E0_NS1_11comp_targetILNS1_3genE5ELNS1_11target_archE942ELNS1_3gpuE9ELNS1_3repE0EEENS1_52radix_sort_onesweep_histogram_config_static_selectorELNS0_4arch9wavefront6targetE0EEEvSI_ ; -- Begin function _ZN7rocprim17ROCPRIM_400000_NS6detail17trampoline_kernelINS0_14default_configENS1_35radix_sort_onesweep_config_selectorIfNS0_10empty_typeEEEZNS1_34radix_sort_onesweep_global_offsetsIS3_Lb0EN6thrust23THRUST_200600_302600_NS6detail15normal_iteratorINS9_10device_ptrIfEEEEPS5_jNS0_19identity_decomposerEEE10hipError_tT1_T2_PT3_SK_jT4_jjP12ihipStream_tbEUlT_E0_NS1_11comp_targetILNS1_3genE5ELNS1_11target_archE942ELNS1_3gpuE9ELNS1_3repE0EEENS1_52radix_sort_onesweep_histogram_config_static_selectorELNS0_4arch9wavefront6targetE0EEEvSI_
	.globl	_ZN7rocprim17ROCPRIM_400000_NS6detail17trampoline_kernelINS0_14default_configENS1_35radix_sort_onesweep_config_selectorIfNS0_10empty_typeEEEZNS1_34radix_sort_onesweep_global_offsetsIS3_Lb0EN6thrust23THRUST_200600_302600_NS6detail15normal_iteratorINS9_10device_ptrIfEEEEPS5_jNS0_19identity_decomposerEEE10hipError_tT1_T2_PT3_SK_jT4_jjP12ihipStream_tbEUlT_E0_NS1_11comp_targetILNS1_3genE5ELNS1_11target_archE942ELNS1_3gpuE9ELNS1_3repE0EEENS1_52radix_sort_onesweep_histogram_config_static_selectorELNS0_4arch9wavefront6targetE0EEEvSI_
	.p2align	8
	.type	_ZN7rocprim17ROCPRIM_400000_NS6detail17trampoline_kernelINS0_14default_configENS1_35radix_sort_onesweep_config_selectorIfNS0_10empty_typeEEEZNS1_34radix_sort_onesweep_global_offsetsIS3_Lb0EN6thrust23THRUST_200600_302600_NS6detail15normal_iteratorINS9_10device_ptrIfEEEEPS5_jNS0_19identity_decomposerEEE10hipError_tT1_T2_PT3_SK_jT4_jjP12ihipStream_tbEUlT_E0_NS1_11comp_targetILNS1_3genE5ELNS1_11target_archE942ELNS1_3gpuE9ELNS1_3repE0EEENS1_52radix_sort_onesweep_histogram_config_static_selectorELNS0_4arch9wavefront6targetE0EEEvSI_,@function
_ZN7rocprim17ROCPRIM_400000_NS6detail17trampoline_kernelINS0_14default_configENS1_35radix_sort_onesweep_config_selectorIfNS0_10empty_typeEEEZNS1_34radix_sort_onesweep_global_offsetsIS3_Lb0EN6thrust23THRUST_200600_302600_NS6detail15normal_iteratorINS9_10device_ptrIfEEEEPS5_jNS0_19identity_decomposerEEE10hipError_tT1_T2_PT3_SK_jT4_jjP12ihipStream_tbEUlT_E0_NS1_11comp_targetILNS1_3genE5ELNS1_11target_archE942ELNS1_3gpuE9ELNS1_3repE0EEENS1_52radix_sort_onesweep_histogram_config_static_selectorELNS0_4arch9wavefront6targetE0EEEvSI_: ; @_ZN7rocprim17ROCPRIM_400000_NS6detail17trampoline_kernelINS0_14default_configENS1_35radix_sort_onesweep_config_selectorIfNS0_10empty_typeEEEZNS1_34radix_sort_onesweep_global_offsetsIS3_Lb0EN6thrust23THRUST_200600_302600_NS6detail15normal_iteratorINS9_10device_ptrIfEEEEPS5_jNS0_19identity_decomposerEEE10hipError_tT1_T2_PT3_SK_jT4_jjP12ihipStream_tbEUlT_E0_NS1_11comp_targetILNS1_3genE5ELNS1_11target_archE942ELNS1_3gpuE9ELNS1_3repE0EEENS1_52radix_sort_onesweep_histogram_config_static_selectorELNS0_4arch9wavefront6targetE0EEEvSI_
; %bb.0:
	.section	.rodata,"a",@progbits
	.p2align	6, 0x0
	.amdhsa_kernel _ZN7rocprim17ROCPRIM_400000_NS6detail17trampoline_kernelINS0_14default_configENS1_35radix_sort_onesweep_config_selectorIfNS0_10empty_typeEEEZNS1_34radix_sort_onesweep_global_offsetsIS3_Lb0EN6thrust23THRUST_200600_302600_NS6detail15normal_iteratorINS9_10device_ptrIfEEEEPS5_jNS0_19identity_decomposerEEE10hipError_tT1_T2_PT3_SK_jT4_jjP12ihipStream_tbEUlT_E0_NS1_11comp_targetILNS1_3genE5ELNS1_11target_archE942ELNS1_3gpuE9ELNS1_3repE0EEENS1_52radix_sort_onesweep_histogram_config_static_selectorELNS0_4arch9wavefront6targetE0EEEvSI_
		.amdhsa_group_segment_fixed_size 0
		.amdhsa_private_segment_fixed_size 0
		.amdhsa_kernarg_size 8
		.amdhsa_user_sgpr_count 6
		.amdhsa_user_sgpr_private_segment_buffer 1
		.amdhsa_user_sgpr_dispatch_ptr 0
		.amdhsa_user_sgpr_queue_ptr 0
		.amdhsa_user_sgpr_kernarg_segment_ptr 1
		.amdhsa_user_sgpr_dispatch_id 0
		.amdhsa_user_sgpr_flat_scratch_init 0
		.amdhsa_user_sgpr_private_segment_size 0
		.amdhsa_wavefront_size32 1
		.amdhsa_uses_dynamic_stack 0
		.amdhsa_system_sgpr_private_segment_wavefront_offset 0
		.amdhsa_system_sgpr_workgroup_id_x 1
		.amdhsa_system_sgpr_workgroup_id_y 0
		.amdhsa_system_sgpr_workgroup_id_z 0
		.amdhsa_system_sgpr_workgroup_info 0
		.amdhsa_system_vgpr_workitem_id 0
		.amdhsa_next_free_vgpr 1
		.amdhsa_next_free_sgpr 1
		.amdhsa_reserve_vcc 0
		.amdhsa_reserve_flat_scratch 0
		.amdhsa_float_round_mode_32 0
		.amdhsa_float_round_mode_16_64 0
		.amdhsa_float_denorm_mode_32 3
		.amdhsa_float_denorm_mode_16_64 3
		.amdhsa_dx10_clamp 1
		.amdhsa_ieee_mode 1
		.amdhsa_fp16_overflow 0
		.amdhsa_workgroup_processor_mode 1
		.amdhsa_memory_ordered 1
		.amdhsa_forward_progress 1
		.amdhsa_shared_vgpr_count 0
		.amdhsa_exception_fp_ieee_invalid_op 0
		.amdhsa_exception_fp_denorm_src 0
		.amdhsa_exception_fp_ieee_div_zero 0
		.amdhsa_exception_fp_ieee_overflow 0
		.amdhsa_exception_fp_ieee_underflow 0
		.amdhsa_exception_fp_ieee_inexact 0
		.amdhsa_exception_int_div_zero 0
	.end_amdhsa_kernel
	.section	.text._ZN7rocprim17ROCPRIM_400000_NS6detail17trampoline_kernelINS0_14default_configENS1_35radix_sort_onesweep_config_selectorIfNS0_10empty_typeEEEZNS1_34radix_sort_onesweep_global_offsetsIS3_Lb0EN6thrust23THRUST_200600_302600_NS6detail15normal_iteratorINS9_10device_ptrIfEEEEPS5_jNS0_19identity_decomposerEEE10hipError_tT1_T2_PT3_SK_jT4_jjP12ihipStream_tbEUlT_E0_NS1_11comp_targetILNS1_3genE5ELNS1_11target_archE942ELNS1_3gpuE9ELNS1_3repE0EEENS1_52radix_sort_onesweep_histogram_config_static_selectorELNS0_4arch9wavefront6targetE0EEEvSI_,"axG",@progbits,_ZN7rocprim17ROCPRIM_400000_NS6detail17trampoline_kernelINS0_14default_configENS1_35radix_sort_onesweep_config_selectorIfNS0_10empty_typeEEEZNS1_34radix_sort_onesweep_global_offsetsIS3_Lb0EN6thrust23THRUST_200600_302600_NS6detail15normal_iteratorINS9_10device_ptrIfEEEEPS5_jNS0_19identity_decomposerEEE10hipError_tT1_T2_PT3_SK_jT4_jjP12ihipStream_tbEUlT_E0_NS1_11comp_targetILNS1_3genE5ELNS1_11target_archE942ELNS1_3gpuE9ELNS1_3repE0EEENS1_52radix_sort_onesweep_histogram_config_static_selectorELNS0_4arch9wavefront6targetE0EEEvSI_,comdat
.Lfunc_end543:
	.size	_ZN7rocprim17ROCPRIM_400000_NS6detail17trampoline_kernelINS0_14default_configENS1_35radix_sort_onesweep_config_selectorIfNS0_10empty_typeEEEZNS1_34radix_sort_onesweep_global_offsetsIS3_Lb0EN6thrust23THRUST_200600_302600_NS6detail15normal_iteratorINS9_10device_ptrIfEEEEPS5_jNS0_19identity_decomposerEEE10hipError_tT1_T2_PT3_SK_jT4_jjP12ihipStream_tbEUlT_E0_NS1_11comp_targetILNS1_3genE5ELNS1_11target_archE942ELNS1_3gpuE9ELNS1_3repE0EEENS1_52radix_sort_onesweep_histogram_config_static_selectorELNS0_4arch9wavefront6targetE0EEEvSI_, .Lfunc_end543-_ZN7rocprim17ROCPRIM_400000_NS6detail17trampoline_kernelINS0_14default_configENS1_35radix_sort_onesweep_config_selectorIfNS0_10empty_typeEEEZNS1_34radix_sort_onesweep_global_offsetsIS3_Lb0EN6thrust23THRUST_200600_302600_NS6detail15normal_iteratorINS9_10device_ptrIfEEEEPS5_jNS0_19identity_decomposerEEE10hipError_tT1_T2_PT3_SK_jT4_jjP12ihipStream_tbEUlT_E0_NS1_11comp_targetILNS1_3genE5ELNS1_11target_archE942ELNS1_3gpuE9ELNS1_3repE0EEENS1_52radix_sort_onesweep_histogram_config_static_selectorELNS0_4arch9wavefront6targetE0EEEvSI_
                                        ; -- End function
	.set _ZN7rocprim17ROCPRIM_400000_NS6detail17trampoline_kernelINS0_14default_configENS1_35radix_sort_onesweep_config_selectorIfNS0_10empty_typeEEEZNS1_34radix_sort_onesweep_global_offsetsIS3_Lb0EN6thrust23THRUST_200600_302600_NS6detail15normal_iteratorINS9_10device_ptrIfEEEEPS5_jNS0_19identity_decomposerEEE10hipError_tT1_T2_PT3_SK_jT4_jjP12ihipStream_tbEUlT_E0_NS1_11comp_targetILNS1_3genE5ELNS1_11target_archE942ELNS1_3gpuE9ELNS1_3repE0EEENS1_52radix_sort_onesweep_histogram_config_static_selectorELNS0_4arch9wavefront6targetE0EEEvSI_.num_vgpr, 0
	.set _ZN7rocprim17ROCPRIM_400000_NS6detail17trampoline_kernelINS0_14default_configENS1_35radix_sort_onesweep_config_selectorIfNS0_10empty_typeEEEZNS1_34radix_sort_onesweep_global_offsetsIS3_Lb0EN6thrust23THRUST_200600_302600_NS6detail15normal_iteratorINS9_10device_ptrIfEEEEPS5_jNS0_19identity_decomposerEEE10hipError_tT1_T2_PT3_SK_jT4_jjP12ihipStream_tbEUlT_E0_NS1_11comp_targetILNS1_3genE5ELNS1_11target_archE942ELNS1_3gpuE9ELNS1_3repE0EEENS1_52radix_sort_onesweep_histogram_config_static_selectorELNS0_4arch9wavefront6targetE0EEEvSI_.num_agpr, 0
	.set _ZN7rocprim17ROCPRIM_400000_NS6detail17trampoline_kernelINS0_14default_configENS1_35radix_sort_onesweep_config_selectorIfNS0_10empty_typeEEEZNS1_34radix_sort_onesweep_global_offsetsIS3_Lb0EN6thrust23THRUST_200600_302600_NS6detail15normal_iteratorINS9_10device_ptrIfEEEEPS5_jNS0_19identity_decomposerEEE10hipError_tT1_T2_PT3_SK_jT4_jjP12ihipStream_tbEUlT_E0_NS1_11comp_targetILNS1_3genE5ELNS1_11target_archE942ELNS1_3gpuE9ELNS1_3repE0EEENS1_52radix_sort_onesweep_histogram_config_static_selectorELNS0_4arch9wavefront6targetE0EEEvSI_.numbered_sgpr, 0
	.set _ZN7rocprim17ROCPRIM_400000_NS6detail17trampoline_kernelINS0_14default_configENS1_35radix_sort_onesweep_config_selectorIfNS0_10empty_typeEEEZNS1_34radix_sort_onesweep_global_offsetsIS3_Lb0EN6thrust23THRUST_200600_302600_NS6detail15normal_iteratorINS9_10device_ptrIfEEEEPS5_jNS0_19identity_decomposerEEE10hipError_tT1_T2_PT3_SK_jT4_jjP12ihipStream_tbEUlT_E0_NS1_11comp_targetILNS1_3genE5ELNS1_11target_archE942ELNS1_3gpuE9ELNS1_3repE0EEENS1_52radix_sort_onesweep_histogram_config_static_selectorELNS0_4arch9wavefront6targetE0EEEvSI_.num_named_barrier, 0
	.set _ZN7rocprim17ROCPRIM_400000_NS6detail17trampoline_kernelINS0_14default_configENS1_35radix_sort_onesweep_config_selectorIfNS0_10empty_typeEEEZNS1_34radix_sort_onesweep_global_offsetsIS3_Lb0EN6thrust23THRUST_200600_302600_NS6detail15normal_iteratorINS9_10device_ptrIfEEEEPS5_jNS0_19identity_decomposerEEE10hipError_tT1_T2_PT3_SK_jT4_jjP12ihipStream_tbEUlT_E0_NS1_11comp_targetILNS1_3genE5ELNS1_11target_archE942ELNS1_3gpuE9ELNS1_3repE0EEENS1_52radix_sort_onesweep_histogram_config_static_selectorELNS0_4arch9wavefront6targetE0EEEvSI_.private_seg_size, 0
	.set _ZN7rocprim17ROCPRIM_400000_NS6detail17trampoline_kernelINS0_14default_configENS1_35radix_sort_onesweep_config_selectorIfNS0_10empty_typeEEEZNS1_34radix_sort_onesweep_global_offsetsIS3_Lb0EN6thrust23THRUST_200600_302600_NS6detail15normal_iteratorINS9_10device_ptrIfEEEEPS5_jNS0_19identity_decomposerEEE10hipError_tT1_T2_PT3_SK_jT4_jjP12ihipStream_tbEUlT_E0_NS1_11comp_targetILNS1_3genE5ELNS1_11target_archE942ELNS1_3gpuE9ELNS1_3repE0EEENS1_52radix_sort_onesweep_histogram_config_static_selectorELNS0_4arch9wavefront6targetE0EEEvSI_.uses_vcc, 0
	.set _ZN7rocprim17ROCPRIM_400000_NS6detail17trampoline_kernelINS0_14default_configENS1_35radix_sort_onesweep_config_selectorIfNS0_10empty_typeEEEZNS1_34radix_sort_onesweep_global_offsetsIS3_Lb0EN6thrust23THRUST_200600_302600_NS6detail15normal_iteratorINS9_10device_ptrIfEEEEPS5_jNS0_19identity_decomposerEEE10hipError_tT1_T2_PT3_SK_jT4_jjP12ihipStream_tbEUlT_E0_NS1_11comp_targetILNS1_3genE5ELNS1_11target_archE942ELNS1_3gpuE9ELNS1_3repE0EEENS1_52radix_sort_onesweep_histogram_config_static_selectorELNS0_4arch9wavefront6targetE0EEEvSI_.uses_flat_scratch, 0
	.set _ZN7rocprim17ROCPRIM_400000_NS6detail17trampoline_kernelINS0_14default_configENS1_35radix_sort_onesweep_config_selectorIfNS0_10empty_typeEEEZNS1_34radix_sort_onesweep_global_offsetsIS3_Lb0EN6thrust23THRUST_200600_302600_NS6detail15normal_iteratorINS9_10device_ptrIfEEEEPS5_jNS0_19identity_decomposerEEE10hipError_tT1_T2_PT3_SK_jT4_jjP12ihipStream_tbEUlT_E0_NS1_11comp_targetILNS1_3genE5ELNS1_11target_archE942ELNS1_3gpuE9ELNS1_3repE0EEENS1_52radix_sort_onesweep_histogram_config_static_selectorELNS0_4arch9wavefront6targetE0EEEvSI_.has_dyn_sized_stack, 0
	.set _ZN7rocprim17ROCPRIM_400000_NS6detail17trampoline_kernelINS0_14default_configENS1_35radix_sort_onesweep_config_selectorIfNS0_10empty_typeEEEZNS1_34radix_sort_onesweep_global_offsetsIS3_Lb0EN6thrust23THRUST_200600_302600_NS6detail15normal_iteratorINS9_10device_ptrIfEEEEPS5_jNS0_19identity_decomposerEEE10hipError_tT1_T2_PT3_SK_jT4_jjP12ihipStream_tbEUlT_E0_NS1_11comp_targetILNS1_3genE5ELNS1_11target_archE942ELNS1_3gpuE9ELNS1_3repE0EEENS1_52radix_sort_onesweep_histogram_config_static_selectorELNS0_4arch9wavefront6targetE0EEEvSI_.has_recursion, 0
	.set _ZN7rocprim17ROCPRIM_400000_NS6detail17trampoline_kernelINS0_14default_configENS1_35radix_sort_onesweep_config_selectorIfNS0_10empty_typeEEEZNS1_34radix_sort_onesweep_global_offsetsIS3_Lb0EN6thrust23THRUST_200600_302600_NS6detail15normal_iteratorINS9_10device_ptrIfEEEEPS5_jNS0_19identity_decomposerEEE10hipError_tT1_T2_PT3_SK_jT4_jjP12ihipStream_tbEUlT_E0_NS1_11comp_targetILNS1_3genE5ELNS1_11target_archE942ELNS1_3gpuE9ELNS1_3repE0EEENS1_52radix_sort_onesweep_histogram_config_static_selectorELNS0_4arch9wavefront6targetE0EEEvSI_.has_indirect_call, 0
	.section	.AMDGPU.csdata,"",@progbits
; Kernel info:
; codeLenInByte = 0
; TotalNumSgprs: 0
; NumVgprs: 0
; ScratchSize: 0
; MemoryBound: 0
; FloatMode: 240
; IeeeMode: 1
; LDSByteSize: 0 bytes/workgroup (compile time only)
; SGPRBlocks: 0
; VGPRBlocks: 0
; NumSGPRsForWavesPerEU: 1
; NumVGPRsForWavesPerEU: 1
; Occupancy: 16
; WaveLimiterHint : 0
; COMPUTE_PGM_RSRC2:SCRATCH_EN: 0
; COMPUTE_PGM_RSRC2:USER_SGPR: 6
; COMPUTE_PGM_RSRC2:TRAP_HANDLER: 0
; COMPUTE_PGM_RSRC2:TGID_X_EN: 1
; COMPUTE_PGM_RSRC2:TGID_Y_EN: 0
; COMPUTE_PGM_RSRC2:TGID_Z_EN: 0
; COMPUTE_PGM_RSRC2:TIDIG_COMP_CNT: 0
	.section	.text._ZN7rocprim17ROCPRIM_400000_NS6detail17trampoline_kernelINS0_14default_configENS1_35radix_sort_onesweep_config_selectorIfNS0_10empty_typeEEEZNS1_34radix_sort_onesweep_global_offsetsIS3_Lb0EN6thrust23THRUST_200600_302600_NS6detail15normal_iteratorINS9_10device_ptrIfEEEEPS5_jNS0_19identity_decomposerEEE10hipError_tT1_T2_PT3_SK_jT4_jjP12ihipStream_tbEUlT_E0_NS1_11comp_targetILNS1_3genE2ELNS1_11target_archE906ELNS1_3gpuE6ELNS1_3repE0EEENS1_52radix_sort_onesweep_histogram_config_static_selectorELNS0_4arch9wavefront6targetE0EEEvSI_,"axG",@progbits,_ZN7rocprim17ROCPRIM_400000_NS6detail17trampoline_kernelINS0_14default_configENS1_35radix_sort_onesweep_config_selectorIfNS0_10empty_typeEEEZNS1_34radix_sort_onesweep_global_offsetsIS3_Lb0EN6thrust23THRUST_200600_302600_NS6detail15normal_iteratorINS9_10device_ptrIfEEEEPS5_jNS0_19identity_decomposerEEE10hipError_tT1_T2_PT3_SK_jT4_jjP12ihipStream_tbEUlT_E0_NS1_11comp_targetILNS1_3genE2ELNS1_11target_archE906ELNS1_3gpuE6ELNS1_3repE0EEENS1_52radix_sort_onesweep_histogram_config_static_selectorELNS0_4arch9wavefront6targetE0EEEvSI_,comdat
	.protected	_ZN7rocprim17ROCPRIM_400000_NS6detail17trampoline_kernelINS0_14default_configENS1_35radix_sort_onesweep_config_selectorIfNS0_10empty_typeEEEZNS1_34radix_sort_onesweep_global_offsetsIS3_Lb0EN6thrust23THRUST_200600_302600_NS6detail15normal_iteratorINS9_10device_ptrIfEEEEPS5_jNS0_19identity_decomposerEEE10hipError_tT1_T2_PT3_SK_jT4_jjP12ihipStream_tbEUlT_E0_NS1_11comp_targetILNS1_3genE2ELNS1_11target_archE906ELNS1_3gpuE6ELNS1_3repE0EEENS1_52radix_sort_onesweep_histogram_config_static_selectorELNS0_4arch9wavefront6targetE0EEEvSI_ ; -- Begin function _ZN7rocprim17ROCPRIM_400000_NS6detail17trampoline_kernelINS0_14default_configENS1_35radix_sort_onesweep_config_selectorIfNS0_10empty_typeEEEZNS1_34radix_sort_onesweep_global_offsetsIS3_Lb0EN6thrust23THRUST_200600_302600_NS6detail15normal_iteratorINS9_10device_ptrIfEEEEPS5_jNS0_19identity_decomposerEEE10hipError_tT1_T2_PT3_SK_jT4_jjP12ihipStream_tbEUlT_E0_NS1_11comp_targetILNS1_3genE2ELNS1_11target_archE906ELNS1_3gpuE6ELNS1_3repE0EEENS1_52radix_sort_onesweep_histogram_config_static_selectorELNS0_4arch9wavefront6targetE0EEEvSI_
	.globl	_ZN7rocprim17ROCPRIM_400000_NS6detail17trampoline_kernelINS0_14default_configENS1_35radix_sort_onesweep_config_selectorIfNS0_10empty_typeEEEZNS1_34radix_sort_onesweep_global_offsetsIS3_Lb0EN6thrust23THRUST_200600_302600_NS6detail15normal_iteratorINS9_10device_ptrIfEEEEPS5_jNS0_19identity_decomposerEEE10hipError_tT1_T2_PT3_SK_jT4_jjP12ihipStream_tbEUlT_E0_NS1_11comp_targetILNS1_3genE2ELNS1_11target_archE906ELNS1_3gpuE6ELNS1_3repE0EEENS1_52radix_sort_onesweep_histogram_config_static_selectorELNS0_4arch9wavefront6targetE0EEEvSI_
	.p2align	8
	.type	_ZN7rocprim17ROCPRIM_400000_NS6detail17trampoline_kernelINS0_14default_configENS1_35radix_sort_onesweep_config_selectorIfNS0_10empty_typeEEEZNS1_34radix_sort_onesweep_global_offsetsIS3_Lb0EN6thrust23THRUST_200600_302600_NS6detail15normal_iteratorINS9_10device_ptrIfEEEEPS5_jNS0_19identity_decomposerEEE10hipError_tT1_T2_PT3_SK_jT4_jjP12ihipStream_tbEUlT_E0_NS1_11comp_targetILNS1_3genE2ELNS1_11target_archE906ELNS1_3gpuE6ELNS1_3repE0EEENS1_52radix_sort_onesweep_histogram_config_static_selectorELNS0_4arch9wavefront6targetE0EEEvSI_,@function
_ZN7rocprim17ROCPRIM_400000_NS6detail17trampoline_kernelINS0_14default_configENS1_35radix_sort_onesweep_config_selectorIfNS0_10empty_typeEEEZNS1_34radix_sort_onesweep_global_offsetsIS3_Lb0EN6thrust23THRUST_200600_302600_NS6detail15normal_iteratorINS9_10device_ptrIfEEEEPS5_jNS0_19identity_decomposerEEE10hipError_tT1_T2_PT3_SK_jT4_jjP12ihipStream_tbEUlT_E0_NS1_11comp_targetILNS1_3genE2ELNS1_11target_archE906ELNS1_3gpuE6ELNS1_3repE0EEENS1_52radix_sort_onesweep_histogram_config_static_selectorELNS0_4arch9wavefront6targetE0EEEvSI_: ; @_ZN7rocprim17ROCPRIM_400000_NS6detail17trampoline_kernelINS0_14default_configENS1_35radix_sort_onesweep_config_selectorIfNS0_10empty_typeEEEZNS1_34radix_sort_onesweep_global_offsetsIS3_Lb0EN6thrust23THRUST_200600_302600_NS6detail15normal_iteratorINS9_10device_ptrIfEEEEPS5_jNS0_19identity_decomposerEEE10hipError_tT1_T2_PT3_SK_jT4_jjP12ihipStream_tbEUlT_E0_NS1_11comp_targetILNS1_3genE2ELNS1_11target_archE906ELNS1_3gpuE6ELNS1_3repE0EEENS1_52radix_sort_onesweep_histogram_config_static_selectorELNS0_4arch9wavefront6targetE0EEEvSI_
; %bb.0:
	.section	.rodata,"a",@progbits
	.p2align	6, 0x0
	.amdhsa_kernel _ZN7rocprim17ROCPRIM_400000_NS6detail17trampoline_kernelINS0_14default_configENS1_35radix_sort_onesweep_config_selectorIfNS0_10empty_typeEEEZNS1_34radix_sort_onesweep_global_offsetsIS3_Lb0EN6thrust23THRUST_200600_302600_NS6detail15normal_iteratorINS9_10device_ptrIfEEEEPS5_jNS0_19identity_decomposerEEE10hipError_tT1_T2_PT3_SK_jT4_jjP12ihipStream_tbEUlT_E0_NS1_11comp_targetILNS1_3genE2ELNS1_11target_archE906ELNS1_3gpuE6ELNS1_3repE0EEENS1_52radix_sort_onesweep_histogram_config_static_selectorELNS0_4arch9wavefront6targetE0EEEvSI_
		.amdhsa_group_segment_fixed_size 0
		.amdhsa_private_segment_fixed_size 0
		.amdhsa_kernarg_size 8
		.amdhsa_user_sgpr_count 6
		.amdhsa_user_sgpr_private_segment_buffer 1
		.amdhsa_user_sgpr_dispatch_ptr 0
		.amdhsa_user_sgpr_queue_ptr 0
		.amdhsa_user_sgpr_kernarg_segment_ptr 1
		.amdhsa_user_sgpr_dispatch_id 0
		.amdhsa_user_sgpr_flat_scratch_init 0
		.amdhsa_user_sgpr_private_segment_size 0
		.amdhsa_wavefront_size32 1
		.amdhsa_uses_dynamic_stack 0
		.amdhsa_system_sgpr_private_segment_wavefront_offset 0
		.amdhsa_system_sgpr_workgroup_id_x 1
		.amdhsa_system_sgpr_workgroup_id_y 0
		.amdhsa_system_sgpr_workgroup_id_z 0
		.amdhsa_system_sgpr_workgroup_info 0
		.amdhsa_system_vgpr_workitem_id 0
		.amdhsa_next_free_vgpr 1
		.amdhsa_next_free_sgpr 1
		.amdhsa_reserve_vcc 0
		.amdhsa_reserve_flat_scratch 0
		.amdhsa_float_round_mode_32 0
		.amdhsa_float_round_mode_16_64 0
		.amdhsa_float_denorm_mode_32 3
		.amdhsa_float_denorm_mode_16_64 3
		.amdhsa_dx10_clamp 1
		.amdhsa_ieee_mode 1
		.amdhsa_fp16_overflow 0
		.amdhsa_workgroup_processor_mode 1
		.amdhsa_memory_ordered 1
		.amdhsa_forward_progress 1
		.amdhsa_shared_vgpr_count 0
		.amdhsa_exception_fp_ieee_invalid_op 0
		.amdhsa_exception_fp_denorm_src 0
		.amdhsa_exception_fp_ieee_div_zero 0
		.amdhsa_exception_fp_ieee_overflow 0
		.amdhsa_exception_fp_ieee_underflow 0
		.amdhsa_exception_fp_ieee_inexact 0
		.amdhsa_exception_int_div_zero 0
	.end_amdhsa_kernel
	.section	.text._ZN7rocprim17ROCPRIM_400000_NS6detail17trampoline_kernelINS0_14default_configENS1_35radix_sort_onesweep_config_selectorIfNS0_10empty_typeEEEZNS1_34radix_sort_onesweep_global_offsetsIS3_Lb0EN6thrust23THRUST_200600_302600_NS6detail15normal_iteratorINS9_10device_ptrIfEEEEPS5_jNS0_19identity_decomposerEEE10hipError_tT1_T2_PT3_SK_jT4_jjP12ihipStream_tbEUlT_E0_NS1_11comp_targetILNS1_3genE2ELNS1_11target_archE906ELNS1_3gpuE6ELNS1_3repE0EEENS1_52radix_sort_onesweep_histogram_config_static_selectorELNS0_4arch9wavefront6targetE0EEEvSI_,"axG",@progbits,_ZN7rocprim17ROCPRIM_400000_NS6detail17trampoline_kernelINS0_14default_configENS1_35radix_sort_onesweep_config_selectorIfNS0_10empty_typeEEEZNS1_34radix_sort_onesweep_global_offsetsIS3_Lb0EN6thrust23THRUST_200600_302600_NS6detail15normal_iteratorINS9_10device_ptrIfEEEEPS5_jNS0_19identity_decomposerEEE10hipError_tT1_T2_PT3_SK_jT4_jjP12ihipStream_tbEUlT_E0_NS1_11comp_targetILNS1_3genE2ELNS1_11target_archE906ELNS1_3gpuE6ELNS1_3repE0EEENS1_52radix_sort_onesweep_histogram_config_static_selectorELNS0_4arch9wavefront6targetE0EEEvSI_,comdat
.Lfunc_end544:
	.size	_ZN7rocprim17ROCPRIM_400000_NS6detail17trampoline_kernelINS0_14default_configENS1_35radix_sort_onesweep_config_selectorIfNS0_10empty_typeEEEZNS1_34radix_sort_onesweep_global_offsetsIS3_Lb0EN6thrust23THRUST_200600_302600_NS6detail15normal_iteratorINS9_10device_ptrIfEEEEPS5_jNS0_19identity_decomposerEEE10hipError_tT1_T2_PT3_SK_jT4_jjP12ihipStream_tbEUlT_E0_NS1_11comp_targetILNS1_3genE2ELNS1_11target_archE906ELNS1_3gpuE6ELNS1_3repE0EEENS1_52radix_sort_onesweep_histogram_config_static_selectorELNS0_4arch9wavefront6targetE0EEEvSI_, .Lfunc_end544-_ZN7rocprim17ROCPRIM_400000_NS6detail17trampoline_kernelINS0_14default_configENS1_35radix_sort_onesweep_config_selectorIfNS0_10empty_typeEEEZNS1_34radix_sort_onesweep_global_offsetsIS3_Lb0EN6thrust23THRUST_200600_302600_NS6detail15normal_iteratorINS9_10device_ptrIfEEEEPS5_jNS0_19identity_decomposerEEE10hipError_tT1_T2_PT3_SK_jT4_jjP12ihipStream_tbEUlT_E0_NS1_11comp_targetILNS1_3genE2ELNS1_11target_archE906ELNS1_3gpuE6ELNS1_3repE0EEENS1_52radix_sort_onesweep_histogram_config_static_selectorELNS0_4arch9wavefront6targetE0EEEvSI_
                                        ; -- End function
	.set _ZN7rocprim17ROCPRIM_400000_NS6detail17trampoline_kernelINS0_14default_configENS1_35radix_sort_onesweep_config_selectorIfNS0_10empty_typeEEEZNS1_34radix_sort_onesweep_global_offsetsIS3_Lb0EN6thrust23THRUST_200600_302600_NS6detail15normal_iteratorINS9_10device_ptrIfEEEEPS5_jNS0_19identity_decomposerEEE10hipError_tT1_T2_PT3_SK_jT4_jjP12ihipStream_tbEUlT_E0_NS1_11comp_targetILNS1_3genE2ELNS1_11target_archE906ELNS1_3gpuE6ELNS1_3repE0EEENS1_52radix_sort_onesweep_histogram_config_static_selectorELNS0_4arch9wavefront6targetE0EEEvSI_.num_vgpr, 0
	.set _ZN7rocprim17ROCPRIM_400000_NS6detail17trampoline_kernelINS0_14default_configENS1_35radix_sort_onesweep_config_selectorIfNS0_10empty_typeEEEZNS1_34radix_sort_onesweep_global_offsetsIS3_Lb0EN6thrust23THRUST_200600_302600_NS6detail15normal_iteratorINS9_10device_ptrIfEEEEPS5_jNS0_19identity_decomposerEEE10hipError_tT1_T2_PT3_SK_jT4_jjP12ihipStream_tbEUlT_E0_NS1_11comp_targetILNS1_3genE2ELNS1_11target_archE906ELNS1_3gpuE6ELNS1_3repE0EEENS1_52radix_sort_onesweep_histogram_config_static_selectorELNS0_4arch9wavefront6targetE0EEEvSI_.num_agpr, 0
	.set _ZN7rocprim17ROCPRIM_400000_NS6detail17trampoline_kernelINS0_14default_configENS1_35radix_sort_onesweep_config_selectorIfNS0_10empty_typeEEEZNS1_34radix_sort_onesweep_global_offsetsIS3_Lb0EN6thrust23THRUST_200600_302600_NS6detail15normal_iteratorINS9_10device_ptrIfEEEEPS5_jNS0_19identity_decomposerEEE10hipError_tT1_T2_PT3_SK_jT4_jjP12ihipStream_tbEUlT_E0_NS1_11comp_targetILNS1_3genE2ELNS1_11target_archE906ELNS1_3gpuE6ELNS1_3repE0EEENS1_52radix_sort_onesweep_histogram_config_static_selectorELNS0_4arch9wavefront6targetE0EEEvSI_.numbered_sgpr, 0
	.set _ZN7rocprim17ROCPRIM_400000_NS6detail17trampoline_kernelINS0_14default_configENS1_35radix_sort_onesweep_config_selectorIfNS0_10empty_typeEEEZNS1_34radix_sort_onesweep_global_offsetsIS3_Lb0EN6thrust23THRUST_200600_302600_NS6detail15normal_iteratorINS9_10device_ptrIfEEEEPS5_jNS0_19identity_decomposerEEE10hipError_tT1_T2_PT3_SK_jT4_jjP12ihipStream_tbEUlT_E0_NS1_11comp_targetILNS1_3genE2ELNS1_11target_archE906ELNS1_3gpuE6ELNS1_3repE0EEENS1_52radix_sort_onesweep_histogram_config_static_selectorELNS0_4arch9wavefront6targetE0EEEvSI_.num_named_barrier, 0
	.set _ZN7rocprim17ROCPRIM_400000_NS6detail17trampoline_kernelINS0_14default_configENS1_35radix_sort_onesweep_config_selectorIfNS0_10empty_typeEEEZNS1_34radix_sort_onesweep_global_offsetsIS3_Lb0EN6thrust23THRUST_200600_302600_NS6detail15normal_iteratorINS9_10device_ptrIfEEEEPS5_jNS0_19identity_decomposerEEE10hipError_tT1_T2_PT3_SK_jT4_jjP12ihipStream_tbEUlT_E0_NS1_11comp_targetILNS1_3genE2ELNS1_11target_archE906ELNS1_3gpuE6ELNS1_3repE0EEENS1_52radix_sort_onesweep_histogram_config_static_selectorELNS0_4arch9wavefront6targetE0EEEvSI_.private_seg_size, 0
	.set _ZN7rocprim17ROCPRIM_400000_NS6detail17trampoline_kernelINS0_14default_configENS1_35radix_sort_onesweep_config_selectorIfNS0_10empty_typeEEEZNS1_34radix_sort_onesweep_global_offsetsIS3_Lb0EN6thrust23THRUST_200600_302600_NS6detail15normal_iteratorINS9_10device_ptrIfEEEEPS5_jNS0_19identity_decomposerEEE10hipError_tT1_T2_PT3_SK_jT4_jjP12ihipStream_tbEUlT_E0_NS1_11comp_targetILNS1_3genE2ELNS1_11target_archE906ELNS1_3gpuE6ELNS1_3repE0EEENS1_52radix_sort_onesweep_histogram_config_static_selectorELNS0_4arch9wavefront6targetE0EEEvSI_.uses_vcc, 0
	.set _ZN7rocprim17ROCPRIM_400000_NS6detail17trampoline_kernelINS0_14default_configENS1_35radix_sort_onesweep_config_selectorIfNS0_10empty_typeEEEZNS1_34radix_sort_onesweep_global_offsetsIS3_Lb0EN6thrust23THRUST_200600_302600_NS6detail15normal_iteratorINS9_10device_ptrIfEEEEPS5_jNS0_19identity_decomposerEEE10hipError_tT1_T2_PT3_SK_jT4_jjP12ihipStream_tbEUlT_E0_NS1_11comp_targetILNS1_3genE2ELNS1_11target_archE906ELNS1_3gpuE6ELNS1_3repE0EEENS1_52radix_sort_onesweep_histogram_config_static_selectorELNS0_4arch9wavefront6targetE0EEEvSI_.uses_flat_scratch, 0
	.set _ZN7rocprim17ROCPRIM_400000_NS6detail17trampoline_kernelINS0_14default_configENS1_35radix_sort_onesweep_config_selectorIfNS0_10empty_typeEEEZNS1_34radix_sort_onesweep_global_offsetsIS3_Lb0EN6thrust23THRUST_200600_302600_NS6detail15normal_iteratorINS9_10device_ptrIfEEEEPS5_jNS0_19identity_decomposerEEE10hipError_tT1_T2_PT3_SK_jT4_jjP12ihipStream_tbEUlT_E0_NS1_11comp_targetILNS1_3genE2ELNS1_11target_archE906ELNS1_3gpuE6ELNS1_3repE0EEENS1_52radix_sort_onesweep_histogram_config_static_selectorELNS0_4arch9wavefront6targetE0EEEvSI_.has_dyn_sized_stack, 0
	.set _ZN7rocprim17ROCPRIM_400000_NS6detail17trampoline_kernelINS0_14default_configENS1_35radix_sort_onesweep_config_selectorIfNS0_10empty_typeEEEZNS1_34radix_sort_onesweep_global_offsetsIS3_Lb0EN6thrust23THRUST_200600_302600_NS6detail15normal_iteratorINS9_10device_ptrIfEEEEPS5_jNS0_19identity_decomposerEEE10hipError_tT1_T2_PT3_SK_jT4_jjP12ihipStream_tbEUlT_E0_NS1_11comp_targetILNS1_3genE2ELNS1_11target_archE906ELNS1_3gpuE6ELNS1_3repE0EEENS1_52radix_sort_onesweep_histogram_config_static_selectorELNS0_4arch9wavefront6targetE0EEEvSI_.has_recursion, 0
	.set _ZN7rocprim17ROCPRIM_400000_NS6detail17trampoline_kernelINS0_14default_configENS1_35radix_sort_onesweep_config_selectorIfNS0_10empty_typeEEEZNS1_34radix_sort_onesweep_global_offsetsIS3_Lb0EN6thrust23THRUST_200600_302600_NS6detail15normal_iteratorINS9_10device_ptrIfEEEEPS5_jNS0_19identity_decomposerEEE10hipError_tT1_T2_PT3_SK_jT4_jjP12ihipStream_tbEUlT_E0_NS1_11comp_targetILNS1_3genE2ELNS1_11target_archE906ELNS1_3gpuE6ELNS1_3repE0EEENS1_52radix_sort_onesweep_histogram_config_static_selectorELNS0_4arch9wavefront6targetE0EEEvSI_.has_indirect_call, 0
	.section	.AMDGPU.csdata,"",@progbits
; Kernel info:
; codeLenInByte = 0
; TotalNumSgprs: 0
; NumVgprs: 0
; ScratchSize: 0
; MemoryBound: 0
; FloatMode: 240
; IeeeMode: 1
; LDSByteSize: 0 bytes/workgroup (compile time only)
; SGPRBlocks: 0
; VGPRBlocks: 0
; NumSGPRsForWavesPerEU: 1
; NumVGPRsForWavesPerEU: 1
; Occupancy: 16
; WaveLimiterHint : 0
; COMPUTE_PGM_RSRC2:SCRATCH_EN: 0
; COMPUTE_PGM_RSRC2:USER_SGPR: 6
; COMPUTE_PGM_RSRC2:TRAP_HANDLER: 0
; COMPUTE_PGM_RSRC2:TGID_X_EN: 1
; COMPUTE_PGM_RSRC2:TGID_Y_EN: 0
; COMPUTE_PGM_RSRC2:TGID_Z_EN: 0
; COMPUTE_PGM_RSRC2:TIDIG_COMP_CNT: 0
	.section	.text._ZN7rocprim17ROCPRIM_400000_NS6detail17trampoline_kernelINS0_14default_configENS1_35radix_sort_onesweep_config_selectorIfNS0_10empty_typeEEEZNS1_34radix_sort_onesweep_global_offsetsIS3_Lb0EN6thrust23THRUST_200600_302600_NS6detail15normal_iteratorINS9_10device_ptrIfEEEEPS5_jNS0_19identity_decomposerEEE10hipError_tT1_T2_PT3_SK_jT4_jjP12ihipStream_tbEUlT_E0_NS1_11comp_targetILNS1_3genE4ELNS1_11target_archE910ELNS1_3gpuE8ELNS1_3repE0EEENS1_52radix_sort_onesweep_histogram_config_static_selectorELNS0_4arch9wavefront6targetE0EEEvSI_,"axG",@progbits,_ZN7rocprim17ROCPRIM_400000_NS6detail17trampoline_kernelINS0_14default_configENS1_35radix_sort_onesweep_config_selectorIfNS0_10empty_typeEEEZNS1_34radix_sort_onesweep_global_offsetsIS3_Lb0EN6thrust23THRUST_200600_302600_NS6detail15normal_iteratorINS9_10device_ptrIfEEEEPS5_jNS0_19identity_decomposerEEE10hipError_tT1_T2_PT3_SK_jT4_jjP12ihipStream_tbEUlT_E0_NS1_11comp_targetILNS1_3genE4ELNS1_11target_archE910ELNS1_3gpuE8ELNS1_3repE0EEENS1_52radix_sort_onesweep_histogram_config_static_selectorELNS0_4arch9wavefront6targetE0EEEvSI_,comdat
	.protected	_ZN7rocprim17ROCPRIM_400000_NS6detail17trampoline_kernelINS0_14default_configENS1_35radix_sort_onesweep_config_selectorIfNS0_10empty_typeEEEZNS1_34radix_sort_onesweep_global_offsetsIS3_Lb0EN6thrust23THRUST_200600_302600_NS6detail15normal_iteratorINS9_10device_ptrIfEEEEPS5_jNS0_19identity_decomposerEEE10hipError_tT1_T2_PT3_SK_jT4_jjP12ihipStream_tbEUlT_E0_NS1_11comp_targetILNS1_3genE4ELNS1_11target_archE910ELNS1_3gpuE8ELNS1_3repE0EEENS1_52radix_sort_onesweep_histogram_config_static_selectorELNS0_4arch9wavefront6targetE0EEEvSI_ ; -- Begin function _ZN7rocprim17ROCPRIM_400000_NS6detail17trampoline_kernelINS0_14default_configENS1_35radix_sort_onesweep_config_selectorIfNS0_10empty_typeEEEZNS1_34radix_sort_onesweep_global_offsetsIS3_Lb0EN6thrust23THRUST_200600_302600_NS6detail15normal_iteratorINS9_10device_ptrIfEEEEPS5_jNS0_19identity_decomposerEEE10hipError_tT1_T2_PT3_SK_jT4_jjP12ihipStream_tbEUlT_E0_NS1_11comp_targetILNS1_3genE4ELNS1_11target_archE910ELNS1_3gpuE8ELNS1_3repE0EEENS1_52radix_sort_onesweep_histogram_config_static_selectorELNS0_4arch9wavefront6targetE0EEEvSI_
	.globl	_ZN7rocprim17ROCPRIM_400000_NS6detail17trampoline_kernelINS0_14default_configENS1_35radix_sort_onesweep_config_selectorIfNS0_10empty_typeEEEZNS1_34radix_sort_onesweep_global_offsetsIS3_Lb0EN6thrust23THRUST_200600_302600_NS6detail15normal_iteratorINS9_10device_ptrIfEEEEPS5_jNS0_19identity_decomposerEEE10hipError_tT1_T2_PT3_SK_jT4_jjP12ihipStream_tbEUlT_E0_NS1_11comp_targetILNS1_3genE4ELNS1_11target_archE910ELNS1_3gpuE8ELNS1_3repE0EEENS1_52radix_sort_onesweep_histogram_config_static_selectorELNS0_4arch9wavefront6targetE0EEEvSI_
	.p2align	8
	.type	_ZN7rocprim17ROCPRIM_400000_NS6detail17trampoline_kernelINS0_14default_configENS1_35radix_sort_onesweep_config_selectorIfNS0_10empty_typeEEEZNS1_34radix_sort_onesweep_global_offsetsIS3_Lb0EN6thrust23THRUST_200600_302600_NS6detail15normal_iteratorINS9_10device_ptrIfEEEEPS5_jNS0_19identity_decomposerEEE10hipError_tT1_T2_PT3_SK_jT4_jjP12ihipStream_tbEUlT_E0_NS1_11comp_targetILNS1_3genE4ELNS1_11target_archE910ELNS1_3gpuE8ELNS1_3repE0EEENS1_52radix_sort_onesweep_histogram_config_static_selectorELNS0_4arch9wavefront6targetE0EEEvSI_,@function
_ZN7rocprim17ROCPRIM_400000_NS6detail17trampoline_kernelINS0_14default_configENS1_35radix_sort_onesweep_config_selectorIfNS0_10empty_typeEEEZNS1_34radix_sort_onesweep_global_offsetsIS3_Lb0EN6thrust23THRUST_200600_302600_NS6detail15normal_iteratorINS9_10device_ptrIfEEEEPS5_jNS0_19identity_decomposerEEE10hipError_tT1_T2_PT3_SK_jT4_jjP12ihipStream_tbEUlT_E0_NS1_11comp_targetILNS1_3genE4ELNS1_11target_archE910ELNS1_3gpuE8ELNS1_3repE0EEENS1_52radix_sort_onesweep_histogram_config_static_selectorELNS0_4arch9wavefront6targetE0EEEvSI_: ; @_ZN7rocprim17ROCPRIM_400000_NS6detail17trampoline_kernelINS0_14default_configENS1_35radix_sort_onesweep_config_selectorIfNS0_10empty_typeEEEZNS1_34radix_sort_onesweep_global_offsetsIS3_Lb0EN6thrust23THRUST_200600_302600_NS6detail15normal_iteratorINS9_10device_ptrIfEEEEPS5_jNS0_19identity_decomposerEEE10hipError_tT1_T2_PT3_SK_jT4_jjP12ihipStream_tbEUlT_E0_NS1_11comp_targetILNS1_3genE4ELNS1_11target_archE910ELNS1_3gpuE8ELNS1_3repE0EEENS1_52radix_sort_onesweep_histogram_config_static_selectorELNS0_4arch9wavefront6targetE0EEEvSI_
; %bb.0:
	.section	.rodata,"a",@progbits
	.p2align	6, 0x0
	.amdhsa_kernel _ZN7rocprim17ROCPRIM_400000_NS6detail17trampoline_kernelINS0_14default_configENS1_35radix_sort_onesweep_config_selectorIfNS0_10empty_typeEEEZNS1_34radix_sort_onesweep_global_offsetsIS3_Lb0EN6thrust23THRUST_200600_302600_NS6detail15normal_iteratorINS9_10device_ptrIfEEEEPS5_jNS0_19identity_decomposerEEE10hipError_tT1_T2_PT3_SK_jT4_jjP12ihipStream_tbEUlT_E0_NS1_11comp_targetILNS1_3genE4ELNS1_11target_archE910ELNS1_3gpuE8ELNS1_3repE0EEENS1_52radix_sort_onesweep_histogram_config_static_selectorELNS0_4arch9wavefront6targetE0EEEvSI_
		.amdhsa_group_segment_fixed_size 0
		.amdhsa_private_segment_fixed_size 0
		.amdhsa_kernarg_size 8
		.amdhsa_user_sgpr_count 6
		.amdhsa_user_sgpr_private_segment_buffer 1
		.amdhsa_user_sgpr_dispatch_ptr 0
		.amdhsa_user_sgpr_queue_ptr 0
		.amdhsa_user_sgpr_kernarg_segment_ptr 1
		.amdhsa_user_sgpr_dispatch_id 0
		.amdhsa_user_sgpr_flat_scratch_init 0
		.amdhsa_user_sgpr_private_segment_size 0
		.amdhsa_wavefront_size32 1
		.amdhsa_uses_dynamic_stack 0
		.amdhsa_system_sgpr_private_segment_wavefront_offset 0
		.amdhsa_system_sgpr_workgroup_id_x 1
		.amdhsa_system_sgpr_workgroup_id_y 0
		.amdhsa_system_sgpr_workgroup_id_z 0
		.amdhsa_system_sgpr_workgroup_info 0
		.amdhsa_system_vgpr_workitem_id 0
		.amdhsa_next_free_vgpr 1
		.amdhsa_next_free_sgpr 1
		.amdhsa_reserve_vcc 0
		.amdhsa_reserve_flat_scratch 0
		.amdhsa_float_round_mode_32 0
		.amdhsa_float_round_mode_16_64 0
		.amdhsa_float_denorm_mode_32 3
		.amdhsa_float_denorm_mode_16_64 3
		.amdhsa_dx10_clamp 1
		.amdhsa_ieee_mode 1
		.amdhsa_fp16_overflow 0
		.amdhsa_workgroup_processor_mode 1
		.amdhsa_memory_ordered 1
		.amdhsa_forward_progress 1
		.amdhsa_shared_vgpr_count 0
		.amdhsa_exception_fp_ieee_invalid_op 0
		.amdhsa_exception_fp_denorm_src 0
		.amdhsa_exception_fp_ieee_div_zero 0
		.amdhsa_exception_fp_ieee_overflow 0
		.amdhsa_exception_fp_ieee_underflow 0
		.amdhsa_exception_fp_ieee_inexact 0
		.amdhsa_exception_int_div_zero 0
	.end_amdhsa_kernel
	.section	.text._ZN7rocprim17ROCPRIM_400000_NS6detail17trampoline_kernelINS0_14default_configENS1_35radix_sort_onesweep_config_selectorIfNS0_10empty_typeEEEZNS1_34radix_sort_onesweep_global_offsetsIS3_Lb0EN6thrust23THRUST_200600_302600_NS6detail15normal_iteratorINS9_10device_ptrIfEEEEPS5_jNS0_19identity_decomposerEEE10hipError_tT1_T2_PT3_SK_jT4_jjP12ihipStream_tbEUlT_E0_NS1_11comp_targetILNS1_3genE4ELNS1_11target_archE910ELNS1_3gpuE8ELNS1_3repE0EEENS1_52radix_sort_onesweep_histogram_config_static_selectorELNS0_4arch9wavefront6targetE0EEEvSI_,"axG",@progbits,_ZN7rocprim17ROCPRIM_400000_NS6detail17trampoline_kernelINS0_14default_configENS1_35radix_sort_onesweep_config_selectorIfNS0_10empty_typeEEEZNS1_34radix_sort_onesweep_global_offsetsIS3_Lb0EN6thrust23THRUST_200600_302600_NS6detail15normal_iteratorINS9_10device_ptrIfEEEEPS5_jNS0_19identity_decomposerEEE10hipError_tT1_T2_PT3_SK_jT4_jjP12ihipStream_tbEUlT_E0_NS1_11comp_targetILNS1_3genE4ELNS1_11target_archE910ELNS1_3gpuE8ELNS1_3repE0EEENS1_52radix_sort_onesweep_histogram_config_static_selectorELNS0_4arch9wavefront6targetE0EEEvSI_,comdat
.Lfunc_end545:
	.size	_ZN7rocprim17ROCPRIM_400000_NS6detail17trampoline_kernelINS0_14default_configENS1_35radix_sort_onesweep_config_selectorIfNS0_10empty_typeEEEZNS1_34radix_sort_onesweep_global_offsetsIS3_Lb0EN6thrust23THRUST_200600_302600_NS6detail15normal_iteratorINS9_10device_ptrIfEEEEPS5_jNS0_19identity_decomposerEEE10hipError_tT1_T2_PT3_SK_jT4_jjP12ihipStream_tbEUlT_E0_NS1_11comp_targetILNS1_3genE4ELNS1_11target_archE910ELNS1_3gpuE8ELNS1_3repE0EEENS1_52radix_sort_onesweep_histogram_config_static_selectorELNS0_4arch9wavefront6targetE0EEEvSI_, .Lfunc_end545-_ZN7rocprim17ROCPRIM_400000_NS6detail17trampoline_kernelINS0_14default_configENS1_35radix_sort_onesweep_config_selectorIfNS0_10empty_typeEEEZNS1_34radix_sort_onesweep_global_offsetsIS3_Lb0EN6thrust23THRUST_200600_302600_NS6detail15normal_iteratorINS9_10device_ptrIfEEEEPS5_jNS0_19identity_decomposerEEE10hipError_tT1_T2_PT3_SK_jT4_jjP12ihipStream_tbEUlT_E0_NS1_11comp_targetILNS1_3genE4ELNS1_11target_archE910ELNS1_3gpuE8ELNS1_3repE0EEENS1_52radix_sort_onesweep_histogram_config_static_selectorELNS0_4arch9wavefront6targetE0EEEvSI_
                                        ; -- End function
	.set _ZN7rocprim17ROCPRIM_400000_NS6detail17trampoline_kernelINS0_14default_configENS1_35radix_sort_onesweep_config_selectorIfNS0_10empty_typeEEEZNS1_34radix_sort_onesweep_global_offsetsIS3_Lb0EN6thrust23THRUST_200600_302600_NS6detail15normal_iteratorINS9_10device_ptrIfEEEEPS5_jNS0_19identity_decomposerEEE10hipError_tT1_T2_PT3_SK_jT4_jjP12ihipStream_tbEUlT_E0_NS1_11comp_targetILNS1_3genE4ELNS1_11target_archE910ELNS1_3gpuE8ELNS1_3repE0EEENS1_52radix_sort_onesweep_histogram_config_static_selectorELNS0_4arch9wavefront6targetE0EEEvSI_.num_vgpr, 0
	.set _ZN7rocprim17ROCPRIM_400000_NS6detail17trampoline_kernelINS0_14default_configENS1_35radix_sort_onesweep_config_selectorIfNS0_10empty_typeEEEZNS1_34radix_sort_onesweep_global_offsetsIS3_Lb0EN6thrust23THRUST_200600_302600_NS6detail15normal_iteratorINS9_10device_ptrIfEEEEPS5_jNS0_19identity_decomposerEEE10hipError_tT1_T2_PT3_SK_jT4_jjP12ihipStream_tbEUlT_E0_NS1_11comp_targetILNS1_3genE4ELNS1_11target_archE910ELNS1_3gpuE8ELNS1_3repE0EEENS1_52radix_sort_onesweep_histogram_config_static_selectorELNS0_4arch9wavefront6targetE0EEEvSI_.num_agpr, 0
	.set _ZN7rocprim17ROCPRIM_400000_NS6detail17trampoline_kernelINS0_14default_configENS1_35radix_sort_onesweep_config_selectorIfNS0_10empty_typeEEEZNS1_34radix_sort_onesweep_global_offsetsIS3_Lb0EN6thrust23THRUST_200600_302600_NS6detail15normal_iteratorINS9_10device_ptrIfEEEEPS5_jNS0_19identity_decomposerEEE10hipError_tT1_T2_PT3_SK_jT4_jjP12ihipStream_tbEUlT_E0_NS1_11comp_targetILNS1_3genE4ELNS1_11target_archE910ELNS1_3gpuE8ELNS1_3repE0EEENS1_52radix_sort_onesweep_histogram_config_static_selectorELNS0_4arch9wavefront6targetE0EEEvSI_.numbered_sgpr, 0
	.set _ZN7rocprim17ROCPRIM_400000_NS6detail17trampoline_kernelINS0_14default_configENS1_35radix_sort_onesweep_config_selectorIfNS0_10empty_typeEEEZNS1_34radix_sort_onesweep_global_offsetsIS3_Lb0EN6thrust23THRUST_200600_302600_NS6detail15normal_iteratorINS9_10device_ptrIfEEEEPS5_jNS0_19identity_decomposerEEE10hipError_tT1_T2_PT3_SK_jT4_jjP12ihipStream_tbEUlT_E0_NS1_11comp_targetILNS1_3genE4ELNS1_11target_archE910ELNS1_3gpuE8ELNS1_3repE0EEENS1_52radix_sort_onesweep_histogram_config_static_selectorELNS0_4arch9wavefront6targetE0EEEvSI_.num_named_barrier, 0
	.set _ZN7rocprim17ROCPRIM_400000_NS6detail17trampoline_kernelINS0_14default_configENS1_35radix_sort_onesweep_config_selectorIfNS0_10empty_typeEEEZNS1_34radix_sort_onesweep_global_offsetsIS3_Lb0EN6thrust23THRUST_200600_302600_NS6detail15normal_iteratorINS9_10device_ptrIfEEEEPS5_jNS0_19identity_decomposerEEE10hipError_tT1_T2_PT3_SK_jT4_jjP12ihipStream_tbEUlT_E0_NS1_11comp_targetILNS1_3genE4ELNS1_11target_archE910ELNS1_3gpuE8ELNS1_3repE0EEENS1_52radix_sort_onesweep_histogram_config_static_selectorELNS0_4arch9wavefront6targetE0EEEvSI_.private_seg_size, 0
	.set _ZN7rocprim17ROCPRIM_400000_NS6detail17trampoline_kernelINS0_14default_configENS1_35radix_sort_onesweep_config_selectorIfNS0_10empty_typeEEEZNS1_34radix_sort_onesweep_global_offsetsIS3_Lb0EN6thrust23THRUST_200600_302600_NS6detail15normal_iteratorINS9_10device_ptrIfEEEEPS5_jNS0_19identity_decomposerEEE10hipError_tT1_T2_PT3_SK_jT4_jjP12ihipStream_tbEUlT_E0_NS1_11comp_targetILNS1_3genE4ELNS1_11target_archE910ELNS1_3gpuE8ELNS1_3repE0EEENS1_52radix_sort_onesweep_histogram_config_static_selectorELNS0_4arch9wavefront6targetE0EEEvSI_.uses_vcc, 0
	.set _ZN7rocprim17ROCPRIM_400000_NS6detail17trampoline_kernelINS0_14default_configENS1_35radix_sort_onesweep_config_selectorIfNS0_10empty_typeEEEZNS1_34radix_sort_onesweep_global_offsetsIS3_Lb0EN6thrust23THRUST_200600_302600_NS6detail15normal_iteratorINS9_10device_ptrIfEEEEPS5_jNS0_19identity_decomposerEEE10hipError_tT1_T2_PT3_SK_jT4_jjP12ihipStream_tbEUlT_E0_NS1_11comp_targetILNS1_3genE4ELNS1_11target_archE910ELNS1_3gpuE8ELNS1_3repE0EEENS1_52radix_sort_onesweep_histogram_config_static_selectorELNS0_4arch9wavefront6targetE0EEEvSI_.uses_flat_scratch, 0
	.set _ZN7rocprim17ROCPRIM_400000_NS6detail17trampoline_kernelINS0_14default_configENS1_35radix_sort_onesweep_config_selectorIfNS0_10empty_typeEEEZNS1_34radix_sort_onesweep_global_offsetsIS3_Lb0EN6thrust23THRUST_200600_302600_NS6detail15normal_iteratorINS9_10device_ptrIfEEEEPS5_jNS0_19identity_decomposerEEE10hipError_tT1_T2_PT3_SK_jT4_jjP12ihipStream_tbEUlT_E0_NS1_11comp_targetILNS1_3genE4ELNS1_11target_archE910ELNS1_3gpuE8ELNS1_3repE0EEENS1_52radix_sort_onesweep_histogram_config_static_selectorELNS0_4arch9wavefront6targetE0EEEvSI_.has_dyn_sized_stack, 0
	.set _ZN7rocprim17ROCPRIM_400000_NS6detail17trampoline_kernelINS0_14default_configENS1_35radix_sort_onesweep_config_selectorIfNS0_10empty_typeEEEZNS1_34radix_sort_onesweep_global_offsetsIS3_Lb0EN6thrust23THRUST_200600_302600_NS6detail15normal_iteratorINS9_10device_ptrIfEEEEPS5_jNS0_19identity_decomposerEEE10hipError_tT1_T2_PT3_SK_jT4_jjP12ihipStream_tbEUlT_E0_NS1_11comp_targetILNS1_3genE4ELNS1_11target_archE910ELNS1_3gpuE8ELNS1_3repE0EEENS1_52radix_sort_onesweep_histogram_config_static_selectorELNS0_4arch9wavefront6targetE0EEEvSI_.has_recursion, 0
	.set _ZN7rocprim17ROCPRIM_400000_NS6detail17trampoline_kernelINS0_14default_configENS1_35radix_sort_onesweep_config_selectorIfNS0_10empty_typeEEEZNS1_34radix_sort_onesweep_global_offsetsIS3_Lb0EN6thrust23THRUST_200600_302600_NS6detail15normal_iteratorINS9_10device_ptrIfEEEEPS5_jNS0_19identity_decomposerEEE10hipError_tT1_T2_PT3_SK_jT4_jjP12ihipStream_tbEUlT_E0_NS1_11comp_targetILNS1_3genE4ELNS1_11target_archE910ELNS1_3gpuE8ELNS1_3repE0EEENS1_52radix_sort_onesweep_histogram_config_static_selectorELNS0_4arch9wavefront6targetE0EEEvSI_.has_indirect_call, 0
	.section	.AMDGPU.csdata,"",@progbits
; Kernel info:
; codeLenInByte = 0
; TotalNumSgprs: 0
; NumVgprs: 0
; ScratchSize: 0
; MemoryBound: 0
; FloatMode: 240
; IeeeMode: 1
; LDSByteSize: 0 bytes/workgroup (compile time only)
; SGPRBlocks: 0
; VGPRBlocks: 0
; NumSGPRsForWavesPerEU: 1
; NumVGPRsForWavesPerEU: 1
; Occupancy: 16
; WaveLimiterHint : 0
; COMPUTE_PGM_RSRC2:SCRATCH_EN: 0
; COMPUTE_PGM_RSRC2:USER_SGPR: 6
; COMPUTE_PGM_RSRC2:TRAP_HANDLER: 0
; COMPUTE_PGM_RSRC2:TGID_X_EN: 1
; COMPUTE_PGM_RSRC2:TGID_Y_EN: 0
; COMPUTE_PGM_RSRC2:TGID_Z_EN: 0
; COMPUTE_PGM_RSRC2:TIDIG_COMP_CNT: 0
	.section	.text._ZN7rocprim17ROCPRIM_400000_NS6detail17trampoline_kernelINS0_14default_configENS1_35radix_sort_onesweep_config_selectorIfNS0_10empty_typeEEEZNS1_34radix_sort_onesweep_global_offsetsIS3_Lb0EN6thrust23THRUST_200600_302600_NS6detail15normal_iteratorINS9_10device_ptrIfEEEEPS5_jNS0_19identity_decomposerEEE10hipError_tT1_T2_PT3_SK_jT4_jjP12ihipStream_tbEUlT_E0_NS1_11comp_targetILNS1_3genE3ELNS1_11target_archE908ELNS1_3gpuE7ELNS1_3repE0EEENS1_52radix_sort_onesweep_histogram_config_static_selectorELNS0_4arch9wavefront6targetE0EEEvSI_,"axG",@progbits,_ZN7rocprim17ROCPRIM_400000_NS6detail17trampoline_kernelINS0_14default_configENS1_35radix_sort_onesweep_config_selectorIfNS0_10empty_typeEEEZNS1_34radix_sort_onesweep_global_offsetsIS3_Lb0EN6thrust23THRUST_200600_302600_NS6detail15normal_iteratorINS9_10device_ptrIfEEEEPS5_jNS0_19identity_decomposerEEE10hipError_tT1_T2_PT3_SK_jT4_jjP12ihipStream_tbEUlT_E0_NS1_11comp_targetILNS1_3genE3ELNS1_11target_archE908ELNS1_3gpuE7ELNS1_3repE0EEENS1_52radix_sort_onesweep_histogram_config_static_selectorELNS0_4arch9wavefront6targetE0EEEvSI_,comdat
	.protected	_ZN7rocprim17ROCPRIM_400000_NS6detail17trampoline_kernelINS0_14default_configENS1_35radix_sort_onesweep_config_selectorIfNS0_10empty_typeEEEZNS1_34radix_sort_onesweep_global_offsetsIS3_Lb0EN6thrust23THRUST_200600_302600_NS6detail15normal_iteratorINS9_10device_ptrIfEEEEPS5_jNS0_19identity_decomposerEEE10hipError_tT1_T2_PT3_SK_jT4_jjP12ihipStream_tbEUlT_E0_NS1_11comp_targetILNS1_3genE3ELNS1_11target_archE908ELNS1_3gpuE7ELNS1_3repE0EEENS1_52radix_sort_onesweep_histogram_config_static_selectorELNS0_4arch9wavefront6targetE0EEEvSI_ ; -- Begin function _ZN7rocprim17ROCPRIM_400000_NS6detail17trampoline_kernelINS0_14default_configENS1_35radix_sort_onesweep_config_selectorIfNS0_10empty_typeEEEZNS1_34radix_sort_onesweep_global_offsetsIS3_Lb0EN6thrust23THRUST_200600_302600_NS6detail15normal_iteratorINS9_10device_ptrIfEEEEPS5_jNS0_19identity_decomposerEEE10hipError_tT1_T2_PT3_SK_jT4_jjP12ihipStream_tbEUlT_E0_NS1_11comp_targetILNS1_3genE3ELNS1_11target_archE908ELNS1_3gpuE7ELNS1_3repE0EEENS1_52radix_sort_onesweep_histogram_config_static_selectorELNS0_4arch9wavefront6targetE0EEEvSI_
	.globl	_ZN7rocprim17ROCPRIM_400000_NS6detail17trampoline_kernelINS0_14default_configENS1_35radix_sort_onesweep_config_selectorIfNS0_10empty_typeEEEZNS1_34radix_sort_onesweep_global_offsetsIS3_Lb0EN6thrust23THRUST_200600_302600_NS6detail15normal_iteratorINS9_10device_ptrIfEEEEPS5_jNS0_19identity_decomposerEEE10hipError_tT1_T2_PT3_SK_jT4_jjP12ihipStream_tbEUlT_E0_NS1_11comp_targetILNS1_3genE3ELNS1_11target_archE908ELNS1_3gpuE7ELNS1_3repE0EEENS1_52radix_sort_onesweep_histogram_config_static_selectorELNS0_4arch9wavefront6targetE0EEEvSI_
	.p2align	8
	.type	_ZN7rocprim17ROCPRIM_400000_NS6detail17trampoline_kernelINS0_14default_configENS1_35radix_sort_onesweep_config_selectorIfNS0_10empty_typeEEEZNS1_34radix_sort_onesweep_global_offsetsIS3_Lb0EN6thrust23THRUST_200600_302600_NS6detail15normal_iteratorINS9_10device_ptrIfEEEEPS5_jNS0_19identity_decomposerEEE10hipError_tT1_T2_PT3_SK_jT4_jjP12ihipStream_tbEUlT_E0_NS1_11comp_targetILNS1_3genE3ELNS1_11target_archE908ELNS1_3gpuE7ELNS1_3repE0EEENS1_52radix_sort_onesweep_histogram_config_static_selectorELNS0_4arch9wavefront6targetE0EEEvSI_,@function
_ZN7rocprim17ROCPRIM_400000_NS6detail17trampoline_kernelINS0_14default_configENS1_35radix_sort_onesweep_config_selectorIfNS0_10empty_typeEEEZNS1_34radix_sort_onesweep_global_offsetsIS3_Lb0EN6thrust23THRUST_200600_302600_NS6detail15normal_iteratorINS9_10device_ptrIfEEEEPS5_jNS0_19identity_decomposerEEE10hipError_tT1_T2_PT3_SK_jT4_jjP12ihipStream_tbEUlT_E0_NS1_11comp_targetILNS1_3genE3ELNS1_11target_archE908ELNS1_3gpuE7ELNS1_3repE0EEENS1_52radix_sort_onesweep_histogram_config_static_selectorELNS0_4arch9wavefront6targetE0EEEvSI_: ; @_ZN7rocprim17ROCPRIM_400000_NS6detail17trampoline_kernelINS0_14default_configENS1_35radix_sort_onesweep_config_selectorIfNS0_10empty_typeEEEZNS1_34radix_sort_onesweep_global_offsetsIS3_Lb0EN6thrust23THRUST_200600_302600_NS6detail15normal_iteratorINS9_10device_ptrIfEEEEPS5_jNS0_19identity_decomposerEEE10hipError_tT1_T2_PT3_SK_jT4_jjP12ihipStream_tbEUlT_E0_NS1_11comp_targetILNS1_3genE3ELNS1_11target_archE908ELNS1_3gpuE7ELNS1_3repE0EEENS1_52radix_sort_onesweep_histogram_config_static_selectorELNS0_4arch9wavefront6targetE0EEEvSI_
; %bb.0:
	.section	.rodata,"a",@progbits
	.p2align	6, 0x0
	.amdhsa_kernel _ZN7rocprim17ROCPRIM_400000_NS6detail17trampoline_kernelINS0_14default_configENS1_35radix_sort_onesweep_config_selectorIfNS0_10empty_typeEEEZNS1_34radix_sort_onesweep_global_offsetsIS3_Lb0EN6thrust23THRUST_200600_302600_NS6detail15normal_iteratorINS9_10device_ptrIfEEEEPS5_jNS0_19identity_decomposerEEE10hipError_tT1_T2_PT3_SK_jT4_jjP12ihipStream_tbEUlT_E0_NS1_11comp_targetILNS1_3genE3ELNS1_11target_archE908ELNS1_3gpuE7ELNS1_3repE0EEENS1_52radix_sort_onesweep_histogram_config_static_selectorELNS0_4arch9wavefront6targetE0EEEvSI_
		.amdhsa_group_segment_fixed_size 0
		.amdhsa_private_segment_fixed_size 0
		.amdhsa_kernarg_size 8
		.amdhsa_user_sgpr_count 6
		.amdhsa_user_sgpr_private_segment_buffer 1
		.amdhsa_user_sgpr_dispatch_ptr 0
		.amdhsa_user_sgpr_queue_ptr 0
		.amdhsa_user_sgpr_kernarg_segment_ptr 1
		.amdhsa_user_sgpr_dispatch_id 0
		.amdhsa_user_sgpr_flat_scratch_init 0
		.amdhsa_user_sgpr_private_segment_size 0
		.amdhsa_wavefront_size32 1
		.amdhsa_uses_dynamic_stack 0
		.amdhsa_system_sgpr_private_segment_wavefront_offset 0
		.amdhsa_system_sgpr_workgroup_id_x 1
		.amdhsa_system_sgpr_workgroup_id_y 0
		.amdhsa_system_sgpr_workgroup_id_z 0
		.amdhsa_system_sgpr_workgroup_info 0
		.amdhsa_system_vgpr_workitem_id 0
		.amdhsa_next_free_vgpr 1
		.amdhsa_next_free_sgpr 1
		.amdhsa_reserve_vcc 0
		.amdhsa_reserve_flat_scratch 0
		.amdhsa_float_round_mode_32 0
		.amdhsa_float_round_mode_16_64 0
		.amdhsa_float_denorm_mode_32 3
		.amdhsa_float_denorm_mode_16_64 3
		.amdhsa_dx10_clamp 1
		.amdhsa_ieee_mode 1
		.amdhsa_fp16_overflow 0
		.amdhsa_workgroup_processor_mode 1
		.amdhsa_memory_ordered 1
		.amdhsa_forward_progress 1
		.amdhsa_shared_vgpr_count 0
		.amdhsa_exception_fp_ieee_invalid_op 0
		.amdhsa_exception_fp_denorm_src 0
		.amdhsa_exception_fp_ieee_div_zero 0
		.amdhsa_exception_fp_ieee_overflow 0
		.amdhsa_exception_fp_ieee_underflow 0
		.amdhsa_exception_fp_ieee_inexact 0
		.amdhsa_exception_int_div_zero 0
	.end_amdhsa_kernel
	.section	.text._ZN7rocprim17ROCPRIM_400000_NS6detail17trampoline_kernelINS0_14default_configENS1_35radix_sort_onesweep_config_selectorIfNS0_10empty_typeEEEZNS1_34radix_sort_onesweep_global_offsetsIS3_Lb0EN6thrust23THRUST_200600_302600_NS6detail15normal_iteratorINS9_10device_ptrIfEEEEPS5_jNS0_19identity_decomposerEEE10hipError_tT1_T2_PT3_SK_jT4_jjP12ihipStream_tbEUlT_E0_NS1_11comp_targetILNS1_3genE3ELNS1_11target_archE908ELNS1_3gpuE7ELNS1_3repE0EEENS1_52radix_sort_onesweep_histogram_config_static_selectorELNS0_4arch9wavefront6targetE0EEEvSI_,"axG",@progbits,_ZN7rocprim17ROCPRIM_400000_NS6detail17trampoline_kernelINS0_14default_configENS1_35radix_sort_onesweep_config_selectorIfNS0_10empty_typeEEEZNS1_34radix_sort_onesweep_global_offsetsIS3_Lb0EN6thrust23THRUST_200600_302600_NS6detail15normal_iteratorINS9_10device_ptrIfEEEEPS5_jNS0_19identity_decomposerEEE10hipError_tT1_T2_PT3_SK_jT4_jjP12ihipStream_tbEUlT_E0_NS1_11comp_targetILNS1_3genE3ELNS1_11target_archE908ELNS1_3gpuE7ELNS1_3repE0EEENS1_52radix_sort_onesweep_histogram_config_static_selectorELNS0_4arch9wavefront6targetE0EEEvSI_,comdat
.Lfunc_end546:
	.size	_ZN7rocprim17ROCPRIM_400000_NS6detail17trampoline_kernelINS0_14default_configENS1_35radix_sort_onesweep_config_selectorIfNS0_10empty_typeEEEZNS1_34radix_sort_onesweep_global_offsetsIS3_Lb0EN6thrust23THRUST_200600_302600_NS6detail15normal_iteratorINS9_10device_ptrIfEEEEPS5_jNS0_19identity_decomposerEEE10hipError_tT1_T2_PT3_SK_jT4_jjP12ihipStream_tbEUlT_E0_NS1_11comp_targetILNS1_3genE3ELNS1_11target_archE908ELNS1_3gpuE7ELNS1_3repE0EEENS1_52radix_sort_onesweep_histogram_config_static_selectorELNS0_4arch9wavefront6targetE0EEEvSI_, .Lfunc_end546-_ZN7rocprim17ROCPRIM_400000_NS6detail17trampoline_kernelINS0_14default_configENS1_35radix_sort_onesweep_config_selectorIfNS0_10empty_typeEEEZNS1_34radix_sort_onesweep_global_offsetsIS3_Lb0EN6thrust23THRUST_200600_302600_NS6detail15normal_iteratorINS9_10device_ptrIfEEEEPS5_jNS0_19identity_decomposerEEE10hipError_tT1_T2_PT3_SK_jT4_jjP12ihipStream_tbEUlT_E0_NS1_11comp_targetILNS1_3genE3ELNS1_11target_archE908ELNS1_3gpuE7ELNS1_3repE0EEENS1_52radix_sort_onesweep_histogram_config_static_selectorELNS0_4arch9wavefront6targetE0EEEvSI_
                                        ; -- End function
	.set _ZN7rocprim17ROCPRIM_400000_NS6detail17trampoline_kernelINS0_14default_configENS1_35radix_sort_onesweep_config_selectorIfNS0_10empty_typeEEEZNS1_34radix_sort_onesweep_global_offsetsIS3_Lb0EN6thrust23THRUST_200600_302600_NS6detail15normal_iteratorINS9_10device_ptrIfEEEEPS5_jNS0_19identity_decomposerEEE10hipError_tT1_T2_PT3_SK_jT4_jjP12ihipStream_tbEUlT_E0_NS1_11comp_targetILNS1_3genE3ELNS1_11target_archE908ELNS1_3gpuE7ELNS1_3repE0EEENS1_52radix_sort_onesweep_histogram_config_static_selectorELNS0_4arch9wavefront6targetE0EEEvSI_.num_vgpr, 0
	.set _ZN7rocprim17ROCPRIM_400000_NS6detail17trampoline_kernelINS0_14default_configENS1_35radix_sort_onesweep_config_selectorIfNS0_10empty_typeEEEZNS1_34radix_sort_onesweep_global_offsetsIS3_Lb0EN6thrust23THRUST_200600_302600_NS6detail15normal_iteratorINS9_10device_ptrIfEEEEPS5_jNS0_19identity_decomposerEEE10hipError_tT1_T2_PT3_SK_jT4_jjP12ihipStream_tbEUlT_E0_NS1_11comp_targetILNS1_3genE3ELNS1_11target_archE908ELNS1_3gpuE7ELNS1_3repE0EEENS1_52radix_sort_onesweep_histogram_config_static_selectorELNS0_4arch9wavefront6targetE0EEEvSI_.num_agpr, 0
	.set _ZN7rocprim17ROCPRIM_400000_NS6detail17trampoline_kernelINS0_14default_configENS1_35radix_sort_onesweep_config_selectorIfNS0_10empty_typeEEEZNS1_34radix_sort_onesweep_global_offsetsIS3_Lb0EN6thrust23THRUST_200600_302600_NS6detail15normal_iteratorINS9_10device_ptrIfEEEEPS5_jNS0_19identity_decomposerEEE10hipError_tT1_T2_PT3_SK_jT4_jjP12ihipStream_tbEUlT_E0_NS1_11comp_targetILNS1_3genE3ELNS1_11target_archE908ELNS1_3gpuE7ELNS1_3repE0EEENS1_52radix_sort_onesweep_histogram_config_static_selectorELNS0_4arch9wavefront6targetE0EEEvSI_.numbered_sgpr, 0
	.set _ZN7rocprim17ROCPRIM_400000_NS6detail17trampoline_kernelINS0_14default_configENS1_35radix_sort_onesweep_config_selectorIfNS0_10empty_typeEEEZNS1_34radix_sort_onesweep_global_offsetsIS3_Lb0EN6thrust23THRUST_200600_302600_NS6detail15normal_iteratorINS9_10device_ptrIfEEEEPS5_jNS0_19identity_decomposerEEE10hipError_tT1_T2_PT3_SK_jT4_jjP12ihipStream_tbEUlT_E0_NS1_11comp_targetILNS1_3genE3ELNS1_11target_archE908ELNS1_3gpuE7ELNS1_3repE0EEENS1_52radix_sort_onesweep_histogram_config_static_selectorELNS0_4arch9wavefront6targetE0EEEvSI_.num_named_barrier, 0
	.set _ZN7rocprim17ROCPRIM_400000_NS6detail17trampoline_kernelINS0_14default_configENS1_35radix_sort_onesweep_config_selectorIfNS0_10empty_typeEEEZNS1_34radix_sort_onesweep_global_offsetsIS3_Lb0EN6thrust23THRUST_200600_302600_NS6detail15normal_iteratorINS9_10device_ptrIfEEEEPS5_jNS0_19identity_decomposerEEE10hipError_tT1_T2_PT3_SK_jT4_jjP12ihipStream_tbEUlT_E0_NS1_11comp_targetILNS1_3genE3ELNS1_11target_archE908ELNS1_3gpuE7ELNS1_3repE0EEENS1_52radix_sort_onesweep_histogram_config_static_selectorELNS0_4arch9wavefront6targetE0EEEvSI_.private_seg_size, 0
	.set _ZN7rocprim17ROCPRIM_400000_NS6detail17trampoline_kernelINS0_14default_configENS1_35radix_sort_onesweep_config_selectorIfNS0_10empty_typeEEEZNS1_34radix_sort_onesweep_global_offsetsIS3_Lb0EN6thrust23THRUST_200600_302600_NS6detail15normal_iteratorINS9_10device_ptrIfEEEEPS5_jNS0_19identity_decomposerEEE10hipError_tT1_T2_PT3_SK_jT4_jjP12ihipStream_tbEUlT_E0_NS1_11comp_targetILNS1_3genE3ELNS1_11target_archE908ELNS1_3gpuE7ELNS1_3repE0EEENS1_52radix_sort_onesweep_histogram_config_static_selectorELNS0_4arch9wavefront6targetE0EEEvSI_.uses_vcc, 0
	.set _ZN7rocprim17ROCPRIM_400000_NS6detail17trampoline_kernelINS0_14default_configENS1_35radix_sort_onesweep_config_selectorIfNS0_10empty_typeEEEZNS1_34radix_sort_onesweep_global_offsetsIS3_Lb0EN6thrust23THRUST_200600_302600_NS6detail15normal_iteratorINS9_10device_ptrIfEEEEPS5_jNS0_19identity_decomposerEEE10hipError_tT1_T2_PT3_SK_jT4_jjP12ihipStream_tbEUlT_E0_NS1_11comp_targetILNS1_3genE3ELNS1_11target_archE908ELNS1_3gpuE7ELNS1_3repE0EEENS1_52radix_sort_onesweep_histogram_config_static_selectorELNS0_4arch9wavefront6targetE0EEEvSI_.uses_flat_scratch, 0
	.set _ZN7rocprim17ROCPRIM_400000_NS6detail17trampoline_kernelINS0_14default_configENS1_35radix_sort_onesweep_config_selectorIfNS0_10empty_typeEEEZNS1_34radix_sort_onesweep_global_offsetsIS3_Lb0EN6thrust23THRUST_200600_302600_NS6detail15normal_iteratorINS9_10device_ptrIfEEEEPS5_jNS0_19identity_decomposerEEE10hipError_tT1_T2_PT3_SK_jT4_jjP12ihipStream_tbEUlT_E0_NS1_11comp_targetILNS1_3genE3ELNS1_11target_archE908ELNS1_3gpuE7ELNS1_3repE0EEENS1_52radix_sort_onesweep_histogram_config_static_selectorELNS0_4arch9wavefront6targetE0EEEvSI_.has_dyn_sized_stack, 0
	.set _ZN7rocprim17ROCPRIM_400000_NS6detail17trampoline_kernelINS0_14default_configENS1_35radix_sort_onesweep_config_selectorIfNS0_10empty_typeEEEZNS1_34radix_sort_onesweep_global_offsetsIS3_Lb0EN6thrust23THRUST_200600_302600_NS6detail15normal_iteratorINS9_10device_ptrIfEEEEPS5_jNS0_19identity_decomposerEEE10hipError_tT1_T2_PT3_SK_jT4_jjP12ihipStream_tbEUlT_E0_NS1_11comp_targetILNS1_3genE3ELNS1_11target_archE908ELNS1_3gpuE7ELNS1_3repE0EEENS1_52radix_sort_onesweep_histogram_config_static_selectorELNS0_4arch9wavefront6targetE0EEEvSI_.has_recursion, 0
	.set _ZN7rocprim17ROCPRIM_400000_NS6detail17trampoline_kernelINS0_14default_configENS1_35radix_sort_onesweep_config_selectorIfNS0_10empty_typeEEEZNS1_34radix_sort_onesweep_global_offsetsIS3_Lb0EN6thrust23THRUST_200600_302600_NS6detail15normal_iteratorINS9_10device_ptrIfEEEEPS5_jNS0_19identity_decomposerEEE10hipError_tT1_T2_PT3_SK_jT4_jjP12ihipStream_tbEUlT_E0_NS1_11comp_targetILNS1_3genE3ELNS1_11target_archE908ELNS1_3gpuE7ELNS1_3repE0EEENS1_52radix_sort_onesweep_histogram_config_static_selectorELNS0_4arch9wavefront6targetE0EEEvSI_.has_indirect_call, 0
	.section	.AMDGPU.csdata,"",@progbits
; Kernel info:
; codeLenInByte = 0
; TotalNumSgprs: 0
; NumVgprs: 0
; ScratchSize: 0
; MemoryBound: 0
; FloatMode: 240
; IeeeMode: 1
; LDSByteSize: 0 bytes/workgroup (compile time only)
; SGPRBlocks: 0
; VGPRBlocks: 0
; NumSGPRsForWavesPerEU: 1
; NumVGPRsForWavesPerEU: 1
; Occupancy: 16
; WaveLimiterHint : 0
; COMPUTE_PGM_RSRC2:SCRATCH_EN: 0
; COMPUTE_PGM_RSRC2:USER_SGPR: 6
; COMPUTE_PGM_RSRC2:TRAP_HANDLER: 0
; COMPUTE_PGM_RSRC2:TGID_X_EN: 1
; COMPUTE_PGM_RSRC2:TGID_Y_EN: 0
; COMPUTE_PGM_RSRC2:TGID_Z_EN: 0
; COMPUTE_PGM_RSRC2:TIDIG_COMP_CNT: 0
	.section	.text._ZN7rocprim17ROCPRIM_400000_NS6detail17trampoline_kernelINS0_14default_configENS1_35radix_sort_onesweep_config_selectorIfNS0_10empty_typeEEEZNS1_34radix_sort_onesweep_global_offsetsIS3_Lb0EN6thrust23THRUST_200600_302600_NS6detail15normal_iteratorINS9_10device_ptrIfEEEEPS5_jNS0_19identity_decomposerEEE10hipError_tT1_T2_PT3_SK_jT4_jjP12ihipStream_tbEUlT_E0_NS1_11comp_targetILNS1_3genE10ELNS1_11target_archE1201ELNS1_3gpuE5ELNS1_3repE0EEENS1_52radix_sort_onesweep_histogram_config_static_selectorELNS0_4arch9wavefront6targetE0EEEvSI_,"axG",@progbits,_ZN7rocprim17ROCPRIM_400000_NS6detail17trampoline_kernelINS0_14default_configENS1_35radix_sort_onesweep_config_selectorIfNS0_10empty_typeEEEZNS1_34radix_sort_onesweep_global_offsetsIS3_Lb0EN6thrust23THRUST_200600_302600_NS6detail15normal_iteratorINS9_10device_ptrIfEEEEPS5_jNS0_19identity_decomposerEEE10hipError_tT1_T2_PT3_SK_jT4_jjP12ihipStream_tbEUlT_E0_NS1_11comp_targetILNS1_3genE10ELNS1_11target_archE1201ELNS1_3gpuE5ELNS1_3repE0EEENS1_52radix_sort_onesweep_histogram_config_static_selectorELNS0_4arch9wavefront6targetE0EEEvSI_,comdat
	.protected	_ZN7rocprim17ROCPRIM_400000_NS6detail17trampoline_kernelINS0_14default_configENS1_35radix_sort_onesweep_config_selectorIfNS0_10empty_typeEEEZNS1_34radix_sort_onesweep_global_offsetsIS3_Lb0EN6thrust23THRUST_200600_302600_NS6detail15normal_iteratorINS9_10device_ptrIfEEEEPS5_jNS0_19identity_decomposerEEE10hipError_tT1_T2_PT3_SK_jT4_jjP12ihipStream_tbEUlT_E0_NS1_11comp_targetILNS1_3genE10ELNS1_11target_archE1201ELNS1_3gpuE5ELNS1_3repE0EEENS1_52radix_sort_onesweep_histogram_config_static_selectorELNS0_4arch9wavefront6targetE0EEEvSI_ ; -- Begin function _ZN7rocprim17ROCPRIM_400000_NS6detail17trampoline_kernelINS0_14default_configENS1_35radix_sort_onesweep_config_selectorIfNS0_10empty_typeEEEZNS1_34radix_sort_onesweep_global_offsetsIS3_Lb0EN6thrust23THRUST_200600_302600_NS6detail15normal_iteratorINS9_10device_ptrIfEEEEPS5_jNS0_19identity_decomposerEEE10hipError_tT1_T2_PT3_SK_jT4_jjP12ihipStream_tbEUlT_E0_NS1_11comp_targetILNS1_3genE10ELNS1_11target_archE1201ELNS1_3gpuE5ELNS1_3repE0EEENS1_52radix_sort_onesweep_histogram_config_static_selectorELNS0_4arch9wavefront6targetE0EEEvSI_
	.globl	_ZN7rocprim17ROCPRIM_400000_NS6detail17trampoline_kernelINS0_14default_configENS1_35radix_sort_onesweep_config_selectorIfNS0_10empty_typeEEEZNS1_34radix_sort_onesweep_global_offsetsIS3_Lb0EN6thrust23THRUST_200600_302600_NS6detail15normal_iteratorINS9_10device_ptrIfEEEEPS5_jNS0_19identity_decomposerEEE10hipError_tT1_T2_PT3_SK_jT4_jjP12ihipStream_tbEUlT_E0_NS1_11comp_targetILNS1_3genE10ELNS1_11target_archE1201ELNS1_3gpuE5ELNS1_3repE0EEENS1_52radix_sort_onesweep_histogram_config_static_selectorELNS0_4arch9wavefront6targetE0EEEvSI_
	.p2align	8
	.type	_ZN7rocprim17ROCPRIM_400000_NS6detail17trampoline_kernelINS0_14default_configENS1_35radix_sort_onesweep_config_selectorIfNS0_10empty_typeEEEZNS1_34radix_sort_onesweep_global_offsetsIS3_Lb0EN6thrust23THRUST_200600_302600_NS6detail15normal_iteratorINS9_10device_ptrIfEEEEPS5_jNS0_19identity_decomposerEEE10hipError_tT1_T2_PT3_SK_jT4_jjP12ihipStream_tbEUlT_E0_NS1_11comp_targetILNS1_3genE10ELNS1_11target_archE1201ELNS1_3gpuE5ELNS1_3repE0EEENS1_52radix_sort_onesweep_histogram_config_static_selectorELNS0_4arch9wavefront6targetE0EEEvSI_,@function
_ZN7rocprim17ROCPRIM_400000_NS6detail17trampoline_kernelINS0_14default_configENS1_35radix_sort_onesweep_config_selectorIfNS0_10empty_typeEEEZNS1_34radix_sort_onesweep_global_offsetsIS3_Lb0EN6thrust23THRUST_200600_302600_NS6detail15normal_iteratorINS9_10device_ptrIfEEEEPS5_jNS0_19identity_decomposerEEE10hipError_tT1_T2_PT3_SK_jT4_jjP12ihipStream_tbEUlT_E0_NS1_11comp_targetILNS1_3genE10ELNS1_11target_archE1201ELNS1_3gpuE5ELNS1_3repE0EEENS1_52radix_sort_onesweep_histogram_config_static_selectorELNS0_4arch9wavefront6targetE0EEEvSI_: ; @_ZN7rocprim17ROCPRIM_400000_NS6detail17trampoline_kernelINS0_14default_configENS1_35radix_sort_onesweep_config_selectorIfNS0_10empty_typeEEEZNS1_34radix_sort_onesweep_global_offsetsIS3_Lb0EN6thrust23THRUST_200600_302600_NS6detail15normal_iteratorINS9_10device_ptrIfEEEEPS5_jNS0_19identity_decomposerEEE10hipError_tT1_T2_PT3_SK_jT4_jjP12ihipStream_tbEUlT_E0_NS1_11comp_targetILNS1_3genE10ELNS1_11target_archE1201ELNS1_3gpuE5ELNS1_3repE0EEENS1_52radix_sort_onesweep_histogram_config_static_selectorELNS0_4arch9wavefront6targetE0EEEvSI_
; %bb.0:
	.section	.rodata,"a",@progbits
	.p2align	6, 0x0
	.amdhsa_kernel _ZN7rocprim17ROCPRIM_400000_NS6detail17trampoline_kernelINS0_14default_configENS1_35radix_sort_onesweep_config_selectorIfNS0_10empty_typeEEEZNS1_34radix_sort_onesweep_global_offsetsIS3_Lb0EN6thrust23THRUST_200600_302600_NS6detail15normal_iteratorINS9_10device_ptrIfEEEEPS5_jNS0_19identity_decomposerEEE10hipError_tT1_T2_PT3_SK_jT4_jjP12ihipStream_tbEUlT_E0_NS1_11comp_targetILNS1_3genE10ELNS1_11target_archE1201ELNS1_3gpuE5ELNS1_3repE0EEENS1_52radix_sort_onesweep_histogram_config_static_selectorELNS0_4arch9wavefront6targetE0EEEvSI_
		.amdhsa_group_segment_fixed_size 0
		.amdhsa_private_segment_fixed_size 0
		.amdhsa_kernarg_size 8
		.amdhsa_user_sgpr_count 6
		.amdhsa_user_sgpr_private_segment_buffer 1
		.amdhsa_user_sgpr_dispatch_ptr 0
		.amdhsa_user_sgpr_queue_ptr 0
		.amdhsa_user_sgpr_kernarg_segment_ptr 1
		.amdhsa_user_sgpr_dispatch_id 0
		.amdhsa_user_sgpr_flat_scratch_init 0
		.amdhsa_user_sgpr_private_segment_size 0
		.amdhsa_wavefront_size32 1
		.amdhsa_uses_dynamic_stack 0
		.amdhsa_system_sgpr_private_segment_wavefront_offset 0
		.amdhsa_system_sgpr_workgroup_id_x 1
		.amdhsa_system_sgpr_workgroup_id_y 0
		.amdhsa_system_sgpr_workgroup_id_z 0
		.amdhsa_system_sgpr_workgroup_info 0
		.amdhsa_system_vgpr_workitem_id 0
		.amdhsa_next_free_vgpr 1
		.amdhsa_next_free_sgpr 1
		.amdhsa_reserve_vcc 0
		.amdhsa_reserve_flat_scratch 0
		.amdhsa_float_round_mode_32 0
		.amdhsa_float_round_mode_16_64 0
		.amdhsa_float_denorm_mode_32 3
		.amdhsa_float_denorm_mode_16_64 3
		.amdhsa_dx10_clamp 1
		.amdhsa_ieee_mode 1
		.amdhsa_fp16_overflow 0
		.amdhsa_workgroup_processor_mode 1
		.amdhsa_memory_ordered 1
		.amdhsa_forward_progress 1
		.amdhsa_shared_vgpr_count 0
		.amdhsa_exception_fp_ieee_invalid_op 0
		.amdhsa_exception_fp_denorm_src 0
		.amdhsa_exception_fp_ieee_div_zero 0
		.amdhsa_exception_fp_ieee_overflow 0
		.amdhsa_exception_fp_ieee_underflow 0
		.amdhsa_exception_fp_ieee_inexact 0
		.amdhsa_exception_int_div_zero 0
	.end_amdhsa_kernel
	.section	.text._ZN7rocprim17ROCPRIM_400000_NS6detail17trampoline_kernelINS0_14default_configENS1_35radix_sort_onesweep_config_selectorIfNS0_10empty_typeEEEZNS1_34radix_sort_onesweep_global_offsetsIS3_Lb0EN6thrust23THRUST_200600_302600_NS6detail15normal_iteratorINS9_10device_ptrIfEEEEPS5_jNS0_19identity_decomposerEEE10hipError_tT1_T2_PT3_SK_jT4_jjP12ihipStream_tbEUlT_E0_NS1_11comp_targetILNS1_3genE10ELNS1_11target_archE1201ELNS1_3gpuE5ELNS1_3repE0EEENS1_52radix_sort_onesweep_histogram_config_static_selectorELNS0_4arch9wavefront6targetE0EEEvSI_,"axG",@progbits,_ZN7rocprim17ROCPRIM_400000_NS6detail17trampoline_kernelINS0_14default_configENS1_35radix_sort_onesweep_config_selectorIfNS0_10empty_typeEEEZNS1_34radix_sort_onesweep_global_offsetsIS3_Lb0EN6thrust23THRUST_200600_302600_NS6detail15normal_iteratorINS9_10device_ptrIfEEEEPS5_jNS0_19identity_decomposerEEE10hipError_tT1_T2_PT3_SK_jT4_jjP12ihipStream_tbEUlT_E0_NS1_11comp_targetILNS1_3genE10ELNS1_11target_archE1201ELNS1_3gpuE5ELNS1_3repE0EEENS1_52radix_sort_onesweep_histogram_config_static_selectorELNS0_4arch9wavefront6targetE0EEEvSI_,comdat
.Lfunc_end547:
	.size	_ZN7rocprim17ROCPRIM_400000_NS6detail17trampoline_kernelINS0_14default_configENS1_35radix_sort_onesweep_config_selectorIfNS0_10empty_typeEEEZNS1_34radix_sort_onesweep_global_offsetsIS3_Lb0EN6thrust23THRUST_200600_302600_NS6detail15normal_iteratorINS9_10device_ptrIfEEEEPS5_jNS0_19identity_decomposerEEE10hipError_tT1_T2_PT3_SK_jT4_jjP12ihipStream_tbEUlT_E0_NS1_11comp_targetILNS1_3genE10ELNS1_11target_archE1201ELNS1_3gpuE5ELNS1_3repE0EEENS1_52radix_sort_onesweep_histogram_config_static_selectorELNS0_4arch9wavefront6targetE0EEEvSI_, .Lfunc_end547-_ZN7rocprim17ROCPRIM_400000_NS6detail17trampoline_kernelINS0_14default_configENS1_35radix_sort_onesweep_config_selectorIfNS0_10empty_typeEEEZNS1_34radix_sort_onesweep_global_offsetsIS3_Lb0EN6thrust23THRUST_200600_302600_NS6detail15normal_iteratorINS9_10device_ptrIfEEEEPS5_jNS0_19identity_decomposerEEE10hipError_tT1_T2_PT3_SK_jT4_jjP12ihipStream_tbEUlT_E0_NS1_11comp_targetILNS1_3genE10ELNS1_11target_archE1201ELNS1_3gpuE5ELNS1_3repE0EEENS1_52radix_sort_onesweep_histogram_config_static_selectorELNS0_4arch9wavefront6targetE0EEEvSI_
                                        ; -- End function
	.set _ZN7rocprim17ROCPRIM_400000_NS6detail17trampoline_kernelINS0_14default_configENS1_35radix_sort_onesweep_config_selectorIfNS0_10empty_typeEEEZNS1_34radix_sort_onesweep_global_offsetsIS3_Lb0EN6thrust23THRUST_200600_302600_NS6detail15normal_iteratorINS9_10device_ptrIfEEEEPS5_jNS0_19identity_decomposerEEE10hipError_tT1_T2_PT3_SK_jT4_jjP12ihipStream_tbEUlT_E0_NS1_11comp_targetILNS1_3genE10ELNS1_11target_archE1201ELNS1_3gpuE5ELNS1_3repE0EEENS1_52radix_sort_onesweep_histogram_config_static_selectorELNS0_4arch9wavefront6targetE0EEEvSI_.num_vgpr, 0
	.set _ZN7rocprim17ROCPRIM_400000_NS6detail17trampoline_kernelINS0_14default_configENS1_35radix_sort_onesweep_config_selectorIfNS0_10empty_typeEEEZNS1_34radix_sort_onesweep_global_offsetsIS3_Lb0EN6thrust23THRUST_200600_302600_NS6detail15normal_iteratorINS9_10device_ptrIfEEEEPS5_jNS0_19identity_decomposerEEE10hipError_tT1_T2_PT3_SK_jT4_jjP12ihipStream_tbEUlT_E0_NS1_11comp_targetILNS1_3genE10ELNS1_11target_archE1201ELNS1_3gpuE5ELNS1_3repE0EEENS1_52radix_sort_onesweep_histogram_config_static_selectorELNS0_4arch9wavefront6targetE0EEEvSI_.num_agpr, 0
	.set _ZN7rocprim17ROCPRIM_400000_NS6detail17trampoline_kernelINS0_14default_configENS1_35radix_sort_onesweep_config_selectorIfNS0_10empty_typeEEEZNS1_34radix_sort_onesweep_global_offsetsIS3_Lb0EN6thrust23THRUST_200600_302600_NS6detail15normal_iteratorINS9_10device_ptrIfEEEEPS5_jNS0_19identity_decomposerEEE10hipError_tT1_T2_PT3_SK_jT4_jjP12ihipStream_tbEUlT_E0_NS1_11comp_targetILNS1_3genE10ELNS1_11target_archE1201ELNS1_3gpuE5ELNS1_3repE0EEENS1_52radix_sort_onesweep_histogram_config_static_selectorELNS0_4arch9wavefront6targetE0EEEvSI_.numbered_sgpr, 0
	.set _ZN7rocprim17ROCPRIM_400000_NS6detail17trampoline_kernelINS0_14default_configENS1_35radix_sort_onesweep_config_selectorIfNS0_10empty_typeEEEZNS1_34radix_sort_onesweep_global_offsetsIS3_Lb0EN6thrust23THRUST_200600_302600_NS6detail15normal_iteratorINS9_10device_ptrIfEEEEPS5_jNS0_19identity_decomposerEEE10hipError_tT1_T2_PT3_SK_jT4_jjP12ihipStream_tbEUlT_E0_NS1_11comp_targetILNS1_3genE10ELNS1_11target_archE1201ELNS1_3gpuE5ELNS1_3repE0EEENS1_52radix_sort_onesweep_histogram_config_static_selectorELNS0_4arch9wavefront6targetE0EEEvSI_.num_named_barrier, 0
	.set _ZN7rocprim17ROCPRIM_400000_NS6detail17trampoline_kernelINS0_14default_configENS1_35radix_sort_onesweep_config_selectorIfNS0_10empty_typeEEEZNS1_34radix_sort_onesweep_global_offsetsIS3_Lb0EN6thrust23THRUST_200600_302600_NS6detail15normal_iteratorINS9_10device_ptrIfEEEEPS5_jNS0_19identity_decomposerEEE10hipError_tT1_T2_PT3_SK_jT4_jjP12ihipStream_tbEUlT_E0_NS1_11comp_targetILNS1_3genE10ELNS1_11target_archE1201ELNS1_3gpuE5ELNS1_3repE0EEENS1_52radix_sort_onesweep_histogram_config_static_selectorELNS0_4arch9wavefront6targetE0EEEvSI_.private_seg_size, 0
	.set _ZN7rocprim17ROCPRIM_400000_NS6detail17trampoline_kernelINS0_14default_configENS1_35radix_sort_onesweep_config_selectorIfNS0_10empty_typeEEEZNS1_34radix_sort_onesweep_global_offsetsIS3_Lb0EN6thrust23THRUST_200600_302600_NS6detail15normal_iteratorINS9_10device_ptrIfEEEEPS5_jNS0_19identity_decomposerEEE10hipError_tT1_T2_PT3_SK_jT4_jjP12ihipStream_tbEUlT_E0_NS1_11comp_targetILNS1_3genE10ELNS1_11target_archE1201ELNS1_3gpuE5ELNS1_3repE0EEENS1_52radix_sort_onesweep_histogram_config_static_selectorELNS0_4arch9wavefront6targetE0EEEvSI_.uses_vcc, 0
	.set _ZN7rocprim17ROCPRIM_400000_NS6detail17trampoline_kernelINS0_14default_configENS1_35radix_sort_onesweep_config_selectorIfNS0_10empty_typeEEEZNS1_34radix_sort_onesweep_global_offsetsIS3_Lb0EN6thrust23THRUST_200600_302600_NS6detail15normal_iteratorINS9_10device_ptrIfEEEEPS5_jNS0_19identity_decomposerEEE10hipError_tT1_T2_PT3_SK_jT4_jjP12ihipStream_tbEUlT_E0_NS1_11comp_targetILNS1_3genE10ELNS1_11target_archE1201ELNS1_3gpuE5ELNS1_3repE0EEENS1_52radix_sort_onesweep_histogram_config_static_selectorELNS0_4arch9wavefront6targetE0EEEvSI_.uses_flat_scratch, 0
	.set _ZN7rocprim17ROCPRIM_400000_NS6detail17trampoline_kernelINS0_14default_configENS1_35radix_sort_onesweep_config_selectorIfNS0_10empty_typeEEEZNS1_34radix_sort_onesweep_global_offsetsIS3_Lb0EN6thrust23THRUST_200600_302600_NS6detail15normal_iteratorINS9_10device_ptrIfEEEEPS5_jNS0_19identity_decomposerEEE10hipError_tT1_T2_PT3_SK_jT4_jjP12ihipStream_tbEUlT_E0_NS1_11comp_targetILNS1_3genE10ELNS1_11target_archE1201ELNS1_3gpuE5ELNS1_3repE0EEENS1_52radix_sort_onesweep_histogram_config_static_selectorELNS0_4arch9wavefront6targetE0EEEvSI_.has_dyn_sized_stack, 0
	.set _ZN7rocprim17ROCPRIM_400000_NS6detail17trampoline_kernelINS0_14default_configENS1_35radix_sort_onesweep_config_selectorIfNS0_10empty_typeEEEZNS1_34radix_sort_onesweep_global_offsetsIS3_Lb0EN6thrust23THRUST_200600_302600_NS6detail15normal_iteratorINS9_10device_ptrIfEEEEPS5_jNS0_19identity_decomposerEEE10hipError_tT1_T2_PT3_SK_jT4_jjP12ihipStream_tbEUlT_E0_NS1_11comp_targetILNS1_3genE10ELNS1_11target_archE1201ELNS1_3gpuE5ELNS1_3repE0EEENS1_52radix_sort_onesweep_histogram_config_static_selectorELNS0_4arch9wavefront6targetE0EEEvSI_.has_recursion, 0
	.set _ZN7rocprim17ROCPRIM_400000_NS6detail17trampoline_kernelINS0_14default_configENS1_35radix_sort_onesweep_config_selectorIfNS0_10empty_typeEEEZNS1_34radix_sort_onesweep_global_offsetsIS3_Lb0EN6thrust23THRUST_200600_302600_NS6detail15normal_iteratorINS9_10device_ptrIfEEEEPS5_jNS0_19identity_decomposerEEE10hipError_tT1_T2_PT3_SK_jT4_jjP12ihipStream_tbEUlT_E0_NS1_11comp_targetILNS1_3genE10ELNS1_11target_archE1201ELNS1_3gpuE5ELNS1_3repE0EEENS1_52radix_sort_onesweep_histogram_config_static_selectorELNS0_4arch9wavefront6targetE0EEEvSI_.has_indirect_call, 0
	.section	.AMDGPU.csdata,"",@progbits
; Kernel info:
; codeLenInByte = 0
; TotalNumSgprs: 0
; NumVgprs: 0
; ScratchSize: 0
; MemoryBound: 0
; FloatMode: 240
; IeeeMode: 1
; LDSByteSize: 0 bytes/workgroup (compile time only)
; SGPRBlocks: 0
; VGPRBlocks: 0
; NumSGPRsForWavesPerEU: 1
; NumVGPRsForWavesPerEU: 1
; Occupancy: 16
; WaveLimiterHint : 0
; COMPUTE_PGM_RSRC2:SCRATCH_EN: 0
; COMPUTE_PGM_RSRC2:USER_SGPR: 6
; COMPUTE_PGM_RSRC2:TRAP_HANDLER: 0
; COMPUTE_PGM_RSRC2:TGID_X_EN: 1
; COMPUTE_PGM_RSRC2:TGID_Y_EN: 0
; COMPUTE_PGM_RSRC2:TGID_Z_EN: 0
; COMPUTE_PGM_RSRC2:TIDIG_COMP_CNT: 0
	.section	.text._ZN7rocprim17ROCPRIM_400000_NS6detail17trampoline_kernelINS0_14default_configENS1_35radix_sort_onesweep_config_selectorIfNS0_10empty_typeEEEZNS1_34radix_sort_onesweep_global_offsetsIS3_Lb0EN6thrust23THRUST_200600_302600_NS6detail15normal_iteratorINS9_10device_ptrIfEEEEPS5_jNS0_19identity_decomposerEEE10hipError_tT1_T2_PT3_SK_jT4_jjP12ihipStream_tbEUlT_E0_NS1_11comp_targetILNS1_3genE9ELNS1_11target_archE1100ELNS1_3gpuE3ELNS1_3repE0EEENS1_52radix_sort_onesweep_histogram_config_static_selectorELNS0_4arch9wavefront6targetE0EEEvSI_,"axG",@progbits,_ZN7rocprim17ROCPRIM_400000_NS6detail17trampoline_kernelINS0_14default_configENS1_35radix_sort_onesweep_config_selectorIfNS0_10empty_typeEEEZNS1_34radix_sort_onesweep_global_offsetsIS3_Lb0EN6thrust23THRUST_200600_302600_NS6detail15normal_iteratorINS9_10device_ptrIfEEEEPS5_jNS0_19identity_decomposerEEE10hipError_tT1_T2_PT3_SK_jT4_jjP12ihipStream_tbEUlT_E0_NS1_11comp_targetILNS1_3genE9ELNS1_11target_archE1100ELNS1_3gpuE3ELNS1_3repE0EEENS1_52radix_sort_onesweep_histogram_config_static_selectorELNS0_4arch9wavefront6targetE0EEEvSI_,comdat
	.protected	_ZN7rocprim17ROCPRIM_400000_NS6detail17trampoline_kernelINS0_14default_configENS1_35radix_sort_onesweep_config_selectorIfNS0_10empty_typeEEEZNS1_34radix_sort_onesweep_global_offsetsIS3_Lb0EN6thrust23THRUST_200600_302600_NS6detail15normal_iteratorINS9_10device_ptrIfEEEEPS5_jNS0_19identity_decomposerEEE10hipError_tT1_T2_PT3_SK_jT4_jjP12ihipStream_tbEUlT_E0_NS1_11comp_targetILNS1_3genE9ELNS1_11target_archE1100ELNS1_3gpuE3ELNS1_3repE0EEENS1_52radix_sort_onesweep_histogram_config_static_selectorELNS0_4arch9wavefront6targetE0EEEvSI_ ; -- Begin function _ZN7rocprim17ROCPRIM_400000_NS6detail17trampoline_kernelINS0_14default_configENS1_35radix_sort_onesweep_config_selectorIfNS0_10empty_typeEEEZNS1_34radix_sort_onesweep_global_offsetsIS3_Lb0EN6thrust23THRUST_200600_302600_NS6detail15normal_iteratorINS9_10device_ptrIfEEEEPS5_jNS0_19identity_decomposerEEE10hipError_tT1_T2_PT3_SK_jT4_jjP12ihipStream_tbEUlT_E0_NS1_11comp_targetILNS1_3genE9ELNS1_11target_archE1100ELNS1_3gpuE3ELNS1_3repE0EEENS1_52radix_sort_onesweep_histogram_config_static_selectorELNS0_4arch9wavefront6targetE0EEEvSI_
	.globl	_ZN7rocprim17ROCPRIM_400000_NS6detail17trampoline_kernelINS0_14default_configENS1_35radix_sort_onesweep_config_selectorIfNS0_10empty_typeEEEZNS1_34radix_sort_onesweep_global_offsetsIS3_Lb0EN6thrust23THRUST_200600_302600_NS6detail15normal_iteratorINS9_10device_ptrIfEEEEPS5_jNS0_19identity_decomposerEEE10hipError_tT1_T2_PT3_SK_jT4_jjP12ihipStream_tbEUlT_E0_NS1_11comp_targetILNS1_3genE9ELNS1_11target_archE1100ELNS1_3gpuE3ELNS1_3repE0EEENS1_52radix_sort_onesweep_histogram_config_static_selectorELNS0_4arch9wavefront6targetE0EEEvSI_
	.p2align	8
	.type	_ZN7rocprim17ROCPRIM_400000_NS6detail17trampoline_kernelINS0_14default_configENS1_35radix_sort_onesweep_config_selectorIfNS0_10empty_typeEEEZNS1_34radix_sort_onesweep_global_offsetsIS3_Lb0EN6thrust23THRUST_200600_302600_NS6detail15normal_iteratorINS9_10device_ptrIfEEEEPS5_jNS0_19identity_decomposerEEE10hipError_tT1_T2_PT3_SK_jT4_jjP12ihipStream_tbEUlT_E0_NS1_11comp_targetILNS1_3genE9ELNS1_11target_archE1100ELNS1_3gpuE3ELNS1_3repE0EEENS1_52radix_sort_onesweep_histogram_config_static_selectorELNS0_4arch9wavefront6targetE0EEEvSI_,@function
_ZN7rocprim17ROCPRIM_400000_NS6detail17trampoline_kernelINS0_14default_configENS1_35radix_sort_onesweep_config_selectorIfNS0_10empty_typeEEEZNS1_34radix_sort_onesweep_global_offsetsIS3_Lb0EN6thrust23THRUST_200600_302600_NS6detail15normal_iteratorINS9_10device_ptrIfEEEEPS5_jNS0_19identity_decomposerEEE10hipError_tT1_T2_PT3_SK_jT4_jjP12ihipStream_tbEUlT_E0_NS1_11comp_targetILNS1_3genE9ELNS1_11target_archE1100ELNS1_3gpuE3ELNS1_3repE0EEENS1_52radix_sort_onesweep_histogram_config_static_selectorELNS0_4arch9wavefront6targetE0EEEvSI_: ; @_ZN7rocprim17ROCPRIM_400000_NS6detail17trampoline_kernelINS0_14default_configENS1_35radix_sort_onesweep_config_selectorIfNS0_10empty_typeEEEZNS1_34radix_sort_onesweep_global_offsetsIS3_Lb0EN6thrust23THRUST_200600_302600_NS6detail15normal_iteratorINS9_10device_ptrIfEEEEPS5_jNS0_19identity_decomposerEEE10hipError_tT1_T2_PT3_SK_jT4_jjP12ihipStream_tbEUlT_E0_NS1_11comp_targetILNS1_3genE9ELNS1_11target_archE1100ELNS1_3gpuE3ELNS1_3repE0EEENS1_52radix_sort_onesweep_histogram_config_static_selectorELNS0_4arch9wavefront6targetE0EEEvSI_
; %bb.0:
	.section	.rodata,"a",@progbits
	.p2align	6, 0x0
	.amdhsa_kernel _ZN7rocprim17ROCPRIM_400000_NS6detail17trampoline_kernelINS0_14default_configENS1_35radix_sort_onesweep_config_selectorIfNS0_10empty_typeEEEZNS1_34radix_sort_onesweep_global_offsetsIS3_Lb0EN6thrust23THRUST_200600_302600_NS6detail15normal_iteratorINS9_10device_ptrIfEEEEPS5_jNS0_19identity_decomposerEEE10hipError_tT1_T2_PT3_SK_jT4_jjP12ihipStream_tbEUlT_E0_NS1_11comp_targetILNS1_3genE9ELNS1_11target_archE1100ELNS1_3gpuE3ELNS1_3repE0EEENS1_52radix_sort_onesweep_histogram_config_static_selectorELNS0_4arch9wavefront6targetE0EEEvSI_
		.amdhsa_group_segment_fixed_size 0
		.amdhsa_private_segment_fixed_size 0
		.amdhsa_kernarg_size 8
		.amdhsa_user_sgpr_count 6
		.amdhsa_user_sgpr_private_segment_buffer 1
		.amdhsa_user_sgpr_dispatch_ptr 0
		.amdhsa_user_sgpr_queue_ptr 0
		.amdhsa_user_sgpr_kernarg_segment_ptr 1
		.amdhsa_user_sgpr_dispatch_id 0
		.amdhsa_user_sgpr_flat_scratch_init 0
		.amdhsa_user_sgpr_private_segment_size 0
		.amdhsa_wavefront_size32 1
		.amdhsa_uses_dynamic_stack 0
		.amdhsa_system_sgpr_private_segment_wavefront_offset 0
		.amdhsa_system_sgpr_workgroup_id_x 1
		.amdhsa_system_sgpr_workgroup_id_y 0
		.amdhsa_system_sgpr_workgroup_id_z 0
		.amdhsa_system_sgpr_workgroup_info 0
		.amdhsa_system_vgpr_workitem_id 0
		.amdhsa_next_free_vgpr 1
		.amdhsa_next_free_sgpr 1
		.amdhsa_reserve_vcc 0
		.amdhsa_reserve_flat_scratch 0
		.amdhsa_float_round_mode_32 0
		.amdhsa_float_round_mode_16_64 0
		.amdhsa_float_denorm_mode_32 3
		.amdhsa_float_denorm_mode_16_64 3
		.amdhsa_dx10_clamp 1
		.amdhsa_ieee_mode 1
		.amdhsa_fp16_overflow 0
		.amdhsa_workgroup_processor_mode 1
		.amdhsa_memory_ordered 1
		.amdhsa_forward_progress 1
		.amdhsa_shared_vgpr_count 0
		.amdhsa_exception_fp_ieee_invalid_op 0
		.amdhsa_exception_fp_denorm_src 0
		.amdhsa_exception_fp_ieee_div_zero 0
		.amdhsa_exception_fp_ieee_overflow 0
		.amdhsa_exception_fp_ieee_underflow 0
		.amdhsa_exception_fp_ieee_inexact 0
		.amdhsa_exception_int_div_zero 0
	.end_amdhsa_kernel
	.section	.text._ZN7rocprim17ROCPRIM_400000_NS6detail17trampoline_kernelINS0_14default_configENS1_35radix_sort_onesweep_config_selectorIfNS0_10empty_typeEEEZNS1_34radix_sort_onesweep_global_offsetsIS3_Lb0EN6thrust23THRUST_200600_302600_NS6detail15normal_iteratorINS9_10device_ptrIfEEEEPS5_jNS0_19identity_decomposerEEE10hipError_tT1_T2_PT3_SK_jT4_jjP12ihipStream_tbEUlT_E0_NS1_11comp_targetILNS1_3genE9ELNS1_11target_archE1100ELNS1_3gpuE3ELNS1_3repE0EEENS1_52radix_sort_onesweep_histogram_config_static_selectorELNS0_4arch9wavefront6targetE0EEEvSI_,"axG",@progbits,_ZN7rocprim17ROCPRIM_400000_NS6detail17trampoline_kernelINS0_14default_configENS1_35radix_sort_onesweep_config_selectorIfNS0_10empty_typeEEEZNS1_34radix_sort_onesweep_global_offsetsIS3_Lb0EN6thrust23THRUST_200600_302600_NS6detail15normal_iteratorINS9_10device_ptrIfEEEEPS5_jNS0_19identity_decomposerEEE10hipError_tT1_T2_PT3_SK_jT4_jjP12ihipStream_tbEUlT_E0_NS1_11comp_targetILNS1_3genE9ELNS1_11target_archE1100ELNS1_3gpuE3ELNS1_3repE0EEENS1_52radix_sort_onesweep_histogram_config_static_selectorELNS0_4arch9wavefront6targetE0EEEvSI_,comdat
.Lfunc_end548:
	.size	_ZN7rocprim17ROCPRIM_400000_NS6detail17trampoline_kernelINS0_14default_configENS1_35radix_sort_onesweep_config_selectorIfNS0_10empty_typeEEEZNS1_34radix_sort_onesweep_global_offsetsIS3_Lb0EN6thrust23THRUST_200600_302600_NS6detail15normal_iteratorINS9_10device_ptrIfEEEEPS5_jNS0_19identity_decomposerEEE10hipError_tT1_T2_PT3_SK_jT4_jjP12ihipStream_tbEUlT_E0_NS1_11comp_targetILNS1_3genE9ELNS1_11target_archE1100ELNS1_3gpuE3ELNS1_3repE0EEENS1_52radix_sort_onesweep_histogram_config_static_selectorELNS0_4arch9wavefront6targetE0EEEvSI_, .Lfunc_end548-_ZN7rocprim17ROCPRIM_400000_NS6detail17trampoline_kernelINS0_14default_configENS1_35radix_sort_onesweep_config_selectorIfNS0_10empty_typeEEEZNS1_34radix_sort_onesweep_global_offsetsIS3_Lb0EN6thrust23THRUST_200600_302600_NS6detail15normal_iteratorINS9_10device_ptrIfEEEEPS5_jNS0_19identity_decomposerEEE10hipError_tT1_T2_PT3_SK_jT4_jjP12ihipStream_tbEUlT_E0_NS1_11comp_targetILNS1_3genE9ELNS1_11target_archE1100ELNS1_3gpuE3ELNS1_3repE0EEENS1_52radix_sort_onesweep_histogram_config_static_selectorELNS0_4arch9wavefront6targetE0EEEvSI_
                                        ; -- End function
	.set _ZN7rocprim17ROCPRIM_400000_NS6detail17trampoline_kernelINS0_14default_configENS1_35radix_sort_onesweep_config_selectorIfNS0_10empty_typeEEEZNS1_34radix_sort_onesweep_global_offsetsIS3_Lb0EN6thrust23THRUST_200600_302600_NS6detail15normal_iteratorINS9_10device_ptrIfEEEEPS5_jNS0_19identity_decomposerEEE10hipError_tT1_T2_PT3_SK_jT4_jjP12ihipStream_tbEUlT_E0_NS1_11comp_targetILNS1_3genE9ELNS1_11target_archE1100ELNS1_3gpuE3ELNS1_3repE0EEENS1_52radix_sort_onesweep_histogram_config_static_selectorELNS0_4arch9wavefront6targetE0EEEvSI_.num_vgpr, 0
	.set _ZN7rocprim17ROCPRIM_400000_NS6detail17trampoline_kernelINS0_14default_configENS1_35radix_sort_onesweep_config_selectorIfNS0_10empty_typeEEEZNS1_34radix_sort_onesweep_global_offsetsIS3_Lb0EN6thrust23THRUST_200600_302600_NS6detail15normal_iteratorINS9_10device_ptrIfEEEEPS5_jNS0_19identity_decomposerEEE10hipError_tT1_T2_PT3_SK_jT4_jjP12ihipStream_tbEUlT_E0_NS1_11comp_targetILNS1_3genE9ELNS1_11target_archE1100ELNS1_3gpuE3ELNS1_3repE0EEENS1_52radix_sort_onesweep_histogram_config_static_selectorELNS0_4arch9wavefront6targetE0EEEvSI_.num_agpr, 0
	.set _ZN7rocprim17ROCPRIM_400000_NS6detail17trampoline_kernelINS0_14default_configENS1_35radix_sort_onesweep_config_selectorIfNS0_10empty_typeEEEZNS1_34radix_sort_onesweep_global_offsetsIS3_Lb0EN6thrust23THRUST_200600_302600_NS6detail15normal_iteratorINS9_10device_ptrIfEEEEPS5_jNS0_19identity_decomposerEEE10hipError_tT1_T2_PT3_SK_jT4_jjP12ihipStream_tbEUlT_E0_NS1_11comp_targetILNS1_3genE9ELNS1_11target_archE1100ELNS1_3gpuE3ELNS1_3repE0EEENS1_52radix_sort_onesweep_histogram_config_static_selectorELNS0_4arch9wavefront6targetE0EEEvSI_.numbered_sgpr, 0
	.set _ZN7rocprim17ROCPRIM_400000_NS6detail17trampoline_kernelINS0_14default_configENS1_35radix_sort_onesweep_config_selectorIfNS0_10empty_typeEEEZNS1_34radix_sort_onesweep_global_offsetsIS3_Lb0EN6thrust23THRUST_200600_302600_NS6detail15normal_iteratorINS9_10device_ptrIfEEEEPS5_jNS0_19identity_decomposerEEE10hipError_tT1_T2_PT3_SK_jT4_jjP12ihipStream_tbEUlT_E0_NS1_11comp_targetILNS1_3genE9ELNS1_11target_archE1100ELNS1_3gpuE3ELNS1_3repE0EEENS1_52radix_sort_onesweep_histogram_config_static_selectorELNS0_4arch9wavefront6targetE0EEEvSI_.num_named_barrier, 0
	.set _ZN7rocprim17ROCPRIM_400000_NS6detail17trampoline_kernelINS0_14default_configENS1_35radix_sort_onesweep_config_selectorIfNS0_10empty_typeEEEZNS1_34radix_sort_onesweep_global_offsetsIS3_Lb0EN6thrust23THRUST_200600_302600_NS6detail15normal_iteratorINS9_10device_ptrIfEEEEPS5_jNS0_19identity_decomposerEEE10hipError_tT1_T2_PT3_SK_jT4_jjP12ihipStream_tbEUlT_E0_NS1_11comp_targetILNS1_3genE9ELNS1_11target_archE1100ELNS1_3gpuE3ELNS1_3repE0EEENS1_52radix_sort_onesweep_histogram_config_static_selectorELNS0_4arch9wavefront6targetE0EEEvSI_.private_seg_size, 0
	.set _ZN7rocprim17ROCPRIM_400000_NS6detail17trampoline_kernelINS0_14default_configENS1_35radix_sort_onesweep_config_selectorIfNS0_10empty_typeEEEZNS1_34radix_sort_onesweep_global_offsetsIS3_Lb0EN6thrust23THRUST_200600_302600_NS6detail15normal_iteratorINS9_10device_ptrIfEEEEPS5_jNS0_19identity_decomposerEEE10hipError_tT1_T2_PT3_SK_jT4_jjP12ihipStream_tbEUlT_E0_NS1_11comp_targetILNS1_3genE9ELNS1_11target_archE1100ELNS1_3gpuE3ELNS1_3repE0EEENS1_52radix_sort_onesweep_histogram_config_static_selectorELNS0_4arch9wavefront6targetE0EEEvSI_.uses_vcc, 0
	.set _ZN7rocprim17ROCPRIM_400000_NS6detail17trampoline_kernelINS0_14default_configENS1_35radix_sort_onesweep_config_selectorIfNS0_10empty_typeEEEZNS1_34radix_sort_onesweep_global_offsetsIS3_Lb0EN6thrust23THRUST_200600_302600_NS6detail15normal_iteratorINS9_10device_ptrIfEEEEPS5_jNS0_19identity_decomposerEEE10hipError_tT1_T2_PT3_SK_jT4_jjP12ihipStream_tbEUlT_E0_NS1_11comp_targetILNS1_3genE9ELNS1_11target_archE1100ELNS1_3gpuE3ELNS1_3repE0EEENS1_52radix_sort_onesweep_histogram_config_static_selectorELNS0_4arch9wavefront6targetE0EEEvSI_.uses_flat_scratch, 0
	.set _ZN7rocprim17ROCPRIM_400000_NS6detail17trampoline_kernelINS0_14default_configENS1_35radix_sort_onesweep_config_selectorIfNS0_10empty_typeEEEZNS1_34radix_sort_onesweep_global_offsetsIS3_Lb0EN6thrust23THRUST_200600_302600_NS6detail15normal_iteratorINS9_10device_ptrIfEEEEPS5_jNS0_19identity_decomposerEEE10hipError_tT1_T2_PT3_SK_jT4_jjP12ihipStream_tbEUlT_E0_NS1_11comp_targetILNS1_3genE9ELNS1_11target_archE1100ELNS1_3gpuE3ELNS1_3repE0EEENS1_52radix_sort_onesweep_histogram_config_static_selectorELNS0_4arch9wavefront6targetE0EEEvSI_.has_dyn_sized_stack, 0
	.set _ZN7rocprim17ROCPRIM_400000_NS6detail17trampoline_kernelINS0_14default_configENS1_35radix_sort_onesweep_config_selectorIfNS0_10empty_typeEEEZNS1_34radix_sort_onesweep_global_offsetsIS3_Lb0EN6thrust23THRUST_200600_302600_NS6detail15normal_iteratorINS9_10device_ptrIfEEEEPS5_jNS0_19identity_decomposerEEE10hipError_tT1_T2_PT3_SK_jT4_jjP12ihipStream_tbEUlT_E0_NS1_11comp_targetILNS1_3genE9ELNS1_11target_archE1100ELNS1_3gpuE3ELNS1_3repE0EEENS1_52radix_sort_onesweep_histogram_config_static_selectorELNS0_4arch9wavefront6targetE0EEEvSI_.has_recursion, 0
	.set _ZN7rocprim17ROCPRIM_400000_NS6detail17trampoline_kernelINS0_14default_configENS1_35radix_sort_onesweep_config_selectorIfNS0_10empty_typeEEEZNS1_34radix_sort_onesweep_global_offsetsIS3_Lb0EN6thrust23THRUST_200600_302600_NS6detail15normal_iteratorINS9_10device_ptrIfEEEEPS5_jNS0_19identity_decomposerEEE10hipError_tT1_T2_PT3_SK_jT4_jjP12ihipStream_tbEUlT_E0_NS1_11comp_targetILNS1_3genE9ELNS1_11target_archE1100ELNS1_3gpuE3ELNS1_3repE0EEENS1_52radix_sort_onesweep_histogram_config_static_selectorELNS0_4arch9wavefront6targetE0EEEvSI_.has_indirect_call, 0
	.section	.AMDGPU.csdata,"",@progbits
; Kernel info:
; codeLenInByte = 0
; TotalNumSgprs: 0
; NumVgprs: 0
; ScratchSize: 0
; MemoryBound: 0
; FloatMode: 240
; IeeeMode: 1
; LDSByteSize: 0 bytes/workgroup (compile time only)
; SGPRBlocks: 0
; VGPRBlocks: 0
; NumSGPRsForWavesPerEU: 1
; NumVGPRsForWavesPerEU: 1
; Occupancy: 16
; WaveLimiterHint : 0
; COMPUTE_PGM_RSRC2:SCRATCH_EN: 0
; COMPUTE_PGM_RSRC2:USER_SGPR: 6
; COMPUTE_PGM_RSRC2:TRAP_HANDLER: 0
; COMPUTE_PGM_RSRC2:TGID_X_EN: 1
; COMPUTE_PGM_RSRC2:TGID_Y_EN: 0
; COMPUTE_PGM_RSRC2:TGID_Z_EN: 0
; COMPUTE_PGM_RSRC2:TIDIG_COMP_CNT: 0
	.section	.text._ZN7rocprim17ROCPRIM_400000_NS6detail17trampoline_kernelINS0_14default_configENS1_35radix_sort_onesweep_config_selectorIfNS0_10empty_typeEEEZNS1_34radix_sort_onesweep_global_offsetsIS3_Lb0EN6thrust23THRUST_200600_302600_NS6detail15normal_iteratorINS9_10device_ptrIfEEEEPS5_jNS0_19identity_decomposerEEE10hipError_tT1_T2_PT3_SK_jT4_jjP12ihipStream_tbEUlT_E0_NS1_11comp_targetILNS1_3genE8ELNS1_11target_archE1030ELNS1_3gpuE2ELNS1_3repE0EEENS1_52radix_sort_onesweep_histogram_config_static_selectorELNS0_4arch9wavefront6targetE0EEEvSI_,"axG",@progbits,_ZN7rocprim17ROCPRIM_400000_NS6detail17trampoline_kernelINS0_14default_configENS1_35radix_sort_onesweep_config_selectorIfNS0_10empty_typeEEEZNS1_34radix_sort_onesweep_global_offsetsIS3_Lb0EN6thrust23THRUST_200600_302600_NS6detail15normal_iteratorINS9_10device_ptrIfEEEEPS5_jNS0_19identity_decomposerEEE10hipError_tT1_T2_PT3_SK_jT4_jjP12ihipStream_tbEUlT_E0_NS1_11comp_targetILNS1_3genE8ELNS1_11target_archE1030ELNS1_3gpuE2ELNS1_3repE0EEENS1_52radix_sort_onesweep_histogram_config_static_selectorELNS0_4arch9wavefront6targetE0EEEvSI_,comdat
	.protected	_ZN7rocprim17ROCPRIM_400000_NS6detail17trampoline_kernelINS0_14default_configENS1_35radix_sort_onesweep_config_selectorIfNS0_10empty_typeEEEZNS1_34radix_sort_onesweep_global_offsetsIS3_Lb0EN6thrust23THRUST_200600_302600_NS6detail15normal_iteratorINS9_10device_ptrIfEEEEPS5_jNS0_19identity_decomposerEEE10hipError_tT1_T2_PT3_SK_jT4_jjP12ihipStream_tbEUlT_E0_NS1_11comp_targetILNS1_3genE8ELNS1_11target_archE1030ELNS1_3gpuE2ELNS1_3repE0EEENS1_52radix_sort_onesweep_histogram_config_static_selectorELNS0_4arch9wavefront6targetE0EEEvSI_ ; -- Begin function _ZN7rocprim17ROCPRIM_400000_NS6detail17trampoline_kernelINS0_14default_configENS1_35radix_sort_onesweep_config_selectorIfNS0_10empty_typeEEEZNS1_34radix_sort_onesweep_global_offsetsIS3_Lb0EN6thrust23THRUST_200600_302600_NS6detail15normal_iteratorINS9_10device_ptrIfEEEEPS5_jNS0_19identity_decomposerEEE10hipError_tT1_T2_PT3_SK_jT4_jjP12ihipStream_tbEUlT_E0_NS1_11comp_targetILNS1_3genE8ELNS1_11target_archE1030ELNS1_3gpuE2ELNS1_3repE0EEENS1_52radix_sort_onesweep_histogram_config_static_selectorELNS0_4arch9wavefront6targetE0EEEvSI_
	.globl	_ZN7rocprim17ROCPRIM_400000_NS6detail17trampoline_kernelINS0_14default_configENS1_35radix_sort_onesweep_config_selectorIfNS0_10empty_typeEEEZNS1_34radix_sort_onesweep_global_offsetsIS3_Lb0EN6thrust23THRUST_200600_302600_NS6detail15normal_iteratorINS9_10device_ptrIfEEEEPS5_jNS0_19identity_decomposerEEE10hipError_tT1_T2_PT3_SK_jT4_jjP12ihipStream_tbEUlT_E0_NS1_11comp_targetILNS1_3genE8ELNS1_11target_archE1030ELNS1_3gpuE2ELNS1_3repE0EEENS1_52radix_sort_onesweep_histogram_config_static_selectorELNS0_4arch9wavefront6targetE0EEEvSI_
	.p2align	8
	.type	_ZN7rocprim17ROCPRIM_400000_NS6detail17trampoline_kernelINS0_14default_configENS1_35radix_sort_onesweep_config_selectorIfNS0_10empty_typeEEEZNS1_34radix_sort_onesweep_global_offsetsIS3_Lb0EN6thrust23THRUST_200600_302600_NS6detail15normal_iteratorINS9_10device_ptrIfEEEEPS5_jNS0_19identity_decomposerEEE10hipError_tT1_T2_PT3_SK_jT4_jjP12ihipStream_tbEUlT_E0_NS1_11comp_targetILNS1_3genE8ELNS1_11target_archE1030ELNS1_3gpuE2ELNS1_3repE0EEENS1_52radix_sort_onesweep_histogram_config_static_selectorELNS0_4arch9wavefront6targetE0EEEvSI_,@function
_ZN7rocprim17ROCPRIM_400000_NS6detail17trampoline_kernelINS0_14default_configENS1_35radix_sort_onesweep_config_selectorIfNS0_10empty_typeEEEZNS1_34radix_sort_onesweep_global_offsetsIS3_Lb0EN6thrust23THRUST_200600_302600_NS6detail15normal_iteratorINS9_10device_ptrIfEEEEPS5_jNS0_19identity_decomposerEEE10hipError_tT1_T2_PT3_SK_jT4_jjP12ihipStream_tbEUlT_E0_NS1_11comp_targetILNS1_3genE8ELNS1_11target_archE1030ELNS1_3gpuE2ELNS1_3repE0EEENS1_52radix_sort_onesweep_histogram_config_static_selectorELNS0_4arch9wavefront6targetE0EEEvSI_: ; @_ZN7rocprim17ROCPRIM_400000_NS6detail17trampoline_kernelINS0_14default_configENS1_35radix_sort_onesweep_config_selectorIfNS0_10empty_typeEEEZNS1_34radix_sort_onesweep_global_offsetsIS3_Lb0EN6thrust23THRUST_200600_302600_NS6detail15normal_iteratorINS9_10device_ptrIfEEEEPS5_jNS0_19identity_decomposerEEE10hipError_tT1_T2_PT3_SK_jT4_jjP12ihipStream_tbEUlT_E0_NS1_11comp_targetILNS1_3genE8ELNS1_11target_archE1030ELNS1_3gpuE2ELNS1_3repE0EEENS1_52radix_sort_onesweep_histogram_config_static_selectorELNS0_4arch9wavefront6targetE0EEEvSI_
; %bb.0:
	s_load_dwordx2 s[0:1], s[4:5], 0x0
	s_lshl_b32 s2, s6, 8
	s_mov_b32 s3, 0
	v_cmp_gt_u32_e32 vcc_lo, 0x100, v0
	s_lshl_b64 s[2:3], s[2:3], 2
	v_lshlrev_b32_e32 v1, 2, v0
                                        ; implicit-def: $vgpr3
	s_waitcnt lgkmcnt(0)
	s_add_u32 s8, s0, s2
	s_addc_u32 s9, s1, s3
	s_and_saveexec_b32 s0, vcc_lo
	s_cbranch_execz .LBB549_2
; %bb.1:
	global_load_dword v3, v1, s[8:9]
.LBB549_2:
	s_or_b32 exec_lo, exec_lo, s0
	v_mbcnt_lo_u32_b32 v2, -1, 0
	s_waitcnt vmcnt(0)
	v_mov_b32_dpp v5, v3 row_shr:1 row_mask:0xf bank_mask:0xf
	v_and_b32_e32 v7, 31, v0
	s_mov_b32 s6, exec_lo
	v_and_b32_e32 v4, 15, v2
	v_and_b32_e32 v6, 16, v2
	v_cmp_eq_u32_e64 s0, 0, v4
	v_cmp_lt_u32_e64 s1, 1, v4
	v_cmp_lt_u32_e64 s2, 3, v4
	;; [unrolled: 1-line block ×3, first 2 shown]
	v_cmp_eq_u32_e64 s4, 0, v6
	v_cndmask_b32_e64 v5, v5, 0, s0
	v_add_nc_u32_e32 v3, v5, v3
	v_mov_b32_dpp v5, v3 row_shr:2 row_mask:0xf bank_mask:0xf
	v_cndmask_b32_e64 v5, 0, v5, s1
	v_add_nc_u32_e32 v3, v3, v5
	v_mov_b32_dpp v5, v3 row_shr:4 row_mask:0xf bank_mask:0xf
	v_cndmask_b32_e64 v5, 0, v5, s2
	v_add_nc_u32_e32 v3, v3, v5
	v_mov_b32_dpp v5, v3 row_shr:8 row_mask:0xf bank_mask:0xf
	v_cndmask_b32_e64 v4, 0, v5, s3
	v_bfe_i32 v5, v2, 4, 1
	v_add_nc_u32_e32 v3, v3, v4
	ds_swizzle_b32 v4, v3 offset:swizzle(BROADCAST,32,15)
	s_waitcnt lgkmcnt(0)
	v_and_b32_e32 v5, v5, v4
	v_lshrrev_b32_e32 v4, 5, v0
	v_add_nc_u32_e32 v3, v3, v5
	v_cmpx_eq_u32_e32 31, v7
; %bb.3:
	v_lshlrev_b32_e32 v5, 2, v4
	ds_write_b32 v5, v3
; %bb.4:
	s_or_b32 exec_lo, exec_lo, s6
	v_cmp_lt_u32_e64 s5, 31, v0
	s_mov_b32 s7, exec_lo
	s_waitcnt lgkmcnt(0)
	s_barrier
	buffer_gl0_inv
	v_cmpx_gt_u32_e32 32, v0
	s_cbranch_execz .LBB549_6
; %bb.5:
	ds_read_b32 v0, v1
	s_waitcnt lgkmcnt(0)
	v_mov_b32_dpp v5, v0 row_shr:1 row_mask:0xf bank_mask:0xf
	v_cndmask_b32_e64 v5, v5, 0, s0
	v_add_nc_u32_e32 v0, v5, v0
	v_mov_b32_dpp v5, v0 row_shr:2 row_mask:0xf bank_mask:0xf
	v_cndmask_b32_e64 v5, 0, v5, s1
	v_add_nc_u32_e32 v0, v0, v5
	;; [unrolled: 3-line block ×4, first 2 shown]
	ds_swizzle_b32 v5, v0 offset:swizzle(BROADCAST,32,15)
	s_waitcnt lgkmcnt(0)
	v_cndmask_b32_e64 v5, v5, 0, s4
	v_add_nc_u32_e32 v0, v0, v5
	ds_write_b32 v1, v0
.LBB549_6:
	s_or_b32 exec_lo, exec_lo, s7
	v_mov_b32_e32 v0, 0
	s_waitcnt lgkmcnt(0)
	s_barrier
	buffer_gl0_inv
	s_and_saveexec_b32 s0, s5
; %bb.7:
	v_lshl_add_u32 v0, v4, 2, -4
	ds_read_b32 v0, v0
; %bb.8:
	s_or_b32 exec_lo, exec_lo, s0
	v_add_nc_u32_e32 v4, -1, v2
	s_waitcnt lgkmcnt(0)
	v_add_nc_u32_e32 v3, v0, v3
	v_cmp_gt_i32_e64 s0, 0, v4
	v_cndmask_b32_e64 v4, v4, v2, s0
	v_lshlrev_b32_e32 v4, 2, v4
	ds_bpermute_b32 v3, v4, v3
	s_and_saveexec_b32 s0, vcc_lo
	s_cbranch_execz .LBB549_10
; %bb.9:
	v_cmp_eq_u32_e32 vcc_lo, 0, v2
	s_waitcnt lgkmcnt(0)
	v_cndmask_b32_e32 v0, v3, v0, vcc_lo
	global_store_dword v1, v0, s[8:9]
.LBB549_10:
	s_endpgm
	.section	.rodata,"a",@progbits
	.p2align	6, 0x0
	.amdhsa_kernel _ZN7rocprim17ROCPRIM_400000_NS6detail17trampoline_kernelINS0_14default_configENS1_35radix_sort_onesweep_config_selectorIfNS0_10empty_typeEEEZNS1_34radix_sort_onesweep_global_offsetsIS3_Lb0EN6thrust23THRUST_200600_302600_NS6detail15normal_iteratorINS9_10device_ptrIfEEEEPS5_jNS0_19identity_decomposerEEE10hipError_tT1_T2_PT3_SK_jT4_jjP12ihipStream_tbEUlT_E0_NS1_11comp_targetILNS1_3genE8ELNS1_11target_archE1030ELNS1_3gpuE2ELNS1_3repE0EEENS1_52radix_sort_onesweep_histogram_config_static_selectorELNS0_4arch9wavefront6targetE0EEEvSI_
		.amdhsa_group_segment_fixed_size 128
		.amdhsa_private_segment_fixed_size 0
		.amdhsa_kernarg_size 8
		.amdhsa_user_sgpr_count 6
		.amdhsa_user_sgpr_private_segment_buffer 1
		.amdhsa_user_sgpr_dispatch_ptr 0
		.amdhsa_user_sgpr_queue_ptr 0
		.amdhsa_user_sgpr_kernarg_segment_ptr 1
		.amdhsa_user_sgpr_dispatch_id 0
		.amdhsa_user_sgpr_flat_scratch_init 0
		.amdhsa_user_sgpr_private_segment_size 0
		.amdhsa_wavefront_size32 1
		.amdhsa_uses_dynamic_stack 0
		.amdhsa_system_sgpr_private_segment_wavefront_offset 0
		.amdhsa_system_sgpr_workgroup_id_x 1
		.amdhsa_system_sgpr_workgroup_id_y 0
		.amdhsa_system_sgpr_workgroup_id_z 0
		.amdhsa_system_sgpr_workgroup_info 0
		.amdhsa_system_vgpr_workitem_id 0
		.amdhsa_next_free_vgpr 8
		.amdhsa_next_free_sgpr 10
		.amdhsa_reserve_vcc 1
		.amdhsa_reserve_flat_scratch 0
		.amdhsa_float_round_mode_32 0
		.amdhsa_float_round_mode_16_64 0
		.amdhsa_float_denorm_mode_32 3
		.amdhsa_float_denorm_mode_16_64 3
		.amdhsa_dx10_clamp 1
		.amdhsa_ieee_mode 1
		.amdhsa_fp16_overflow 0
		.amdhsa_workgroup_processor_mode 1
		.amdhsa_memory_ordered 1
		.amdhsa_forward_progress 1
		.amdhsa_shared_vgpr_count 0
		.amdhsa_exception_fp_ieee_invalid_op 0
		.amdhsa_exception_fp_denorm_src 0
		.amdhsa_exception_fp_ieee_div_zero 0
		.amdhsa_exception_fp_ieee_overflow 0
		.amdhsa_exception_fp_ieee_underflow 0
		.amdhsa_exception_fp_ieee_inexact 0
		.amdhsa_exception_int_div_zero 0
	.end_amdhsa_kernel
	.section	.text._ZN7rocprim17ROCPRIM_400000_NS6detail17trampoline_kernelINS0_14default_configENS1_35radix_sort_onesweep_config_selectorIfNS0_10empty_typeEEEZNS1_34radix_sort_onesweep_global_offsetsIS3_Lb0EN6thrust23THRUST_200600_302600_NS6detail15normal_iteratorINS9_10device_ptrIfEEEEPS5_jNS0_19identity_decomposerEEE10hipError_tT1_T2_PT3_SK_jT4_jjP12ihipStream_tbEUlT_E0_NS1_11comp_targetILNS1_3genE8ELNS1_11target_archE1030ELNS1_3gpuE2ELNS1_3repE0EEENS1_52radix_sort_onesweep_histogram_config_static_selectorELNS0_4arch9wavefront6targetE0EEEvSI_,"axG",@progbits,_ZN7rocprim17ROCPRIM_400000_NS6detail17trampoline_kernelINS0_14default_configENS1_35radix_sort_onesweep_config_selectorIfNS0_10empty_typeEEEZNS1_34radix_sort_onesweep_global_offsetsIS3_Lb0EN6thrust23THRUST_200600_302600_NS6detail15normal_iteratorINS9_10device_ptrIfEEEEPS5_jNS0_19identity_decomposerEEE10hipError_tT1_T2_PT3_SK_jT4_jjP12ihipStream_tbEUlT_E0_NS1_11comp_targetILNS1_3genE8ELNS1_11target_archE1030ELNS1_3gpuE2ELNS1_3repE0EEENS1_52radix_sort_onesweep_histogram_config_static_selectorELNS0_4arch9wavefront6targetE0EEEvSI_,comdat
.Lfunc_end549:
	.size	_ZN7rocprim17ROCPRIM_400000_NS6detail17trampoline_kernelINS0_14default_configENS1_35radix_sort_onesweep_config_selectorIfNS0_10empty_typeEEEZNS1_34radix_sort_onesweep_global_offsetsIS3_Lb0EN6thrust23THRUST_200600_302600_NS6detail15normal_iteratorINS9_10device_ptrIfEEEEPS5_jNS0_19identity_decomposerEEE10hipError_tT1_T2_PT3_SK_jT4_jjP12ihipStream_tbEUlT_E0_NS1_11comp_targetILNS1_3genE8ELNS1_11target_archE1030ELNS1_3gpuE2ELNS1_3repE0EEENS1_52radix_sort_onesweep_histogram_config_static_selectorELNS0_4arch9wavefront6targetE0EEEvSI_, .Lfunc_end549-_ZN7rocprim17ROCPRIM_400000_NS6detail17trampoline_kernelINS0_14default_configENS1_35radix_sort_onesweep_config_selectorIfNS0_10empty_typeEEEZNS1_34radix_sort_onesweep_global_offsetsIS3_Lb0EN6thrust23THRUST_200600_302600_NS6detail15normal_iteratorINS9_10device_ptrIfEEEEPS5_jNS0_19identity_decomposerEEE10hipError_tT1_T2_PT3_SK_jT4_jjP12ihipStream_tbEUlT_E0_NS1_11comp_targetILNS1_3genE8ELNS1_11target_archE1030ELNS1_3gpuE2ELNS1_3repE0EEENS1_52radix_sort_onesweep_histogram_config_static_selectorELNS0_4arch9wavefront6targetE0EEEvSI_
                                        ; -- End function
	.set _ZN7rocprim17ROCPRIM_400000_NS6detail17trampoline_kernelINS0_14default_configENS1_35radix_sort_onesweep_config_selectorIfNS0_10empty_typeEEEZNS1_34radix_sort_onesweep_global_offsetsIS3_Lb0EN6thrust23THRUST_200600_302600_NS6detail15normal_iteratorINS9_10device_ptrIfEEEEPS5_jNS0_19identity_decomposerEEE10hipError_tT1_T2_PT3_SK_jT4_jjP12ihipStream_tbEUlT_E0_NS1_11comp_targetILNS1_3genE8ELNS1_11target_archE1030ELNS1_3gpuE2ELNS1_3repE0EEENS1_52radix_sort_onesweep_histogram_config_static_selectorELNS0_4arch9wavefront6targetE0EEEvSI_.num_vgpr, 8
	.set _ZN7rocprim17ROCPRIM_400000_NS6detail17trampoline_kernelINS0_14default_configENS1_35radix_sort_onesweep_config_selectorIfNS0_10empty_typeEEEZNS1_34radix_sort_onesweep_global_offsetsIS3_Lb0EN6thrust23THRUST_200600_302600_NS6detail15normal_iteratorINS9_10device_ptrIfEEEEPS5_jNS0_19identity_decomposerEEE10hipError_tT1_T2_PT3_SK_jT4_jjP12ihipStream_tbEUlT_E0_NS1_11comp_targetILNS1_3genE8ELNS1_11target_archE1030ELNS1_3gpuE2ELNS1_3repE0EEENS1_52radix_sort_onesweep_histogram_config_static_selectorELNS0_4arch9wavefront6targetE0EEEvSI_.num_agpr, 0
	.set _ZN7rocprim17ROCPRIM_400000_NS6detail17trampoline_kernelINS0_14default_configENS1_35radix_sort_onesweep_config_selectorIfNS0_10empty_typeEEEZNS1_34radix_sort_onesweep_global_offsetsIS3_Lb0EN6thrust23THRUST_200600_302600_NS6detail15normal_iteratorINS9_10device_ptrIfEEEEPS5_jNS0_19identity_decomposerEEE10hipError_tT1_T2_PT3_SK_jT4_jjP12ihipStream_tbEUlT_E0_NS1_11comp_targetILNS1_3genE8ELNS1_11target_archE1030ELNS1_3gpuE2ELNS1_3repE0EEENS1_52radix_sort_onesweep_histogram_config_static_selectorELNS0_4arch9wavefront6targetE0EEEvSI_.numbered_sgpr, 10
	.set _ZN7rocprim17ROCPRIM_400000_NS6detail17trampoline_kernelINS0_14default_configENS1_35radix_sort_onesweep_config_selectorIfNS0_10empty_typeEEEZNS1_34radix_sort_onesweep_global_offsetsIS3_Lb0EN6thrust23THRUST_200600_302600_NS6detail15normal_iteratorINS9_10device_ptrIfEEEEPS5_jNS0_19identity_decomposerEEE10hipError_tT1_T2_PT3_SK_jT4_jjP12ihipStream_tbEUlT_E0_NS1_11comp_targetILNS1_3genE8ELNS1_11target_archE1030ELNS1_3gpuE2ELNS1_3repE0EEENS1_52radix_sort_onesweep_histogram_config_static_selectorELNS0_4arch9wavefront6targetE0EEEvSI_.num_named_barrier, 0
	.set _ZN7rocprim17ROCPRIM_400000_NS6detail17trampoline_kernelINS0_14default_configENS1_35radix_sort_onesweep_config_selectorIfNS0_10empty_typeEEEZNS1_34radix_sort_onesweep_global_offsetsIS3_Lb0EN6thrust23THRUST_200600_302600_NS6detail15normal_iteratorINS9_10device_ptrIfEEEEPS5_jNS0_19identity_decomposerEEE10hipError_tT1_T2_PT3_SK_jT4_jjP12ihipStream_tbEUlT_E0_NS1_11comp_targetILNS1_3genE8ELNS1_11target_archE1030ELNS1_3gpuE2ELNS1_3repE0EEENS1_52radix_sort_onesweep_histogram_config_static_selectorELNS0_4arch9wavefront6targetE0EEEvSI_.private_seg_size, 0
	.set _ZN7rocprim17ROCPRIM_400000_NS6detail17trampoline_kernelINS0_14default_configENS1_35radix_sort_onesweep_config_selectorIfNS0_10empty_typeEEEZNS1_34radix_sort_onesweep_global_offsetsIS3_Lb0EN6thrust23THRUST_200600_302600_NS6detail15normal_iteratorINS9_10device_ptrIfEEEEPS5_jNS0_19identity_decomposerEEE10hipError_tT1_T2_PT3_SK_jT4_jjP12ihipStream_tbEUlT_E0_NS1_11comp_targetILNS1_3genE8ELNS1_11target_archE1030ELNS1_3gpuE2ELNS1_3repE0EEENS1_52radix_sort_onesweep_histogram_config_static_selectorELNS0_4arch9wavefront6targetE0EEEvSI_.uses_vcc, 1
	.set _ZN7rocprim17ROCPRIM_400000_NS6detail17trampoline_kernelINS0_14default_configENS1_35radix_sort_onesweep_config_selectorIfNS0_10empty_typeEEEZNS1_34radix_sort_onesweep_global_offsetsIS3_Lb0EN6thrust23THRUST_200600_302600_NS6detail15normal_iteratorINS9_10device_ptrIfEEEEPS5_jNS0_19identity_decomposerEEE10hipError_tT1_T2_PT3_SK_jT4_jjP12ihipStream_tbEUlT_E0_NS1_11comp_targetILNS1_3genE8ELNS1_11target_archE1030ELNS1_3gpuE2ELNS1_3repE0EEENS1_52radix_sort_onesweep_histogram_config_static_selectorELNS0_4arch9wavefront6targetE0EEEvSI_.uses_flat_scratch, 0
	.set _ZN7rocprim17ROCPRIM_400000_NS6detail17trampoline_kernelINS0_14default_configENS1_35radix_sort_onesweep_config_selectorIfNS0_10empty_typeEEEZNS1_34radix_sort_onesweep_global_offsetsIS3_Lb0EN6thrust23THRUST_200600_302600_NS6detail15normal_iteratorINS9_10device_ptrIfEEEEPS5_jNS0_19identity_decomposerEEE10hipError_tT1_T2_PT3_SK_jT4_jjP12ihipStream_tbEUlT_E0_NS1_11comp_targetILNS1_3genE8ELNS1_11target_archE1030ELNS1_3gpuE2ELNS1_3repE0EEENS1_52radix_sort_onesweep_histogram_config_static_selectorELNS0_4arch9wavefront6targetE0EEEvSI_.has_dyn_sized_stack, 0
	.set _ZN7rocprim17ROCPRIM_400000_NS6detail17trampoline_kernelINS0_14default_configENS1_35radix_sort_onesweep_config_selectorIfNS0_10empty_typeEEEZNS1_34radix_sort_onesweep_global_offsetsIS3_Lb0EN6thrust23THRUST_200600_302600_NS6detail15normal_iteratorINS9_10device_ptrIfEEEEPS5_jNS0_19identity_decomposerEEE10hipError_tT1_T2_PT3_SK_jT4_jjP12ihipStream_tbEUlT_E0_NS1_11comp_targetILNS1_3genE8ELNS1_11target_archE1030ELNS1_3gpuE2ELNS1_3repE0EEENS1_52radix_sort_onesweep_histogram_config_static_selectorELNS0_4arch9wavefront6targetE0EEEvSI_.has_recursion, 0
	.set _ZN7rocprim17ROCPRIM_400000_NS6detail17trampoline_kernelINS0_14default_configENS1_35radix_sort_onesweep_config_selectorIfNS0_10empty_typeEEEZNS1_34radix_sort_onesweep_global_offsetsIS3_Lb0EN6thrust23THRUST_200600_302600_NS6detail15normal_iteratorINS9_10device_ptrIfEEEEPS5_jNS0_19identity_decomposerEEE10hipError_tT1_T2_PT3_SK_jT4_jjP12ihipStream_tbEUlT_E0_NS1_11comp_targetILNS1_3genE8ELNS1_11target_archE1030ELNS1_3gpuE2ELNS1_3repE0EEENS1_52radix_sort_onesweep_histogram_config_static_selectorELNS0_4arch9wavefront6targetE0EEEvSI_.has_indirect_call, 0
	.section	.AMDGPU.csdata,"",@progbits
; Kernel info:
; codeLenInByte = 544
; TotalNumSgprs: 12
; NumVgprs: 8
; ScratchSize: 0
; MemoryBound: 0
; FloatMode: 240
; IeeeMode: 1
; LDSByteSize: 128 bytes/workgroup (compile time only)
; SGPRBlocks: 0
; VGPRBlocks: 0
; NumSGPRsForWavesPerEU: 12
; NumVGPRsForWavesPerEU: 8
; Occupancy: 16
; WaveLimiterHint : 0
; COMPUTE_PGM_RSRC2:SCRATCH_EN: 0
; COMPUTE_PGM_RSRC2:USER_SGPR: 6
; COMPUTE_PGM_RSRC2:TRAP_HANDLER: 0
; COMPUTE_PGM_RSRC2:TGID_X_EN: 1
; COMPUTE_PGM_RSRC2:TGID_Y_EN: 0
; COMPUTE_PGM_RSRC2:TGID_Z_EN: 0
; COMPUTE_PGM_RSRC2:TIDIG_COMP_CNT: 0
	.section	.text._ZN7rocprim17ROCPRIM_400000_NS6detail17trampoline_kernelINS0_14default_configENS1_25transform_config_selectorIfLb0EEEZNS1_14transform_implILb0ES3_S5_N6thrust23THRUST_200600_302600_NS6detail15normal_iteratorINS8_10device_ptrIfEEEEPfNS0_8identityIfEEEE10hipError_tT2_T3_mT4_P12ihipStream_tbEUlT_E_NS1_11comp_targetILNS1_3genE0ELNS1_11target_archE4294967295ELNS1_3gpuE0ELNS1_3repE0EEENS1_30default_config_static_selectorELNS0_4arch9wavefront6targetE0EEEvT1_,"axG",@progbits,_ZN7rocprim17ROCPRIM_400000_NS6detail17trampoline_kernelINS0_14default_configENS1_25transform_config_selectorIfLb0EEEZNS1_14transform_implILb0ES3_S5_N6thrust23THRUST_200600_302600_NS6detail15normal_iteratorINS8_10device_ptrIfEEEEPfNS0_8identityIfEEEE10hipError_tT2_T3_mT4_P12ihipStream_tbEUlT_E_NS1_11comp_targetILNS1_3genE0ELNS1_11target_archE4294967295ELNS1_3gpuE0ELNS1_3repE0EEENS1_30default_config_static_selectorELNS0_4arch9wavefront6targetE0EEEvT1_,comdat
	.protected	_ZN7rocprim17ROCPRIM_400000_NS6detail17trampoline_kernelINS0_14default_configENS1_25transform_config_selectorIfLb0EEEZNS1_14transform_implILb0ES3_S5_N6thrust23THRUST_200600_302600_NS6detail15normal_iteratorINS8_10device_ptrIfEEEEPfNS0_8identityIfEEEE10hipError_tT2_T3_mT4_P12ihipStream_tbEUlT_E_NS1_11comp_targetILNS1_3genE0ELNS1_11target_archE4294967295ELNS1_3gpuE0ELNS1_3repE0EEENS1_30default_config_static_selectorELNS0_4arch9wavefront6targetE0EEEvT1_ ; -- Begin function _ZN7rocprim17ROCPRIM_400000_NS6detail17trampoline_kernelINS0_14default_configENS1_25transform_config_selectorIfLb0EEEZNS1_14transform_implILb0ES3_S5_N6thrust23THRUST_200600_302600_NS6detail15normal_iteratorINS8_10device_ptrIfEEEEPfNS0_8identityIfEEEE10hipError_tT2_T3_mT4_P12ihipStream_tbEUlT_E_NS1_11comp_targetILNS1_3genE0ELNS1_11target_archE4294967295ELNS1_3gpuE0ELNS1_3repE0EEENS1_30default_config_static_selectorELNS0_4arch9wavefront6targetE0EEEvT1_
	.globl	_ZN7rocprim17ROCPRIM_400000_NS6detail17trampoline_kernelINS0_14default_configENS1_25transform_config_selectorIfLb0EEEZNS1_14transform_implILb0ES3_S5_N6thrust23THRUST_200600_302600_NS6detail15normal_iteratorINS8_10device_ptrIfEEEEPfNS0_8identityIfEEEE10hipError_tT2_T3_mT4_P12ihipStream_tbEUlT_E_NS1_11comp_targetILNS1_3genE0ELNS1_11target_archE4294967295ELNS1_3gpuE0ELNS1_3repE0EEENS1_30default_config_static_selectorELNS0_4arch9wavefront6targetE0EEEvT1_
	.p2align	8
	.type	_ZN7rocprim17ROCPRIM_400000_NS6detail17trampoline_kernelINS0_14default_configENS1_25transform_config_selectorIfLb0EEEZNS1_14transform_implILb0ES3_S5_N6thrust23THRUST_200600_302600_NS6detail15normal_iteratorINS8_10device_ptrIfEEEEPfNS0_8identityIfEEEE10hipError_tT2_T3_mT4_P12ihipStream_tbEUlT_E_NS1_11comp_targetILNS1_3genE0ELNS1_11target_archE4294967295ELNS1_3gpuE0ELNS1_3repE0EEENS1_30default_config_static_selectorELNS0_4arch9wavefront6targetE0EEEvT1_,@function
_ZN7rocprim17ROCPRIM_400000_NS6detail17trampoline_kernelINS0_14default_configENS1_25transform_config_selectorIfLb0EEEZNS1_14transform_implILb0ES3_S5_N6thrust23THRUST_200600_302600_NS6detail15normal_iteratorINS8_10device_ptrIfEEEEPfNS0_8identityIfEEEE10hipError_tT2_T3_mT4_P12ihipStream_tbEUlT_E_NS1_11comp_targetILNS1_3genE0ELNS1_11target_archE4294967295ELNS1_3gpuE0ELNS1_3repE0EEENS1_30default_config_static_selectorELNS0_4arch9wavefront6targetE0EEEvT1_: ; @_ZN7rocprim17ROCPRIM_400000_NS6detail17trampoline_kernelINS0_14default_configENS1_25transform_config_selectorIfLb0EEEZNS1_14transform_implILb0ES3_S5_N6thrust23THRUST_200600_302600_NS6detail15normal_iteratorINS8_10device_ptrIfEEEEPfNS0_8identityIfEEEE10hipError_tT2_T3_mT4_P12ihipStream_tbEUlT_E_NS1_11comp_targetILNS1_3genE0ELNS1_11target_archE4294967295ELNS1_3gpuE0ELNS1_3repE0EEENS1_30default_config_static_selectorELNS0_4arch9wavefront6targetE0EEEvT1_
; %bb.0:
	.section	.rodata,"a",@progbits
	.p2align	6, 0x0
	.amdhsa_kernel _ZN7rocprim17ROCPRIM_400000_NS6detail17trampoline_kernelINS0_14default_configENS1_25transform_config_selectorIfLb0EEEZNS1_14transform_implILb0ES3_S5_N6thrust23THRUST_200600_302600_NS6detail15normal_iteratorINS8_10device_ptrIfEEEEPfNS0_8identityIfEEEE10hipError_tT2_T3_mT4_P12ihipStream_tbEUlT_E_NS1_11comp_targetILNS1_3genE0ELNS1_11target_archE4294967295ELNS1_3gpuE0ELNS1_3repE0EEENS1_30default_config_static_selectorELNS0_4arch9wavefront6targetE0EEEvT1_
		.amdhsa_group_segment_fixed_size 0
		.amdhsa_private_segment_fixed_size 0
		.amdhsa_kernarg_size 40
		.amdhsa_user_sgpr_count 6
		.amdhsa_user_sgpr_private_segment_buffer 1
		.amdhsa_user_sgpr_dispatch_ptr 0
		.amdhsa_user_sgpr_queue_ptr 0
		.amdhsa_user_sgpr_kernarg_segment_ptr 1
		.amdhsa_user_sgpr_dispatch_id 0
		.amdhsa_user_sgpr_flat_scratch_init 0
		.amdhsa_user_sgpr_private_segment_size 0
		.amdhsa_wavefront_size32 1
		.amdhsa_uses_dynamic_stack 0
		.amdhsa_system_sgpr_private_segment_wavefront_offset 0
		.amdhsa_system_sgpr_workgroup_id_x 1
		.amdhsa_system_sgpr_workgroup_id_y 0
		.amdhsa_system_sgpr_workgroup_id_z 0
		.amdhsa_system_sgpr_workgroup_info 0
		.amdhsa_system_vgpr_workitem_id 0
		.amdhsa_next_free_vgpr 1
		.amdhsa_next_free_sgpr 1
		.amdhsa_reserve_vcc 0
		.amdhsa_reserve_flat_scratch 0
		.amdhsa_float_round_mode_32 0
		.amdhsa_float_round_mode_16_64 0
		.amdhsa_float_denorm_mode_32 3
		.amdhsa_float_denorm_mode_16_64 3
		.amdhsa_dx10_clamp 1
		.amdhsa_ieee_mode 1
		.amdhsa_fp16_overflow 0
		.amdhsa_workgroup_processor_mode 1
		.amdhsa_memory_ordered 1
		.amdhsa_forward_progress 1
		.amdhsa_shared_vgpr_count 0
		.amdhsa_exception_fp_ieee_invalid_op 0
		.amdhsa_exception_fp_denorm_src 0
		.amdhsa_exception_fp_ieee_div_zero 0
		.amdhsa_exception_fp_ieee_overflow 0
		.amdhsa_exception_fp_ieee_underflow 0
		.amdhsa_exception_fp_ieee_inexact 0
		.amdhsa_exception_int_div_zero 0
	.end_amdhsa_kernel
	.section	.text._ZN7rocprim17ROCPRIM_400000_NS6detail17trampoline_kernelINS0_14default_configENS1_25transform_config_selectorIfLb0EEEZNS1_14transform_implILb0ES3_S5_N6thrust23THRUST_200600_302600_NS6detail15normal_iteratorINS8_10device_ptrIfEEEEPfNS0_8identityIfEEEE10hipError_tT2_T3_mT4_P12ihipStream_tbEUlT_E_NS1_11comp_targetILNS1_3genE0ELNS1_11target_archE4294967295ELNS1_3gpuE0ELNS1_3repE0EEENS1_30default_config_static_selectorELNS0_4arch9wavefront6targetE0EEEvT1_,"axG",@progbits,_ZN7rocprim17ROCPRIM_400000_NS6detail17trampoline_kernelINS0_14default_configENS1_25transform_config_selectorIfLb0EEEZNS1_14transform_implILb0ES3_S5_N6thrust23THRUST_200600_302600_NS6detail15normal_iteratorINS8_10device_ptrIfEEEEPfNS0_8identityIfEEEE10hipError_tT2_T3_mT4_P12ihipStream_tbEUlT_E_NS1_11comp_targetILNS1_3genE0ELNS1_11target_archE4294967295ELNS1_3gpuE0ELNS1_3repE0EEENS1_30default_config_static_selectorELNS0_4arch9wavefront6targetE0EEEvT1_,comdat
.Lfunc_end550:
	.size	_ZN7rocprim17ROCPRIM_400000_NS6detail17trampoline_kernelINS0_14default_configENS1_25transform_config_selectorIfLb0EEEZNS1_14transform_implILb0ES3_S5_N6thrust23THRUST_200600_302600_NS6detail15normal_iteratorINS8_10device_ptrIfEEEEPfNS0_8identityIfEEEE10hipError_tT2_T3_mT4_P12ihipStream_tbEUlT_E_NS1_11comp_targetILNS1_3genE0ELNS1_11target_archE4294967295ELNS1_3gpuE0ELNS1_3repE0EEENS1_30default_config_static_selectorELNS0_4arch9wavefront6targetE0EEEvT1_, .Lfunc_end550-_ZN7rocprim17ROCPRIM_400000_NS6detail17trampoline_kernelINS0_14default_configENS1_25transform_config_selectorIfLb0EEEZNS1_14transform_implILb0ES3_S5_N6thrust23THRUST_200600_302600_NS6detail15normal_iteratorINS8_10device_ptrIfEEEEPfNS0_8identityIfEEEE10hipError_tT2_T3_mT4_P12ihipStream_tbEUlT_E_NS1_11comp_targetILNS1_3genE0ELNS1_11target_archE4294967295ELNS1_3gpuE0ELNS1_3repE0EEENS1_30default_config_static_selectorELNS0_4arch9wavefront6targetE0EEEvT1_
                                        ; -- End function
	.set _ZN7rocprim17ROCPRIM_400000_NS6detail17trampoline_kernelINS0_14default_configENS1_25transform_config_selectorIfLb0EEEZNS1_14transform_implILb0ES3_S5_N6thrust23THRUST_200600_302600_NS6detail15normal_iteratorINS8_10device_ptrIfEEEEPfNS0_8identityIfEEEE10hipError_tT2_T3_mT4_P12ihipStream_tbEUlT_E_NS1_11comp_targetILNS1_3genE0ELNS1_11target_archE4294967295ELNS1_3gpuE0ELNS1_3repE0EEENS1_30default_config_static_selectorELNS0_4arch9wavefront6targetE0EEEvT1_.num_vgpr, 0
	.set _ZN7rocprim17ROCPRIM_400000_NS6detail17trampoline_kernelINS0_14default_configENS1_25transform_config_selectorIfLb0EEEZNS1_14transform_implILb0ES3_S5_N6thrust23THRUST_200600_302600_NS6detail15normal_iteratorINS8_10device_ptrIfEEEEPfNS0_8identityIfEEEE10hipError_tT2_T3_mT4_P12ihipStream_tbEUlT_E_NS1_11comp_targetILNS1_3genE0ELNS1_11target_archE4294967295ELNS1_3gpuE0ELNS1_3repE0EEENS1_30default_config_static_selectorELNS0_4arch9wavefront6targetE0EEEvT1_.num_agpr, 0
	.set _ZN7rocprim17ROCPRIM_400000_NS6detail17trampoline_kernelINS0_14default_configENS1_25transform_config_selectorIfLb0EEEZNS1_14transform_implILb0ES3_S5_N6thrust23THRUST_200600_302600_NS6detail15normal_iteratorINS8_10device_ptrIfEEEEPfNS0_8identityIfEEEE10hipError_tT2_T3_mT4_P12ihipStream_tbEUlT_E_NS1_11comp_targetILNS1_3genE0ELNS1_11target_archE4294967295ELNS1_3gpuE0ELNS1_3repE0EEENS1_30default_config_static_selectorELNS0_4arch9wavefront6targetE0EEEvT1_.numbered_sgpr, 0
	.set _ZN7rocprim17ROCPRIM_400000_NS6detail17trampoline_kernelINS0_14default_configENS1_25transform_config_selectorIfLb0EEEZNS1_14transform_implILb0ES3_S5_N6thrust23THRUST_200600_302600_NS6detail15normal_iteratorINS8_10device_ptrIfEEEEPfNS0_8identityIfEEEE10hipError_tT2_T3_mT4_P12ihipStream_tbEUlT_E_NS1_11comp_targetILNS1_3genE0ELNS1_11target_archE4294967295ELNS1_3gpuE0ELNS1_3repE0EEENS1_30default_config_static_selectorELNS0_4arch9wavefront6targetE0EEEvT1_.num_named_barrier, 0
	.set _ZN7rocprim17ROCPRIM_400000_NS6detail17trampoline_kernelINS0_14default_configENS1_25transform_config_selectorIfLb0EEEZNS1_14transform_implILb0ES3_S5_N6thrust23THRUST_200600_302600_NS6detail15normal_iteratorINS8_10device_ptrIfEEEEPfNS0_8identityIfEEEE10hipError_tT2_T3_mT4_P12ihipStream_tbEUlT_E_NS1_11comp_targetILNS1_3genE0ELNS1_11target_archE4294967295ELNS1_3gpuE0ELNS1_3repE0EEENS1_30default_config_static_selectorELNS0_4arch9wavefront6targetE0EEEvT1_.private_seg_size, 0
	.set _ZN7rocprim17ROCPRIM_400000_NS6detail17trampoline_kernelINS0_14default_configENS1_25transform_config_selectorIfLb0EEEZNS1_14transform_implILb0ES3_S5_N6thrust23THRUST_200600_302600_NS6detail15normal_iteratorINS8_10device_ptrIfEEEEPfNS0_8identityIfEEEE10hipError_tT2_T3_mT4_P12ihipStream_tbEUlT_E_NS1_11comp_targetILNS1_3genE0ELNS1_11target_archE4294967295ELNS1_3gpuE0ELNS1_3repE0EEENS1_30default_config_static_selectorELNS0_4arch9wavefront6targetE0EEEvT1_.uses_vcc, 0
	.set _ZN7rocprim17ROCPRIM_400000_NS6detail17trampoline_kernelINS0_14default_configENS1_25transform_config_selectorIfLb0EEEZNS1_14transform_implILb0ES3_S5_N6thrust23THRUST_200600_302600_NS6detail15normal_iteratorINS8_10device_ptrIfEEEEPfNS0_8identityIfEEEE10hipError_tT2_T3_mT4_P12ihipStream_tbEUlT_E_NS1_11comp_targetILNS1_3genE0ELNS1_11target_archE4294967295ELNS1_3gpuE0ELNS1_3repE0EEENS1_30default_config_static_selectorELNS0_4arch9wavefront6targetE0EEEvT1_.uses_flat_scratch, 0
	.set _ZN7rocprim17ROCPRIM_400000_NS6detail17trampoline_kernelINS0_14default_configENS1_25transform_config_selectorIfLb0EEEZNS1_14transform_implILb0ES3_S5_N6thrust23THRUST_200600_302600_NS6detail15normal_iteratorINS8_10device_ptrIfEEEEPfNS0_8identityIfEEEE10hipError_tT2_T3_mT4_P12ihipStream_tbEUlT_E_NS1_11comp_targetILNS1_3genE0ELNS1_11target_archE4294967295ELNS1_3gpuE0ELNS1_3repE0EEENS1_30default_config_static_selectorELNS0_4arch9wavefront6targetE0EEEvT1_.has_dyn_sized_stack, 0
	.set _ZN7rocprim17ROCPRIM_400000_NS6detail17trampoline_kernelINS0_14default_configENS1_25transform_config_selectorIfLb0EEEZNS1_14transform_implILb0ES3_S5_N6thrust23THRUST_200600_302600_NS6detail15normal_iteratorINS8_10device_ptrIfEEEEPfNS0_8identityIfEEEE10hipError_tT2_T3_mT4_P12ihipStream_tbEUlT_E_NS1_11comp_targetILNS1_3genE0ELNS1_11target_archE4294967295ELNS1_3gpuE0ELNS1_3repE0EEENS1_30default_config_static_selectorELNS0_4arch9wavefront6targetE0EEEvT1_.has_recursion, 0
	.set _ZN7rocprim17ROCPRIM_400000_NS6detail17trampoline_kernelINS0_14default_configENS1_25transform_config_selectorIfLb0EEEZNS1_14transform_implILb0ES3_S5_N6thrust23THRUST_200600_302600_NS6detail15normal_iteratorINS8_10device_ptrIfEEEEPfNS0_8identityIfEEEE10hipError_tT2_T3_mT4_P12ihipStream_tbEUlT_E_NS1_11comp_targetILNS1_3genE0ELNS1_11target_archE4294967295ELNS1_3gpuE0ELNS1_3repE0EEENS1_30default_config_static_selectorELNS0_4arch9wavefront6targetE0EEEvT1_.has_indirect_call, 0
	.section	.AMDGPU.csdata,"",@progbits
; Kernel info:
; codeLenInByte = 0
; TotalNumSgprs: 0
; NumVgprs: 0
; ScratchSize: 0
; MemoryBound: 0
; FloatMode: 240
; IeeeMode: 1
; LDSByteSize: 0 bytes/workgroup (compile time only)
; SGPRBlocks: 0
; VGPRBlocks: 0
; NumSGPRsForWavesPerEU: 1
; NumVGPRsForWavesPerEU: 1
; Occupancy: 16
; WaveLimiterHint : 0
; COMPUTE_PGM_RSRC2:SCRATCH_EN: 0
; COMPUTE_PGM_RSRC2:USER_SGPR: 6
; COMPUTE_PGM_RSRC2:TRAP_HANDLER: 0
; COMPUTE_PGM_RSRC2:TGID_X_EN: 1
; COMPUTE_PGM_RSRC2:TGID_Y_EN: 0
; COMPUTE_PGM_RSRC2:TGID_Z_EN: 0
; COMPUTE_PGM_RSRC2:TIDIG_COMP_CNT: 0
	.section	.text._ZN7rocprim17ROCPRIM_400000_NS6detail17trampoline_kernelINS0_14default_configENS1_25transform_config_selectorIfLb0EEEZNS1_14transform_implILb0ES3_S5_N6thrust23THRUST_200600_302600_NS6detail15normal_iteratorINS8_10device_ptrIfEEEEPfNS0_8identityIfEEEE10hipError_tT2_T3_mT4_P12ihipStream_tbEUlT_E_NS1_11comp_targetILNS1_3genE5ELNS1_11target_archE942ELNS1_3gpuE9ELNS1_3repE0EEENS1_30default_config_static_selectorELNS0_4arch9wavefront6targetE0EEEvT1_,"axG",@progbits,_ZN7rocprim17ROCPRIM_400000_NS6detail17trampoline_kernelINS0_14default_configENS1_25transform_config_selectorIfLb0EEEZNS1_14transform_implILb0ES3_S5_N6thrust23THRUST_200600_302600_NS6detail15normal_iteratorINS8_10device_ptrIfEEEEPfNS0_8identityIfEEEE10hipError_tT2_T3_mT4_P12ihipStream_tbEUlT_E_NS1_11comp_targetILNS1_3genE5ELNS1_11target_archE942ELNS1_3gpuE9ELNS1_3repE0EEENS1_30default_config_static_selectorELNS0_4arch9wavefront6targetE0EEEvT1_,comdat
	.protected	_ZN7rocprim17ROCPRIM_400000_NS6detail17trampoline_kernelINS0_14default_configENS1_25transform_config_selectorIfLb0EEEZNS1_14transform_implILb0ES3_S5_N6thrust23THRUST_200600_302600_NS6detail15normal_iteratorINS8_10device_ptrIfEEEEPfNS0_8identityIfEEEE10hipError_tT2_T3_mT4_P12ihipStream_tbEUlT_E_NS1_11comp_targetILNS1_3genE5ELNS1_11target_archE942ELNS1_3gpuE9ELNS1_3repE0EEENS1_30default_config_static_selectorELNS0_4arch9wavefront6targetE0EEEvT1_ ; -- Begin function _ZN7rocprim17ROCPRIM_400000_NS6detail17trampoline_kernelINS0_14default_configENS1_25transform_config_selectorIfLb0EEEZNS1_14transform_implILb0ES3_S5_N6thrust23THRUST_200600_302600_NS6detail15normal_iteratorINS8_10device_ptrIfEEEEPfNS0_8identityIfEEEE10hipError_tT2_T3_mT4_P12ihipStream_tbEUlT_E_NS1_11comp_targetILNS1_3genE5ELNS1_11target_archE942ELNS1_3gpuE9ELNS1_3repE0EEENS1_30default_config_static_selectorELNS0_4arch9wavefront6targetE0EEEvT1_
	.globl	_ZN7rocprim17ROCPRIM_400000_NS6detail17trampoline_kernelINS0_14default_configENS1_25transform_config_selectorIfLb0EEEZNS1_14transform_implILb0ES3_S5_N6thrust23THRUST_200600_302600_NS6detail15normal_iteratorINS8_10device_ptrIfEEEEPfNS0_8identityIfEEEE10hipError_tT2_T3_mT4_P12ihipStream_tbEUlT_E_NS1_11comp_targetILNS1_3genE5ELNS1_11target_archE942ELNS1_3gpuE9ELNS1_3repE0EEENS1_30default_config_static_selectorELNS0_4arch9wavefront6targetE0EEEvT1_
	.p2align	8
	.type	_ZN7rocprim17ROCPRIM_400000_NS6detail17trampoline_kernelINS0_14default_configENS1_25transform_config_selectorIfLb0EEEZNS1_14transform_implILb0ES3_S5_N6thrust23THRUST_200600_302600_NS6detail15normal_iteratorINS8_10device_ptrIfEEEEPfNS0_8identityIfEEEE10hipError_tT2_T3_mT4_P12ihipStream_tbEUlT_E_NS1_11comp_targetILNS1_3genE5ELNS1_11target_archE942ELNS1_3gpuE9ELNS1_3repE0EEENS1_30default_config_static_selectorELNS0_4arch9wavefront6targetE0EEEvT1_,@function
_ZN7rocprim17ROCPRIM_400000_NS6detail17trampoline_kernelINS0_14default_configENS1_25transform_config_selectorIfLb0EEEZNS1_14transform_implILb0ES3_S5_N6thrust23THRUST_200600_302600_NS6detail15normal_iteratorINS8_10device_ptrIfEEEEPfNS0_8identityIfEEEE10hipError_tT2_T3_mT4_P12ihipStream_tbEUlT_E_NS1_11comp_targetILNS1_3genE5ELNS1_11target_archE942ELNS1_3gpuE9ELNS1_3repE0EEENS1_30default_config_static_selectorELNS0_4arch9wavefront6targetE0EEEvT1_: ; @_ZN7rocprim17ROCPRIM_400000_NS6detail17trampoline_kernelINS0_14default_configENS1_25transform_config_selectorIfLb0EEEZNS1_14transform_implILb0ES3_S5_N6thrust23THRUST_200600_302600_NS6detail15normal_iteratorINS8_10device_ptrIfEEEEPfNS0_8identityIfEEEE10hipError_tT2_T3_mT4_P12ihipStream_tbEUlT_E_NS1_11comp_targetILNS1_3genE5ELNS1_11target_archE942ELNS1_3gpuE9ELNS1_3repE0EEENS1_30default_config_static_selectorELNS0_4arch9wavefront6targetE0EEEvT1_
; %bb.0:
	.section	.rodata,"a",@progbits
	.p2align	6, 0x0
	.amdhsa_kernel _ZN7rocprim17ROCPRIM_400000_NS6detail17trampoline_kernelINS0_14default_configENS1_25transform_config_selectorIfLb0EEEZNS1_14transform_implILb0ES3_S5_N6thrust23THRUST_200600_302600_NS6detail15normal_iteratorINS8_10device_ptrIfEEEEPfNS0_8identityIfEEEE10hipError_tT2_T3_mT4_P12ihipStream_tbEUlT_E_NS1_11comp_targetILNS1_3genE5ELNS1_11target_archE942ELNS1_3gpuE9ELNS1_3repE0EEENS1_30default_config_static_selectorELNS0_4arch9wavefront6targetE0EEEvT1_
		.amdhsa_group_segment_fixed_size 0
		.amdhsa_private_segment_fixed_size 0
		.amdhsa_kernarg_size 40
		.amdhsa_user_sgpr_count 6
		.amdhsa_user_sgpr_private_segment_buffer 1
		.amdhsa_user_sgpr_dispatch_ptr 0
		.amdhsa_user_sgpr_queue_ptr 0
		.amdhsa_user_sgpr_kernarg_segment_ptr 1
		.amdhsa_user_sgpr_dispatch_id 0
		.amdhsa_user_sgpr_flat_scratch_init 0
		.amdhsa_user_sgpr_private_segment_size 0
		.amdhsa_wavefront_size32 1
		.amdhsa_uses_dynamic_stack 0
		.amdhsa_system_sgpr_private_segment_wavefront_offset 0
		.amdhsa_system_sgpr_workgroup_id_x 1
		.amdhsa_system_sgpr_workgroup_id_y 0
		.amdhsa_system_sgpr_workgroup_id_z 0
		.amdhsa_system_sgpr_workgroup_info 0
		.amdhsa_system_vgpr_workitem_id 0
		.amdhsa_next_free_vgpr 1
		.amdhsa_next_free_sgpr 1
		.amdhsa_reserve_vcc 0
		.amdhsa_reserve_flat_scratch 0
		.amdhsa_float_round_mode_32 0
		.amdhsa_float_round_mode_16_64 0
		.amdhsa_float_denorm_mode_32 3
		.amdhsa_float_denorm_mode_16_64 3
		.amdhsa_dx10_clamp 1
		.amdhsa_ieee_mode 1
		.amdhsa_fp16_overflow 0
		.amdhsa_workgroup_processor_mode 1
		.amdhsa_memory_ordered 1
		.amdhsa_forward_progress 1
		.amdhsa_shared_vgpr_count 0
		.amdhsa_exception_fp_ieee_invalid_op 0
		.amdhsa_exception_fp_denorm_src 0
		.amdhsa_exception_fp_ieee_div_zero 0
		.amdhsa_exception_fp_ieee_overflow 0
		.amdhsa_exception_fp_ieee_underflow 0
		.amdhsa_exception_fp_ieee_inexact 0
		.amdhsa_exception_int_div_zero 0
	.end_amdhsa_kernel
	.section	.text._ZN7rocprim17ROCPRIM_400000_NS6detail17trampoline_kernelINS0_14default_configENS1_25transform_config_selectorIfLb0EEEZNS1_14transform_implILb0ES3_S5_N6thrust23THRUST_200600_302600_NS6detail15normal_iteratorINS8_10device_ptrIfEEEEPfNS0_8identityIfEEEE10hipError_tT2_T3_mT4_P12ihipStream_tbEUlT_E_NS1_11comp_targetILNS1_3genE5ELNS1_11target_archE942ELNS1_3gpuE9ELNS1_3repE0EEENS1_30default_config_static_selectorELNS0_4arch9wavefront6targetE0EEEvT1_,"axG",@progbits,_ZN7rocprim17ROCPRIM_400000_NS6detail17trampoline_kernelINS0_14default_configENS1_25transform_config_selectorIfLb0EEEZNS1_14transform_implILb0ES3_S5_N6thrust23THRUST_200600_302600_NS6detail15normal_iteratorINS8_10device_ptrIfEEEEPfNS0_8identityIfEEEE10hipError_tT2_T3_mT4_P12ihipStream_tbEUlT_E_NS1_11comp_targetILNS1_3genE5ELNS1_11target_archE942ELNS1_3gpuE9ELNS1_3repE0EEENS1_30default_config_static_selectorELNS0_4arch9wavefront6targetE0EEEvT1_,comdat
.Lfunc_end551:
	.size	_ZN7rocprim17ROCPRIM_400000_NS6detail17trampoline_kernelINS0_14default_configENS1_25transform_config_selectorIfLb0EEEZNS1_14transform_implILb0ES3_S5_N6thrust23THRUST_200600_302600_NS6detail15normal_iteratorINS8_10device_ptrIfEEEEPfNS0_8identityIfEEEE10hipError_tT2_T3_mT4_P12ihipStream_tbEUlT_E_NS1_11comp_targetILNS1_3genE5ELNS1_11target_archE942ELNS1_3gpuE9ELNS1_3repE0EEENS1_30default_config_static_selectorELNS0_4arch9wavefront6targetE0EEEvT1_, .Lfunc_end551-_ZN7rocprim17ROCPRIM_400000_NS6detail17trampoline_kernelINS0_14default_configENS1_25transform_config_selectorIfLb0EEEZNS1_14transform_implILb0ES3_S5_N6thrust23THRUST_200600_302600_NS6detail15normal_iteratorINS8_10device_ptrIfEEEEPfNS0_8identityIfEEEE10hipError_tT2_T3_mT4_P12ihipStream_tbEUlT_E_NS1_11comp_targetILNS1_3genE5ELNS1_11target_archE942ELNS1_3gpuE9ELNS1_3repE0EEENS1_30default_config_static_selectorELNS0_4arch9wavefront6targetE0EEEvT1_
                                        ; -- End function
	.set _ZN7rocprim17ROCPRIM_400000_NS6detail17trampoline_kernelINS0_14default_configENS1_25transform_config_selectorIfLb0EEEZNS1_14transform_implILb0ES3_S5_N6thrust23THRUST_200600_302600_NS6detail15normal_iteratorINS8_10device_ptrIfEEEEPfNS0_8identityIfEEEE10hipError_tT2_T3_mT4_P12ihipStream_tbEUlT_E_NS1_11comp_targetILNS1_3genE5ELNS1_11target_archE942ELNS1_3gpuE9ELNS1_3repE0EEENS1_30default_config_static_selectorELNS0_4arch9wavefront6targetE0EEEvT1_.num_vgpr, 0
	.set _ZN7rocprim17ROCPRIM_400000_NS6detail17trampoline_kernelINS0_14default_configENS1_25transform_config_selectorIfLb0EEEZNS1_14transform_implILb0ES3_S5_N6thrust23THRUST_200600_302600_NS6detail15normal_iteratorINS8_10device_ptrIfEEEEPfNS0_8identityIfEEEE10hipError_tT2_T3_mT4_P12ihipStream_tbEUlT_E_NS1_11comp_targetILNS1_3genE5ELNS1_11target_archE942ELNS1_3gpuE9ELNS1_3repE0EEENS1_30default_config_static_selectorELNS0_4arch9wavefront6targetE0EEEvT1_.num_agpr, 0
	.set _ZN7rocprim17ROCPRIM_400000_NS6detail17trampoline_kernelINS0_14default_configENS1_25transform_config_selectorIfLb0EEEZNS1_14transform_implILb0ES3_S5_N6thrust23THRUST_200600_302600_NS6detail15normal_iteratorINS8_10device_ptrIfEEEEPfNS0_8identityIfEEEE10hipError_tT2_T3_mT4_P12ihipStream_tbEUlT_E_NS1_11comp_targetILNS1_3genE5ELNS1_11target_archE942ELNS1_3gpuE9ELNS1_3repE0EEENS1_30default_config_static_selectorELNS0_4arch9wavefront6targetE0EEEvT1_.numbered_sgpr, 0
	.set _ZN7rocprim17ROCPRIM_400000_NS6detail17trampoline_kernelINS0_14default_configENS1_25transform_config_selectorIfLb0EEEZNS1_14transform_implILb0ES3_S5_N6thrust23THRUST_200600_302600_NS6detail15normal_iteratorINS8_10device_ptrIfEEEEPfNS0_8identityIfEEEE10hipError_tT2_T3_mT4_P12ihipStream_tbEUlT_E_NS1_11comp_targetILNS1_3genE5ELNS1_11target_archE942ELNS1_3gpuE9ELNS1_3repE0EEENS1_30default_config_static_selectorELNS0_4arch9wavefront6targetE0EEEvT1_.num_named_barrier, 0
	.set _ZN7rocprim17ROCPRIM_400000_NS6detail17trampoline_kernelINS0_14default_configENS1_25transform_config_selectorIfLb0EEEZNS1_14transform_implILb0ES3_S5_N6thrust23THRUST_200600_302600_NS6detail15normal_iteratorINS8_10device_ptrIfEEEEPfNS0_8identityIfEEEE10hipError_tT2_T3_mT4_P12ihipStream_tbEUlT_E_NS1_11comp_targetILNS1_3genE5ELNS1_11target_archE942ELNS1_3gpuE9ELNS1_3repE0EEENS1_30default_config_static_selectorELNS0_4arch9wavefront6targetE0EEEvT1_.private_seg_size, 0
	.set _ZN7rocprim17ROCPRIM_400000_NS6detail17trampoline_kernelINS0_14default_configENS1_25transform_config_selectorIfLb0EEEZNS1_14transform_implILb0ES3_S5_N6thrust23THRUST_200600_302600_NS6detail15normal_iteratorINS8_10device_ptrIfEEEEPfNS0_8identityIfEEEE10hipError_tT2_T3_mT4_P12ihipStream_tbEUlT_E_NS1_11comp_targetILNS1_3genE5ELNS1_11target_archE942ELNS1_3gpuE9ELNS1_3repE0EEENS1_30default_config_static_selectorELNS0_4arch9wavefront6targetE0EEEvT1_.uses_vcc, 0
	.set _ZN7rocprim17ROCPRIM_400000_NS6detail17trampoline_kernelINS0_14default_configENS1_25transform_config_selectorIfLb0EEEZNS1_14transform_implILb0ES3_S5_N6thrust23THRUST_200600_302600_NS6detail15normal_iteratorINS8_10device_ptrIfEEEEPfNS0_8identityIfEEEE10hipError_tT2_T3_mT4_P12ihipStream_tbEUlT_E_NS1_11comp_targetILNS1_3genE5ELNS1_11target_archE942ELNS1_3gpuE9ELNS1_3repE0EEENS1_30default_config_static_selectorELNS0_4arch9wavefront6targetE0EEEvT1_.uses_flat_scratch, 0
	.set _ZN7rocprim17ROCPRIM_400000_NS6detail17trampoline_kernelINS0_14default_configENS1_25transform_config_selectorIfLb0EEEZNS1_14transform_implILb0ES3_S5_N6thrust23THRUST_200600_302600_NS6detail15normal_iteratorINS8_10device_ptrIfEEEEPfNS0_8identityIfEEEE10hipError_tT2_T3_mT4_P12ihipStream_tbEUlT_E_NS1_11comp_targetILNS1_3genE5ELNS1_11target_archE942ELNS1_3gpuE9ELNS1_3repE0EEENS1_30default_config_static_selectorELNS0_4arch9wavefront6targetE0EEEvT1_.has_dyn_sized_stack, 0
	.set _ZN7rocprim17ROCPRIM_400000_NS6detail17trampoline_kernelINS0_14default_configENS1_25transform_config_selectorIfLb0EEEZNS1_14transform_implILb0ES3_S5_N6thrust23THRUST_200600_302600_NS6detail15normal_iteratorINS8_10device_ptrIfEEEEPfNS0_8identityIfEEEE10hipError_tT2_T3_mT4_P12ihipStream_tbEUlT_E_NS1_11comp_targetILNS1_3genE5ELNS1_11target_archE942ELNS1_3gpuE9ELNS1_3repE0EEENS1_30default_config_static_selectorELNS0_4arch9wavefront6targetE0EEEvT1_.has_recursion, 0
	.set _ZN7rocprim17ROCPRIM_400000_NS6detail17trampoline_kernelINS0_14default_configENS1_25transform_config_selectorIfLb0EEEZNS1_14transform_implILb0ES3_S5_N6thrust23THRUST_200600_302600_NS6detail15normal_iteratorINS8_10device_ptrIfEEEEPfNS0_8identityIfEEEE10hipError_tT2_T3_mT4_P12ihipStream_tbEUlT_E_NS1_11comp_targetILNS1_3genE5ELNS1_11target_archE942ELNS1_3gpuE9ELNS1_3repE0EEENS1_30default_config_static_selectorELNS0_4arch9wavefront6targetE0EEEvT1_.has_indirect_call, 0
	.section	.AMDGPU.csdata,"",@progbits
; Kernel info:
; codeLenInByte = 0
; TotalNumSgprs: 0
; NumVgprs: 0
; ScratchSize: 0
; MemoryBound: 0
; FloatMode: 240
; IeeeMode: 1
; LDSByteSize: 0 bytes/workgroup (compile time only)
; SGPRBlocks: 0
; VGPRBlocks: 0
; NumSGPRsForWavesPerEU: 1
; NumVGPRsForWavesPerEU: 1
; Occupancy: 16
; WaveLimiterHint : 0
; COMPUTE_PGM_RSRC2:SCRATCH_EN: 0
; COMPUTE_PGM_RSRC2:USER_SGPR: 6
; COMPUTE_PGM_RSRC2:TRAP_HANDLER: 0
; COMPUTE_PGM_RSRC2:TGID_X_EN: 1
; COMPUTE_PGM_RSRC2:TGID_Y_EN: 0
; COMPUTE_PGM_RSRC2:TGID_Z_EN: 0
; COMPUTE_PGM_RSRC2:TIDIG_COMP_CNT: 0
	.section	.text._ZN7rocprim17ROCPRIM_400000_NS6detail17trampoline_kernelINS0_14default_configENS1_25transform_config_selectorIfLb0EEEZNS1_14transform_implILb0ES3_S5_N6thrust23THRUST_200600_302600_NS6detail15normal_iteratorINS8_10device_ptrIfEEEEPfNS0_8identityIfEEEE10hipError_tT2_T3_mT4_P12ihipStream_tbEUlT_E_NS1_11comp_targetILNS1_3genE4ELNS1_11target_archE910ELNS1_3gpuE8ELNS1_3repE0EEENS1_30default_config_static_selectorELNS0_4arch9wavefront6targetE0EEEvT1_,"axG",@progbits,_ZN7rocprim17ROCPRIM_400000_NS6detail17trampoline_kernelINS0_14default_configENS1_25transform_config_selectorIfLb0EEEZNS1_14transform_implILb0ES3_S5_N6thrust23THRUST_200600_302600_NS6detail15normal_iteratorINS8_10device_ptrIfEEEEPfNS0_8identityIfEEEE10hipError_tT2_T3_mT4_P12ihipStream_tbEUlT_E_NS1_11comp_targetILNS1_3genE4ELNS1_11target_archE910ELNS1_3gpuE8ELNS1_3repE0EEENS1_30default_config_static_selectorELNS0_4arch9wavefront6targetE0EEEvT1_,comdat
	.protected	_ZN7rocprim17ROCPRIM_400000_NS6detail17trampoline_kernelINS0_14default_configENS1_25transform_config_selectorIfLb0EEEZNS1_14transform_implILb0ES3_S5_N6thrust23THRUST_200600_302600_NS6detail15normal_iteratorINS8_10device_ptrIfEEEEPfNS0_8identityIfEEEE10hipError_tT2_T3_mT4_P12ihipStream_tbEUlT_E_NS1_11comp_targetILNS1_3genE4ELNS1_11target_archE910ELNS1_3gpuE8ELNS1_3repE0EEENS1_30default_config_static_selectorELNS0_4arch9wavefront6targetE0EEEvT1_ ; -- Begin function _ZN7rocprim17ROCPRIM_400000_NS6detail17trampoline_kernelINS0_14default_configENS1_25transform_config_selectorIfLb0EEEZNS1_14transform_implILb0ES3_S5_N6thrust23THRUST_200600_302600_NS6detail15normal_iteratorINS8_10device_ptrIfEEEEPfNS0_8identityIfEEEE10hipError_tT2_T3_mT4_P12ihipStream_tbEUlT_E_NS1_11comp_targetILNS1_3genE4ELNS1_11target_archE910ELNS1_3gpuE8ELNS1_3repE0EEENS1_30default_config_static_selectorELNS0_4arch9wavefront6targetE0EEEvT1_
	.globl	_ZN7rocprim17ROCPRIM_400000_NS6detail17trampoline_kernelINS0_14default_configENS1_25transform_config_selectorIfLb0EEEZNS1_14transform_implILb0ES3_S5_N6thrust23THRUST_200600_302600_NS6detail15normal_iteratorINS8_10device_ptrIfEEEEPfNS0_8identityIfEEEE10hipError_tT2_T3_mT4_P12ihipStream_tbEUlT_E_NS1_11comp_targetILNS1_3genE4ELNS1_11target_archE910ELNS1_3gpuE8ELNS1_3repE0EEENS1_30default_config_static_selectorELNS0_4arch9wavefront6targetE0EEEvT1_
	.p2align	8
	.type	_ZN7rocprim17ROCPRIM_400000_NS6detail17trampoline_kernelINS0_14default_configENS1_25transform_config_selectorIfLb0EEEZNS1_14transform_implILb0ES3_S5_N6thrust23THRUST_200600_302600_NS6detail15normal_iteratorINS8_10device_ptrIfEEEEPfNS0_8identityIfEEEE10hipError_tT2_T3_mT4_P12ihipStream_tbEUlT_E_NS1_11comp_targetILNS1_3genE4ELNS1_11target_archE910ELNS1_3gpuE8ELNS1_3repE0EEENS1_30default_config_static_selectorELNS0_4arch9wavefront6targetE0EEEvT1_,@function
_ZN7rocprim17ROCPRIM_400000_NS6detail17trampoline_kernelINS0_14default_configENS1_25transform_config_selectorIfLb0EEEZNS1_14transform_implILb0ES3_S5_N6thrust23THRUST_200600_302600_NS6detail15normal_iteratorINS8_10device_ptrIfEEEEPfNS0_8identityIfEEEE10hipError_tT2_T3_mT4_P12ihipStream_tbEUlT_E_NS1_11comp_targetILNS1_3genE4ELNS1_11target_archE910ELNS1_3gpuE8ELNS1_3repE0EEENS1_30default_config_static_selectorELNS0_4arch9wavefront6targetE0EEEvT1_: ; @_ZN7rocprim17ROCPRIM_400000_NS6detail17trampoline_kernelINS0_14default_configENS1_25transform_config_selectorIfLb0EEEZNS1_14transform_implILb0ES3_S5_N6thrust23THRUST_200600_302600_NS6detail15normal_iteratorINS8_10device_ptrIfEEEEPfNS0_8identityIfEEEE10hipError_tT2_T3_mT4_P12ihipStream_tbEUlT_E_NS1_11comp_targetILNS1_3genE4ELNS1_11target_archE910ELNS1_3gpuE8ELNS1_3repE0EEENS1_30default_config_static_selectorELNS0_4arch9wavefront6targetE0EEEvT1_
; %bb.0:
	.section	.rodata,"a",@progbits
	.p2align	6, 0x0
	.amdhsa_kernel _ZN7rocprim17ROCPRIM_400000_NS6detail17trampoline_kernelINS0_14default_configENS1_25transform_config_selectorIfLb0EEEZNS1_14transform_implILb0ES3_S5_N6thrust23THRUST_200600_302600_NS6detail15normal_iteratorINS8_10device_ptrIfEEEEPfNS0_8identityIfEEEE10hipError_tT2_T3_mT4_P12ihipStream_tbEUlT_E_NS1_11comp_targetILNS1_3genE4ELNS1_11target_archE910ELNS1_3gpuE8ELNS1_3repE0EEENS1_30default_config_static_selectorELNS0_4arch9wavefront6targetE0EEEvT1_
		.amdhsa_group_segment_fixed_size 0
		.amdhsa_private_segment_fixed_size 0
		.amdhsa_kernarg_size 40
		.amdhsa_user_sgpr_count 6
		.amdhsa_user_sgpr_private_segment_buffer 1
		.amdhsa_user_sgpr_dispatch_ptr 0
		.amdhsa_user_sgpr_queue_ptr 0
		.amdhsa_user_sgpr_kernarg_segment_ptr 1
		.amdhsa_user_sgpr_dispatch_id 0
		.amdhsa_user_sgpr_flat_scratch_init 0
		.amdhsa_user_sgpr_private_segment_size 0
		.amdhsa_wavefront_size32 1
		.amdhsa_uses_dynamic_stack 0
		.amdhsa_system_sgpr_private_segment_wavefront_offset 0
		.amdhsa_system_sgpr_workgroup_id_x 1
		.amdhsa_system_sgpr_workgroup_id_y 0
		.amdhsa_system_sgpr_workgroup_id_z 0
		.amdhsa_system_sgpr_workgroup_info 0
		.amdhsa_system_vgpr_workitem_id 0
		.amdhsa_next_free_vgpr 1
		.amdhsa_next_free_sgpr 1
		.amdhsa_reserve_vcc 0
		.amdhsa_reserve_flat_scratch 0
		.amdhsa_float_round_mode_32 0
		.amdhsa_float_round_mode_16_64 0
		.amdhsa_float_denorm_mode_32 3
		.amdhsa_float_denorm_mode_16_64 3
		.amdhsa_dx10_clamp 1
		.amdhsa_ieee_mode 1
		.amdhsa_fp16_overflow 0
		.amdhsa_workgroup_processor_mode 1
		.amdhsa_memory_ordered 1
		.amdhsa_forward_progress 1
		.amdhsa_shared_vgpr_count 0
		.amdhsa_exception_fp_ieee_invalid_op 0
		.amdhsa_exception_fp_denorm_src 0
		.amdhsa_exception_fp_ieee_div_zero 0
		.amdhsa_exception_fp_ieee_overflow 0
		.amdhsa_exception_fp_ieee_underflow 0
		.amdhsa_exception_fp_ieee_inexact 0
		.amdhsa_exception_int_div_zero 0
	.end_amdhsa_kernel
	.section	.text._ZN7rocprim17ROCPRIM_400000_NS6detail17trampoline_kernelINS0_14default_configENS1_25transform_config_selectorIfLb0EEEZNS1_14transform_implILb0ES3_S5_N6thrust23THRUST_200600_302600_NS6detail15normal_iteratorINS8_10device_ptrIfEEEEPfNS0_8identityIfEEEE10hipError_tT2_T3_mT4_P12ihipStream_tbEUlT_E_NS1_11comp_targetILNS1_3genE4ELNS1_11target_archE910ELNS1_3gpuE8ELNS1_3repE0EEENS1_30default_config_static_selectorELNS0_4arch9wavefront6targetE0EEEvT1_,"axG",@progbits,_ZN7rocprim17ROCPRIM_400000_NS6detail17trampoline_kernelINS0_14default_configENS1_25transform_config_selectorIfLb0EEEZNS1_14transform_implILb0ES3_S5_N6thrust23THRUST_200600_302600_NS6detail15normal_iteratorINS8_10device_ptrIfEEEEPfNS0_8identityIfEEEE10hipError_tT2_T3_mT4_P12ihipStream_tbEUlT_E_NS1_11comp_targetILNS1_3genE4ELNS1_11target_archE910ELNS1_3gpuE8ELNS1_3repE0EEENS1_30default_config_static_selectorELNS0_4arch9wavefront6targetE0EEEvT1_,comdat
.Lfunc_end552:
	.size	_ZN7rocprim17ROCPRIM_400000_NS6detail17trampoline_kernelINS0_14default_configENS1_25transform_config_selectorIfLb0EEEZNS1_14transform_implILb0ES3_S5_N6thrust23THRUST_200600_302600_NS6detail15normal_iteratorINS8_10device_ptrIfEEEEPfNS0_8identityIfEEEE10hipError_tT2_T3_mT4_P12ihipStream_tbEUlT_E_NS1_11comp_targetILNS1_3genE4ELNS1_11target_archE910ELNS1_3gpuE8ELNS1_3repE0EEENS1_30default_config_static_selectorELNS0_4arch9wavefront6targetE0EEEvT1_, .Lfunc_end552-_ZN7rocprim17ROCPRIM_400000_NS6detail17trampoline_kernelINS0_14default_configENS1_25transform_config_selectorIfLb0EEEZNS1_14transform_implILb0ES3_S5_N6thrust23THRUST_200600_302600_NS6detail15normal_iteratorINS8_10device_ptrIfEEEEPfNS0_8identityIfEEEE10hipError_tT2_T3_mT4_P12ihipStream_tbEUlT_E_NS1_11comp_targetILNS1_3genE4ELNS1_11target_archE910ELNS1_3gpuE8ELNS1_3repE0EEENS1_30default_config_static_selectorELNS0_4arch9wavefront6targetE0EEEvT1_
                                        ; -- End function
	.set _ZN7rocprim17ROCPRIM_400000_NS6detail17trampoline_kernelINS0_14default_configENS1_25transform_config_selectorIfLb0EEEZNS1_14transform_implILb0ES3_S5_N6thrust23THRUST_200600_302600_NS6detail15normal_iteratorINS8_10device_ptrIfEEEEPfNS0_8identityIfEEEE10hipError_tT2_T3_mT4_P12ihipStream_tbEUlT_E_NS1_11comp_targetILNS1_3genE4ELNS1_11target_archE910ELNS1_3gpuE8ELNS1_3repE0EEENS1_30default_config_static_selectorELNS0_4arch9wavefront6targetE0EEEvT1_.num_vgpr, 0
	.set _ZN7rocprim17ROCPRIM_400000_NS6detail17trampoline_kernelINS0_14default_configENS1_25transform_config_selectorIfLb0EEEZNS1_14transform_implILb0ES3_S5_N6thrust23THRUST_200600_302600_NS6detail15normal_iteratorINS8_10device_ptrIfEEEEPfNS0_8identityIfEEEE10hipError_tT2_T3_mT4_P12ihipStream_tbEUlT_E_NS1_11comp_targetILNS1_3genE4ELNS1_11target_archE910ELNS1_3gpuE8ELNS1_3repE0EEENS1_30default_config_static_selectorELNS0_4arch9wavefront6targetE0EEEvT1_.num_agpr, 0
	.set _ZN7rocprim17ROCPRIM_400000_NS6detail17trampoline_kernelINS0_14default_configENS1_25transform_config_selectorIfLb0EEEZNS1_14transform_implILb0ES3_S5_N6thrust23THRUST_200600_302600_NS6detail15normal_iteratorINS8_10device_ptrIfEEEEPfNS0_8identityIfEEEE10hipError_tT2_T3_mT4_P12ihipStream_tbEUlT_E_NS1_11comp_targetILNS1_3genE4ELNS1_11target_archE910ELNS1_3gpuE8ELNS1_3repE0EEENS1_30default_config_static_selectorELNS0_4arch9wavefront6targetE0EEEvT1_.numbered_sgpr, 0
	.set _ZN7rocprim17ROCPRIM_400000_NS6detail17trampoline_kernelINS0_14default_configENS1_25transform_config_selectorIfLb0EEEZNS1_14transform_implILb0ES3_S5_N6thrust23THRUST_200600_302600_NS6detail15normal_iteratorINS8_10device_ptrIfEEEEPfNS0_8identityIfEEEE10hipError_tT2_T3_mT4_P12ihipStream_tbEUlT_E_NS1_11comp_targetILNS1_3genE4ELNS1_11target_archE910ELNS1_3gpuE8ELNS1_3repE0EEENS1_30default_config_static_selectorELNS0_4arch9wavefront6targetE0EEEvT1_.num_named_barrier, 0
	.set _ZN7rocprim17ROCPRIM_400000_NS6detail17trampoline_kernelINS0_14default_configENS1_25transform_config_selectorIfLb0EEEZNS1_14transform_implILb0ES3_S5_N6thrust23THRUST_200600_302600_NS6detail15normal_iteratorINS8_10device_ptrIfEEEEPfNS0_8identityIfEEEE10hipError_tT2_T3_mT4_P12ihipStream_tbEUlT_E_NS1_11comp_targetILNS1_3genE4ELNS1_11target_archE910ELNS1_3gpuE8ELNS1_3repE0EEENS1_30default_config_static_selectorELNS0_4arch9wavefront6targetE0EEEvT1_.private_seg_size, 0
	.set _ZN7rocprim17ROCPRIM_400000_NS6detail17trampoline_kernelINS0_14default_configENS1_25transform_config_selectorIfLb0EEEZNS1_14transform_implILb0ES3_S5_N6thrust23THRUST_200600_302600_NS6detail15normal_iteratorINS8_10device_ptrIfEEEEPfNS0_8identityIfEEEE10hipError_tT2_T3_mT4_P12ihipStream_tbEUlT_E_NS1_11comp_targetILNS1_3genE4ELNS1_11target_archE910ELNS1_3gpuE8ELNS1_3repE0EEENS1_30default_config_static_selectorELNS0_4arch9wavefront6targetE0EEEvT1_.uses_vcc, 0
	.set _ZN7rocprim17ROCPRIM_400000_NS6detail17trampoline_kernelINS0_14default_configENS1_25transform_config_selectorIfLb0EEEZNS1_14transform_implILb0ES3_S5_N6thrust23THRUST_200600_302600_NS6detail15normal_iteratorINS8_10device_ptrIfEEEEPfNS0_8identityIfEEEE10hipError_tT2_T3_mT4_P12ihipStream_tbEUlT_E_NS1_11comp_targetILNS1_3genE4ELNS1_11target_archE910ELNS1_3gpuE8ELNS1_3repE0EEENS1_30default_config_static_selectorELNS0_4arch9wavefront6targetE0EEEvT1_.uses_flat_scratch, 0
	.set _ZN7rocprim17ROCPRIM_400000_NS6detail17trampoline_kernelINS0_14default_configENS1_25transform_config_selectorIfLb0EEEZNS1_14transform_implILb0ES3_S5_N6thrust23THRUST_200600_302600_NS6detail15normal_iteratorINS8_10device_ptrIfEEEEPfNS0_8identityIfEEEE10hipError_tT2_T3_mT4_P12ihipStream_tbEUlT_E_NS1_11comp_targetILNS1_3genE4ELNS1_11target_archE910ELNS1_3gpuE8ELNS1_3repE0EEENS1_30default_config_static_selectorELNS0_4arch9wavefront6targetE0EEEvT1_.has_dyn_sized_stack, 0
	.set _ZN7rocprim17ROCPRIM_400000_NS6detail17trampoline_kernelINS0_14default_configENS1_25transform_config_selectorIfLb0EEEZNS1_14transform_implILb0ES3_S5_N6thrust23THRUST_200600_302600_NS6detail15normal_iteratorINS8_10device_ptrIfEEEEPfNS0_8identityIfEEEE10hipError_tT2_T3_mT4_P12ihipStream_tbEUlT_E_NS1_11comp_targetILNS1_3genE4ELNS1_11target_archE910ELNS1_3gpuE8ELNS1_3repE0EEENS1_30default_config_static_selectorELNS0_4arch9wavefront6targetE0EEEvT1_.has_recursion, 0
	.set _ZN7rocprim17ROCPRIM_400000_NS6detail17trampoline_kernelINS0_14default_configENS1_25transform_config_selectorIfLb0EEEZNS1_14transform_implILb0ES3_S5_N6thrust23THRUST_200600_302600_NS6detail15normal_iteratorINS8_10device_ptrIfEEEEPfNS0_8identityIfEEEE10hipError_tT2_T3_mT4_P12ihipStream_tbEUlT_E_NS1_11comp_targetILNS1_3genE4ELNS1_11target_archE910ELNS1_3gpuE8ELNS1_3repE0EEENS1_30default_config_static_selectorELNS0_4arch9wavefront6targetE0EEEvT1_.has_indirect_call, 0
	.section	.AMDGPU.csdata,"",@progbits
; Kernel info:
; codeLenInByte = 0
; TotalNumSgprs: 0
; NumVgprs: 0
; ScratchSize: 0
; MemoryBound: 0
; FloatMode: 240
; IeeeMode: 1
; LDSByteSize: 0 bytes/workgroup (compile time only)
; SGPRBlocks: 0
; VGPRBlocks: 0
; NumSGPRsForWavesPerEU: 1
; NumVGPRsForWavesPerEU: 1
; Occupancy: 16
; WaveLimiterHint : 0
; COMPUTE_PGM_RSRC2:SCRATCH_EN: 0
; COMPUTE_PGM_RSRC2:USER_SGPR: 6
; COMPUTE_PGM_RSRC2:TRAP_HANDLER: 0
; COMPUTE_PGM_RSRC2:TGID_X_EN: 1
; COMPUTE_PGM_RSRC2:TGID_Y_EN: 0
; COMPUTE_PGM_RSRC2:TGID_Z_EN: 0
; COMPUTE_PGM_RSRC2:TIDIG_COMP_CNT: 0
	.section	.text._ZN7rocprim17ROCPRIM_400000_NS6detail17trampoline_kernelINS0_14default_configENS1_25transform_config_selectorIfLb0EEEZNS1_14transform_implILb0ES3_S5_N6thrust23THRUST_200600_302600_NS6detail15normal_iteratorINS8_10device_ptrIfEEEEPfNS0_8identityIfEEEE10hipError_tT2_T3_mT4_P12ihipStream_tbEUlT_E_NS1_11comp_targetILNS1_3genE3ELNS1_11target_archE908ELNS1_3gpuE7ELNS1_3repE0EEENS1_30default_config_static_selectorELNS0_4arch9wavefront6targetE0EEEvT1_,"axG",@progbits,_ZN7rocprim17ROCPRIM_400000_NS6detail17trampoline_kernelINS0_14default_configENS1_25transform_config_selectorIfLb0EEEZNS1_14transform_implILb0ES3_S5_N6thrust23THRUST_200600_302600_NS6detail15normal_iteratorINS8_10device_ptrIfEEEEPfNS0_8identityIfEEEE10hipError_tT2_T3_mT4_P12ihipStream_tbEUlT_E_NS1_11comp_targetILNS1_3genE3ELNS1_11target_archE908ELNS1_3gpuE7ELNS1_3repE0EEENS1_30default_config_static_selectorELNS0_4arch9wavefront6targetE0EEEvT1_,comdat
	.protected	_ZN7rocprim17ROCPRIM_400000_NS6detail17trampoline_kernelINS0_14default_configENS1_25transform_config_selectorIfLb0EEEZNS1_14transform_implILb0ES3_S5_N6thrust23THRUST_200600_302600_NS6detail15normal_iteratorINS8_10device_ptrIfEEEEPfNS0_8identityIfEEEE10hipError_tT2_T3_mT4_P12ihipStream_tbEUlT_E_NS1_11comp_targetILNS1_3genE3ELNS1_11target_archE908ELNS1_3gpuE7ELNS1_3repE0EEENS1_30default_config_static_selectorELNS0_4arch9wavefront6targetE0EEEvT1_ ; -- Begin function _ZN7rocprim17ROCPRIM_400000_NS6detail17trampoline_kernelINS0_14default_configENS1_25transform_config_selectorIfLb0EEEZNS1_14transform_implILb0ES3_S5_N6thrust23THRUST_200600_302600_NS6detail15normal_iteratorINS8_10device_ptrIfEEEEPfNS0_8identityIfEEEE10hipError_tT2_T3_mT4_P12ihipStream_tbEUlT_E_NS1_11comp_targetILNS1_3genE3ELNS1_11target_archE908ELNS1_3gpuE7ELNS1_3repE0EEENS1_30default_config_static_selectorELNS0_4arch9wavefront6targetE0EEEvT1_
	.globl	_ZN7rocprim17ROCPRIM_400000_NS6detail17trampoline_kernelINS0_14default_configENS1_25transform_config_selectorIfLb0EEEZNS1_14transform_implILb0ES3_S5_N6thrust23THRUST_200600_302600_NS6detail15normal_iteratorINS8_10device_ptrIfEEEEPfNS0_8identityIfEEEE10hipError_tT2_T3_mT4_P12ihipStream_tbEUlT_E_NS1_11comp_targetILNS1_3genE3ELNS1_11target_archE908ELNS1_3gpuE7ELNS1_3repE0EEENS1_30default_config_static_selectorELNS0_4arch9wavefront6targetE0EEEvT1_
	.p2align	8
	.type	_ZN7rocprim17ROCPRIM_400000_NS6detail17trampoline_kernelINS0_14default_configENS1_25transform_config_selectorIfLb0EEEZNS1_14transform_implILb0ES3_S5_N6thrust23THRUST_200600_302600_NS6detail15normal_iteratorINS8_10device_ptrIfEEEEPfNS0_8identityIfEEEE10hipError_tT2_T3_mT4_P12ihipStream_tbEUlT_E_NS1_11comp_targetILNS1_3genE3ELNS1_11target_archE908ELNS1_3gpuE7ELNS1_3repE0EEENS1_30default_config_static_selectorELNS0_4arch9wavefront6targetE0EEEvT1_,@function
_ZN7rocprim17ROCPRIM_400000_NS6detail17trampoline_kernelINS0_14default_configENS1_25transform_config_selectorIfLb0EEEZNS1_14transform_implILb0ES3_S5_N6thrust23THRUST_200600_302600_NS6detail15normal_iteratorINS8_10device_ptrIfEEEEPfNS0_8identityIfEEEE10hipError_tT2_T3_mT4_P12ihipStream_tbEUlT_E_NS1_11comp_targetILNS1_3genE3ELNS1_11target_archE908ELNS1_3gpuE7ELNS1_3repE0EEENS1_30default_config_static_selectorELNS0_4arch9wavefront6targetE0EEEvT1_: ; @_ZN7rocprim17ROCPRIM_400000_NS6detail17trampoline_kernelINS0_14default_configENS1_25transform_config_selectorIfLb0EEEZNS1_14transform_implILb0ES3_S5_N6thrust23THRUST_200600_302600_NS6detail15normal_iteratorINS8_10device_ptrIfEEEEPfNS0_8identityIfEEEE10hipError_tT2_T3_mT4_P12ihipStream_tbEUlT_E_NS1_11comp_targetILNS1_3genE3ELNS1_11target_archE908ELNS1_3gpuE7ELNS1_3repE0EEENS1_30default_config_static_selectorELNS0_4arch9wavefront6targetE0EEEvT1_
; %bb.0:
	.section	.rodata,"a",@progbits
	.p2align	6, 0x0
	.amdhsa_kernel _ZN7rocprim17ROCPRIM_400000_NS6detail17trampoline_kernelINS0_14default_configENS1_25transform_config_selectorIfLb0EEEZNS1_14transform_implILb0ES3_S5_N6thrust23THRUST_200600_302600_NS6detail15normal_iteratorINS8_10device_ptrIfEEEEPfNS0_8identityIfEEEE10hipError_tT2_T3_mT4_P12ihipStream_tbEUlT_E_NS1_11comp_targetILNS1_3genE3ELNS1_11target_archE908ELNS1_3gpuE7ELNS1_3repE0EEENS1_30default_config_static_selectorELNS0_4arch9wavefront6targetE0EEEvT1_
		.amdhsa_group_segment_fixed_size 0
		.amdhsa_private_segment_fixed_size 0
		.amdhsa_kernarg_size 40
		.amdhsa_user_sgpr_count 6
		.amdhsa_user_sgpr_private_segment_buffer 1
		.amdhsa_user_sgpr_dispatch_ptr 0
		.amdhsa_user_sgpr_queue_ptr 0
		.amdhsa_user_sgpr_kernarg_segment_ptr 1
		.amdhsa_user_sgpr_dispatch_id 0
		.amdhsa_user_sgpr_flat_scratch_init 0
		.amdhsa_user_sgpr_private_segment_size 0
		.amdhsa_wavefront_size32 1
		.amdhsa_uses_dynamic_stack 0
		.amdhsa_system_sgpr_private_segment_wavefront_offset 0
		.amdhsa_system_sgpr_workgroup_id_x 1
		.amdhsa_system_sgpr_workgroup_id_y 0
		.amdhsa_system_sgpr_workgroup_id_z 0
		.amdhsa_system_sgpr_workgroup_info 0
		.amdhsa_system_vgpr_workitem_id 0
		.amdhsa_next_free_vgpr 1
		.amdhsa_next_free_sgpr 1
		.amdhsa_reserve_vcc 0
		.amdhsa_reserve_flat_scratch 0
		.amdhsa_float_round_mode_32 0
		.amdhsa_float_round_mode_16_64 0
		.amdhsa_float_denorm_mode_32 3
		.amdhsa_float_denorm_mode_16_64 3
		.amdhsa_dx10_clamp 1
		.amdhsa_ieee_mode 1
		.amdhsa_fp16_overflow 0
		.amdhsa_workgroup_processor_mode 1
		.amdhsa_memory_ordered 1
		.amdhsa_forward_progress 1
		.amdhsa_shared_vgpr_count 0
		.amdhsa_exception_fp_ieee_invalid_op 0
		.amdhsa_exception_fp_denorm_src 0
		.amdhsa_exception_fp_ieee_div_zero 0
		.amdhsa_exception_fp_ieee_overflow 0
		.amdhsa_exception_fp_ieee_underflow 0
		.amdhsa_exception_fp_ieee_inexact 0
		.amdhsa_exception_int_div_zero 0
	.end_amdhsa_kernel
	.section	.text._ZN7rocprim17ROCPRIM_400000_NS6detail17trampoline_kernelINS0_14default_configENS1_25transform_config_selectorIfLb0EEEZNS1_14transform_implILb0ES3_S5_N6thrust23THRUST_200600_302600_NS6detail15normal_iteratorINS8_10device_ptrIfEEEEPfNS0_8identityIfEEEE10hipError_tT2_T3_mT4_P12ihipStream_tbEUlT_E_NS1_11comp_targetILNS1_3genE3ELNS1_11target_archE908ELNS1_3gpuE7ELNS1_3repE0EEENS1_30default_config_static_selectorELNS0_4arch9wavefront6targetE0EEEvT1_,"axG",@progbits,_ZN7rocprim17ROCPRIM_400000_NS6detail17trampoline_kernelINS0_14default_configENS1_25transform_config_selectorIfLb0EEEZNS1_14transform_implILb0ES3_S5_N6thrust23THRUST_200600_302600_NS6detail15normal_iteratorINS8_10device_ptrIfEEEEPfNS0_8identityIfEEEE10hipError_tT2_T3_mT4_P12ihipStream_tbEUlT_E_NS1_11comp_targetILNS1_3genE3ELNS1_11target_archE908ELNS1_3gpuE7ELNS1_3repE0EEENS1_30default_config_static_selectorELNS0_4arch9wavefront6targetE0EEEvT1_,comdat
.Lfunc_end553:
	.size	_ZN7rocprim17ROCPRIM_400000_NS6detail17trampoline_kernelINS0_14default_configENS1_25transform_config_selectorIfLb0EEEZNS1_14transform_implILb0ES3_S5_N6thrust23THRUST_200600_302600_NS6detail15normal_iteratorINS8_10device_ptrIfEEEEPfNS0_8identityIfEEEE10hipError_tT2_T3_mT4_P12ihipStream_tbEUlT_E_NS1_11comp_targetILNS1_3genE3ELNS1_11target_archE908ELNS1_3gpuE7ELNS1_3repE0EEENS1_30default_config_static_selectorELNS0_4arch9wavefront6targetE0EEEvT1_, .Lfunc_end553-_ZN7rocprim17ROCPRIM_400000_NS6detail17trampoline_kernelINS0_14default_configENS1_25transform_config_selectorIfLb0EEEZNS1_14transform_implILb0ES3_S5_N6thrust23THRUST_200600_302600_NS6detail15normal_iteratorINS8_10device_ptrIfEEEEPfNS0_8identityIfEEEE10hipError_tT2_T3_mT4_P12ihipStream_tbEUlT_E_NS1_11comp_targetILNS1_3genE3ELNS1_11target_archE908ELNS1_3gpuE7ELNS1_3repE0EEENS1_30default_config_static_selectorELNS0_4arch9wavefront6targetE0EEEvT1_
                                        ; -- End function
	.set _ZN7rocprim17ROCPRIM_400000_NS6detail17trampoline_kernelINS0_14default_configENS1_25transform_config_selectorIfLb0EEEZNS1_14transform_implILb0ES3_S5_N6thrust23THRUST_200600_302600_NS6detail15normal_iteratorINS8_10device_ptrIfEEEEPfNS0_8identityIfEEEE10hipError_tT2_T3_mT4_P12ihipStream_tbEUlT_E_NS1_11comp_targetILNS1_3genE3ELNS1_11target_archE908ELNS1_3gpuE7ELNS1_3repE0EEENS1_30default_config_static_selectorELNS0_4arch9wavefront6targetE0EEEvT1_.num_vgpr, 0
	.set _ZN7rocprim17ROCPRIM_400000_NS6detail17trampoline_kernelINS0_14default_configENS1_25transform_config_selectorIfLb0EEEZNS1_14transform_implILb0ES3_S5_N6thrust23THRUST_200600_302600_NS6detail15normal_iteratorINS8_10device_ptrIfEEEEPfNS0_8identityIfEEEE10hipError_tT2_T3_mT4_P12ihipStream_tbEUlT_E_NS1_11comp_targetILNS1_3genE3ELNS1_11target_archE908ELNS1_3gpuE7ELNS1_3repE0EEENS1_30default_config_static_selectorELNS0_4arch9wavefront6targetE0EEEvT1_.num_agpr, 0
	.set _ZN7rocprim17ROCPRIM_400000_NS6detail17trampoline_kernelINS0_14default_configENS1_25transform_config_selectorIfLb0EEEZNS1_14transform_implILb0ES3_S5_N6thrust23THRUST_200600_302600_NS6detail15normal_iteratorINS8_10device_ptrIfEEEEPfNS0_8identityIfEEEE10hipError_tT2_T3_mT4_P12ihipStream_tbEUlT_E_NS1_11comp_targetILNS1_3genE3ELNS1_11target_archE908ELNS1_3gpuE7ELNS1_3repE0EEENS1_30default_config_static_selectorELNS0_4arch9wavefront6targetE0EEEvT1_.numbered_sgpr, 0
	.set _ZN7rocprim17ROCPRIM_400000_NS6detail17trampoline_kernelINS0_14default_configENS1_25transform_config_selectorIfLb0EEEZNS1_14transform_implILb0ES3_S5_N6thrust23THRUST_200600_302600_NS6detail15normal_iteratorINS8_10device_ptrIfEEEEPfNS0_8identityIfEEEE10hipError_tT2_T3_mT4_P12ihipStream_tbEUlT_E_NS1_11comp_targetILNS1_3genE3ELNS1_11target_archE908ELNS1_3gpuE7ELNS1_3repE0EEENS1_30default_config_static_selectorELNS0_4arch9wavefront6targetE0EEEvT1_.num_named_barrier, 0
	.set _ZN7rocprim17ROCPRIM_400000_NS6detail17trampoline_kernelINS0_14default_configENS1_25transform_config_selectorIfLb0EEEZNS1_14transform_implILb0ES3_S5_N6thrust23THRUST_200600_302600_NS6detail15normal_iteratorINS8_10device_ptrIfEEEEPfNS0_8identityIfEEEE10hipError_tT2_T3_mT4_P12ihipStream_tbEUlT_E_NS1_11comp_targetILNS1_3genE3ELNS1_11target_archE908ELNS1_3gpuE7ELNS1_3repE0EEENS1_30default_config_static_selectorELNS0_4arch9wavefront6targetE0EEEvT1_.private_seg_size, 0
	.set _ZN7rocprim17ROCPRIM_400000_NS6detail17trampoline_kernelINS0_14default_configENS1_25transform_config_selectorIfLb0EEEZNS1_14transform_implILb0ES3_S5_N6thrust23THRUST_200600_302600_NS6detail15normal_iteratorINS8_10device_ptrIfEEEEPfNS0_8identityIfEEEE10hipError_tT2_T3_mT4_P12ihipStream_tbEUlT_E_NS1_11comp_targetILNS1_3genE3ELNS1_11target_archE908ELNS1_3gpuE7ELNS1_3repE0EEENS1_30default_config_static_selectorELNS0_4arch9wavefront6targetE0EEEvT1_.uses_vcc, 0
	.set _ZN7rocprim17ROCPRIM_400000_NS6detail17trampoline_kernelINS0_14default_configENS1_25transform_config_selectorIfLb0EEEZNS1_14transform_implILb0ES3_S5_N6thrust23THRUST_200600_302600_NS6detail15normal_iteratorINS8_10device_ptrIfEEEEPfNS0_8identityIfEEEE10hipError_tT2_T3_mT4_P12ihipStream_tbEUlT_E_NS1_11comp_targetILNS1_3genE3ELNS1_11target_archE908ELNS1_3gpuE7ELNS1_3repE0EEENS1_30default_config_static_selectorELNS0_4arch9wavefront6targetE0EEEvT1_.uses_flat_scratch, 0
	.set _ZN7rocprim17ROCPRIM_400000_NS6detail17trampoline_kernelINS0_14default_configENS1_25transform_config_selectorIfLb0EEEZNS1_14transform_implILb0ES3_S5_N6thrust23THRUST_200600_302600_NS6detail15normal_iteratorINS8_10device_ptrIfEEEEPfNS0_8identityIfEEEE10hipError_tT2_T3_mT4_P12ihipStream_tbEUlT_E_NS1_11comp_targetILNS1_3genE3ELNS1_11target_archE908ELNS1_3gpuE7ELNS1_3repE0EEENS1_30default_config_static_selectorELNS0_4arch9wavefront6targetE0EEEvT1_.has_dyn_sized_stack, 0
	.set _ZN7rocprim17ROCPRIM_400000_NS6detail17trampoline_kernelINS0_14default_configENS1_25transform_config_selectorIfLb0EEEZNS1_14transform_implILb0ES3_S5_N6thrust23THRUST_200600_302600_NS6detail15normal_iteratorINS8_10device_ptrIfEEEEPfNS0_8identityIfEEEE10hipError_tT2_T3_mT4_P12ihipStream_tbEUlT_E_NS1_11comp_targetILNS1_3genE3ELNS1_11target_archE908ELNS1_3gpuE7ELNS1_3repE0EEENS1_30default_config_static_selectorELNS0_4arch9wavefront6targetE0EEEvT1_.has_recursion, 0
	.set _ZN7rocprim17ROCPRIM_400000_NS6detail17trampoline_kernelINS0_14default_configENS1_25transform_config_selectorIfLb0EEEZNS1_14transform_implILb0ES3_S5_N6thrust23THRUST_200600_302600_NS6detail15normal_iteratorINS8_10device_ptrIfEEEEPfNS0_8identityIfEEEE10hipError_tT2_T3_mT4_P12ihipStream_tbEUlT_E_NS1_11comp_targetILNS1_3genE3ELNS1_11target_archE908ELNS1_3gpuE7ELNS1_3repE0EEENS1_30default_config_static_selectorELNS0_4arch9wavefront6targetE0EEEvT1_.has_indirect_call, 0
	.section	.AMDGPU.csdata,"",@progbits
; Kernel info:
; codeLenInByte = 0
; TotalNumSgprs: 0
; NumVgprs: 0
; ScratchSize: 0
; MemoryBound: 0
; FloatMode: 240
; IeeeMode: 1
; LDSByteSize: 0 bytes/workgroup (compile time only)
; SGPRBlocks: 0
; VGPRBlocks: 0
; NumSGPRsForWavesPerEU: 1
; NumVGPRsForWavesPerEU: 1
; Occupancy: 16
; WaveLimiterHint : 0
; COMPUTE_PGM_RSRC2:SCRATCH_EN: 0
; COMPUTE_PGM_RSRC2:USER_SGPR: 6
; COMPUTE_PGM_RSRC2:TRAP_HANDLER: 0
; COMPUTE_PGM_RSRC2:TGID_X_EN: 1
; COMPUTE_PGM_RSRC2:TGID_Y_EN: 0
; COMPUTE_PGM_RSRC2:TGID_Z_EN: 0
; COMPUTE_PGM_RSRC2:TIDIG_COMP_CNT: 0
	.section	.text._ZN7rocprim17ROCPRIM_400000_NS6detail17trampoline_kernelINS0_14default_configENS1_25transform_config_selectorIfLb0EEEZNS1_14transform_implILb0ES3_S5_N6thrust23THRUST_200600_302600_NS6detail15normal_iteratorINS8_10device_ptrIfEEEEPfNS0_8identityIfEEEE10hipError_tT2_T3_mT4_P12ihipStream_tbEUlT_E_NS1_11comp_targetILNS1_3genE2ELNS1_11target_archE906ELNS1_3gpuE6ELNS1_3repE0EEENS1_30default_config_static_selectorELNS0_4arch9wavefront6targetE0EEEvT1_,"axG",@progbits,_ZN7rocprim17ROCPRIM_400000_NS6detail17trampoline_kernelINS0_14default_configENS1_25transform_config_selectorIfLb0EEEZNS1_14transform_implILb0ES3_S5_N6thrust23THRUST_200600_302600_NS6detail15normal_iteratorINS8_10device_ptrIfEEEEPfNS0_8identityIfEEEE10hipError_tT2_T3_mT4_P12ihipStream_tbEUlT_E_NS1_11comp_targetILNS1_3genE2ELNS1_11target_archE906ELNS1_3gpuE6ELNS1_3repE0EEENS1_30default_config_static_selectorELNS0_4arch9wavefront6targetE0EEEvT1_,comdat
	.protected	_ZN7rocprim17ROCPRIM_400000_NS6detail17trampoline_kernelINS0_14default_configENS1_25transform_config_selectorIfLb0EEEZNS1_14transform_implILb0ES3_S5_N6thrust23THRUST_200600_302600_NS6detail15normal_iteratorINS8_10device_ptrIfEEEEPfNS0_8identityIfEEEE10hipError_tT2_T3_mT4_P12ihipStream_tbEUlT_E_NS1_11comp_targetILNS1_3genE2ELNS1_11target_archE906ELNS1_3gpuE6ELNS1_3repE0EEENS1_30default_config_static_selectorELNS0_4arch9wavefront6targetE0EEEvT1_ ; -- Begin function _ZN7rocprim17ROCPRIM_400000_NS6detail17trampoline_kernelINS0_14default_configENS1_25transform_config_selectorIfLb0EEEZNS1_14transform_implILb0ES3_S5_N6thrust23THRUST_200600_302600_NS6detail15normal_iteratorINS8_10device_ptrIfEEEEPfNS0_8identityIfEEEE10hipError_tT2_T3_mT4_P12ihipStream_tbEUlT_E_NS1_11comp_targetILNS1_3genE2ELNS1_11target_archE906ELNS1_3gpuE6ELNS1_3repE0EEENS1_30default_config_static_selectorELNS0_4arch9wavefront6targetE0EEEvT1_
	.globl	_ZN7rocprim17ROCPRIM_400000_NS6detail17trampoline_kernelINS0_14default_configENS1_25transform_config_selectorIfLb0EEEZNS1_14transform_implILb0ES3_S5_N6thrust23THRUST_200600_302600_NS6detail15normal_iteratorINS8_10device_ptrIfEEEEPfNS0_8identityIfEEEE10hipError_tT2_T3_mT4_P12ihipStream_tbEUlT_E_NS1_11comp_targetILNS1_3genE2ELNS1_11target_archE906ELNS1_3gpuE6ELNS1_3repE0EEENS1_30default_config_static_selectorELNS0_4arch9wavefront6targetE0EEEvT1_
	.p2align	8
	.type	_ZN7rocprim17ROCPRIM_400000_NS6detail17trampoline_kernelINS0_14default_configENS1_25transform_config_selectorIfLb0EEEZNS1_14transform_implILb0ES3_S5_N6thrust23THRUST_200600_302600_NS6detail15normal_iteratorINS8_10device_ptrIfEEEEPfNS0_8identityIfEEEE10hipError_tT2_T3_mT4_P12ihipStream_tbEUlT_E_NS1_11comp_targetILNS1_3genE2ELNS1_11target_archE906ELNS1_3gpuE6ELNS1_3repE0EEENS1_30default_config_static_selectorELNS0_4arch9wavefront6targetE0EEEvT1_,@function
_ZN7rocprim17ROCPRIM_400000_NS6detail17trampoline_kernelINS0_14default_configENS1_25transform_config_selectorIfLb0EEEZNS1_14transform_implILb0ES3_S5_N6thrust23THRUST_200600_302600_NS6detail15normal_iteratorINS8_10device_ptrIfEEEEPfNS0_8identityIfEEEE10hipError_tT2_T3_mT4_P12ihipStream_tbEUlT_E_NS1_11comp_targetILNS1_3genE2ELNS1_11target_archE906ELNS1_3gpuE6ELNS1_3repE0EEENS1_30default_config_static_selectorELNS0_4arch9wavefront6targetE0EEEvT1_: ; @_ZN7rocprim17ROCPRIM_400000_NS6detail17trampoline_kernelINS0_14default_configENS1_25transform_config_selectorIfLb0EEEZNS1_14transform_implILb0ES3_S5_N6thrust23THRUST_200600_302600_NS6detail15normal_iteratorINS8_10device_ptrIfEEEEPfNS0_8identityIfEEEE10hipError_tT2_T3_mT4_P12ihipStream_tbEUlT_E_NS1_11comp_targetILNS1_3genE2ELNS1_11target_archE906ELNS1_3gpuE6ELNS1_3repE0EEENS1_30default_config_static_selectorELNS0_4arch9wavefront6targetE0EEEvT1_
; %bb.0:
	.section	.rodata,"a",@progbits
	.p2align	6, 0x0
	.amdhsa_kernel _ZN7rocprim17ROCPRIM_400000_NS6detail17trampoline_kernelINS0_14default_configENS1_25transform_config_selectorIfLb0EEEZNS1_14transform_implILb0ES3_S5_N6thrust23THRUST_200600_302600_NS6detail15normal_iteratorINS8_10device_ptrIfEEEEPfNS0_8identityIfEEEE10hipError_tT2_T3_mT4_P12ihipStream_tbEUlT_E_NS1_11comp_targetILNS1_3genE2ELNS1_11target_archE906ELNS1_3gpuE6ELNS1_3repE0EEENS1_30default_config_static_selectorELNS0_4arch9wavefront6targetE0EEEvT1_
		.amdhsa_group_segment_fixed_size 0
		.amdhsa_private_segment_fixed_size 0
		.amdhsa_kernarg_size 40
		.amdhsa_user_sgpr_count 6
		.amdhsa_user_sgpr_private_segment_buffer 1
		.amdhsa_user_sgpr_dispatch_ptr 0
		.amdhsa_user_sgpr_queue_ptr 0
		.amdhsa_user_sgpr_kernarg_segment_ptr 1
		.amdhsa_user_sgpr_dispatch_id 0
		.amdhsa_user_sgpr_flat_scratch_init 0
		.amdhsa_user_sgpr_private_segment_size 0
		.amdhsa_wavefront_size32 1
		.amdhsa_uses_dynamic_stack 0
		.amdhsa_system_sgpr_private_segment_wavefront_offset 0
		.amdhsa_system_sgpr_workgroup_id_x 1
		.amdhsa_system_sgpr_workgroup_id_y 0
		.amdhsa_system_sgpr_workgroup_id_z 0
		.amdhsa_system_sgpr_workgroup_info 0
		.amdhsa_system_vgpr_workitem_id 0
		.amdhsa_next_free_vgpr 1
		.amdhsa_next_free_sgpr 1
		.amdhsa_reserve_vcc 0
		.amdhsa_reserve_flat_scratch 0
		.amdhsa_float_round_mode_32 0
		.amdhsa_float_round_mode_16_64 0
		.amdhsa_float_denorm_mode_32 3
		.amdhsa_float_denorm_mode_16_64 3
		.amdhsa_dx10_clamp 1
		.amdhsa_ieee_mode 1
		.amdhsa_fp16_overflow 0
		.amdhsa_workgroup_processor_mode 1
		.amdhsa_memory_ordered 1
		.amdhsa_forward_progress 1
		.amdhsa_shared_vgpr_count 0
		.amdhsa_exception_fp_ieee_invalid_op 0
		.amdhsa_exception_fp_denorm_src 0
		.amdhsa_exception_fp_ieee_div_zero 0
		.amdhsa_exception_fp_ieee_overflow 0
		.amdhsa_exception_fp_ieee_underflow 0
		.amdhsa_exception_fp_ieee_inexact 0
		.amdhsa_exception_int_div_zero 0
	.end_amdhsa_kernel
	.section	.text._ZN7rocprim17ROCPRIM_400000_NS6detail17trampoline_kernelINS0_14default_configENS1_25transform_config_selectorIfLb0EEEZNS1_14transform_implILb0ES3_S5_N6thrust23THRUST_200600_302600_NS6detail15normal_iteratorINS8_10device_ptrIfEEEEPfNS0_8identityIfEEEE10hipError_tT2_T3_mT4_P12ihipStream_tbEUlT_E_NS1_11comp_targetILNS1_3genE2ELNS1_11target_archE906ELNS1_3gpuE6ELNS1_3repE0EEENS1_30default_config_static_selectorELNS0_4arch9wavefront6targetE0EEEvT1_,"axG",@progbits,_ZN7rocprim17ROCPRIM_400000_NS6detail17trampoline_kernelINS0_14default_configENS1_25transform_config_selectorIfLb0EEEZNS1_14transform_implILb0ES3_S5_N6thrust23THRUST_200600_302600_NS6detail15normal_iteratorINS8_10device_ptrIfEEEEPfNS0_8identityIfEEEE10hipError_tT2_T3_mT4_P12ihipStream_tbEUlT_E_NS1_11comp_targetILNS1_3genE2ELNS1_11target_archE906ELNS1_3gpuE6ELNS1_3repE0EEENS1_30default_config_static_selectorELNS0_4arch9wavefront6targetE0EEEvT1_,comdat
.Lfunc_end554:
	.size	_ZN7rocprim17ROCPRIM_400000_NS6detail17trampoline_kernelINS0_14default_configENS1_25transform_config_selectorIfLb0EEEZNS1_14transform_implILb0ES3_S5_N6thrust23THRUST_200600_302600_NS6detail15normal_iteratorINS8_10device_ptrIfEEEEPfNS0_8identityIfEEEE10hipError_tT2_T3_mT4_P12ihipStream_tbEUlT_E_NS1_11comp_targetILNS1_3genE2ELNS1_11target_archE906ELNS1_3gpuE6ELNS1_3repE0EEENS1_30default_config_static_selectorELNS0_4arch9wavefront6targetE0EEEvT1_, .Lfunc_end554-_ZN7rocprim17ROCPRIM_400000_NS6detail17trampoline_kernelINS0_14default_configENS1_25transform_config_selectorIfLb0EEEZNS1_14transform_implILb0ES3_S5_N6thrust23THRUST_200600_302600_NS6detail15normal_iteratorINS8_10device_ptrIfEEEEPfNS0_8identityIfEEEE10hipError_tT2_T3_mT4_P12ihipStream_tbEUlT_E_NS1_11comp_targetILNS1_3genE2ELNS1_11target_archE906ELNS1_3gpuE6ELNS1_3repE0EEENS1_30default_config_static_selectorELNS0_4arch9wavefront6targetE0EEEvT1_
                                        ; -- End function
	.set _ZN7rocprim17ROCPRIM_400000_NS6detail17trampoline_kernelINS0_14default_configENS1_25transform_config_selectorIfLb0EEEZNS1_14transform_implILb0ES3_S5_N6thrust23THRUST_200600_302600_NS6detail15normal_iteratorINS8_10device_ptrIfEEEEPfNS0_8identityIfEEEE10hipError_tT2_T3_mT4_P12ihipStream_tbEUlT_E_NS1_11comp_targetILNS1_3genE2ELNS1_11target_archE906ELNS1_3gpuE6ELNS1_3repE0EEENS1_30default_config_static_selectorELNS0_4arch9wavefront6targetE0EEEvT1_.num_vgpr, 0
	.set _ZN7rocprim17ROCPRIM_400000_NS6detail17trampoline_kernelINS0_14default_configENS1_25transform_config_selectorIfLb0EEEZNS1_14transform_implILb0ES3_S5_N6thrust23THRUST_200600_302600_NS6detail15normal_iteratorINS8_10device_ptrIfEEEEPfNS0_8identityIfEEEE10hipError_tT2_T3_mT4_P12ihipStream_tbEUlT_E_NS1_11comp_targetILNS1_3genE2ELNS1_11target_archE906ELNS1_3gpuE6ELNS1_3repE0EEENS1_30default_config_static_selectorELNS0_4arch9wavefront6targetE0EEEvT1_.num_agpr, 0
	.set _ZN7rocprim17ROCPRIM_400000_NS6detail17trampoline_kernelINS0_14default_configENS1_25transform_config_selectorIfLb0EEEZNS1_14transform_implILb0ES3_S5_N6thrust23THRUST_200600_302600_NS6detail15normal_iteratorINS8_10device_ptrIfEEEEPfNS0_8identityIfEEEE10hipError_tT2_T3_mT4_P12ihipStream_tbEUlT_E_NS1_11comp_targetILNS1_3genE2ELNS1_11target_archE906ELNS1_3gpuE6ELNS1_3repE0EEENS1_30default_config_static_selectorELNS0_4arch9wavefront6targetE0EEEvT1_.numbered_sgpr, 0
	.set _ZN7rocprim17ROCPRIM_400000_NS6detail17trampoline_kernelINS0_14default_configENS1_25transform_config_selectorIfLb0EEEZNS1_14transform_implILb0ES3_S5_N6thrust23THRUST_200600_302600_NS6detail15normal_iteratorINS8_10device_ptrIfEEEEPfNS0_8identityIfEEEE10hipError_tT2_T3_mT4_P12ihipStream_tbEUlT_E_NS1_11comp_targetILNS1_3genE2ELNS1_11target_archE906ELNS1_3gpuE6ELNS1_3repE0EEENS1_30default_config_static_selectorELNS0_4arch9wavefront6targetE0EEEvT1_.num_named_barrier, 0
	.set _ZN7rocprim17ROCPRIM_400000_NS6detail17trampoline_kernelINS0_14default_configENS1_25transform_config_selectorIfLb0EEEZNS1_14transform_implILb0ES3_S5_N6thrust23THRUST_200600_302600_NS6detail15normal_iteratorINS8_10device_ptrIfEEEEPfNS0_8identityIfEEEE10hipError_tT2_T3_mT4_P12ihipStream_tbEUlT_E_NS1_11comp_targetILNS1_3genE2ELNS1_11target_archE906ELNS1_3gpuE6ELNS1_3repE0EEENS1_30default_config_static_selectorELNS0_4arch9wavefront6targetE0EEEvT1_.private_seg_size, 0
	.set _ZN7rocprim17ROCPRIM_400000_NS6detail17trampoline_kernelINS0_14default_configENS1_25transform_config_selectorIfLb0EEEZNS1_14transform_implILb0ES3_S5_N6thrust23THRUST_200600_302600_NS6detail15normal_iteratorINS8_10device_ptrIfEEEEPfNS0_8identityIfEEEE10hipError_tT2_T3_mT4_P12ihipStream_tbEUlT_E_NS1_11comp_targetILNS1_3genE2ELNS1_11target_archE906ELNS1_3gpuE6ELNS1_3repE0EEENS1_30default_config_static_selectorELNS0_4arch9wavefront6targetE0EEEvT1_.uses_vcc, 0
	.set _ZN7rocprim17ROCPRIM_400000_NS6detail17trampoline_kernelINS0_14default_configENS1_25transform_config_selectorIfLb0EEEZNS1_14transform_implILb0ES3_S5_N6thrust23THRUST_200600_302600_NS6detail15normal_iteratorINS8_10device_ptrIfEEEEPfNS0_8identityIfEEEE10hipError_tT2_T3_mT4_P12ihipStream_tbEUlT_E_NS1_11comp_targetILNS1_3genE2ELNS1_11target_archE906ELNS1_3gpuE6ELNS1_3repE0EEENS1_30default_config_static_selectorELNS0_4arch9wavefront6targetE0EEEvT1_.uses_flat_scratch, 0
	.set _ZN7rocprim17ROCPRIM_400000_NS6detail17trampoline_kernelINS0_14default_configENS1_25transform_config_selectorIfLb0EEEZNS1_14transform_implILb0ES3_S5_N6thrust23THRUST_200600_302600_NS6detail15normal_iteratorINS8_10device_ptrIfEEEEPfNS0_8identityIfEEEE10hipError_tT2_T3_mT4_P12ihipStream_tbEUlT_E_NS1_11comp_targetILNS1_3genE2ELNS1_11target_archE906ELNS1_3gpuE6ELNS1_3repE0EEENS1_30default_config_static_selectorELNS0_4arch9wavefront6targetE0EEEvT1_.has_dyn_sized_stack, 0
	.set _ZN7rocprim17ROCPRIM_400000_NS6detail17trampoline_kernelINS0_14default_configENS1_25transform_config_selectorIfLb0EEEZNS1_14transform_implILb0ES3_S5_N6thrust23THRUST_200600_302600_NS6detail15normal_iteratorINS8_10device_ptrIfEEEEPfNS0_8identityIfEEEE10hipError_tT2_T3_mT4_P12ihipStream_tbEUlT_E_NS1_11comp_targetILNS1_3genE2ELNS1_11target_archE906ELNS1_3gpuE6ELNS1_3repE0EEENS1_30default_config_static_selectorELNS0_4arch9wavefront6targetE0EEEvT1_.has_recursion, 0
	.set _ZN7rocprim17ROCPRIM_400000_NS6detail17trampoline_kernelINS0_14default_configENS1_25transform_config_selectorIfLb0EEEZNS1_14transform_implILb0ES3_S5_N6thrust23THRUST_200600_302600_NS6detail15normal_iteratorINS8_10device_ptrIfEEEEPfNS0_8identityIfEEEE10hipError_tT2_T3_mT4_P12ihipStream_tbEUlT_E_NS1_11comp_targetILNS1_3genE2ELNS1_11target_archE906ELNS1_3gpuE6ELNS1_3repE0EEENS1_30default_config_static_selectorELNS0_4arch9wavefront6targetE0EEEvT1_.has_indirect_call, 0
	.section	.AMDGPU.csdata,"",@progbits
; Kernel info:
; codeLenInByte = 0
; TotalNumSgprs: 0
; NumVgprs: 0
; ScratchSize: 0
; MemoryBound: 0
; FloatMode: 240
; IeeeMode: 1
; LDSByteSize: 0 bytes/workgroup (compile time only)
; SGPRBlocks: 0
; VGPRBlocks: 0
; NumSGPRsForWavesPerEU: 1
; NumVGPRsForWavesPerEU: 1
; Occupancy: 16
; WaveLimiterHint : 0
; COMPUTE_PGM_RSRC2:SCRATCH_EN: 0
; COMPUTE_PGM_RSRC2:USER_SGPR: 6
; COMPUTE_PGM_RSRC2:TRAP_HANDLER: 0
; COMPUTE_PGM_RSRC2:TGID_X_EN: 1
; COMPUTE_PGM_RSRC2:TGID_Y_EN: 0
; COMPUTE_PGM_RSRC2:TGID_Z_EN: 0
; COMPUTE_PGM_RSRC2:TIDIG_COMP_CNT: 0
	.section	.text._ZN7rocprim17ROCPRIM_400000_NS6detail17trampoline_kernelINS0_14default_configENS1_25transform_config_selectorIfLb0EEEZNS1_14transform_implILb0ES3_S5_N6thrust23THRUST_200600_302600_NS6detail15normal_iteratorINS8_10device_ptrIfEEEEPfNS0_8identityIfEEEE10hipError_tT2_T3_mT4_P12ihipStream_tbEUlT_E_NS1_11comp_targetILNS1_3genE10ELNS1_11target_archE1201ELNS1_3gpuE5ELNS1_3repE0EEENS1_30default_config_static_selectorELNS0_4arch9wavefront6targetE0EEEvT1_,"axG",@progbits,_ZN7rocprim17ROCPRIM_400000_NS6detail17trampoline_kernelINS0_14default_configENS1_25transform_config_selectorIfLb0EEEZNS1_14transform_implILb0ES3_S5_N6thrust23THRUST_200600_302600_NS6detail15normal_iteratorINS8_10device_ptrIfEEEEPfNS0_8identityIfEEEE10hipError_tT2_T3_mT4_P12ihipStream_tbEUlT_E_NS1_11comp_targetILNS1_3genE10ELNS1_11target_archE1201ELNS1_3gpuE5ELNS1_3repE0EEENS1_30default_config_static_selectorELNS0_4arch9wavefront6targetE0EEEvT1_,comdat
	.protected	_ZN7rocprim17ROCPRIM_400000_NS6detail17trampoline_kernelINS0_14default_configENS1_25transform_config_selectorIfLb0EEEZNS1_14transform_implILb0ES3_S5_N6thrust23THRUST_200600_302600_NS6detail15normal_iteratorINS8_10device_ptrIfEEEEPfNS0_8identityIfEEEE10hipError_tT2_T3_mT4_P12ihipStream_tbEUlT_E_NS1_11comp_targetILNS1_3genE10ELNS1_11target_archE1201ELNS1_3gpuE5ELNS1_3repE0EEENS1_30default_config_static_selectorELNS0_4arch9wavefront6targetE0EEEvT1_ ; -- Begin function _ZN7rocprim17ROCPRIM_400000_NS6detail17trampoline_kernelINS0_14default_configENS1_25transform_config_selectorIfLb0EEEZNS1_14transform_implILb0ES3_S5_N6thrust23THRUST_200600_302600_NS6detail15normal_iteratorINS8_10device_ptrIfEEEEPfNS0_8identityIfEEEE10hipError_tT2_T3_mT4_P12ihipStream_tbEUlT_E_NS1_11comp_targetILNS1_3genE10ELNS1_11target_archE1201ELNS1_3gpuE5ELNS1_3repE0EEENS1_30default_config_static_selectorELNS0_4arch9wavefront6targetE0EEEvT1_
	.globl	_ZN7rocprim17ROCPRIM_400000_NS6detail17trampoline_kernelINS0_14default_configENS1_25transform_config_selectorIfLb0EEEZNS1_14transform_implILb0ES3_S5_N6thrust23THRUST_200600_302600_NS6detail15normal_iteratorINS8_10device_ptrIfEEEEPfNS0_8identityIfEEEE10hipError_tT2_T3_mT4_P12ihipStream_tbEUlT_E_NS1_11comp_targetILNS1_3genE10ELNS1_11target_archE1201ELNS1_3gpuE5ELNS1_3repE0EEENS1_30default_config_static_selectorELNS0_4arch9wavefront6targetE0EEEvT1_
	.p2align	8
	.type	_ZN7rocprim17ROCPRIM_400000_NS6detail17trampoline_kernelINS0_14default_configENS1_25transform_config_selectorIfLb0EEEZNS1_14transform_implILb0ES3_S5_N6thrust23THRUST_200600_302600_NS6detail15normal_iteratorINS8_10device_ptrIfEEEEPfNS0_8identityIfEEEE10hipError_tT2_T3_mT4_P12ihipStream_tbEUlT_E_NS1_11comp_targetILNS1_3genE10ELNS1_11target_archE1201ELNS1_3gpuE5ELNS1_3repE0EEENS1_30default_config_static_selectorELNS0_4arch9wavefront6targetE0EEEvT1_,@function
_ZN7rocprim17ROCPRIM_400000_NS6detail17trampoline_kernelINS0_14default_configENS1_25transform_config_selectorIfLb0EEEZNS1_14transform_implILb0ES3_S5_N6thrust23THRUST_200600_302600_NS6detail15normal_iteratorINS8_10device_ptrIfEEEEPfNS0_8identityIfEEEE10hipError_tT2_T3_mT4_P12ihipStream_tbEUlT_E_NS1_11comp_targetILNS1_3genE10ELNS1_11target_archE1201ELNS1_3gpuE5ELNS1_3repE0EEENS1_30default_config_static_selectorELNS0_4arch9wavefront6targetE0EEEvT1_: ; @_ZN7rocprim17ROCPRIM_400000_NS6detail17trampoline_kernelINS0_14default_configENS1_25transform_config_selectorIfLb0EEEZNS1_14transform_implILb0ES3_S5_N6thrust23THRUST_200600_302600_NS6detail15normal_iteratorINS8_10device_ptrIfEEEEPfNS0_8identityIfEEEE10hipError_tT2_T3_mT4_P12ihipStream_tbEUlT_E_NS1_11comp_targetILNS1_3genE10ELNS1_11target_archE1201ELNS1_3gpuE5ELNS1_3repE0EEENS1_30default_config_static_selectorELNS0_4arch9wavefront6targetE0EEEvT1_
; %bb.0:
	.section	.rodata,"a",@progbits
	.p2align	6, 0x0
	.amdhsa_kernel _ZN7rocprim17ROCPRIM_400000_NS6detail17trampoline_kernelINS0_14default_configENS1_25transform_config_selectorIfLb0EEEZNS1_14transform_implILb0ES3_S5_N6thrust23THRUST_200600_302600_NS6detail15normal_iteratorINS8_10device_ptrIfEEEEPfNS0_8identityIfEEEE10hipError_tT2_T3_mT4_P12ihipStream_tbEUlT_E_NS1_11comp_targetILNS1_3genE10ELNS1_11target_archE1201ELNS1_3gpuE5ELNS1_3repE0EEENS1_30default_config_static_selectorELNS0_4arch9wavefront6targetE0EEEvT1_
		.amdhsa_group_segment_fixed_size 0
		.amdhsa_private_segment_fixed_size 0
		.amdhsa_kernarg_size 40
		.amdhsa_user_sgpr_count 6
		.amdhsa_user_sgpr_private_segment_buffer 1
		.amdhsa_user_sgpr_dispatch_ptr 0
		.amdhsa_user_sgpr_queue_ptr 0
		.amdhsa_user_sgpr_kernarg_segment_ptr 1
		.amdhsa_user_sgpr_dispatch_id 0
		.amdhsa_user_sgpr_flat_scratch_init 0
		.amdhsa_user_sgpr_private_segment_size 0
		.amdhsa_wavefront_size32 1
		.amdhsa_uses_dynamic_stack 0
		.amdhsa_system_sgpr_private_segment_wavefront_offset 0
		.amdhsa_system_sgpr_workgroup_id_x 1
		.amdhsa_system_sgpr_workgroup_id_y 0
		.amdhsa_system_sgpr_workgroup_id_z 0
		.amdhsa_system_sgpr_workgroup_info 0
		.amdhsa_system_vgpr_workitem_id 0
		.amdhsa_next_free_vgpr 1
		.amdhsa_next_free_sgpr 1
		.amdhsa_reserve_vcc 0
		.amdhsa_reserve_flat_scratch 0
		.amdhsa_float_round_mode_32 0
		.amdhsa_float_round_mode_16_64 0
		.amdhsa_float_denorm_mode_32 3
		.amdhsa_float_denorm_mode_16_64 3
		.amdhsa_dx10_clamp 1
		.amdhsa_ieee_mode 1
		.amdhsa_fp16_overflow 0
		.amdhsa_workgroup_processor_mode 1
		.amdhsa_memory_ordered 1
		.amdhsa_forward_progress 1
		.amdhsa_shared_vgpr_count 0
		.amdhsa_exception_fp_ieee_invalid_op 0
		.amdhsa_exception_fp_denorm_src 0
		.amdhsa_exception_fp_ieee_div_zero 0
		.amdhsa_exception_fp_ieee_overflow 0
		.amdhsa_exception_fp_ieee_underflow 0
		.amdhsa_exception_fp_ieee_inexact 0
		.amdhsa_exception_int_div_zero 0
	.end_amdhsa_kernel
	.section	.text._ZN7rocprim17ROCPRIM_400000_NS6detail17trampoline_kernelINS0_14default_configENS1_25transform_config_selectorIfLb0EEEZNS1_14transform_implILb0ES3_S5_N6thrust23THRUST_200600_302600_NS6detail15normal_iteratorINS8_10device_ptrIfEEEEPfNS0_8identityIfEEEE10hipError_tT2_T3_mT4_P12ihipStream_tbEUlT_E_NS1_11comp_targetILNS1_3genE10ELNS1_11target_archE1201ELNS1_3gpuE5ELNS1_3repE0EEENS1_30default_config_static_selectorELNS0_4arch9wavefront6targetE0EEEvT1_,"axG",@progbits,_ZN7rocprim17ROCPRIM_400000_NS6detail17trampoline_kernelINS0_14default_configENS1_25transform_config_selectorIfLb0EEEZNS1_14transform_implILb0ES3_S5_N6thrust23THRUST_200600_302600_NS6detail15normal_iteratorINS8_10device_ptrIfEEEEPfNS0_8identityIfEEEE10hipError_tT2_T3_mT4_P12ihipStream_tbEUlT_E_NS1_11comp_targetILNS1_3genE10ELNS1_11target_archE1201ELNS1_3gpuE5ELNS1_3repE0EEENS1_30default_config_static_selectorELNS0_4arch9wavefront6targetE0EEEvT1_,comdat
.Lfunc_end555:
	.size	_ZN7rocprim17ROCPRIM_400000_NS6detail17trampoline_kernelINS0_14default_configENS1_25transform_config_selectorIfLb0EEEZNS1_14transform_implILb0ES3_S5_N6thrust23THRUST_200600_302600_NS6detail15normal_iteratorINS8_10device_ptrIfEEEEPfNS0_8identityIfEEEE10hipError_tT2_T3_mT4_P12ihipStream_tbEUlT_E_NS1_11comp_targetILNS1_3genE10ELNS1_11target_archE1201ELNS1_3gpuE5ELNS1_3repE0EEENS1_30default_config_static_selectorELNS0_4arch9wavefront6targetE0EEEvT1_, .Lfunc_end555-_ZN7rocprim17ROCPRIM_400000_NS6detail17trampoline_kernelINS0_14default_configENS1_25transform_config_selectorIfLb0EEEZNS1_14transform_implILb0ES3_S5_N6thrust23THRUST_200600_302600_NS6detail15normal_iteratorINS8_10device_ptrIfEEEEPfNS0_8identityIfEEEE10hipError_tT2_T3_mT4_P12ihipStream_tbEUlT_E_NS1_11comp_targetILNS1_3genE10ELNS1_11target_archE1201ELNS1_3gpuE5ELNS1_3repE0EEENS1_30default_config_static_selectorELNS0_4arch9wavefront6targetE0EEEvT1_
                                        ; -- End function
	.set _ZN7rocprim17ROCPRIM_400000_NS6detail17trampoline_kernelINS0_14default_configENS1_25transform_config_selectorIfLb0EEEZNS1_14transform_implILb0ES3_S5_N6thrust23THRUST_200600_302600_NS6detail15normal_iteratorINS8_10device_ptrIfEEEEPfNS0_8identityIfEEEE10hipError_tT2_T3_mT4_P12ihipStream_tbEUlT_E_NS1_11comp_targetILNS1_3genE10ELNS1_11target_archE1201ELNS1_3gpuE5ELNS1_3repE0EEENS1_30default_config_static_selectorELNS0_4arch9wavefront6targetE0EEEvT1_.num_vgpr, 0
	.set _ZN7rocprim17ROCPRIM_400000_NS6detail17trampoline_kernelINS0_14default_configENS1_25transform_config_selectorIfLb0EEEZNS1_14transform_implILb0ES3_S5_N6thrust23THRUST_200600_302600_NS6detail15normal_iteratorINS8_10device_ptrIfEEEEPfNS0_8identityIfEEEE10hipError_tT2_T3_mT4_P12ihipStream_tbEUlT_E_NS1_11comp_targetILNS1_3genE10ELNS1_11target_archE1201ELNS1_3gpuE5ELNS1_3repE0EEENS1_30default_config_static_selectorELNS0_4arch9wavefront6targetE0EEEvT1_.num_agpr, 0
	.set _ZN7rocprim17ROCPRIM_400000_NS6detail17trampoline_kernelINS0_14default_configENS1_25transform_config_selectorIfLb0EEEZNS1_14transform_implILb0ES3_S5_N6thrust23THRUST_200600_302600_NS6detail15normal_iteratorINS8_10device_ptrIfEEEEPfNS0_8identityIfEEEE10hipError_tT2_T3_mT4_P12ihipStream_tbEUlT_E_NS1_11comp_targetILNS1_3genE10ELNS1_11target_archE1201ELNS1_3gpuE5ELNS1_3repE0EEENS1_30default_config_static_selectorELNS0_4arch9wavefront6targetE0EEEvT1_.numbered_sgpr, 0
	.set _ZN7rocprim17ROCPRIM_400000_NS6detail17trampoline_kernelINS0_14default_configENS1_25transform_config_selectorIfLb0EEEZNS1_14transform_implILb0ES3_S5_N6thrust23THRUST_200600_302600_NS6detail15normal_iteratorINS8_10device_ptrIfEEEEPfNS0_8identityIfEEEE10hipError_tT2_T3_mT4_P12ihipStream_tbEUlT_E_NS1_11comp_targetILNS1_3genE10ELNS1_11target_archE1201ELNS1_3gpuE5ELNS1_3repE0EEENS1_30default_config_static_selectorELNS0_4arch9wavefront6targetE0EEEvT1_.num_named_barrier, 0
	.set _ZN7rocprim17ROCPRIM_400000_NS6detail17trampoline_kernelINS0_14default_configENS1_25transform_config_selectorIfLb0EEEZNS1_14transform_implILb0ES3_S5_N6thrust23THRUST_200600_302600_NS6detail15normal_iteratorINS8_10device_ptrIfEEEEPfNS0_8identityIfEEEE10hipError_tT2_T3_mT4_P12ihipStream_tbEUlT_E_NS1_11comp_targetILNS1_3genE10ELNS1_11target_archE1201ELNS1_3gpuE5ELNS1_3repE0EEENS1_30default_config_static_selectorELNS0_4arch9wavefront6targetE0EEEvT1_.private_seg_size, 0
	.set _ZN7rocprim17ROCPRIM_400000_NS6detail17trampoline_kernelINS0_14default_configENS1_25transform_config_selectorIfLb0EEEZNS1_14transform_implILb0ES3_S5_N6thrust23THRUST_200600_302600_NS6detail15normal_iteratorINS8_10device_ptrIfEEEEPfNS0_8identityIfEEEE10hipError_tT2_T3_mT4_P12ihipStream_tbEUlT_E_NS1_11comp_targetILNS1_3genE10ELNS1_11target_archE1201ELNS1_3gpuE5ELNS1_3repE0EEENS1_30default_config_static_selectorELNS0_4arch9wavefront6targetE0EEEvT1_.uses_vcc, 0
	.set _ZN7rocprim17ROCPRIM_400000_NS6detail17trampoline_kernelINS0_14default_configENS1_25transform_config_selectorIfLb0EEEZNS1_14transform_implILb0ES3_S5_N6thrust23THRUST_200600_302600_NS6detail15normal_iteratorINS8_10device_ptrIfEEEEPfNS0_8identityIfEEEE10hipError_tT2_T3_mT4_P12ihipStream_tbEUlT_E_NS1_11comp_targetILNS1_3genE10ELNS1_11target_archE1201ELNS1_3gpuE5ELNS1_3repE0EEENS1_30default_config_static_selectorELNS0_4arch9wavefront6targetE0EEEvT1_.uses_flat_scratch, 0
	.set _ZN7rocprim17ROCPRIM_400000_NS6detail17trampoline_kernelINS0_14default_configENS1_25transform_config_selectorIfLb0EEEZNS1_14transform_implILb0ES3_S5_N6thrust23THRUST_200600_302600_NS6detail15normal_iteratorINS8_10device_ptrIfEEEEPfNS0_8identityIfEEEE10hipError_tT2_T3_mT4_P12ihipStream_tbEUlT_E_NS1_11comp_targetILNS1_3genE10ELNS1_11target_archE1201ELNS1_3gpuE5ELNS1_3repE0EEENS1_30default_config_static_selectorELNS0_4arch9wavefront6targetE0EEEvT1_.has_dyn_sized_stack, 0
	.set _ZN7rocprim17ROCPRIM_400000_NS6detail17trampoline_kernelINS0_14default_configENS1_25transform_config_selectorIfLb0EEEZNS1_14transform_implILb0ES3_S5_N6thrust23THRUST_200600_302600_NS6detail15normal_iteratorINS8_10device_ptrIfEEEEPfNS0_8identityIfEEEE10hipError_tT2_T3_mT4_P12ihipStream_tbEUlT_E_NS1_11comp_targetILNS1_3genE10ELNS1_11target_archE1201ELNS1_3gpuE5ELNS1_3repE0EEENS1_30default_config_static_selectorELNS0_4arch9wavefront6targetE0EEEvT1_.has_recursion, 0
	.set _ZN7rocprim17ROCPRIM_400000_NS6detail17trampoline_kernelINS0_14default_configENS1_25transform_config_selectorIfLb0EEEZNS1_14transform_implILb0ES3_S5_N6thrust23THRUST_200600_302600_NS6detail15normal_iteratorINS8_10device_ptrIfEEEEPfNS0_8identityIfEEEE10hipError_tT2_T3_mT4_P12ihipStream_tbEUlT_E_NS1_11comp_targetILNS1_3genE10ELNS1_11target_archE1201ELNS1_3gpuE5ELNS1_3repE0EEENS1_30default_config_static_selectorELNS0_4arch9wavefront6targetE0EEEvT1_.has_indirect_call, 0
	.section	.AMDGPU.csdata,"",@progbits
; Kernel info:
; codeLenInByte = 0
; TotalNumSgprs: 0
; NumVgprs: 0
; ScratchSize: 0
; MemoryBound: 0
; FloatMode: 240
; IeeeMode: 1
; LDSByteSize: 0 bytes/workgroup (compile time only)
; SGPRBlocks: 0
; VGPRBlocks: 0
; NumSGPRsForWavesPerEU: 1
; NumVGPRsForWavesPerEU: 1
; Occupancy: 16
; WaveLimiterHint : 0
; COMPUTE_PGM_RSRC2:SCRATCH_EN: 0
; COMPUTE_PGM_RSRC2:USER_SGPR: 6
; COMPUTE_PGM_RSRC2:TRAP_HANDLER: 0
; COMPUTE_PGM_RSRC2:TGID_X_EN: 1
; COMPUTE_PGM_RSRC2:TGID_Y_EN: 0
; COMPUTE_PGM_RSRC2:TGID_Z_EN: 0
; COMPUTE_PGM_RSRC2:TIDIG_COMP_CNT: 0
	.section	.text._ZN7rocprim17ROCPRIM_400000_NS6detail17trampoline_kernelINS0_14default_configENS1_25transform_config_selectorIfLb0EEEZNS1_14transform_implILb0ES3_S5_N6thrust23THRUST_200600_302600_NS6detail15normal_iteratorINS8_10device_ptrIfEEEEPfNS0_8identityIfEEEE10hipError_tT2_T3_mT4_P12ihipStream_tbEUlT_E_NS1_11comp_targetILNS1_3genE10ELNS1_11target_archE1200ELNS1_3gpuE4ELNS1_3repE0EEENS1_30default_config_static_selectorELNS0_4arch9wavefront6targetE0EEEvT1_,"axG",@progbits,_ZN7rocprim17ROCPRIM_400000_NS6detail17trampoline_kernelINS0_14default_configENS1_25transform_config_selectorIfLb0EEEZNS1_14transform_implILb0ES3_S5_N6thrust23THRUST_200600_302600_NS6detail15normal_iteratorINS8_10device_ptrIfEEEEPfNS0_8identityIfEEEE10hipError_tT2_T3_mT4_P12ihipStream_tbEUlT_E_NS1_11comp_targetILNS1_3genE10ELNS1_11target_archE1200ELNS1_3gpuE4ELNS1_3repE0EEENS1_30default_config_static_selectorELNS0_4arch9wavefront6targetE0EEEvT1_,comdat
	.protected	_ZN7rocprim17ROCPRIM_400000_NS6detail17trampoline_kernelINS0_14default_configENS1_25transform_config_selectorIfLb0EEEZNS1_14transform_implILb0ES3_S5_N6thrust23THRUST_200600_302600_NS6detail15normal_iteratorINS8_10device_ptrIfEEEEPfNS0_8identityIfEEEE10hipError_tT2_T3_mT4_P12ihipStream_tbEUlT_E_NS1_11comp_targetILNS1_3genE10ELNS1_11target_archE1200ELNS1_3gpuE4ELNS1_3repE0EEENS1_30default_config_static_selectorELNS0_4arch9wavefront6targetE0EEEvT1_ ; -- Begin function _ZN7rocprim17ROCPRIM_400000_NS6detail17trampoline_kernelINS0_14default_configENS1_25transform_config_selectorIfLb0EEEZNS1_14transform_implILb0ES3_S5_N6thrust23THRUST_200600_302600_NS6detail15normal_iteratorINS8_10device_ptrIfEEEEPfNS0_8identityIfEEEE10hipError_tT2_T3_mT4_P12ihipStream_tbEUlT_E_NS1_11comp_targetILNS1_3genE10ELNS1_11target_archE1200ELNS1_3gpuE4ELNS1_3repE0EEENS1_30default_config_static_selectorELNS0_4arch9wavefront6targetE0EEEvT1_
	.globl	_ZN7rocprim17ROCPRIM_400000_NS6detail17trampoline_kernelINS0_14default_configENS1_25transform_config_selectorIfLb0EEEZNS1_14transform_implILb0ES3_S5_N6thrust23THRUST_200600_302600_NS6detail15normal_iteratorINS8_10device_ptrIfEEEEPfNS0_8identityIfEEEE10hipError_tT2_T3_mT4_P12ihipStream_tbEUlT_E_NS1_11comp_targetILNS1_3genE10ELNS1_11target_archE1200ELNS1_3gpuE4ELNS1_3repE0EEENS1_30default_config_static_selectorELNS0_4arch9wavefront6targetE0EEEvT1_
	.p2align	8
	.type	_ZN7rocprim17ROCPRIM_400000_NS6detail17trampoline_kernelINS0_14default_configENS1_25transform_config_selectorIfLb0EEEZNS1_14transform_implILb0ES3_S5_N6thrust23THRUST_200600_302600_NS6detail15normal_iteratorINS8_10device_ptrIfEEEEPfNS0_8identityIfEEEE10hipError_tT2_T3_mT4_P12ihipStream_tbEUlT_E_NS1_11comp_targetILNS1_3genE10ELNS1_11target_archE1200ELNS1_3gpuE4ELNS1_3repE0EEENS1_30default_config_static_selectorELNS0_4arch9wavefront6targetE0EEEvT1_,@function
_ZN7rocprim17ROCPRIM_400000_NS6detail17trampoline_kernelINS0_14default_configENS1_25transform_config_selectorIfLb0EEEZNS1_14transform_implILb0ES3_S5_N6thrust23THRUST_200600_302600_NS6detail15normal_iteratorINS8_10device_ptrIfEEEEPfNS0_8identityIfEEEE10hipError_tT2_T3_mT4_P12ihipStream_tbEUlT_E_NS1_11comp_targetILNS1_3genE10ELNS1_11target_archE1200ELNS1_3gpuE4ELNS1_3repE0EEENS1_30default_config_static_selectorELNS0_4arch9wavefront6targetE0EEEvT1_: ; @_ZN7rocprim17ROCPRIM_400000_NS6detail17trampoline_kernelINS0_14default_configENS1_25transform_config_selectorIfLb0EEEZNS1_14transform_implILb0ES3_S5_N6thrust23THRUST_200600_302600_NS6detail15normal_iteratorINS8_10device_ptrIfEEEEPfNS0_8identityIfEEEE10hipError_tT2_T3_mT4_P12ihipStream_tbEUlT_E_NS1_11comp_targetILNS1_3genE10ELNS1_11target_archE1200ELNS1_3gpuE4ELNS1_3repE0EEENS1_30default_config_static_selectorELNS0_4arch9wavefront6targetE0EEEvT1_
; %bb.0:
	.section	.rodata,"a",@progbits
	.p2align	6, 0x0
	.amdhsa_kernel _ZN7rocprim17ROCPRIM_400000_NS6detail17trampoline_kernelINS0_14default_configENS1_25transform_config_selectorIfLb0EEEZNS1_14transform_implILb0ES3_S5_N6thrust23THRUST_200600_302600_NS6detail15normal_iteratorINS8_10device_ptrIfEEEEPfNS0_8identityIfEEEE10hipError_tT2_T3_mT4_P12ihipStream_tbEUlT_E_NS1_11comp_targetILNS1_3genE10ELNS1_11target_archE1200ELNS1_3gpuE4ELNS1_3repE0EEENS1_30default_config_static_selectorELNS0_4arch9wavefront6targetE0EEEvT1_
		.amdhsa_group_segment_fixed_size 0
		.amdhsa_private_segment_fixed_size 0
		.amdhsa_kernarg_size 40
		.amdhsa_user_sgpr_count 6
		.amdhsa_user_sgpr_private_segment_buffer 1
		.amdhsa_user_sgpr_dispatch_ptr 0
		.amdhsa_user_sgpr_queue_ptr 0
		.amdhsa_user_sgpr_kernarg_segment_ptr 1
		.amdhsa_user_sgpr_dispatch_id 0
		.amdhsa_user_sgpr_flat_scratch_init 0
		.amdhsa_user_sgpr_private_segment_size 0
		.amdhsa_wavefront_size32 1
		.amdhsa_uses_dynamic_stack 0
		.amdhsa_system_sgpr_private_segment_wavefront_offset 0
		.amdhsa_system_sgpr_workgroup_id_x 1
		.amdhsa_system_sgpr_workgroup_id_y 0
		.amdhsa_system_sgpr_workgroup_id_z 0
		.amdhsa_system_sgpr_workgroup_info 0
		.amdhsa_system_vgpr_workitem_id 0
		.amdhsa_next_free_vgpr 1
		.amdhsa_next_free_sgpr 1
		.amdhsa_reserve_vcc 0
		.amdhsa_reserve_flat_scratch 0
		.amdhsa_float_round_mode_32 0
		.amdhsa_float_round_mode_16_64 0
		.amdhsa_float_denorm_mode_32 3
		.amdhsa_float_denorm_mode_16_64 3
		.amdhsa_dx10_clamp 1
		.amdhsa_ieee_mode 1
		.amdhsa_fp16_overflow 0
		.amdhsa_workgroup_processor_mode 1
		.amdhsa_memory_ordered 1
		.amdhsa_forward_progress 1
		.amdhsa_shared_vgpr_count 0
		.amdhsa_exception_fp_ieee_invalid_op 0
		.amdhsa_exception_fp_denorm_src 0
		.amdhsa_exception_fp_ieee_div_zero 0
		.amdhsa_exception_fp_ieee_overflow 0
		.amdhsa_exception_fp_ieee_underflow 0
		.amdhsa_exception_fp_ieee_inexact 0
		.amdhsa_exception_int_div_zero 0
	.end_amdhsa_kernel
	.section	.text._ZN7rocprim17ROCPRIM_400000_NS6detail17trampoline_kernelINS0_14default_configENS1_25transform_config_selectorIfLb0EEEZNS1_14transform_implILb0ES3_S5_N6thrust23THRUST_200600_302600_NS6detail15normal_iteratorINS8_10device_ptrIfEEEEPfNS0_8identityIfEEEE10hipError_tT2_T3_mT4_P12ihipStream_tbEUlT_E_NS1_11comp_targetILNS1_3genE10ELNS1_11target_archE1200ELNS1_3gpuE4ELNS1_3repE0EEENS1_30default_config_static_selectorELNS0_4arch9wavefront6targetE0EEEvT1_,"axG",@progbits,_ZN7rocprim17ROCPRIM_400000_NS6detail17trampoline_kernelINS0_14default_configENS1_25transform_config_selectorIfLb0EEEZNS1_14transform_implILb0ES3_S5_N6thrust23THRUST_200600_302600_NS6detail15normal_iteratorINS8_10device_ptrIfEEEEPfNS0_8identityIfEEEE10hipError_tT2_T3_mT4_P12ihipStream_tbEUlT_E_NS1_11comp_targetILNS1_3genE10ELNS1_11target_archE1200ELNS1_3gpuE4ELNS1_3repE0EEENS1_30default_config_static_selectorELNS0_4arch9wavefront6targetE0EEEvT1_,comdat
.Lfunc_end556:
	.size	_ZN7rocprim17ROCPRIM_400000_NS6detail17trampoline_kernelINS0_14default_configENS1_25transform_config_selectorIfLb0EEEZNS1_14transform_implILb0ES3_S5_N6thrust23THRUST_200600_302600_NS6detail15normal_iteratorINS8_10device_ptrIfEEEEPfNS0_8identityIfEEEE10hipError_tT2_T3_mT4_P12ihipStream_tbEUlT_E_NS1_11comp_targetILNS1_3genE10ELNS1_11target_archE1200ELNS1_3gpuE4ELNS1_3repE0EEENS1_30default_config_static_selectorELNS0_4arch9wavefront6targetE0EEEvT1_, .Lfunc_end556-_ZN7rocprim17ROCPRIM_400000_NS6detail17trampoline_kernelINS0_14default_configENS1_25transform_config_selectorIfLb0EEEZNS1_14transform_implILb0ES3_S5_N6thrust23THRUST_200600_302600_NS6detail15normal_iteratorINS8_10device_ptrIfEEEEPfNS0_8identityIfEEEE10hipError_tT2_T3_mT4_P12ihipStream_tbEUlT_E_NS1_11comp_targetILNS1_3genE10ELNS1_11target_archE1200ELNS1_3gpuE4ELNS1_3repE0EEENS1_30default_config_static_selectorELNS0_4arch9wavefront6targetE0EEEvT1_
                                        ; -- End function
	.set _ZN7rocprim17ROCPRIM_400000_NS6detail17trampoline_kernelINS0_14default_configENS1_25transform_config_selectorIfLb0EEEZNS1_14transform_implILb0ES3_S5_N6thrust23THRUST_200600_302600_NS6detail15normal_iteratorINS8_10device_ptrIfEEEEPfNS0_8identityIfEEEE10hipError_tT2_T3_mT4_P12ihipStream_tbEUlT_E_NS1_11comp_targetILNS1_3genE10ELNS1_11target_archE1200ELNS1_3gpuE4ELNS1_3repE0EEENS1_30default_config_static_selectorELNS0_4arch9wavefront6targetE0EEEvT1_.num_vgpr, 0
	.set _ZN7rocprim17ROCPRIM_400000_NS6detail17trampoline_kernelINS0_14default_configENS1_25transform_config_selectorIfLb0EEEZNS1_14transform_implILb0ES3_S5_N6thrust23THRUST_200600_302600_NS6detail15normal_iteratorINS8_10device_ptrIfEEEEPfNS0_8identityIfEEEE10hipError_tT2_T3_mT4_P12ihipStream_tbEUlT_E_NS1_11comp_targetILNS1_3genE10ELNS1_11target_archE1200ELNS1_3gpuE4ELNS1_3repE0EEENS1_30default_config_static_selectorELNS0_4arch9wavefront6targetE0EEEvT1_.num_agpr, 0
	.set _ZN7rocprim17ROCPRIM_400000_NS6detail17trampoline_kernelINS0_14default_configENS1_25transform_config_selectorIfLb0EEEZNS1_14transform_implILb0ES3_S5_N6thrust23THRUST_200600_302600_NS6detail15normal_iteratorINS8_10device_ptrIfEEEEPfNS0_8identityIfEEEE10hipError_tT2_T3_mT4_P12ihipStream_tbEUlT_E_NS1_11comp_targetILNS1_3genE10ELNS1_11target_archE1200ELNS1_3gpuE4ELNS1_3repE0EEENS1_30default_config_static_selectorELNS0_4arch9wavefront6targetE0EEEvT1_.numbered_sgpr, 0
	.set _ZN7rocprim17ROCPRIM_400000_NS6detail17trampoline_kernelINS0_14default_configENS1_25transform_config_selectorIfLb0EEEZNS1_14transform_implILb0ES3_S5_N6thrust23THRUST_200600_302600_NS6detail15normal_iteratorINS8_10device_ptrIfEEEEPfNS0_8identityIfEEEE10hipError_tT2_T3_mT4_P12ihipStream_tbEUlT_E_NS1_11comp_targetILNS1_3genE10ELNS1_11target_archE1200ELNS1_3gpuE4ELNS1_3repE0EEENS1_30default_config_static_selectorELNS0_4arch9wavefront6targetE0EEEvT1_.num_named_barrier, 0
	.set _ZN7rocprim17ROCPRIM_400000_NS6detail17trampoline_kernelINS0_14default_configENS1_25transform_config_selectorIfLb0EEEZNS1_14transform_implILb0ES3_S5_N6thrust23THRUST_200600_302600_NS6detail15normal_iteratorINS8_10device_ptrIfEEEEPfNS0_8identityIfEEEE10hipError_tT2_T3_mT4_P12ihipStream_tbEUlT_E_NS1_11comp_targetILNS1_3genE10ELNS1_11target_archE1200ELNS1_3gpuE4ELNS1_3repE0EEENS1_30default_config_static_selectorELNS0_4arch9wavefront6targetE0EEEvT1_.private_seg_size, 0
	.set _ZN7rocprim17ROCPRIM_400000_NS6detail17trampoline_kernelINS0_14default_configENS1_25transform_config_selectorIfLb0EEEZNS1_14transform_implILb0ES3_S5_N6thrust23THRUST_200600_302600_NS6detail15normal_iteratorINS8_10device_ptrIfEEEEPfNS0_8identityIfEEEE10hipError_tT2_T3_mT4_P12ihipStream_tbEUlT_E_NS1_11comp_targetILNS1_3genE10ELNS1_11target_archE1200ELNS1_3gpuE4ELNS1_3repE0EEENS1_30default_config_static_selectorELNS0_4arch9wavefront6targetE0EEEvT1_.uses_vcc, 0
	.set _ZN7rocprim17ROCPRIM_400000_NS6detail17trampoline_kernelINS0_14default_configENS1_25transform_config_selectorIfLb0EEEZNS1_14transform_implILb0ES3_S5_N6thrust23THRUST_200600_302600_NS6detail15normal_iteratorINS8_10device_ptrIfEEEEPfNS0_8identityIfEEEE10hipError_tT2_T3_mT4_P12ihipStream_tbEUlT_E_NS1_11comp_targetILNS1_3genE10ELNS1_11target_archE1200ELNS1_3gpuE4ELNS1_3repE0EEENS1_30default_config_static_selectorELNS0_4arch9wavefront6targetE0EEEvT1_.uses_flat_scratch, 0
	.set _ZN7rocprim17ROCPRIM_400000_NS6detail17trampoline_kernelINS0_14default_configENS1_25transform_config_selectorIfLb0EEEZNS1_14transform_implILb0ES3_S5_N6thrust23THRUST_200600_302600_NS6detail15normal_iteratorINS8_10device_ptrIfEEEEPfNS0_8identityIfEEEE10hipError_tT2_T3_mT4_P12ihipStream_tbEUlT_E_NS1_11comp_targetILNS1_3genE10ELNS1_11target_archE1200ELNS1_3gpuE4ELNS1_3repE0EEENS1_30default_config_static_selectorELNS0_4arch9wavefront6targetE0EEEvT1_.has_dyn_sized_stack, 0
	.set _ZN7rocprim17ROCPRIM_400000_NS6detail17trampoline_kernelINS0_14default_configENS1_25transform_config_selectorIfLb0EEEZNS1_14transform_implILb0ES3_S5_N6thrust23THRUST_200600_302600_NS6detail15normal_iteratorINS8_10device_ptrIfEEEEPfNS0_8identityIfEEEE10hipError_tT2_T3_mT4_P12ihipStream_tbEUlT_E_NS1_11comp_targetILNS1_3genE10ELNS1_11target_archE1200ELNS1_3gpuE4ELNS1_3repE0EEENS1_30default_config_static_selectorELNS0_4arch9wavefront6targetE0EEEvT1_.has_recursion, 0
	.set _ZN7rocprim17ROCPRIM_400000_NS6detail17trampoline_kernelINS0_14default_configENS1_25transform_config_selectorIfLb0EEEZNS1_14transform_implILb0ES3_S5_N6thrust23THRUST_200600_302600_NS6detail15normal_iteratorINS8_10device_ptrIfEEEEPfNS0_8identityIfEEEE10hipError_tT2_T3_mT4_P12ihipStream_tbEUlT_E_NS1_11comp_targetILNS1_3genE10ELNS1_11target_archE1200ELNS1_3gpuE4ELNS1_3repE0EEENS1_30default_config_static_selectorELNS0_4arch9wavefront6targetE0EEEvT1_.has_indirect_call, 0
	.section	.AMDGPU.csdata,"",@progbits
; Kernel info:
; codeLenInByte = 0
; TotalNumSgprs: 0
; NumVgprs: 0
; ScratchSize: 0
; MemoryBound: 0
; FloatMode: 240
; IeeeMode: 1
; LDSByteSize: 0 bytes/workgroup (compile time only)
; SGPRBlocks: 0
; VGPRBlocks: 0
; NumSGPRsForWavesPerEU: 1
; NumVGPRsForWavesPerEU: 1
; Occupancy: 16
; WaveLimiterHint : 0
; COMPUTE_PGM_RSRC2:SCRATCH_EN: 0
; COMPUTE_PGM_RSRC2:USER_SGPR: 6
; COMPUTE_PGM_RSRC2:TRAP_HANDLER: 0
; COMPUTE_PGM_RSRC2:TGID_X_EN: 1
; COMPUTE_PGM_RSRC2:TGID_Y_EN: 0
; COMPUTE_PGM_RSRC2:TGID_Z_EN: 0
; COMPUTE_PGM_RSRC2:TIDIG_COMP_CNT: 0
	.section	.text._ZN7rocprim17ROCPRIM_400000_NS6detail17trampoline_kernelINS0_14default_configENS1_25transform_config_selectorIfLb0EEEZNS1_14transform_implILb0ES3_S5_N6thrust23THRUST_200600_302600_NS6detail15normal_iteratorINS8_10device_ptrIfEEEEPfNS0_8identityIfEEEE10hipError_tT2_T3_mT4_P12ihipStream_tbEUlT_E_NS1_11comp_targetILNS1_3genE9ELNS1_11target_archE1100ELNS1_3gpuE3ELNS1_3repE0EEENS1_30default_config_static_selectorELNS0_4arch9wavefront6targetE0EEEvT1_,"axG",@progbits,_ZN7rocprim17ROCPRIM_400000_NS6detail17trampoline_kernelINS0_14default_configENS1_25transform_config_selectorIfLb0EEEZNS1_14transform_implILb0ES3_S5_N6thrust23THRUST_200600_302600_NS6detail15normal_iteratorINS8_10device_ptrIfEEEEPfNS0_8identityIfEEEE10hipError_tT2_T3_mT4_P12ihipStream_tbEUlT_E_NS1_11comp_targetILNS1_3genE9ELNS1_11target_archE1100ELNS1_3gpuE3ELNS1_3repE0EEENS1_30default_config_static_selectorELNS0_4arch9wavefront6targetE0EEEvT1_,comdat
	.protected	_ZN7rocprim17ROCPRIM_400000_NS6detail17trampoline_kernelINS0_14default_configENS1_25transform_config_selectorIfLb0EEEZNS1_14transform_implILb0ES3_S5_N6thrust23THRUST_200600_302600_NS6detail15normal_iteratorINS8_10device_ptrIfEEEEPfNS0_8identityIfEEEE10hipError_tT2_T3_mT4_P12ihipStream_tbEUlT_E_NS1_11comp_targetILNS1_3genE9ELNS1_11target_archE1100ELNS1_3gpuE3ELNS1_3repE0EEENS1_30default_config_static_selectorELNS0_4arch9wavefront6targetE0EEEvT1_ ; -- Begin function _ZN7rocprim17ROCPRIM_400000_NS6detail17trampoline_kernelINS0_14default_configENS1_25transform_config_selectorIfLb0EEEZNS1_14transform_implILb0ES3_S5_N6thrust23THRUST_200600_302600_NS6detail15normal_iteratorINS8_10device_ptrIfEEEEPfNS0_8identityIfEEEE10hipError_tT2_T3_mT4_P12ihipStream_tbEUlT_E_NS1_11comp_targetILNS1_3genE9ELNS1_11target_archE1100ELNS1_3gpuE3ELNS1_3repE0EEENS1_30default_config_static_selectorELNS0_4arch9wavefront6targetE0EEEvT1_
	.globl	_ZN7rocprim17ROCPRIM_400000_NS6detail17trampoline_kernelINS0_14default_configENS1_25transform_config_selectorIfLb0EEEZNS1_14transform_implILb0ES3_S5_N6thrust23THRUST_200600_302600_NS6detail15normal_iteratorINS8_10device_ptrIfEEEEPfNS0_8identityIfEEEE10hipError_tT2_T3_mT4_P12ihipStream_tbEUlT_E_NS1_11comp_targetILNS1_3genE9ELNS1_11target_archE1100ELNS1_3gpuE3ELNS1_3repE0EEENS1_30default_config_static_selectorELNS0_4arch9wavefront6targetE0EEEvT1_
	.p2align	8
	.type	_ZN7rocprim17ROCPRIM_400000_NS6detail17trampoline_kernelINS0_14default_configENS1_25transform_config_selectorIfLb0EEEZNS1_14transform_implILb0ES3_S5_N6thrust23THRUST_200600_302600_NS6detail15normal_iteratorINS8_10device_ptrIfEEEEPfNS0_8identityIfEEEE10hipError_tT2_T3_mT4_P12ihipStream_tbEUlT_E_NS1_11comp_targetILNS1_3genE9ELNS1_11target_archE1100ELNS1_3gpuE3ELNS1_3repE0EEENS1_30default_config_static_selectorELNS0_4arch9wavefront6targetE0EEEvT1_,@function
_ZN7rocprim17ROCPRIM_400000_NS6detail17trampoline_kernelINS0_14default_configENS1_25transform_config_selectorIfLb0EEEZNS1_14transform_implILb0ES3_S5_N6thrust23THRUST_200600_302600_NS6detail15normal_iteratorINS8_10device_ptrIfEEEEPfNS0_8identityIfEEEE10hipError_tT2_T3_mT4_P12ihipStream_tbEUlT_E_NS1_11comp_targetILNS1_3genE9ELNS1_11target_archE1100ELNS1_3gpuE3ELNS1_3repE0EEENS1_30default_config_static_selectorELNS0_4arch9wavefront6targetE0EEEvT1_: ; @_ZN7rocprim17ROCPRIM_400000_NS6detail17trampoline_kernelINS0_14default_configENS1_25transform_config_selectorIfLb0EEEZNS1_14transform_implILb0ES3_S5_N6thrust23THRUST_200600_302600_NS6detail15normal_iteratorINS8_10device_ptrIfEEEEPfNS0_8identityIfEEEE10hipError_tT2_T3_mT4_P12ihipStream_tbEUlT_E_NS1_11comp_targetILNS1_3genE9ELNS1_11target_archE1100ELNS1_3gpuE3ELNS1_3repE0EEENS1_30default_config_static_selectorELNS0_4arch9wavefront6targetE0EEEvT1_
; %bb.0:
	.section	.rodata,"a",@progbits
	.p2align	6, 0x0
	.amdhsa_kernel _ZN7rocprim17ROCPRIM_400000_NS6detail17trampoline_kernelINS0_14default_configENS1_25transform_config_selectorIfLb0EEEZNS1_14transform_implILb0ES3_S5_N6thrust23THRUST_200600_302600_NS6detail15normal_iteratorINS8_10device_ptrIfEEEEPfNS0_8identityIfEEEE10hipError_tT2_T3_mT4_P12ihipStream_tbEUlT_E_NS1_11comp_targetILNS1_3genE9ELNS1_11target_archE1100ELNS1_3gpuE3ELNS1_3repE0EEENS1_30default_config_static_selectorELNS0_4arch9wavefront6targetE0EEEvT1_
		.amdhsa_group_segment_fixed_size 0
		.amdhsa_private_segment_fixed_size 0
		.amdhsa_kernarg_size 40
		.amdhsa_user_sgpr_count 6
		.amdhsa_user_sgpr_private_segment_buffer 1
		.amdhsa_user_sgpr_dispatch_ptr 0
		.amdhsa_user_sgpr_queue_ptr 0
		.amdhsa_user_sgpr_kernarg_segment_ptr 1
		.amdhsa_user_sgpr_dispatch_id 0
		.amdhsa_user_sgpr_flat_scratch_init 0
		.amdhsa_user_sgpr_private_segment_size 0
		.amdhsa_wavefront_size32 1
		.amdhsa_uses_dynamic_stack 0
		.amdhsa_system_sgpr_private_segment_wavefront_offset 0
		.amdhsa_system_sgpr_workgroup_id_x 1
		.amdhsa_system_sgpr_workgroup_id_y 0
		.amdhsa_system_sgpr_workgroup_id_z 0
		.amdhsa_system_sgpr_workgroup_info 0
		.amdhsa_system_vgpr_workitem_id 0
		.amdhsa_next_free_vgpr 1
		.amdhsa_next_free_sgpr 1
		.amdhsa_reserve_vcc 0
		.amdhsa_reserve_flat_scratch 0
		.amdhsa_float_round_mode_32 0
		.amdhsa_float_round_mode_16_64 0
		.amdhsa_float_denorm_mode_32 3
		.amdhsa_float_denorm_mode_16_64 3
		.amdhsa_dx10_clamp 1
		.amdhsa_ieee_mode 1
		.amdhsa_fp16_overflow 0
		.amdhsa_workgroup_processor_mode 1
		.amdhsa_memory_ordered 1
		.amdhsa_forward_progress 1
		.amdhsa_shared_vgpr_count 0
		.amdhsa_exception_fp_ieee_invalid_op 0
		.amdhsa_exception_fp_denorm_src 0
		.amdhsa_exception_fp_ieee_div_zero 0
		.amdhsa_exception_fp_ieee_overflow 0
		.amdhsa_exception_fp_ieee_underflow 0
		.amdhsa_exception_fp_ieee_inexact 0
		.amdhsa_exception_int_div_zero 0
	.end_amdhsa_kernel
	.section	.text._ZN7rocprim17ROCPRIM_400000_NS6detail17trampoline_kernelINS0_14default_configENS1_25transform_config_selectorIfLb0EEEZNS1_14transform_implILb0ES3_S5_N6thrust23THRUST_200600_302600_NS6detail15normal_iteratorINS8_10device_ptrIfEEEEPfNS0_8identityIfEEEE10hipError_tT2_T3_mT4_P12ihipStream_tbEUlT_E_NS1_11comp_targetILNS1_3genE9ELNS1_11target_archE1100ELNS1_3gpuE3ELNS1_3repE0EEENS1_30default_config_static_selectorELNS0_4arch9wavefront6targetE0EEEvT1_,"axG",@progbits,_ZN7rocprim17ROCPRIM_400000_NS6detail17trampoline_kernelINS0_14default_configENS1_25transform_config_selectorIfLb0EEEZNS1_14transform_implILb0ES3_S5_N6thrust23THRUST_200600_302600_NS6detail15normal_iteratorINS8_10device_ptrIfEEEEPfNS0_8identityIfEEEE10hipError_tT2_T3_mT4_P12ihipStream_tbEUlT_E_NS1_11comp_targetILNS1_3genE9ELNS1_11target_archE1100ELNS1_3gpuE3ELNS1_3repE0EEENS1_30default_config_static_selectorELNS0_4arch9wavefront6targetE0EEEvT1_,comdat
.Lfunc_end557:
	.size	_ZN7rocprim17ROCPRIM_400000_NS6detail17trampoline_kernelINS0_14default_configENS1_25transform_config_selectorIfLb0EEEZNS1_14transform_implILb0ES3_S5_N6thrust23THRUST_200600_302600_NS6detail15normal_iteratorINS8_10device_ptrIfEEEEPfNS0_8identityIfEEEE10hipError_tT2_T3_mT4_P12ihipStream_tbEUlT_E_NS1_11comp_targetILNS1_3genE9ELNS1_11target_archE1100ELNS1_3gpuE3ELNS1_3repE0EEENS1_30default_config_static_selectorELNS0_4arch9wavefront6targetE0EEEvT1_, .Lfunc_end557-_ZN7rocprim17ROCPRIM_400000_NS6detail17trampoline_kernelINS0_14default_configENS1_25transform_config_selectorIfLb0EEEZNS1_14transform_implILb0ES3_S5_N6thrust23THRUST_200600_302600_NS6detail15normal_iteratorINS8_10device_ptrIfEEEEPfNS0_8identityIfEEEE10hipError_tT2_T3_mT4_P12ihipStream_tbEUlT_E_NS1_11comp_targetILNS1_3genE9ELNS1_11target_archE1100ELNS1_3gpuE3ELNS1_3repE0EEENS1_30default_config_static_selectorELNS0_4arch9wavefront6targetE0EEEvT1_
                                        ; -- End function
	.set _ZN7rocprim17ROCPRIM_400000_NS6detail17trampoline_kernelINS0_14default_configENS1_25transform_config_selectorIfLb0EEEZNS1_14transform_implILb0ES3_S5_N6thrust23THRUST_200600_302600_NS6detail15normal_iteratorINS8_10device_ptrIfEEEEPfNS0_8identityIfEEEE10hipError_tT2_T3_mT4_P12ihipStream_tbEUlT_E_NS1_11comp_targetILNS1_3genE9ELNS1_11target_archE1100ELNS1_3gpuE3ELNS1_3repE0EEENS1_30default_config_static_selectorELNS0_4arch9wavefront6targetE0EEEvT1_.num_vgpr, 0
	.set _ZN7rocprim17ROCPRIM_400000_NS6detail17trampoline_kernelINS0_14default_configENS1_25transform_config_selectorIfLb0EEEZNS1_14transform_implILb0ES3_S5_N6thrust23THRUST_200600_302600_NS6detail15normal_iteratorINS8_10device_ptrIfEEEEPfNS0_8identityIfEEEE10hipError_tT2_T3_mT4_P12ihipStream_tbEUlT_E_NS1_11comp_targetILNS1_3genE9ELNS1_11target_archE1100ELNS1_3gpuE3ELNS1_3repE0EEENS1_30default_config_static_selectorELNS0_4arch9wavefront6targetE0EEEvT1_.num_agpr, 0
	.set _ZN7rocprim17ROCPRIM_400000_NS6detail17trampoline_kernelINS0_14default_configENS1_25transform_config_selectorIfLb0EEEZNS1_14transform_implILb0ES3_S5_N6thrust23THRUST_200600_302600_NS6detail15normal_iteratorINS8_10device_ptrIfEEEEPfNS0_8identityIfEEEE10hipError_tT2_T3_mT4_P12ihipStream_tbEUlT_E_NS1_11comp_targetILNS1_3genE9ELNS1_11target_archE1100ELNS1_3gpuE3ELNS1_3repE0EEENS1_30default_config_static_selectorELNS0_4arch9wavefront6targetE0EEEvT1_.numbered_sgpr, 0
	.set _ZN7rocprim17ROCPRIM_400000_NS6detail17trampoline_kernelINS0_14default_configENS1_25transform_config_selectorIfLb0EEEZNS1_14transform_implILb0ES3_S5_N6thrust23THRUST_200600_302600_NS6detail15normal_iteratorINS8_10device_ptrIfEEEEPfNS0_8identityIfEEEE10hipError_tT2_T3_mT4_P12ihipStream_tbEUlT_E_NS1_11comp_targetILNS1_3genE9ELNS1_11target_archE1100ELNS1_3gpuE3ELNS1_3repE0EEENS1_30default_config_static_selectorELNS0_4arch9wavefront6targetE0EEEvT1_.num_named_barrier, 0
	.set _ZN7rocprim17ROCPRIM_400000_NS6detail17trampoline_kernelINS0_14default_configENS1_25transform_config_selectorIfLb0EEEZNS1_14transform_implILb0ES3_S5_N6thrust23THRUST_200600_302600_NS6detail15normal_iteratorINS8_10device_ptrIfEEEEPfNS0_8identityIfEEEE10hipError_tT2_T3_mT4_P12ihipStream_tbEUlT_E_NS1_11comp_targetILNS1_3genE9ELNS1_11target_archE1100ELNS1_3gpuE3ELNS1_3repE0EEENS1_30default_config_static_selectorELNS0_4arch9wavefront6targetE0EEEvT1_.private_seg_size, 0
	.set _ZN7rocprim17ROCPRIM_400000_NS6detail17trampoline_kernelINS0_14default_configENS1_25transform_config_selectorIfLb0EEEZNS1_14transform_implILb0ES3_S5_N6thrust23THRUST_200600_302600_NS6detail15normal_iteratorINS8_10device_ptrIfEEEEPfNS0_8identityIfEEEE10hipError_tT2_T3_mT4_P12ihipStream_tbEUlT_E_NS1_11comp_targetILNS1_3genE9ELNS1_11target_archE1100ELNS1_3gpuE3ELNS1_3repE0EEENS1_30default_config_static_selectorELNS0_4arch9wavefront6targetE0EEEvT1_.uses_vcc, 0
	.set _ZN7rocprim17ROCPRIM_400000_NS6detail17trampoline_kernelINS0_14default_configENS1_25transform_config_selectorIfLb0EEEZNS1_14transform_implILb0ES3_S5_N6thrust23THRUST_200600_302600_NS6detail15normal_iteratorINS8_10device_ptrIfEEEEPfNS0_8identityIfEEEE10hipError_tT2_T3_mT4_P12ihipStream_tbEUlT_E_NS1_11comp_targetILNS1_3genE9ELNS1_11target_archE1100ELNS1_3gpuE3ELNS1_3repE0EEENS1_30default_config_static_selectorELNS0_4arch9wavefront6targetE0EEEvT1_.uses_flat_scratch, 0
	.set _ZN7rocprim17ROCPRIM_400000_NS6detail17trampoline_kernelINS0_14default_configENS1_25transform_config_selectorIfLb0EEEZNS1_14transform_implILb0ES3_S5_N6thrust23THRUST_200600_302600_NS6detail15normal_iteratorINS8_10device_ptrIfEEEEPfNS0_8identityIfEEEE10hipError_tT2_T3_mT4_P12ihipStream_tbEUlT_E_NS1_11comp_targetILNS1_3genE9ELNS1_11target_archE1100ELNS1_3gpuE3ELNS1_3repE0EEENS1_30default_config_static_selectorELNS0_4arch9wavefront6targetE0EEEvT1_.has_dyn_sized_stack, 0
	.set _ZN7rocprim17ROCPRIM_400000_NS6detail17trampoline_kernelINS0_14default_configENS1_25transform_config_selectorIfLb0EEEZNS1_14transform_implILb0ES3_S5_N6thrust23THRUST_200600_302600_NS6detail15normal_iteratorINS8_10device_ptrIfEEEEPfNS0_8identityIfEEEE10hipError_tT2_T3_mT4_P12ihipStream_tbEUlT_E_NS1_11comp_targetILNS1_3genE9ELNS1_11target_archE1100ELNS1_3gpuE3ELNS1_3repE0EEENS1_30default_config_static_selectorELNS0_4arch9wavefront6targetE0EEEvT1_.has_recursion, 0
	.set _ZN7rocprim17ROCPRIM_400000_NS6detail17trampoline_kernelINS0_14default_configENS1_25transform_config_selectorIfLb0EEEZNS1_14transform_implILb0ES3_S5_N6thrust23THRUST_200600_302600_NS6detail15normal_iteratorINS8_10device_ptrIfEEEEPfNS0_8identityIfEEEE10hipError_tT2_T3_mT4_P12ihipStream_tbEUlT_E_NS1_11comp_targetILNS1_3genE9ELNS1_11target_archE1100ELNS1_3gpuE3ELNS1_3repE0EEENS1_30default_config_static_selectorELNS0_4arch9wavefront6targetE0EEEvT1_.has_indirect_call, 0
	.section	.AMDGPU.csdata,"",@progbits
; Kernel info:
; codeLenInByte = 0
; TotalNumSgprs: 0
; NumVgprs: 0
; ScratchSize: 0
; MemoryBound: 0
; FloatMode: 240
; IeeeMode: 1
; LDSByteSize: 0 bytes/workgroup (compile time only)
; SGPRBlocks: 0
; VGPRBlocks: 0
; NumSGPRsForWavesPerEU: 1
; NumVGPRsForWavesPerEU: 1
; Occupancy: 16
; WaveLimiterHint : 0
; COMPUTE_PGM_RSRC2:SCRATCH_EN: 0
; COMPUTE_PGM_RSRC2:USER_SGPR: 6
; COMPUTE_PGM_RSRC2:TRAP_HANDLER: 0
; COMPUTE_PGM_RSRC2:TGID_X_EN: 1
; COMPUTE_PGM_RSRC2:TGID_Y_EN: 0
; COMPUTE_PGM_RSRC2:TGID_Z_EN: 0
; COMPUTE_PGM_RSRC2:TIDIG_COMP_CNT: 0
	.section	.text._ZN7rocprim17ROCPRIM_400000_NS6detail17trampoline_kernelINS0_14default_configENS1_25transform_config_selectorIfLb0EEEZNS1_14transform_implILb0ES3_S5_N6thrust23THRUST_200600_302600_NS6detail15normal_iteratorINS8_10device_ptrIfEEEEPfNS0_8identityIfEEEE10hipError_tT2_T3_mT4_P12ihipStream_tbEUlT_E_NS1_11comp_targetILNS1_3genE8ELNS1_11target_archE1030ELNS1_3gpuE2ELNS1_3repE0EEENS1_30default_config_static_selectorELNS0_4arch9wavefront6targetE0EEEvT1_,"axG",@progbits,_ZN7rocprim17ROCPRIM_400000_NS6detail17trampoline_kernelINS0_14default_configENS1_25transform_config_selectorIfLb0EEEZNS1_14transform_implILb0ES3_S5_N6thrust23THRUST_200600_302600_NS6detail15normal_iteratorINS8_10device_ptrIfEEEEPfNS0_8identityIfEEEE10hipError_tT2_T3_mT4_P12ihipStream_tbEUlT_E_NS1_11comp_targetILNS1_3genE8ELNS1_11target_archE1030ELNS1_3gpuE2ELNS1_3repE0EEENS1_30default_config_static_selectorELNS0_4arch9wavefront6targetE0EEEvT1_,comdat
	.protected	_ZN7rocprim17ROCPRIM_400000_NS6detail17trampoline_kernelINS0_14default_configENS1_25transform_config_selectorIfLb0EEEZNS1_14transform_implILb0ES3_S5_N6thrust23THRUST_200600_302600_NS6detail15normal_iteratorINS8_10device_ptrIfEEEEPfNS0_8identityIfEEEE10hipError_tT2_T3_mT4_P12ihipStream_tbEUlT_E_NS1_11comp_targetILNS1_3genE8ELNS1_11target_archE1030ELNS1_3gpuE2ELNS1_3repE0EEENS1_30default_config_static_selectorELNS0_4arch9wavefront6targetE0EEEvT1_ ; -- Begin function _ZN7rocprim17ROCPRIM_400000_NS6detail17trampoline_kernelINS0_14default_configENS1_25transform_config_selectorIfLb0EEEZNS1_14transform_implILb0ES3_S5_N6thrust23THRUST_200600_302600_NS6detail15normal_iteratorINS8_10device_ptrIfEEEEPfNS0_8identityIfEEEE10hipError_tT2_T3_mT4_P12ihipStream_tbEUlT_E_NS1_11comp_targetILNS1_3genE8ELNS1_11target_archE1030ELNS1_3gpuE2ELNS1_3repE0EEENS1_30default_config_static_selectorELNS0_4arch9wavefront6targetE0EEEvT1_
	.globl	_ZN7rocprim17ROCPRIM_400000_NS6detail17trampoline_kernelINS0_14default_configENS1_25transform_config_selectorIfLb0EEEZNS1_14transform_implILb0ES3_S5_N6thrust23THRUST_200600_302600_NS6detail15normal_iteratorINS8_10device_ptrIfEEEEPfNS0_8identityIfEEEE10hipError_tT2_T3_mT4_P12ihipStream_tbEUlT_E_NS1_11comp_targetILNS1_3genE8ELNS1_11target_archE1030ELNS1_3gpuE2ELNS1_3repE0EEENS1_30default_config_static_selectorELNS0_4arch9wavefront6targetE0EEEvT1_
	.p2align	8
	.type	_ZN7rocprim17ROCPRIM_400000_NS6detail17trampoline_kernelINS0_14default_configENS1_25transform_config_selectorIfLb0EEEZNS1_14transform_implILb0ES3_S5_N6thrust23THRUST_200600_302600_NS6detail15normal_iteratorINS8_10device_ptrIfEEEEPfNS0_8identityIfEEEE10hipError_tT2_T3_mT4_P12ihipStream_tbEUlT_E_NS1_11comp_targetILNS1_3genE8ELNS1_11target_archE1030ELNS1_3gpuE2ELNS1_3repE0EEENS1_30default_config_static_selectorELNS0_4arch9wavefront6targetE0EEEvT1_,@function
_ZN7rocprim17ROCPRIM_400000_NS6detail17trampoline_kernelINS0_14default_configENS1_25transform_config_selectorIfLb0EEEZNS1_14transform_implILb0ES3_S5_N6thrust23THRUST_200600_302600_NS6detail15normal_iteratorINS8_10device_ptrIfEEEEPfNS0_8identityIfEEEE10hipError_tT2_T3_mT4_P12ihipStream_tbEUlT_E_NS1_11comp_targetILNS1_3genE8ELNS1_11target_archE1030ELNS1_3gpuE2ELNS1_3repE0EEENS1_30default_config_static_selectorELNS0_4arch9wavefront6targetE0EEEvT1_: ; @_ZN7rocprim17ROCPRIM_400000_NS6detail17trampoline_kernelINS0_14default_configENS1_25transform_config_selectorIfLb0EEEZNS1_14transform_implILb0ES3_S5_N6thrust23THRUST_200600_302600_NS6detail15normal_iteratorINS8_10device_ptrIfEEEEPfNS0_8identityIfEEEE10hipError_tT2_T3_mT4_P12ihipStream_tbEUlT_E_NS1_11comp_targetILNS1_3genE8ELNS1_11target_archE1030ELNS1_3gpuE2ELNS1_3repE0EEENS1_30default_config_static_selectorELNS0_4arch9wavefront6targetE0EEEvT1_
; %bb.0:
	s_clause 0x1
	s_load_dword s0, s[4:5], 0x28
	s_load_dword s1, s[4:5], 0x10
	s_waitcnt lgkmcnt(0)
	s_add_i32 s2, s0, -1
	s_lshl_b32 s0, s6, 8
	s_cmp_lg_u32 s6, s2
	s_cselect_b32 s2, -1, 0
	s_sub_i32 s1, s1, s0
	v_cmp_gt_u32_e32 vcc_lo, s1, v0
	s_or_b32 s1, vcc_lo, s2
	s_and_saveexec_b32 s2, s1
	s_cbranch_execz .LBB558_2
; %bb.1:
	s_clause 0x1
	s_load_dwordx4 s[8:11], s[4:5], 0x0
	s_load_dwordx2 s[2:3], s[4:5], 0x18
	s_mov_b32 s1, 0
	v_lshlrev_b32_e32 v2, 2, v0
	s_waitcnt lgkmcnt(0)
	s_lshl_b64 s[4:5], s[10:11], 2
	s_add_u32 s6, s8, s4
	s_addc_u32 s7, s9, s5
	s_lshl_b64 s[0:1], s[0:1], 2
	s_add_u32 s6, s6, s0
	s_addc_u32 s7, s7, s1
	v_add_co_u32 v0, s6, s6, v2
	v_add_co_ci_u32_e64 v1, null, s7, 0, s6
	s_add_u32 s2, s2, s4
	s_addc_u32 s3, s3, s5
	s_add_u32 s0, s2, s0
	flat_load_dword v0, v[0:1]
	s_addc_u32 s1, s3, s1
	s_waitcnt vmcnt(0) lgkmcnt(0)
	global_store_dword v2, v0, s[0:1]
.LBB558_2:
	s_endpgm
	.section	.rodata,"a",@progbits
	.p2align	6, 0x0
	.amdhsa_kernel _ZN7rocprim17ROCPRIM_400000_NS6detail17trampoline_kernelINS0_14default_configENS1_25transform_config_selectorIfLb0EEEZNS1_14transform_implILb0ES3_S5_N6thrust23THRUST_200600_302600_NS6detail15normal_iteratorINS8_10device_ptrIfEEEEPfNS0_8identityIfEEEE10hipError_tT2_T3_mT4_P12ihipStream_tbEUlT_E_NS1_11comp_targetILNS1_3genE8ELNS1_11target_archE1030ELNS1_3gpuE2ELNS1_3repE0EEENS1_30default_config_static_selectorELNS0_4arch9wavefront6targetE0EEEvT1_
		.amdhsa_group_segment_fixed_size 0
		.amdhsa_private_segment_fixed_size 0
		.amdhsa_kernarg_size 296
		.amdhsa_user_sgpr_count 6
		.amdhsa_user_sgpr_private_segment_buffer 1
		.amdhsa_user_sgpr_dispatch_ptr 0
		.amdhsa_user_sgpr_queue_ptr 0
		.amdhsa_user_sgpr_kernarg_segment_ptr 1
		.amdhsa_user_sgpr_dispatch_id 0
		.amdhsa_user_sgpr_flat_scratch_init 0
		.amdhsa_user_sgpr_private_segment_size 0
		.amdhsa_wavefront_size32 1
		.amdhsa_uses_dynamic_stack 0
		.amdhsa_system_sgpr_private_segment_wavefront_offset 0
		.amdhsa_system_sgpr_workgroup_id_x 1
		.amdhsa_system_sgpr_workgroup_id_y 0
		.amdhsa_system_sgpr_workgroup_id_z 0
		.amdhsa_system_sgpr_workgroup_info 0
		.amdhsa_system_vgpr_workitem_id 0
		.amdhsa_next_free_vgpr 3
		.amdhsa_next_free_sgpr 12
		.amdhsa_reserve_vcc 1
		.amdhsa_reserve_flat_scratch 0
		.amdhsa_float_round_mode_32 0
		.amdhsa_float_round_mode_16_64 0
		.amdhsa_float_denorm_mode_32 3
		.amdhsa_float_denorm_mode_16_64 3
		.amdhsa_dx10_clamp 1
		.amdhsa_ieee_mode 1
		.amdhsa_fp16_overflow 0
		.amdhsa_workgroup_processor_mode 1
		.amdhsa_memory_ordered 1
		.amdhsa_forward_progress 1
		.amdhsa_shared_vgpr_count 0
		.amdhsa_exception_fp_ieee_invalid_op 0
		.amdhsa_exception_fp_denorm_src 0
		.amdhsa_exception_fp_ieee_div_zero 0
		.amdhsa_exception_fp_ieee_overflow 0
		.amdhsa_exception_fp_ieee_underflow 0
		.amdhsa_exception_fp_ieee_inexact 0
		.amdhsa_exception_int_div_zero 0
	.end_amdhsa_kernel
	.section	.text._ZN7rocprim17ROCPRIM_400000_NS6detail17trampoline_kernelINS0_14default_configENS1_25transform_config_selectorIfLb0EEEZNS1_14transform_implILb0ES3_S5_N6thrust23THRUST_200600_302600_NS6detail15normal_iteratorINS8_10device_ptrIfEEEEPfNS0_8identityIfEEEE10hipError_tT2_T3_mT4_P12ihipStream_tbEUlT_E_NS1_11comp_targetILNS1_3genE8ELNS1_11target_archE1030ELNS1_3gpuE2ELNS1_3repE0EEENS1_30default_config_static_selectorELNS0_4arch9wavefront6targetE0EEEvT1_,"axG",@progbits,_ZN7rocprim17ROCPRIM_400000_NS6detail17trampoline_kernelINS0_14default_configENS1_25transform_config_selectorIfLb0EEEZNS1_14transform_implILb0ES3_S5_N6thrust23THRUST_200600_302600_NS6detail15normal_iteratorINS8_10device_ptrIfEEEEPfNS0_8identityIfEEEE10hipError_tT2_T3_mT4_P12ihipStream_tbEUlT_E_NS1_11comp_targetILNS1_3genE8ELNS1_11target_archE1030ELNS1_3gpuE2ELNS1_3repE0EEENS1_30default_config_static_selectorELNS0_4arch9wavefront6targetE0EEEvT1_,comdat
.Lfunc_end558:
	.size	_ZN7rocprim17ROCPRIM_400000_NS6detail17trampoline_kernelINS0_14default_configENS1_25transform_config_selectorIfLb0EEEZNS1_14transform_implILb0ES3_S5_N6thrust23THRUST_200600_302600_NS6detail15normal_iteratorINS8_10device_ptrIfEEEEPfNS0_8identityIfEEEE10hipError_tT2_T3_mT4_P12ihipStream_tbEUlT_E_NS1_11comp_targetILNS1_3genE8ELNS1_11target_archE1030ELNS1_3gpuE2ELNS1_3repE0EEENS1_30default_config_static_selectorELNS0_4arch9wavefront6targetE0EEEvT1_, .Lfunc_end558-_ZN7rocprim17ROCPRIM_400000_NS6detail17trampoline_kernelINS0_14default_configENS1_25transform_config_selectorIfLb0EEEZNS1_14transform_implILb0ES3_S5_N6thrust23THRUST_200600_302600_NS6detail15normal_iteratorINS8_10device_ptrIfEEEEPfNS0_8identityIfEEEE10hipError_tT2_T3_mT4_P12ihipStream_tbEUlT_E_NS1_11comp_targetILNS1_3genE8ELNS1_11target_archE1030ELNS1_3gpuE2ELNS1_3repE0EEENS1_30default_config_static_selectorELNS0_4arch9wavefront6targetE0EEEvT1_
                                        ; -- End function
	.set _ZN7rocprim17ROCPRIM_400000_NS6detail17trampoline_kernelINS0_14default_configENS1_25transform_config_selectorIfLb0EEEZNS1_14transform_implILb0ES3_S5_N6thrust23THRUST_200600_302600_NS6detail15normal_iteratorINS8_10device_ptrIfEEEEPfNS0_8identityIfEEEE10hipError_tT2_T3_mT4_P12ihipStream_tbEUlT_E_NS1_11comp_targetILNS1_3genE8ELNS1_11target_archE1030ELNS1_3gpuE2ELNS1_3repE0EEENS1_30default_config_static_selectorELNS0_4arch9wavefront6targetE0EEEvT1_.num_vgpr, 3
	.set _ZN7rocprim17ROCPRIM_400000_NS6detail17trampoline_kernelINS0_14default_configENS1_25transform_config_selectorIfLb0EEEZNS1_14transform_implILb0ES3_S5_N6thrust23THRUST_200600_302600_NS6detail15normal_iteratorINS8_10device_ptrIfEEEEPfNS0_8identityIfEEEE10hipError_tT2_T3_mT4_P12ihipStream_tbEUlT_E_NS1_11comp_targetILNS1_3genE8ELNS1_11target_archE1030ELNS1_3gpuE2ELNS1_3repE0EEENS1_30default_config_static_selectorELNS0_4arch9wavefront6targetE0EEEvT1_.num_agpr, 0
	.set _ZN7rocprim17ROCPRIM_400000_NS6detail17trampoline_kernelINS0_14default_configENS1_25transform_config_selectorIfLb0EEEZNS1_14transform_implILb0ES3_S5_N6thrust23THRUST_200600_302600_NS6detail15normal_iteratorINS8_10device_ptrIfEEEEPfNS0_8identityIfEEEE10hipError_tT2_T3_mT4_P12ihipStream_tbEUlT_E_NS1_11comp_targetILNS1_3genE8ELNS1_11target_archE1030ELNS1_3gpuE2ELNS1_3repE0EEENS1_30default_config_static_selectorELNS0_4arch9wavefront6targetE0EEEvT1_.numbered_sgpr, 12
	.set _ZN7rocprim17ROCPRIM_400000_NS6detail17trampoline_kernelINS0_14default_configENS1_25transform_config_selectorIfLb0EEEZNS1_14transform_implILb0ES3_S5_N6thrust23THRUST_200600_302600_NS6detail15normal_iteratorINS8_10device_ptrIfEEEEPfNS0_8identityIfEEEE10hipError_tT2_T3_mT4_P12ihipStream_tbEUlT_E_NS1_11comp_targetILNS1_3genE8ELNS1_11target_archE1030ELNS1_3gpuE2ELNS1_3repE0EEENS1_30default_config_static_selectorELNS0_4arch9wavefront6targetE0EEEvT1_.num_named_barrier, 0
	.set _ZN7rocprim17ROCPRIM_400000_NS6detail17trampoline_kernelINS0_14default_configENS1_25transform_config_selectorIfLb0EEEZNS1_14transform_implILb0ES3_S5_N6thrust23THRUST_200600_302600_NS6detail15normal_iteratorINS8_10device_ptrIfEEEEPfNS0_8identityIfEEEE10hipError_tT2_T3_mT4_P12ihipStream_tbEUlT_E_NS1_11comp_targetILNS1_3genE8ELNS1_11target_archE1030ELNS1_3gpuE2ELNS1_3repE0EEENS1_30default_config_static_selectorELNS0_4arch9wavefront6targetE0EEEvT1_.private_seg_size, 0
	.set _ZN7rocprim17ROCPRIM_400000_NS6detail17trampoline_kernelINS0_14default_configENS1_25transform_config_selectorIfLb0EEEZNS1_14transform_implILb0ES3_S5_N6thrust23THRUST_200600_302600_NS6detail15normal_iteratorINS8_10device_ptrIfEEEEPfNS0_8identityIfEEEE10hipError_tT2_T3_mT4_P12ihipStream_tbEUlT_E_NS1_11comp_targetILNS1_3genE8ELNS1_11target_archE1030ELNS1_3gpuE2ELNS1_3repE0EEENS1_30default_config_static_selectorELNS0_4arch9wavefront6targetE0EEEvT1_.uses_vcc, 1
	.set _ZN7rocprim17ROCPRIM_400000_NS6detail17trampoline_kernelINS0_14default_configENS1_25transform_config_selectorIfLb0EEEZNS1_14transform_implILb0ES3_S5_N6thrust23THRUST_200600_302600_NS6detail15normal_iteratorINS8_10device_ptrIfEEEEPfNS0_8identityIfEEEE10hipError_tT2_T3_mT4_P12ihipStream_tbEUlT_E_NS1_11comp_targetILNS1_3genE8ELNS1_11target_archE1030ELNS1_3gpuE2ELNS1_3repE0EEENS1_30default_config_static_selectorELNS0_4arch9wavefront6targetE0EEEvT1_.uses_flat_scratch, 0
	.set _ZN7rocprim17ROCPRIM_400000_NS6detail17trampoline_kernelINS0_14default_configENS1_25transform_config_selectorIfLb0EEEZNS1_14transform_implILb0ES3_S5_N6thrust23THRUST_200600_302600_NS6detail15normal_iteratorINS8_10device_ptrIfEEEEPfNS0_8identityIfEEEE10hipError_tT2_T3_mT4_P12ihipStream_tbEUlT_E_NS1_11comp_targetILNS1_3genE8ELNS1_11target_archE1030ELNS1_3gpuE2ELNS1_3repE0EEENS1_30default_config_static_selectorELNS0_4arch9wavefront6targetE0EEEvT1_.has_dyn_sized_stack, 0
	.set _ZN7rocprim17ROCPRIM_400000_NS6detail17trampoline_kernelINS0_14default_configENS1_25transform_config_selectorIfLb0EEEZNS1_14transform_implILb0ES3_S5_N6thrust23THRUST_200600_302600_NS6detail15normal_iteratorINS8_10device_ptrIfEEEEPfNS0_8identityIfEEEE10hipError_tT2_T3_mT4_P12ihipStream_tbEUlT_E_NS1_11comp_targetILNS1_3genE8ELNS1_11target_archE1030ELNS1_3gpuE2ELNS1_3repE0EEENS1_30default_config_static_selectorELNS0_4arch9wavefront6targetE0EEEvT1_.has_recursion, 0
	.set _ZN7rocprim17ROCPRIM_400000_NS6detail17trampoline_kernelINS0_14default_configENS1_25transform_config_selectorIfLb0EEEZNS1_14transform_implILb0ES3_S5_N6thrust23THRUST_200600_302600_NS6detail15normal_iteratorINS8_10device_ptrIfEEEEPfNS0_8identityIfEEEE10hipError_tT2_T3_mT4_P12ihipStream_tbEUlT_E_NS1_11comp_targetILNS1_3genE8ELNS1_11target_archE1030ELNS1_3gpuE2ELNS1_3repE0EEENS1_30default_config_static_selectorELNS0_4arch9wavefront6targetE0EEEvT1_.has_indirect_call, 0
	.section	.AMDGPU.csdata,"",@progbits
; Kernel info:
; codeLenInByte = 172
; TotalNumSgprs: 14
; NumVgprs: 3
; ScratchSize: 0
; MemoryBound: 0
; FloatMode: 240
; IeeeMode: 1
; LDSByteSize: 0 bytes/workgroup (compile time only)
; SGPRBlocks: 0
; VGPRBlocks: 0
; NumSGPRsForWavesPerEU: 14
; NumVGPRsForWavesPerEU: 3
; Occupancy: 16
; WaveLimiterHint : 0
; COMPUTE_PGM_RSRC2:SCRATCH_EN: 0
; COMPUTE_PGM_RSRC2:USER_SGPR: 6
; COMPUTE_PGM_RSRC2:TRAP_HANDLER: 0
; COMPUTE_PGM_RSRC2:TGID_X_EN: 1
; COMPUTE_PGM_RSRC2:TGID_Y_EN: 0
; COMPUTE_PGM_RSRC2:TGID_Z_EN: 0
; COMPUTE_PGM_RSRC2:TIDIG_COMP_CNT: 0
	.section	.text._ZN7rocprim17ROCPRIM_400000_NS6detail17trampoline_kernelINS0_14default_configENS1_35radix_sort_onesweep_config_selectorIfNS0_10empty_typeEEEZZNS1_29radix_sort_onesweep_iterationIS3_Lb0EN6thrust23THRUST_200600_302600_NS6detail15normal_iteratorINS9_10device_ptrIfEEEESE_PS5_SF_jNS0_19identity_decomposerENS1_16block_id_wrapperIjLb1EEEEE10hipError_tT1_PNSt15iterator_traitsISK_E10value_typeET2_T3_PNSL_ISQ_E10value_typeET4_T5_PSV_SW_PNS1_23onesweep_lookback_stateEbbT6_jjT7_P12ihipStream_tbENKUlT_T0_SK_SP_E_clISE_SE_SF_SF_EEDaS13_S14_SK_SP_EUlS13_E_NS1_11comp_targetILNS1_3genE0ELNS1_11target_archE4294967295ELNS1_3gpuE0ELNS1_3repE0EEENS1_47radix_sort_onesweep_sort_config_static_selectorELNS0_4arch9wavefront6targetE0EEEvSK_,"axG",@progbits,_ZN7rocprim17ROCPRIM_400000_NS6detail17trampoline_kernelINS0_14default_configENS1_35radix_sort_onesweep_config_selectorIfNS0_10empty_typeEEEZZNS1_29radix_sort_onesweep_iterationIS3_Lb0EN6thrust23THRUST_200600_302600_NS6detail15normal_iteratorINS9_10device_ptrIfEEEESE_PS5_SF_jNS0_19identity_decomposerENS1_16block_id_wrapperIjLb1EEEEE10hipError_tT1_PNSt15iterator_traitsISK_E10value_typeET2_T3_PNSL_ISQ_E10value_typeET4_T5_PSV_SW_PNS1_23onesweep_lookback_stateEbbT6_jjT7_P12ihipStream_tbENKUlT_T0_SK_SP_E_clISE_SE_SF_SF_EEDaS13_S14_SK_SP_EUlS13_E_NS1_11comp_targetILNS1_3genE0ELNS1_11target_archE4294967295ELNS1_3gpuE0ELNS1_3repE0EEENS1_47radix_sort_onesweep_sort_config_static_selectorELNS0_4arch9wavefront6targetE0EEEvSK_,comdat
	.protected	_ZN7rocprim17ROCPRIM_400000_NS6detail17trampoline_kernelINS0_14default_configENS1_35radix_sort_onesweep_config_selectorIfNS0_10empty_typeEEEZZNS1_29radix_sort_onesweep_iterationIS3_Lb0EN6thrust23THRUST_200600_302600_NS6detail15normal_iteratorINS9_10device_ptrIfEEEESE_PS5_SF_jNS0_19identity_decomposerENS1_16block_id_wrapperIjLb1EEEEE10hipError_tT1_PNSt15iterator_traitsISK_E10value_typeET2_T3_PNSL_ISQ_E10value_typeET4_T5_PSV_SW_PNS1_23onesweep_lookback_stateEbbT6_jjT7_P12ihipStream_tbENKUlT_T0_SK_SP_E_clISE_SE_SF_SF_EEDaS13_S14_SK_SP_EUlS13_E_NS1_11comp_targetILNS1_3genE0ELNS1_11target_archE4294967295ELNS1_3gpuE0ELNS1_3repE0EEENS1_47radix_sort_onesweep_sort_config_static_selectorELNS0_4arch9wavefront6targetE0EEEvSK_ ; -- Begin function _ZN7rocprim17ROCPRIM_400000_NS6detail17trampoline_kernelINS0_14default_configENS1_35radix_sort_onesweep_config_selectorIfNS0_10empty_typeEEEZZNS1_29radix_sort_onesweep_iterationIS3_Lb0EN6thrust23THRUST_200600_302600_NS6detail15normal_iteratorINS9_10device_ptrIfEEEESE_PS5_SF_jNS0_19identity_decomposerENS1_16block_id_wrapperIjLb1EEEEE10hipError_tT1_PNSt15iterator_traitsISK_E10value_typeET2_T3_PNSL_ISQ_E10value_typeET4_T5_PSV_SW_PNS1_23onesweep_lookback_stateEbbT6_jjT7_P12ihipStream_tbENKUlT_T0_SK_SP_E_clISE_SE_SF_SF_EEDaS13_S14_SK_SP_EUlS13_E_NS1_11comp_targetILNS1_3genE0ELNS1_11target_archE4294967295ELNS1_3gpuE0ELNS1_3repE0EEENS1_47radix_sort_onesweep_sort_config_static_selectorELNS0_4arch9wavefront6targetE0EEEvSK_
	.globl	_ZN7rocprim17ROCPRIM_400000_NS6detail17trampoline_kernelINS0_14default_configENS1_35radix_sort_onesweep_config_selectorIfNS0_10empty_typeEEEZZNS1_29radix_sort_onesweep_iterationIS3_Lb0EN6thrust23THRUST_200600_302600_NS6detail15normal_iteratorINS9_10device_ptrIfEEEESE_PS5_SF_jNS0_19identity_decomposerENS1_16block_id_wrapperIjLb1EEEEE10hipError_tT1_PNSt15iterator_traitsISK_E10value_typeET2_T3_PNSL_ISQ_E10value_typeET4_T5_PSV_SW_PNS1_23onesweep_lookback_stateEbbT6_jjT7_P12ihipStream_tbENKUlT_T0_SK_SP_E_clISE_SE_SF_SF_EEDaS13_S14_SK_SP_EUlS13_E_NS1_11comp_targetILNS1_3genE0ELNS1_11target_archE4294967295ELNS1_3gpuE0ELNS1_3repE0EEENS1_47radix_sort_onesweep_sort_config_static_selectorELNS0_4arch9wavefront6targetE0EEEvSK_
	.p2align	8
	.type	_ZN7rocprim17ROCPRIM_400000_NS6detail17trampoline_kernelINS0_14default_configENS1_35radix_sort_onesweep_config_selectorIfNS0_10empty_typeEEEZZNS1_29radix_sort_onesweep_iterationIS3_Lb0EN6thrust23THRUST_200600_302600_NS6detail15normal_iteratorINS9_10device_ptrIfEEEESE_PS5_SF_jNS0_19identity_decomposerENS1_16block_id_wrapperIjLb1EEEEE10hipError_tT1_PNSt15iterator_traitsISK_E10value_typeET2_T3_PNSL_ISQ_E10value_typeET4_T5_PSV_SW_PNS1_23onesweep_lookback_stateEbbT6_jjT7_P12ihipStream_tbENKUlT_T0_SK_SP_E_clISE_SE_SF_SF_EEDaS13_S14_SK_SP_EUlS13_E_NS1_11comp_targetILNS1_3genE0ELNS1_11target_archE4294967295ELNS1_3gpuE0ELNS1_3repE0EEENS1_47radix_sort_onesweep_sort_config_static_selectorELNS0_4arch9wavefront6targetE0EEEvSK_,@function
_ZN7rocprim17ROCPRIM_400000_NS6detail17trampoline_kernelINS0_14default_configENS1_35radix_sort_onesweep_config_selectorIfNS0_10empty_typeEEEZZNS1_29radix_sort_onesweep_iterationIS3_Lb0EN6thrust23THRUST_200600_302600_NS6detail15normal_iteratorINS9_10device_ptrIfEEEESE_PS5_SF_jNS0_19identity_decomposerENS1_16block_id_wrapperIjLb1EEEEE10hipError_tT1_PNSt15iterator_traitsISK_E10value_typeET2_T3_PNSL_ISQ_E10value_typeET4_T5_PSV_SW_PNS1_23onesweep_lookback_stateEbbT6_jjT7_P12ihipStream_tbENKUlT_T0_SK_SP_E_clISE_SE_SF_SF_EEDaS13_S14_SK_SP_EUlS13_E_NS1_11comp_targetILNS1_3genE0ELNS1_11target_archE4294967295ELNS1_3gpuE0ELNS1_3repE0EEENS1_47radix_sort_onesweep_sort_config_static_selectorELNS0_4arch9wavefront6targetE0EEEvSK_: ; @_ZN7rocprim17ROCPRIM_400000_NS6detail17trampoline_kernelINS0_14default_configENS1_35radix_sort_onesweep_config_selectorIfNS0_10empty_typeEEEZZNS1_29radix_sort_onesweep_iterationIS3_Lb0EN6thrust23THRUST_200600_302600_NS6detail15normal_iteratorINS9_10device_ptrIfEEEESE_PS5_SF_jNS0_19identity_decomposerENS1_16block_id_wrapperIjLb1EEEEE10hipError_tT1_PNSt15iterator_traitsISK_E10value_typeET2_T3_PNSL_ISQ_E10value_typeET4_T5_PSV_SW_PNS1_23onesweep_lookback_stateEbbT6_jjT7_P12ihipStream_tbENKUlT_T0_SK_SP_E_clISE_SE_SF_SF_EEDaS13_S14_SK_SP_EUlS13_E_NS1_11comp_targetILNS1_3genE0ELNS1_11target_archE4294967295ELNS1_3gpuE0ELNS1_3repE0EEENS1_47radix_sort_onesweep_sort_config_static_selectorELNS0_4arch9wavefront6targetE0EEEvSK_
; %bb.0:
	.section	.rodata,"a",@progbits
	.p2align	6, 0x0
	.amdhsa_kernel _ZN7rocprim17ROCPRIM_400000_NS6detail17trampoline_kernelINS0_14default_configENS1_35radix_sort_onesweep_config_selectorIfNS0_10empty_typeEEEZZNS1_29radix_sort_onesweep_iterationIS3_Lb0EN6thrust23THRUST_200600_302600_NS6detail15normal_iteratorINS9_10device_ptrIfEEEESE_PS5_SF_jNS0_19identity_decomposerENS1_16block_id_wrapperIjLb1EEEEE10hipError_tT1_PNSt15iterator_traitsISK_E10value_typeET2_T3_PNSL_ISQ_E10value_typeET4_T5_PSV_SW_PNS1_23onesweep_lookback_stateEbbT6_jjT7_P12ihipStream_tbENKUlT_T0_SK_SP_E_clISE_SE_SF_SF_EEDaS13_S14_SK_SP_EUlS13_E_NS1_11comp_targetILNS1_3genE0ELNS1_11target_archE4294967295ELNS1_3gpuE0ELNS1_3repE0EEENS1_47radix_sort_onesweep_sort_config_static_selectorELNS0_4arch9wavefront6targetE0EEEvSK_
		.amdhsa_group_segment_fixed_size 0
		.amdhsa_private_segment_fixed_size 0
		.amdhsa_kernarg_size 88
		.amdhsa_user_sgpr_count 6
		.amdhsa_user_sgpr_private_segment_buffer 1
		.amdhsa_user_sgpr_dispatch_ptr 0
		.amdhsa_user_sgpr_queue_ptr 0
		.amdhsa_user_sgpr_kernarg_segment_ptr 1
		.amdhsa_user_sgpr_dispatch_id 0
		.amdhsa_user_sgpr_flat_scratch_init 0
		.amdhsa_user_sgpr_private_segment_size 0
		.amdhsa_wavefront_size32 1
		.amdhsa_uses_dynamic_stack 0
		.amdhsa_system_sgpr_private_segment_wavefront_offset 0
		.amdhsa_system_sgpr_workgroup_id_x 1
		.amdhsa_system_sgpr_workgroup_id_y 0
		.amdhsa_system_sgpr_workgroup_id_z 0
		.amdhsa_system_sgpr_workgroup_info 0
		.amdhsa_system_vgpr_workitem_id 0
		.amdhsa_next_free_vgpr 1
		.amdhsa_next_free_sgpr 1
		.amdhsa_reserve_vcc 0
		.amdhsa_reserve_flat_scratch 0
		.amdhsa_float_round_mode_32 0
		.amdhsa_float_round_mode_16_64 0
		.amdhsa_float_denorm_mode_32 3
		.amdhsa_float_denorm_mode_16_64 3
		.amdhsa_dx10_clamp 1
		.amdhsa_ieee_mode 1
		.amdhsa_fp16_overflow 0
		.amdhsa_workgroup_processor_mode 1
		.amdhsa_memory_ordered 1
		.amdhsa_forward_progress 1
		.amdhsa_shared_vgpr_count 0
		.amdhsa_exception_fp_ieee_invalid_op 0
		.amdhsa_exception_fp_denorm_src 0
		.amdhsa_exception_fp_ieee_div_zero 0
		.amdhsa_exception_fp_ieee_overflow 0
		.amdhsa_exception_fp_ieee_underflow 0
		.amdhsa_exception_fp_ieee_inexact 0
		.amdhsa_exception_int_div_zero 0
	.end_amdhsa_kernel
	.section	.text._ZN7rocprim17ROCPRIM_400000_NS6detail17trampoline_kernelINS0_14default_configENS1_35radix_sort_onesweep_config_selectorIfNS0_10empty_typeEEEZZNS1_29radix_sort_onesweep_iterationIS3_Lb0EN6thrust23THRUST_200600_302600_NS6detail15normal_iteratorINS9_10device_ptrIfEEEESE_PS5_SF_jNS0_19identity_decomposerENS1_16block_id_wrapperIjLb1EEEEE10hipError_tT1_PNSt15iterator_traitsISK_E10value_typeET2_T3_PNSL_ISQ_E10value_typeET4_T5_PSV_SW_PNS1_23onesweep_lookback_stateEbbT6_jjT7_P12ihipStream_tbENKUlT_T0_SK_SP_E_clISE_SE_SF_SF_EEDaS13_S14_SK_SP_EUlS13_E_NS1_11comp_targetILNS1_3genE0ELNS1_11target_archE4294967295ELNS1_3gpuE0ELNS1_3repE0EEENS1_47radix_sort_onesweep_sort_config_static_selectorELNS0_4arch9wavefront6targetE0EEEvSK_,"axG",@progbits,_ZN7rocprim17ROCPRIM_400000_NS6detail17trampoline_kernelINS0_14default_configENS1_35radix_sort_onesweep_config_selectorIfNS0_10empty_typeEEEZZNS1_29radix_sort_onesweep_iterationIS3_Lb0EN6thrust23THRUST_200600_302600_NS6detail15normal_iteratorINS9_10device_ptrIfEEEESE_PS5_SF_jNS0_19identity_decomposerENS1_16block_id_wrapperIjLb1EEEEE10hipError_tT1_PNSt15iterator_traitsISK_E10value_typeET2_T3_PNSL_ISQ_E10value_typeET4_T5_PSV_SW_PNS1_23onesweep_lookback_stateEbbT6_jjT7_P12ihipStream_tbENKUlT_T0_SK_SP_E_clISE_SE_SF_SF_EEDaS13_S14_SK_SP_EUlS13_E_NS1_11comp_targetILNS1_3genE0ELNS1_11target_archE4294967295ELNS1_3gpuE0ELNS1_3repE0EEENS1_47radix_sort_onesweep_sort_config_static_selectorELNS0_4arch9wavefront6targetE0EEEvSK_,comdat
.Lfunc_end559:
	.size	_ZN7rocprim17ROCPRIM_400000_NS6detail17trampoline_kernelINS0_14default_configENS1_35radix_sort_onesweep_config_selectorIfNS0_10empty_typeEEEZZNS1_29radix_sort_onesweep_iterationIS3_Lb0EN6thrust23THRUST_200600_302600_NS6detail15normal_iteratorINS9_10device_ptrIfEEEESE_PS5_SF_jNS0_19identity_decomposerENS1_16block_id_wrapperIjLb1EEEEE10hipError_tT1_PNSt15iterator_traitsISK_E10value_typeET2_T3_PNSL_ISQ_E10value_typeET4_T5_PSV_SW_PNS1_23onesweep_lookback_stateEbbT6_jjT7_P12ihipStream_tbENKUlT_T0_SK_SP_E_clISE_SE_SF_SF_EEDaS13_S14_SK_SP_EUlS13_E_NS1_11comp_targetILNS1_3genE0ELNS1_11target_archE4294967295ELNS1_3gpuE0ELNS1_3repE0EEENS1_47radix_sort_onesweep_sort_config_static_selectorELNS0_4arch9wavefront6targetE0EEEvSK_, .Lfunc_end559-_ZN7rocprim17ROCPRIM_400000_NS6detail17trampoline_kernelINS0_14default_configENS1_35radix_sort_onesweep_config_selectorIfNS0_10empty_typeEEEZZNS1_29radix_sort_onesweep_iterationIS3_Lb0EN6thrust23THRUST_200600_302600_NS6detail15normal_iteratorINS9_10device_ptrIfEEEESE_PS5_SF_jNS0_19identity_decomposerENS1_16block_id_wrapperIjLb1EEEEE10hipError_tT1_PNSt15iterator_traitsISK_E10value_typeET2_T3_PNSL_ISQ_E10value_typeET4_T5_PSV_SW_PNS1_23onesweep_lookback_stateEbbT6_jjT7_P12ihipStream_tbENKUlT_T0_SK_SP_E_clISE_SE_SF_SF_EEDaS13_S14_SK_SP_EUlS13_E_NS1_11comp_targetILNS1_3genE0ELNS1_11target_archE4294967295ELNS1_3gpuE0ELNS1_3repE0EEENS1_47radix_sort_onesweep_sort_config_static_selectorELNS0_4arch9wavefront6targetE0EEEvSK_
                                        ; -- End function
	.set _ZN7rocprim17ROCPRIM_400000_NS6detail17trampoline_kernelINS0_14default_configENS1_35radix_sort_onesweep_config_selectorIfNS0_10empty_typeEEEZZNS1_29radix_sort_onesweep_iterationIS3_Lb0EN6thrust23THRUST_200600_302600_NS6detail15normal_iteratorINS9_10device_ptrIfEEEESE_PS5_SF_jNS0_19identity_decomposerENS1_16block_id_wrapperIjLb1EEEEE10hipError_tT1_PNSt15iterator_traitsISK_E10value_typeET2_T3_PNSL_ISQ_E10value_typeET4_T5_PSV_SW_PNS1_23onesweep_lookback_stateEbbT6_jjT7_P12ihipStream_tbENKUlT_T0_SK_SP_E_clISE_SE_SF_SF_EEDaS13_S14_SK_SP_EUlS13_E_NS1_11comp_targetILNS1_3genE0ELNS1_11target_archE4294967295ELNS1_3gpuE0ELNS1_3repE0EEENS1_47radix_sort_onesweep_sort_config_static_selectorELNS0_4arch9wavefront6targetE0EEEvSK_.num_vgpr, 0
	.set _ZN7rocprim17ROCPRIM_400000_NS6detail17trampoline_kernelINS0_14default_configENS1_35radix_sort_onesweep_config_selectorIfNS0_10empty_typeEEEZZNS1_29radix_sort_onesweep_iterationIS3_Lb0EN6thrust23THRUST_200600_302600_NS6detail15normal_iteratorINS9_10device_ptrIfEEEESE_PS5_SF_jNS0_19identity_decomposerENS1_16block_id_wrapperIjLb1EEEEE10hipError_tT1_PNSt15iterator_traitsISK_E10value_typeET2_T3_PNSL_ISQ_E10value_typeET4_T5_PSV_SW_PNS1_23onesweep_lookback_stateEbbT6_jjT7_P12ihipStream_tbENKUlT_T0_SK_SP_E_clISE_SE_SF_SF_EEDaS13_S14_SK_SP_EUlS13_E_NS1_11comp_targetILNS1_3genE0ELNS1_11target_archE4294967295ELNS1_3gpuE0ELNS1_3repE0EEENS1_47radix_sort_onesweep_sort_config_static_selectorELNS0_4arch9wavefront6targetE0EEEvSK_.num_agpr, 0
	.set _ZN7rocprim17ROCPRIM_400000_NS6detail17trampoline_kernelINS0_14default_configENS1_35radix_sort_onesweep_config_selectorIfNS0_10empty_typeEEEZZNS1_29radix_sort_onesweep_iterationIS3_Lb0EN6thrust23THRUST_200600_302600_NS6detail15normal_iteratorINS9_10device_ptrIfEEEESE_PS5_SF_jNS0_19identity_decomposerENS1_16block_id_wrapperIjLb1EEEEE10hipError_tT1_PNSt15iterator_traitsISK_E10value_typeET2_T3_PNSL_ISQ_E10value_typeET4_T5_PSV_SW_PNS1_23onesweep_lookback_stateEbbT6_jjT7_P12ihipStream_tbENKUlT_T0_SK_SP_E_clISE_SE_SF_SF_EEDaS13_S14_SK_SP_EUlS13_E_NS1_11comp_targetILNS1_3genE0ELNS1_11target_archE4294967295ELNS1_3gpuE0ELNS1_3repE0EEENS1_47radix_sort_onesweep_sort_config_static_selectorELNS0_4arch9wavefront6targetE0EEEvSK_.numbered_sgpr, 0
	.set _ZN7rocprim17ROCPRIM_400000_NS6detail17trampoline_kernelINS0_14default_configENS1_35radix_sort_onesweep_config_selectorIfNS0_10empty_typeEEEZZNS1_29radix_sort_onesweep_iterationIS3_Lb0EN6thrust23THRUST_200600_302600_NS6detail15normal_iteratorINS9_10device_ptrIfEEEESE_PS5_SF_jNS0_19identity_decomposerENS1_16block_id_wrapperIjLb1EEEEE10hipError_tT1_PNSt15iterator_traitsISK_E10value_typeET2_T3_PNSL_ISQ_E10value_typeET4_T5_PSV_SW_PNS1_23onesweep_lookback_stateEbbT6_jjT7_P12ihipStream_tbENKUlT_T0_SK_SP_E_clISE_SE_SF_SF_EEDaS13_S14_SK_SP_EUlS13_E_NS1_11comp_targetILNS1_3genE0ELNS1_11target_archE4294967295ELNS1_3gpuE0ELNS1_3repE0EEENS1_47radix_sort_onesweep_sort_config_static_selectorELNS0_4arch9wavefront6targetE0EEEvSK_.num_named_barrier, 0
	.set _ZN7rocprim17ROCPRIM_400000_NS6detail17trampoline_kernelINS0_14default_configENS1_35radix_sort_onesweep_config_selectorIfNS0_10empty_typeEEEZZNS1_29radix_sort_onesweep_iterationIS3_Lb0EN6thrust23THRUST_200600_302600_NS6detail15normal_iteratorINS9_10device_ptrIfEEEESE_PS5_SF_jNS0_19identity_decomposerENS1_16block_id_wrapperIjLb1EEEEE10hipError_tT1_PNSt15iterator_traitsISK_E10value_typeET2_T3_PNSL_ISQ_E10value_typeET4_T5_PSV_SW_PNS1_23onesweep_lookback_stateEbbT6_jjT7_P12ihipStream_tbENKUlT_T0_SK_SP_E_clISE_SE_SF_SF_EEDaS13_S14_SK_SP_EUlS13_E_NS1_11comp_targetILNS1_3genE0ELNS1_11target_archE4294967295ELNS1_3gpuE0ELNS1_3repE0EEENS1_47radix_sort_onesweep_sort_config_static_selectorELNS0_4arch9wavefront6targetE0EEEvSK_.private_seg_size, 0
	.set _ZN7rocprim17ROCPRIM_400000_NS6detail17trampoline_kernelINS0_14default_configENS1_35radix_sort_onesweep_config_selectorIfNS0_10empty_typeEEEZZNS1_29radix_sort_onesweep_iterationIS3_Lb0EN6thrust23THRUST_200600_302600_NS6detail15normal_iteratorINS9_10device_ptrIfEEEESE_PS5_SF_jNS0_19identity_decomposerENS1_16block_id_wrapperIjLb1EEEEE10hipError_tT1_PNSt15iterator_traitsISK_E10value_typeET2_T3_PNSL_ISQ_E10value_typeET4_T5_PSV_SW_PNS1_23onesweep_lookback_stateEbbT6_jjT7_P12ihipStream_tbENKUlT_T0_SK_SP_E_clISE_SE_SF_SF_EEDaS13_S14_SK_SP_EUlS13_E_NS1_11comp_targetILNS1_3genE0ELNS1_11target_archE4294967295ELNS1_3gpuE0ELNS1_3repE0EEENS1_47radix_sort_onesweep_sort_config_static_selectorELNS0_4arch9wavefront6targetE0EEEvSK_.uses_vcc, 0
	.set _ZN7rocprim17ROCPRIM_400000_NS6detail17trampoline_kernelINS0_14default_configENS1_35radix_sort_onesweep_config_selectorIfNS0_10empty_typeEEEZZNS1_29radix_sort_onesweep_iterationIS3_Lb0EN6thrust23THRUST_200600_302600_NS6detail15normal_iteratorINS9_10device_ptrIfEEEESE_PS5_SF_jNS0_19identity_decomposerENS1_16block_id_wrapperIjLb1EEEEE10hipError_tT1_PNSt15iterator_traitsISK_E10value_typeET2_T3_PNSL_ISQ_E10value_typeET4_T5_PSV_SW_PNS1_23onesweep_lookback_stateEbbT6_jjT7_P12ihipStream_tbENKUlT_T0_SK_SP_E_clISE_SE_SF_SF_EEDaS13_S14_SK_SP_EUlS13_E_NS1_11comp_targetILNS1_3genE0ELNS1_11target_archE4294967295ELNS1_3gpuE0ELNS1_3repE0EEENS1_47radix_sort_onesweep_sort_config_static_selectorELNS0_4arch9wavefront6targetE0EEEvSK_.uses_flat_scratch, 0
	.set _ZN7rocprim17ROCPRIM_400000_NS6detail17trampoline_kernelINS0_14default_configENS1_35radix_sort_onesweep_config_selectorIfNS0_10empty_typeEEEZZNS1_29radix_sort_onesweep_iterationIS3_Lb0EN6thrust23THRUST_200600_302600_NS6detail15normal_iteratorINS9_10device_ptrIfEEEESE_PS5_SF_jNS0_19identity_decomposerENS1_16block_id_wrapperIjLb1EEEEE10hipError_tT1_PNSt15iterator_traitsISK_E10value_typeET2_T3_PNSL_ISQ_E10value_typeET4_T5_PSV_SW_PNS1_23onesweep_lookback_stateEbbT6_jjT7_P12ihipStream_tbENKUlT_T0_SK_SP_E_clISE_SE_SF_SF_EEDaS13_S14_SK_SP_EUlS13_E_NS1_11comp_targetILNS1_3genE0ELNS1_11target_archE4294967295ELNS1_3gpuE0ELNS1_3repE0EEENS1_47radix_sort_onesweep_sort_config_static_selectorELNS0_4arch9wavefront6targetE0EEEvSK_.has_dyn_sized_stack, 0
	.set _ZN7rocprim17ROCPRIM_400000_NS6detail17trampoline_kernelINS0_14default_configENS1_35radix_sort_onesweep_config_selectorIfNS0_10empty_typeEEEZZNS1_29radix_sort_onesweep_iterationIS3_Lb0EN6thrust23THRUST_200600_302600_NS6detail15normal_iteratorINS9_10device_ptrIfEEEESE_PS5_SF_jNS0_19identity_decomposerENS1_16block_id_wrapperIjLb1EEEEE10hipError_tT1_PNSt15iterator_traitsISK_E10value_typeET2_T3_PNSL_ISQ_E10value_typeET4_T5_PSV_SW_PNS1_23onesweep_lookback_stateEbbT6_jjT7_P12ihipStream_tbENKUlT_T0_SK_SP_E_clISE_SE_SF_SF_EEDaS13_S14_SK_SP_EUlS13_E_NS1_11comp_targetILNS1_3genE0ELNS1_11target_archE4294967295ELNS1_3gpuE0ELNS1_3repE0EEENS1_47radix_sort_onesweep_sort_config_static_selectorELNS0_4arch9wavefront6targetE0EEEvSK_.has_recursion, 0
	.set _ZN7rocprim17ROCPRIM_400000_NS6detail17trampoline_kernelINS0_14default_configENS1_35radix_sort_onesweep_config_selectorIfNS0_10empty_typeEEEZZNS1_29radix_sort_onesweep_iterationIS3_Lb0EN6thrust23THRUST_200600_302600_NS6detail15normal_iteratorINS9_10device_ptrIfEEEESE_PS5_SF_jNS0_19identity_decomposerENS1_16block_id_wrapperIjLb1EEEEE10hipError_tT1_PNSt15iterator_traitsISK_E10value_typeET2_T3_PNSL_ISQ_E10value_typeET4_T5_PSV_SW_PNS1_23onesweep_lookback_stateEbbT6_jjT7_P12ihipStream_tbENKUlT_T0_SK_SP_E_clISE_SE_SF_SF_EEDaS13_S14_SK_SP_EUlS13_E_NS1_11comp_targetILNS1_3genE0ELNS1_11target_archE4294967295ELNS1_3gpuE0ELNS1_3repE0EEENS1_47radix_sort_onesweep_sort_config_static_selectorELNS0_4arch9wavefront6targetE0EEEvSK_.has_indirect_call, 0
	.section	.AMDGPU.csdata,"",@progbits
; Kernel info:
; codeLenInByte = 0
; TotalNumSgprs: 0
; NumVgprs: 0
; ScratchSize: 0
; MemoryBound: 0
; FloatMode: 240
; IeeeMode: 1
; LDSByteSize: 0 bytes/workgroup (compile time only)
; SGPRBlocks: 0
; VGPRBlocks: 0
; NumSGPRsForWavesPerEU: 1
; NumVGPRsForWavesPerEU: 1
; Occupancy: 16
; WaveLimiterHint : 0
; COMPUTE_PGM_RSRC2:SCRATCH_EN: 0
; COMPUTE_PGM_RSRC2:USER_SGPR: 6
; COMPUTE_PGM_RSRC2:TRAP_HANDLER: 0
; COMPUTE_PGM_RSRC2:TGID_X_EN: 1
; COMPUTE_PGM_RSRC2:TGID_Y_EN: 0
; COMPUTE_PGM_RSRC2:TGID_Z_EN: 0
; COMPUTE_PGM_RSRC2:TIDIG_COMP_CNT: 0
	.section	.text._ZN7rocprim17ROCPRIM_400000_NS6detail17trampoline_kernelINS0_14default_configENS1_35radix_sort_onesweep_config_selectorIfNS0_10empty_typeEEEZZNS1_29radix_sort_onesweep_iterationIS3_Lb0EN6thrust23THRUST_200600_302600_NS6detail15normal_iteratorINS9_10device_ptrIfEEEESE_PS5_SF_jNS0_19identity_decomposerENS1_16block_id_wrapperIjLb1EEEEE10hipError_tT1_PNSt15iterator_traitsISK_E10value_typeET2_T3_PNSL_ISQ_E10value_typeET4_T5_PSV_SW_PNS1_23onesweep_lookback_stateEbbT6_jjT7_P12ihipStream_tbENKUlT_T0_SK_SP_E_clISE_SE_SF_SF_EEDaS13_S14_SK_SP_EUlS13_E_NS1_11comp_targetILNS1_3genE6ELNS1_11target_archE950ELNS1_3gpuE13ELNS1_3repE0EEENS1_47radix_sort_onesweep_sort_config_static_selectorELNS0_4arch9wavefront6targetE0EEEvSK_,"axG",@progbits,_ZN7rocprim17ROCPRIM_400000_NS6detail17trampoline_kernelINS0_14default_configENS1_35radix_sort_onesweep_config_selectorIfNS0_10empty_typeEEEZZNS1_29radix_sort_onesweep_iterationIS3_Lb0EN6thrust23THRUST_200600_302600_NS6detail15normal_iteratorINS9_10device_ptrIfEEEESE_PS5_SF_jNS0_19identity_decomposerENS1_16block_id_wrapperIjLb1EEEEE10hipError_tT1_PNSt15iterator_traitsISK_E10value_typeET2_T3_PNSL_ISQ_E10value_typeET4_T5_PSV_SW_PNS1_23onesweep_lookback_stateEbbT6_jjT7_P12ihipStream_tbENKUlT_T0_SK_SP_E_clISE_SE_SF_SF_EEDaS13_S14_SK_SP_EUlS13_E_NS1_11comp_targetILNS1_3genE6ELNS1_11target_archE950ELNS1_3gpuE13ELNS1_3repE0EEENS1_47radix_sort_onesweep_sort_config_static_selectorELNS0_4arch9wavefront6targetE0EEEvSK_,comdat
	.protected	_ZN7rocprim17ROCPRIM_400000_NS6detail17trampoline_kernelINS0_14default_configENS1_35radix_sort_onesweep_config_selectorIfNS0_10empty_typeEEEZZNS1_29radix_sort_onesweep_iterationIS3_Lb0EN6thrust23THRUST_200600_302600_NS6detail15normal_iteratorINS9_10device_ptrIfEEEESE_PS5_SF_jNS0_19identity_decomposerENS1_16block_id_wrapperIjLb1EEEEE10hipError_tT1_PNSt15iterator_traitsISK_E10value_typeET2_T3_PNSL_ISQ_E10value_typeET4_T5_PSV_SW_PNS1_23onesweep_lookback_stateEbbT6_jjT7_P12ihipStream_tbENKUlT_T0_SK_SP_E_clISE_SE_SF_SF_EEDaS13_S14_SK_SP_EUlS13_E_NS1_11comp_targetILNS1_3genE6ELNS1_11target_archE950ELNS1_3gpuE13ELNS1_3repE0EEENS1_47radix_sort_onesweep_sort_config_static_selectorELNS0_4arch9wavefront6targetE0EEEvSK_ ; -- Begin function _ZN7rocprim17ROCPRIM_400000_NS6detail17trampoline_kernelINS0_14default_configENS1_35radix_sort_onesweep_config_selectorIfNS0_10empty_typeEEEZZNS1_29radix_sort_onesweep_iterationIS3_Lb0EN6thrust23THRUST_200600_302600_NS6detail15normal_iteratorINS9_10device_ptrIfEEEESE_PS5_SF_jNS0_19identity_decomposerENS1_16block_id_wrapperIjLb1EEEEE10hipError_tT1_PNSt15iterator_traitsISK_E10value_typeET2_T3_PNSL_ISQ_E10value_typeET4_T5_PSV_SW_PNS1_23onesweep_lookback_stateEbbT6_jjT7_P12ihipStream_tbENKUlT_T0_SK_SP_E_clISE_SE_SF_SF_EEDaS13_S14_SK_SP_EUlS13_E_NS1_11comp_targetILNS1_3genE6ELNS1_11target_archE950ELNS1_3gpuE13ELNS1_3repE0EEENS1_47radix_sort_onesweep_sort_config_static_selectorELNS0_4arch9wavefront6targetE0EEEvSK_
	.globl	_ZN7rocprim17ROCPRIM_400000_NS6detail17trampoline_kernelINS0_14default_configENS1_35radix_sort_onesweep_config_selectorIfNS0_10empty_typeEEEZZNS1_29radix_sort_onesweep_iterationIS3_Lb0EN6thrust23THRUST_200600_302600_NS6detail15normal_iteratorINS9_10device_ptrIfEEEESE_PS5_SF_jNS0_19identity_decomposerENS1_16block_id_wrapperIjLb1EEEEE10hipError_tT1_PNSt15iterator_traitsISK_E10value_typeET2_T3_PNSL_ISQ_E10value_typeET4_T5_PSV_SW_PNS1_23onesweep_lookback_stateEbbT6_jjT7_P12ihipStream_tbENKUlT_T0_SK_SP_E_clISE_SE_SF_SF_EEDaS13_S14_SK_SP_EUlS13_E_NS1_11comp_targetILNS1_3genE6ELNS1_11target_archE950ELNS1_3gpuE13ELNS1_3repE0EEENS1_47radix_sort_onesweep_sort_config_static_selectorELNS0_4arch9wavefront6targetE0EEEvSK_
	.p2align	8
	.type	_ZN7rocprim17ROCPRIM_400000_NS6detail17trampoline_kernelINS0_14default_configENS1_35radix_sort_onesweep_config_selectorIfNS0_10empty_typeEEEZZNS1_29radix_sort_onesweep_iterationIS3_Lb0EN6thrust23THRUST_200600_302600_NS6detail15normal_iteratorINS9_10device_ptrIfEEEESE_PS5_SF_jNS0_19identity_decomposerENS1_16block_id_wrapperIjLb1EEEEE10hipError_tT1_PNSt15iterator_traitsISK_E10value_typeET2_T3_PNSL_ISQ_E10value_typeET4_T5_PSV_SW_PNS1_23onesweep_lookback_stateEbbT6_jjT7_P12ihipStream_tbENKUlT_T0_SK_SP_E_clISE_SE_SF_SF_EEDaS13_S14_SK_SP_EUlS13_E_NS1_11comp_targetILNS1_3genE6ELNS1_11target_archE950ELNS1_3gpuE13ELNS1_3repE0EEENS1_47radix_sort_onesweep_sort_config_static_selectorELNS0_4arch9wavefront6targetE0EEEvSK_,@function
_ZN7rocprim17ROCPRIM_400000_NS6detail17trampoline_kernelINS0_14default_configENS1_35radix_sort_onesweep_config_selectorIfNS0_10empty_typeEEEZZNS1_29radix_sort_onesweep_iterationIS3_Lb0EN6thrust23THRUST_200600_302600_NS6detail15normal_iteratorINS9_10device_ptrIfEEEESE_PS5_SF_jNS0_19identity_decomposerENS1_16block_id_wrapperIjLb1EEEEE10hipError_tT1_PNSt15iterator_traitsISK_E10value_typeET2_T3_PNSL_ISQ_E10value_typeET4_T5_PSV_SW_PNS1_23onesweep_lookback_stateEbbT6_jjT7_P12ihipStream_tbENKUlT_T0_SK_SP_E_clISE_SE_SF_SF_EEDaS13_S14_SK_SP_EUlS13_E_NS1_11comp_targetILNS1_3genE6ELNS1_11target_archE950ELNS1_3gpuE13ELNS1_3repE0EEENS1_47radix_sort_onesweep_sort_config_static_selectorELNS0_4arch9wavefront6targetE0EEEvSK_: ; @_ZN7rocprim17ROCPRIM_400000_NS6detail17trampoline_kernelINS0_14default_configENS1_35radix_sort_onesweep_config_selectorIfNS0_10empty_typeEEEZZNS1_29radix_sort_onesweep_iterationIS3_Lb0EN6thrust23THRUST_200600_302600_NS6detail15normal_iteratorINS9_10device_ptrIfEEEESE_PS5_SF_jNS0_19identity_decomposerENS1_16block_id_wrapperIjLb1EEEEE10hipError_tT1_PNSt15iterator_traitsISK_E10value_typeET2_T3_PNSL_ISQ_E10value_typeET4_T5_PSV_SW_PNS1_23onesweep_lookback_stateEbbT6_jjT7_P12ihipStream_tbENKUlT_T0_SK_SP_E_clISE_SE_SF_SF_EEDaS13_S14_SK_SP_EUlS13_E_NS1_11comp_targetILNS1_3genE6ELNS1_11target_archE950ELNS1_3gpuE13ELNS1_3repE0EEENS1_47radix_sort_onesweep_sort_config_static_selectorELNS0_4arch9wavefront6targetE0EEEvSK_
; %bb.0:
	.section	.rodata,"a",@progbits
	.p2align	6, 0x0
	.amdhsa_kernel _ZN7rocprim17ROCPRIM_400000_NS6detail17trampoline_kernelINS0_14default_configENS1_35radix_sort_onesweep_config_selectorIfNS0_10empty_typeEEEZZNS1_29radix_sort_onesweep_iterationIS3_Lb0EN6thrust23THRUST_200600_302600_NS6detail15normal_iteratorINS9_10device_ptrIfEEEESE_PS5_SF_jNS0_19identity_decomposerENS1_16block_id_wrapperIjLb1EEEEE10hipError_tT1_PNSt15iterator_traitsISK_E10value_typeET2_T3_PNSL_ISQ_E10value_typeET4_T5_PSV_SW_PNS1_23onesweep_lookback_stateEbbT6_jjT7_P12ihipStream_tbENKUlT_T0_SK_SP_E_clISE_SE_SF_SF_EEDaS13_S14_SK_SP_EUlS13_E_NS1_11comp_targetILNS1_3genE6ELNS1_11target_archE950ELNS1_3gpuE13ELNS1_3repE0EEENS1_47radix_sort_onesweep_sort_config_static_selectorELNS0_4arch9wavefront6targetE0EEEvSK_
		.amdhsa_group_segment_fixed_size 0
		.amdhsa_private_segment_fixed_size 0
		.amdhsa_kernarg_size 88
		.amdhsa_user_sgpr_count 6
		.amdhsa_user_sgpr_private_segment_buffer 1
		.amdhsa_user_sgpr_dispatch_ptr 0
		.amdhsa_user_sgpr_queue_ptr 0
		.amdhsa_user_sgpr_kernarg_segment_ptr 1
		.amdhsa_user_sgpr_dispatch_id 0
		.amdhsa_user_sgpr_flat_scratch_init 0
		.amdhsa_user_sgpr_private_segment_size 0
		.amdhsa_wavefront_size32 1
		.amdhsa_uses_dynamic_stack 0
		.amdhsa_system_sgpr_private_segment_wavefront_offset 0
		.amdhsa_system_sgpr_workgroup_id_x 1
		.amdhsa_system_sgpr_workgroup_id_y 0
		.amdhsa_system_sgpr_workgroup_id_z 0
		.amdhsa_system_sgpr_workgroup_info 0
		.amdhsa_system_vgpr_workitem_id 0
		.amdhsa_next_free_vgpr 1
		.amdhsa_next_free_sgpr 1
		.amdhsa_reserve_vcc 0
		.amdhsa_reserve_flat_scratch 0
		.amdhsa_float_round_mode_32 0
		.amdhsa_float_round_mode_16_64 0
		.amdhsa_float_denorm_mode_32 3
		.amdhsa_float_denorm_mode_16_64 3
		.amdhsa_dx10_clamp 1
		.amdhsa_ieee_mode 1
		.amdhsa_fp16_overflow 0
		.amdhsa_workgroup_processor_mode 1
		.amdhsa_memory_ordered 1
		.amdhsa_forward_progress 1
		.amdhsa_shared_vgpr_count 0
		.amdhsa_exception_fp_ieee_invalid_op 0
		.amdhsa_exception_fp_denorm_src 0
		.amdhsa_exception_fp_ieee_div_zero 0
		.amdhsa_exception_fp_ieee_overflow 0
		.amdhsa_exception_fp_ieee_underflow 0
		.amdhsa_exception_fp_ieee_inexact 0
		.amdhsa_exception_int_div_zero 0
	.end_amdhsa_kernel
	.section	.text._ZN7rocprim17ROCPRIM_400000_NS6detail17trampoline_kernelINS0_14default_configENS1_35radix_sort_onesweep_config_selectorIfNS0_10empty_typeEEEZZNS1_29radix_sort_onesweep_iterationIS3_Lb0EN6thrust23THRUST_200600_302600_NS6detail15normal_iteratorINS9_10device_ptrIfEEEESE_PS5_SF_jNS0_19identity_decomposerENS1_16block_id_wrapperIjLb1EEEEE10hipError_tT1_PNSt15iterator_traitsISK_E10value_typeET2_T3_PNSL_ISQ_E10value_typeET4_T5_PSV_SW_PNS1_23onesweep_lookback_stateEbbT6_jjT7_P12ihipStream_tbENKUlT_T0_SK_SP_E_clISE_SE_SF_SF_EEDaS13_S14_SK_SP_EUlS13_E_NS1_11comp_targetILNS1_3genE6ELNS1_11target_archE950ELNS1_3gpuE13ELNS1_3repE0EEENS1_47radix_sort_onesweep_sort_config_static_selectorELNS0_4arch9wavefront6targetE0EEEvSK_,"axG",@progbits,_ZN7rocprim17ROCPRIM_400000_NS6detail17trampoline_kernelINS0_14default_configENS1_35radix_sort_onesweep_config_selectorIfNS0_10empty_typeEEEZZNS1_29radix_sort_onesweep_iterationIS3_Lb0EN6thrust23THRUST_200600_302600_NS6detail15normal_iteratorINS9_10device_ptrIfEEEESE_PS5_SF_jNS0_19identity_decomposerENS1_16block_id_wrapperIjLb1EEEEE10hipError_tT1_PNSt15iterator_traitsISK_E10value_typeET2_T3_PNSL_ISQ_E10value_typeET4_T5_PSV_SW_PNS1_23onesweep_lookback_stateEbbT6_jjT7_P12ihipStream_tbENKUlT_T0_SK_SP_E_clISE_SE_SF_SF_EEDaS13_S14_SK_SP_EUlS13_E_NS1_11comp_targetILNS1_3genE6ELNS1_11target_archE950ELNS1_3gpuE13ELNS1_3repE0EEENS1_47radix_sort_onesweep_sort_config_static_selectorELNS0_4arch9wavefront6targetE0EEEvSK_,comdat
.Lfunc_end560:
	.size	_ZN7rocprim17ROCPRIM_400000_NS6detail17trampoline_kernelINS0_14default_configENS1_35radix_sort_onesweep_config_selectorIfNS0_10empty_typeEEEZZNS1_29radix_sort_onesweep_iterationIS3_Lb0EN6thrust23THRUST_200600_302600_NS6detail15normal_iteratorINS9_10device_ptrIfEEEESE_PS5_SF_jNS0_19identity_decomposerENS1_16block_id_wrapperIjLb1EEEEE10hipError_tT1_PNSt15iterator_traitsISK_E10value_typeET2_T3_PNSL_ISQ_E10value_typeET4_T5_PSV_SW_PNS1_23onesweep_lookback_stateEbbT6_jjT7_P12ihipStream_tbENKUlT_T0_SK_SP_E_clISE_SE_SF_SF_EEDaS13_S14_SK_SP_EUlS13_E_NS1_11comp_targetILNS1_3genE6ELNS1_11target_archE950ELNS1_3gpuE13ELNS1_3repE0EEENS1_47radix_sort_onesweep_sort_config_static_selectorELNS0_4arch9wavefront6targetE0EEEvSK_, .Lfunc_end560-_ZN7rocprim17ROCPRIM_400000_NS6detail17trampoline_kernelINS0_14default_configENS1_35radix_sort_onesweep_config_selectorIfNS0_10empty_typeEEEZZNS1_29radix_sort_onesweep_iterationIS3_Lb0EN6thrust23THRUST_200600_302600_NS6detail15normal_iteratorINS9_10device_ptrIfEEEESE_PS5_SF_jNS0_19identity_decomposerENS1_16block_id_wrapperIjLb1EEEEE10hipError_tT1_PNSt15iterator_traitsISK_E10value_typeET2_T3_PNSL_ISQ_E10value_typeET4_T5_PSV_SW_PNS1_23onesweep_lookback_stateEbbT6_jjT7_P12ihipStream_tbENKUlT_T0_SK_SP_E_clISE_SE_SF_SF_EEDaS13_S14_SK_SP_EUlS13_E_NS1_11comp_targetILNS1_3genE6ELNS1_11target_archE950ELNS1_3gpuE13ELNS1_3repE0EEENS1_47radix_sort_onesweep_sort_config_static_selectorELNS0_4arch9wavefront6targetE0EEEvSK_
                                        ; -- End function
	.set _ZN7rocprim17ROCPRIM_400000_NS6detail17trampoline_kernelINS0_14default_configENS1_35radix_sort_onesweep_config_selectorIfNS0_10empty_typeEEEZZNS1_29radix_sort_onesweep_iterationIS3_Lb0EN6thrust23THRUST_200600_302600_NS6detail15normal_iteratorINS9_10device_ptrIfEEEESE_PS5_SF_jNS0_19identity_decomposerENS1_16block_id_wrapperIjLb1EEEEE10hipError_tT1_PNSt15iterator_traitsISK_E10value_typeET2_T3_PNSL_ISQ_E10value_typeET4_T5_PSV_SW_PNS1_23onesweep_lookback_stateEbbT6_jjT7_P12ihipStream_tbENKUlT_T0_SK_SP_E_clISE_SE_SF_SF_EEDaS13_S14_SK_SP_EUlS13_E_NS1_11comp_targetILNS1_3genE6ELNS1_11target_archE950ELNS1_3gpuE13ELNS1_3repE0EEENS1_47radix_sort_onesweep_sort_config_static_selectorELNS0_4arch9wavefront6targetE0EEEvSK_.num_vgpr, 0
	.set _ZN7rocprim17ROCPRIM_400000_NS6detail17trampoline_kernelINS0_14default_configENS1_35radix_sort_onesweep_config_selectorIfNS0_10empty_typeEEEZZNS1_29radix_sort_onesweep_iterationIS3_Lb0EN6thrust23THRUST_200600_302600_NS6detail15normal_iteratorINS9_10device_ptrIfEEEESE_PS5_SF_jNS0_19identity_decomposerENS1_16block_id_wrapperIjLb1EEEEE10hipError_tT1_PNSt15iterator_traitsISK_E10value_typeET2_T3_PNSL_ISQ_E10value_typeET4_T5_PSV_SW_PNS1_23onesweep_lookback_stateEbbT6_jjT7_P12ihipStream_tbENKUlT_T0_SK_SP_E_clISE_SE_SF_SF_EEDaS13_S14_SK_SP_EUlS13_E_NS1_11comp_targetILNS1_3genE6ELNS1_11target_archE950ELNS1_3gpuE13ELNS1_3repE0EEENS1_47radix_sort_onesweep_sort_config_static_selectorELNS0_4arch9wavefront6targetE0EEEvSK_.num_agpr, 0
	.set _ZN7rocprim17ROCPRIM_400000_NS6detail17trampoline_kernelINS0_14default_configENS1_35radix_sort_onesweep_config_selectorIfNS0_10empty_typeEEEZZNS1_29radix_sort_onesweep_iterationIS3_Lb0EN6thrust23THRUST_200600_302600_NS6detail15normal_iteratorINS9_10device_ptrIfEEEESE_PS5_SF_jNS0_19identity_decomposerENS1_16block_id_wrapperIjLb1EEEEE10hipError_tT1_PNSt15iterator_traitsISK_E10value_typeET2_T3_PNSL_ISQ_E10value_typeET4_T5_PSV_SW_PNS1_23onesweep_lookback_stateEbbT6_jjT7_P12ihipStream_tbENKUlT_T0_SK_SP_E_clISE_SE_SF_SF_EEDaS13_S14_SK_SP_EUlS13_E_NS1_11comp_targetILNS1_3genE6ELNS1_11target_archE950ELNS1_3gpuE13ELNS1_3repE0EEENS1_47radix_sort_onesweep_sort_config_static_selectorELNS0_4arch9wavefront6targetE0EEEvSK_.numbered_sgpr, 0
	.set _ZN7rocprim17ROCPRIM_400000_NS6detail17trampoline_kernelINS0_14default_configENS1_35radix_sort_onesweep_config_selectorIfNS0_10empty_typeEEEZZNS1_29radix_sort_onesweep_iterationIS3_Lb0EN6thrust23THRUST_200600_302600_NS6detail15normal_iteratorINS9_10device_ptrIfEEEESE_PS5_SF_jNS0_19identity_decomposerENS1_16block_id_wrapperIjLb1EEEEE10hipError_tT1_PNSt15iterator_traitsISK_E10value_typeET2_T3_PNSL_ISQ_E10value_typeET4_T5_PSV_SW_PNS1_23onesweep_lookback_stateEbbT6_jjT7_P12ihipStream_tbENKUlT_T0_SK_SP_E_clISE_SE_SF_SF_EEDaS13_S14_SK_SP_EUlS13_E_NS1_11comp_targetILNS1_3genE6ELNS1_11target_archE950ELNS1_3gpuE13ELNS1_3repE0EEENS1_47radix_sort_onesweep_sort_config_static_selectorELNS0_4arch9wavefront6targetE0EEEvSK_.num_named_barrier, 0
	.set _ZN7rocprim17ROCPRIM_400000_NS6detail17trampoline_kernelINS0_14default_configENS1_35radix_sort_onesweep_config_selectorIfNS0_10empty_typeEEEZZNS1_29radix_sort_onesweep_iterationIS3_Lb0EN6thrust23THRUST_200600_302600_NS6detail15normal_iteratorINS9_10device_ptrIfEEEESE_PS5_SF_jNS0_19identity_decomposerENS1_16block_id_wrapperIjLb1EEEEE10hipError_tT1_PNSt15iterator_traitsISK_E10value_typeET2_T3_PNSL_ISQ_E10value_typeET4_T5_PSV_SW_PNS1_23onesweep_lookback_stateEbbT6_jjT7_P12ihipStream_tbENKUlT_T0_SK_SP_E_clISE_SE_SF_SF_EEDaS13_S14_SK_SP_EUlS13_E_NS1_11comp_targetILNS1_3genE6ELNS1_11target_archE950ELNS1_3gpuE13ELNS1_3repE0EEENS1_47radix_sort_onesweep_sort_config_static_selectorELNS0_4arch9wavefront6targetE0EEEvSK_.private_seg_size, 0
	.set _ZN7rocprim17ROCPRIM_400000_NS6detail17trampoline_kernelINS0_14default_configENS1_35radix_sort_onesweep_config_selectorIfNS0_10empty_typeEEEZZNS1_29radix_sort_onesweep_iterationIS3_Lb0EN6thrust23THRUST_200600_302600_NS6detail15normal_iteratorINS9_10device_ptrIfEEEESE_PS5_SF_jNS0_19identity_decomposerENS1_16block_id_wrapperIjLb1EEEEE10hipError_tT1_PNSt15iterator_traitsISK_E10value_typeET2_T3_PNSL_ISQ_E10value_typeET4_T5_PSV_SW_PNS1_23onesweep_lookback_stateEbbT6_jjT7_P12ihipStream_tbENKUlT_T0_SK_SP_E_clISE_SE_SF_SF_EEDaS13_S14_SK_SP_EUlS13_E_NS1_11comp_targetILNS1_3genE6ELNS1_11target_archE950ELNS1_3gpuE13ELNS1_3repE0EEENS1_47radix_sort_onesweep_sort_config_static_selectorELNS0_4arch9wavefront6targetE0EEEvSK_.uses_vcc, 0
	.set _ZN7rocprim17ROCPRIM_400000_NS6detail17trampoline_kernelINS0_14default_configENS1_35radix_sort_onesweep_config_selectorIfNS0_10empty_typeEEEZZNS1_29radix_sort_onesweep_iterationIS3_Lb0EN6thrust23THRUST_200600_302600_NS6detail15normal_iteratorINS9_10device_ptrIfEEEESE_PS5_SF_jNS0_19identity_decomposerENS1_16block_id_wrapperIjLb1EEEEE10hipError_tT1_PNSt15iterator_traitsISK_E10value_typeET2_T3_PNSL_ISQ_E10value_typeET4_T5_PSV_SW_PNS1_23onesweep_lookback_stateEbbT6_jjT7_P12ihipStream_tbENKUlT_T0_SK_SP_E_clISE_SE_SF_SF_EEDaS13_S14_SK_SP_EUlS13_E_NS1_11comp_targetILNS1_3genE6ELNS1_11target_archE950ELNS1_3gpuE13ELNS1_3repE0EEENS1_47radix_sort_onesweep_sort_config_static_selectorELNS0_4arch9wavefront6targetE0EEEvSK_.uses_flat_scratch, 0
	.set _ZN7rocprim17ROCPRIM_400000_NS6detail17trampoline_kernelINS0_14default_configENS1_35radix_sort_onesweep_config_selectorIfNS0_10empty_typeEEEZZNS1_29radix_sort_onesweep_iterationIS3_Lb0EN6thrust23THRUST_200600_302600_NS6detail15normal_iteratorINS9_10device_ptrIfEEEESE_PS5_SF_jNS0_19identity_decomposerENS1_16block_id_wrapperIjLb1EEEEE10hipError_tT1_PNSt15iterator_traitsISK_E10value_typeET2_T3_PNSL_ISQ_E10value_typeET4_T5_PSV_SW_PNS1_23onesweep_lookback_stateEbbT6_jjT7_P12ihipStream_tbENKUlT_T0_SK_SP_E_clISE_SE_SF_SF_EEDaS13_S14_SK_SP_EUlS13_E_NS1_11comp_targetILNS1_3genE6ELNS1_11target_archE950ELNS1_3gpuE13ELNS1_3repE0EEENS1_47radix_sort_onesweep_sort_config_static_selectorELNS0_4arch9wavefront6targetE0EEEvSK_.has_dyn_sized_stack, 0
	.set _ZN7rocprim17ROCPRIM_400000_NS6detail17trampoline_kernelINS0_14default_configENS1_35radix_sort_onesweep_config_selectorIfNS0_10empty_typeEEEZZNS1_29radix_sort_onesweep_iterationIS3_Lb0EN6thrust23THRUST_200600_302600_NS6detail15normal_iteratorINS9_10device_ptrIfEEEESE_PS5_SF_jNS0_19identity_decomposerENS1_16block_id_wrapperIjLb1EEEEE10hipError_tT1_PNSt15iterator_traitsISK_E10value_typeET2_T3_PNSL_ISQ_E10value_typeET4_T5_PSV_SW_PNS1_23onesweep_lookback_stateEbbT6_jjT7_P12ihipStream_tbENKUlT_T0_SK_SP_E_clISE_SE_SF_SF_EEDaS13_S14_SK_SP_EUlS13_E_NS1_11comp_targetILNS1_3genE6ELNS1_11target_archE950ELNS1_3gpuE13ELNS1_3repE0EEENS1_47radix_sort_onesweep_sort_config_static_selectorELNS0_4arch9wavefront6targetE0EEEvSK_.has_recursion, 0
	.set _ZN7rocprim17ROCPRIM_400000_NS6detail17trampoline_kernelINS0_14default_configENS1_35radix_sort_onesweep_config_selectorIfNS0_10empty_typeEEEZZNS1_29radix_sort_onesweep_iterationIS3_Lb0EN6thrust23THRUST_200600_302600_NS6detail15normal_iteratorINS9_10device_ptrIfEEEESE_PS5_SF_jNS0_19identity_decomposerENS1_16block_id_wrapperIjLb1EEEEE10hipError_tT1_PNSt15iterator_traitsISK_E10value_typeET2_T3_PNSL_ISQ_E10value_typeET4_T5_PSV_SW_PNS1_23onesweep_lookback_stateEbbT6_jjT7_P12ihipStream_tbENKUlT_T0_SK_SP_E_clISE_SE_SF_SF_EEDaS13_S14_SK_SP_EUlS13_E_NS1_11comp_targetILNS1_3genE6ELNS1_11target_archE950ELNS1_3gpuE13ELNS1_3repE0EEENS1_47radix_sort_onesweep_sort_config_static_selectorELNS0_4arch9wavefront6targetE0EEEvSK_.has_indirect_call, 0
	.section	.AMDGPU.csdata,"",@progbits
; Kernel info:
; codeLenInByte = 0
; TotalNumSgprs: 0
; NumVgprs: 0
; ScratchSize: 0
; MemoryBound: 0
; FloatMode: 240
; IeeeMode: 1
; LDSByteSize: 0 bytes/workgroup (compile time only)
; SGPRBlocks: 0
; VGPRBlocks: 0
; NumSGPRsForWavesPerEU: 1
; NumVGPRsForWavesPerEU: 1
; Occupancy: 16
; WaveLimiterHint : 0
; COMPUTE_PGM_RSRC2:SCRATCH_EN: 0
; COMPUTE_PGM_RSRC2:USER_SGPR: 6
; COMPUTE_PGM_RSRC2:TRAP_HANDLER: 0
; COMPUTE_PGM_RSRC2:TGID_X_EN: 1
; COMPUTE_PGM_RSRC2:TGID_Y_EN: 0
; COMPUTE_PGM_RSRC2:TGID_Z_EN: 0
; COMPUTE_PGM_RSRC2:TIDIG_COMP_CNT: 0
	.section	.text._ZN7rocprim17ROCPRIM_400000_NS6detail17trampoline_kernelINS0_14default_configENS1_35radix_sort_onesweep_config_selectorIfNS0_10empty_typeEEEZZNS1_29radix_sort_onesweep_iterationIS3_Lb0EN6thrust23THRUST_200600_302600_NS6detail15normal_iteratorINS9_10device_ptrIfEEEESE_PS5_SF_jNS0_19identity_decomposerENS1_16block_id_wrapperIjLb1EEEEE10hipError_tT1_PNSt15iterator_traitsISK_E10value_typeET2_T3_PNSL_ISQ_E10value_typeET4_T5_PSV_SW_PNS1_23onesweep_lookback_stateEbbT6_jjT7_P12ihipStream_tbENKUlT_T0_SK_SP_E_clISE_SE_SF_SF_EEDaS13_S14_SK_SP_EUlS13_E_NS1_11comp_targetILNS1_3genE5ELNS1_11target_archE942ELNS1_3gpuE9ELNS1_3repE0EEENS1_47radix_sort_onesweep_sort_config_static_selectorELNS0_4arch9wavefront6targetE0EEEvSK_,"axG",@progbits,_ZN7rocprim17ROCPRIM_400000_NS6detail17trampoline_kernelINS0_14default_configENS1_35radix_sort_onesweep_config_selectorIfNS0_10empty_typeEEEZZNS1_29radix_sort_onesweep_iterationIS3_Lb0EN6thrust23THRUST_200600_302600_NS6detail15normal_iteratorINS9_10device_ptrIfEEEESE_PS5_SF_jNS0_19identity_decomposerENS1_16block_id_wrapperIjLb1EEEEE10hipError_tT1_PNSt15iterator_traitsISK_E10value_typeET2_T3_PNSL_ISQ_E10value_typeET4_T5_PSV_SW_PNS1_23onesweep_lookback_stateEbbT6_jjT7_P12ihipStream_tbENKUlT_T0_SK_SP_E_clISE_SE_SF_SF_EEDaS13_S14_SK_SP_EUlS13_E_NS1_11comp_targetILNS1_3genE5ELNS1_11target_archE942ELNS1_3gpuE9ELNS1_3repE0EEENS1_47radix_sort_onesweep_sort_config_static_selectorELNS0_4arch9wavefront6targetE0EEEvSK_,comdat
	.protected	_ZN7rocprim17ROCPRIM_400000_NS6detail17trampoline_kernelINS0_14default_configENS1_35radix_sort_onesweep_config_selectorIfNS0_10empty_typeEEEZZNS1_29radix_sort_onesweep_iterationIS3_Lb0EN6thrust23THRUST_200600_302600_NS6detail15normal_iteratorINS9_10device_ptrIfEEEESE_PS5_SF_jNS0_19identity_decomposerENS1_16block_id_wrapperIjLb1EEEEE10hipError_tT1_PNSt15iterator_traitsISK_E10value_typeET2_T3_PNSL_ISQ_E10value_typeET4_T5_PSV_SW_PNS1_23onesweep_lookback_stateEbbT6_jjT7_P12ihipStream_tbENKUlT_T0_SK_SP_E_clISE_SE_SF_SF_EEDaS13_S14_SK_SP_EUlS13_E_NS1_11comp_targetILNS1_3genE5ELNS1_11target_archE942ELNS1_3gpuE9ELNS1_3repE0EEENS1_47radix_sort_onesweep_sort_config_static_selectorELNS0_4arch9wavefront6targetE0EEEvSK_ ; -- Begin function _ZN7rocprim17ROCPRIM_400000_NS6detail17trampoline_kernelINS0_14default_configENS1_35radix_sort_onesweep_config_selectorIfNS0_10empty_typeEEEZZNS1_29radix_sort_onesweep_iterationIS3_Lb0EN6thrust23THRUST_200600_302600_NS6detail15normal_iteratorINS9_10device_ptrIfEEEESE_PS5_SF_jNS0_19identity_decomposerENS1_16block_id_wrapperIjLb1EEEEE10hipError_tT1_PNSt15iterator_traitsISK_E10value_typeET2_T3_PNSL_ISQ_E10value_typeET4_T5_PSV_SW_PNS1_23onesweep_lookback_stateEbbT6_jjT7_P12ihipStream_tbENKUlT_T0_SK_SP_E_clISE_SE_SF_SF_EEDaS13_S14_SK_SP_EUlS13_E_NS1_11comp_targetILNS1_3genE5ELNS1_11target_archE942ELNS1_3gpuE9ELNS1_3repE0EEENS1_47radix_sort_onesweep_sort_config_static_selectorELNS0_4arch9wavefront6targetE0EEEvSK_
	.globl	_ZN7rocprim17ROCPRIM_400000_NS6detail17trampoline_kernelINS0_14default_configENS1_35radix_sort_onesweep_config_selectorIfNS0_10empty_typeEEEZZNS1_29radix_sort_onesweep_iterationIS3_Lb0EN6thrust23THRUST_200600_302600_NS6detail15normal_iteratorINS9_10device_ptrIfEEEESE_PS5_SF_jNS0_19identity_decomposerENS1_16block_id_wrapperIjLb1EEEEE10hipError_tT1_PNSt15iterator_traitsISK_E10value_typeET2_T3_PNSL_ISQ_E10value_typeET4_T5_PSV_SW_PNS1_23onesweep_lookback_stateEbbT6_jjT7_P12ihipStream_tbENKUlT_T0_SK_SP_E_clISE_SE_SF_SF_EEDaS13_S14_SK_SP_EUlS13_E_NS1_11comp_targetILNS1_3genE5ELNS1_11target_archE942ELNS1_3gpuE9ELNS1_3repE0EEENS1_47radix_sort_onesweep_sort_config_static_selectorELNS0_4arch9wavefront6targetE0EEEvSK_
	.p2align	8
	.type	_ZN7rocprim17ROCPRIM_400000_NS6detail17trampoline_kernelINS0_14default_configENS1_35radix_sort_onesweep_config_selectorIfNS0_10empty_typeEEEZZNS1_29radix_sort_onesweep_iterationIS3_Lb0EN6thrust23THRUST_200600_302600_NS6detail15normal_iteratorINS9_10device_ptrIfEEEESE_PS5_SF_jNS0_19identity_decomposerENS1_16block_id_wrapperIjLb1EEEEE10hipError_tT1_PNSt15iterator_traitsISK_E10value_typeET2_T3_PNSL_ISQ_E10value_typeET4_T5_PSV_SW_PNS1_23onesweep_lookback_stateEbbT6_jjT7_P12ihipStream_tbENKUlT_T0_SK_SP_E_clISE_SE_SF_SF_EEDaS13_S14_SK_SP_EUlS13_E_NS1_11comp_targetILNS1_3genE5ELNS1_11target_archE942ELNS1_3gpuE9ELNS1_3repE0EEENS1_47radix_sort_onesweep_sort_config_static_selectorELNS0_4arch9wavefront6targetE0EEEvSK_,@function
_ZN7rocprim17ROCPRIM_400000_NS6detail17trampoline_kernelINS0_14default_configENS1_35radix_sort_onesweep_config_selectorIfNS0_10empty_typeEEEZZNS1_29radix_sort_onesweep_iterationIS3_Lb0EN6thrust23THRUST_200600_302600_NS6detail15normal_iteratorINS9_10device_ptrIfEEEESE_PS5_SF_jNS0_19identity_decomposerENS1_16block_id_wrapperIjLb1EEEEE10hipError_tT1_PNSt15iterator_traitsISK_E10value_typeET2_T3_PNSL_ISQ_E10value_typeET4_T5_PSV_SW_PNS1_23onesweep_lookback_stateEbbT6_jjT7_P12ihipStream_tbENKUlT_T0_SK_SP_E_clISE_SE_SF_SF_EEDaS13_S14_SK_SP_EUlS13_E_NS1_11comp_targetILNS1_3genE5ELNS1_11target_archE942ELNS1_3gpuE9ELNS1_3repE0EEENS1_47radix_sort_onesweep_sort_config_static_selectorELNS0_4arch9wavefront6targetE0EEEvSK_: ; @_ZN7rocprim17ROCPRIM_400000_NS6detail17trampoline_kernelINS0_14default_configENS1_35radix_sort_onesweep_config_selectorIfNS0_10empty_typeEEEZZNS1_29radix_sort_onesweep_iterationIS3_Lb0EN6thrust23THRUST_200600_302600_NS6detail15normal_iteratorINS9_10device_ptrIfEEEESE_PS5_SF_jNS0_19identity_decomposerENS1_16block_id_wrapperIjLb1EEEEE10hipError_tT1_PNSt15iterator_traitsISK_E10value_typeET2_T3_PNSL_ISQ_E10value_typeET4_T5_PSV_SW_PNS1_23onesweep_lookback_stateEbbT6_jjT7_P12ihipStream_tbENKUlT_T0_SK_SP_E_clISE_SE_SF_SF_EEDaS13_S14_SK_SP_EUlS13_E_NS1_11comp_targetILNS1_3genE5ELNS1_11target_archE942ELNS1_3gpuE9ELNS1_3repE0EEENS1_47radix_sort_onesweep_sort_config_static_selectorELNS0_4arch9wavefront6targetE0EEEvSK_
; %bb.0:
	.section	.rodata,"a",@progbits
	.p2align	6, 0x0
	.amdhsa_kernel _ZN7rocprim17ROCPRIM_400000_NS6detail17trampoline_kernelINS0_14default_configENS1_35radix_sort_onesweep_config_selectorIfNS0_10empty_typeEEEZZNS1_29radix_sort_onesweep_iterationIS3_Lb0EN6thrust23THRUST_200600_302600_NS6detail15normal_iteratorINS9_10device_ptrIfEEEESE_PS5_SF_jNS0_19identity_decomposerENS1_16block_id_wrapperIjLb1EEEEE10hipError_tT1_PNSt15iterator_traitsISK_E10value_typeET2_T3_PNSL_ISQ_E10value_typeET4_T5_PSV_SW_PNS1_23onesweep_lookback_stateEbbT6_jjT7_P12ihipStream_tbENKUlT_T0_SK_SP_E_clISE_SE_SF_SF_EEDaS13_S14_SK_SP_EUlS13_E_NS1_11comp_targetILNS1_3genE5ELNS1_11target_archE942ELNS1_3gpuE9ELNS1_3repE0EEENS1_47radix_sort_onesweep_sort_config_static_selectorELNS0_4arch9wavefront6targetE0EEEvSK_
		.amdhsa_group_segment_fixed_size 0
		.amdhsa_private_segment_fixed_size 0
		.amdhsa_kernarg_size 88
		.amdhsa_user_sgpr_count 6
		.amdhsa_user_sgpr_private_segment_buffer 1
		.amdhsa_user_sgpr_dispatch_ptr 0
		.amdhsa_user_sgpr_queue_ptr 0
		.amdhsa_user_sgpr_kernarg_segment_ptr 1
		.amdhsa_user_sgpr_dispatch_id 0
		.amdhsa_user_sgpr_flat_scratch_init 0
		.amdhsa_user_sgpr_private_segment_size 0
		.amdhsa_wavefront_size32 1
		.amdhsa_uses_dynamic_stack 0
		.amdhsa_system_sgpr_private_segment_wavefront_offset 0
		.amdhsa_system_sgpr_workgroup_id_x 1
		.amdhsa_system_sgpr_workgroup_id_y 0
		.amdhsa_system_sgpr_workgroup_id_z 0
		.amdhsa_system_sgpr_workgroup_info 0
		.amdhsa_system_vgpr_workitem_id 0
		.amdhsa_next_free_vgpr 1
		.amdhsa_next_free_sgpr 1
		.amdhsa_reserve_vcc 0
		.amdhsa_reserve_flat_scratch 0
		.amdhsa_float_round_mode_32 0
		.amdhsa_float_round_mode_16_64 0
		.amdhsa_float_denorm_mode_32 3
		.amdhsa_float_denorm_mode_16_64 3
		.amdhsa_dx10_clamp 1
		.amdhsa_ieee_mode 1
		.amdhsa_fp16_overflow 0
		.amdhsa_workgroup_processor_mode 1
		.amdhsa_memory_ordered 1
		.amdhsa_forward_progress 1
		.amdhsa_shared_vgpr_count 0
		.amdhsa_exception_fp_ieee_invalid_op 0
		.amdhsa_exception_fp_denorm_src 0
		.amdhsa_exception_fp_ieee_div_zero 0
		.amdhsa_exception_fp_ieee_overflow 0
		.amdhsa_exception_fp_ieee_underflow 0
		.amdhsa_exception_fp_ieee_inexact 0
		.amdhsa_exception_int_div_zero 0
	.end_amdhsa_kernel
	.section	.text._ZN7rocprim17ROCPRIM_400000_NS6detail17trampoline_kernelINS0_14default_configENS1_35radix_sort_onesweep_config_selectorIfNS0_10empty_typeEEEZZNS1_29radix_sort_onesweep_iterationIS3_Lb0EN6thrust23THRUST_200600_302600_NS6detail15normal_iteratorINS9_10device_ptrIfEEEESE_PS5_SF_jNS0_19identity_decomposerENS1_16block_id_wrapperIjLb1EEEEE10hipError_tT1_PNSt15iterator_traitsISK_E10value_typeET2_T3_PNSL_ISQ_E10value_typeET4_T5_PSV_SW_PNS1_23onesweep_lookback_stateEbbT6_jjT7_P12ihipStream_tbENKUlT_T0_SK_SP_E_clISE_SE_SF_SF_EEDaS13_S14_SK_SP_EUlS13_E_NS1_11comp_targetILNS1_3genE5ELNS1_11target_archE942ELNS1_3gpuE9ELNS1_3repE0EEENS1_47radix_sort_onesweep_sort_config_static_selectorELNS0_4arch9wavefront6targetE0EEEvSK_,"axG",@progbits,_ZN7rocprim17ROCPRIM_400000_NS6detail17trampoline_kernelINS0_14default_configENS1_35radix_sort_onesweep_config_selectorIfNS0_10empty_typeEEEZZNS1_29radix_sort_onesweep_iterationIS3_Lb0EN6thrust23THRUST_200600_302600_NS6detail15normal_iteratorINS9_10device_ptrIfEEEESE_PS5_SF_jNS0_19identity_decomposerENS1_16block_id_wrapperIjLb1EEEEE10hipError_tT1_PNSt15iterator_traitsISK_E10value_typeET2_T3_PNSL_ISQ_E10value_typeET4_T5_PSV_SW_PNS1_23onesweep_lookback_stateEbbT6_jjT7_P12ihipStream_tbENKUlT_T0_SK_SP_E_clISE_SE_SF_SF_EEDaS13_S14_SK_SP_EUlS13_E_NS1_11comp_targetILNS1_3genE5ELNS1_11target_archE942ELNS1_3gpuE9ELNS1_3repE0EEENS1_47radix_sort_onesweep_sort_config_static_selectorELNS0_4arch9wavefront6targetE0EEEvSK_,comdat
.Lfunc_end561:
	.size	_ZN7rocprim17ROCPRIM_400000_NS6detail17trampoline_kernelINS0_14default_configENS1_35radix_sort_onesweep_config_selectorIfNS0_10empty_typeEEEZZNS1_29radix_sort_onesweep_iterationIS3_Lb0EN6thrust23THRUST_200600_302600_NS6detail15normal_iteratorINS9_10device_ptrIfEEEESE_PS5_SF_jNS0_19identity_decomposerENS1_16block_id_wrapperIjLb1EEEEE10hipError_tT1_PNSt15iterator_traitsISK_E10value_typeET2_T3_PNSL_ISQ_E10value_typeET4_T5_PSV_SW_PNS1_23onesweep_lookback_stateEbbT6_jjT7_P12ihipStream_tbENKUlT_T0_SK_SP_E_clISE_SE_SF_SF_EEDaS13_S14_SK_SP_EUlS13_E_NS1_11comp_targetILNS1_3genE5ELNS1_11target_archE942ELNS1_3gpuE9ELNS1_3repE0EEENS1_47radix_sort_onesweep_sort_config_static_selectorELNS0_4arch9wavefront6targetE0EEEvSK_, .Lfunc_end561-_ZN7rocprim17ROCPRIM_400000_NS6detail17trampoline_kernelINS0_14default_configENS1_35radix_sort_onesweep_config_selectorIfNS0_10empty_typeEEEZZNS1_29radix_sort_onesweep_iterationIS3_Lb0EN6thrust23THRUST_200600_302600_NS6detail15normal_iteratorINS9_10device_ptrIfEEEESE_PS5_SF_jNS0_19identity_decomposerENS1_16block_id_wrapperIjLb1EEEEE10hipError_tT1_PNSt15iterator_traitsISK_E10value_typeET2_T3_PNSL_ISQ_E10value_typeET4_T5_PSV_SW_PNS1_23onesweep_lookback_stateEbbT6_jjT7_P12ihipStream_tbENKUlT_T0_SK_SP_E_clISE_SE_SF_SF_EEDaS13_S14_SK_SP_EUlS13_E_NS1_11comp_targetILNS1_3genE5ELNS1_11target_archE942ELNS1_3gpuE9ELNS1_3repE0EEENS1_47radix_sort_onesweep_sort_config_static_selectorELNS0_4arch9wavefront6targetE0EEEvSK_
                                        ; -- End function
	.set _ZN7rocprim17ROCPRIM_400000_NS6detail17trampoline_kernelINS0_14default_configENS1_35radix_sort_onesweep_config_selectorIfNS0_10empty_typeEEEZZNS1_29radix_sort_onesweep_iterationIS3_Lb0EN6thrust23THRUST_200600_302600_NS6detail15normal_iteratorINS9_10device_ptrIfEEEESE_PS5_SF_jNS0_19identity_decomposerENS1_16block_id_wrapperIjLb1EEEEE10hipError_tT1_PNSt15iterator_traitsISK_E10value_typeET2_T3_PNSL_ISQ_E10value_typeET4_T5_PSV_SW_PNS1_23onesweep_lookback_stateEbbT6_jjT7_P12ihipStream_tbENKUlT_T0_SK_SP_E_clISE_SE_SF_SF_EEDaS13_S14_SK_SP_EUlS13_E_NS1_11comp_targetILNS1_3genE5ELNS1_11target_archE942ELNS1_3gpuE9ELNS1_3repE0EEENS1_47radix_sort_onesweep_sort_config_static_selectorELNS0_4arch9wavefront6targetE0EEEvSK_.num_vgpr, 0
	.set _ZN7rocprim17ROCPRIM_400000_NS6detail17trampoline_kernelINS0_14default_configENS1_35radix_sort_onesweep_config_selectorIfNS0_10empty_typeEEEZZNS1_29radix_sort_onesweep_iterationIS3_Lb0EN6thrust23THRUST_200600_302600_NS6detail15normal_iteratorINS9_10device_ptrIfEEEESE_PS5_SF_jNS0_19identity_decomposerENS1_16block_id_wrapperIjLb1EEEEE10hipError_tT1_PNSt15iterator_traitsISK_E10value_typeET2_T3_PNSL_ISQ_E10value_typeET4_T5_PSV_SW_PNS1_23onesweep_lookback_stateEbbT6_jjT7_P12ihipStream_tbENKUlT_T0_SK_SP_E_clISE_SE_SF_SF_EEDaS13_S14_SK_SP_EUlS13_E_NS1_11comp_targetILNS1_3genE5ELNS1_11target_archE942ELNS1_3gpuE9ELNS1_3repE0EEENS1_47radix_sort_onesweep_sort_config_static_selectorELNS0_4arch9wavefront6targetE0EEEvSK_.num_agpr, 0
	.set _ZN7rocprim17ROCPRIM_400000_NS6detail17trampoline_kernelINS0_14default_configENS1_35radix_sort_onesweep_config_selectorIfNS0_10empty_typeEEEZZNS1_29radix_sort_onesweep_iterationIS3_Lb0EN6thrust23THRUST_200600_302600_NS6detail15normal_iteratorINS9_10device_ptrIfEEEESE_PS5_SF_jNS0_19identity_decomposerENS1_16block_id_wrapperIjLb1EEEEE10hipError_tT1_PNSt15iterator_traitsISK_E10value_typeET2_T3_PNSL_ISQ_E10value_typeET4_T5_PSV_SW_PNS1_23onesweep_lookback_stateEbbT6_jjT7_P12ihipStream_tbENKUlT_T0_SK_SP_E_clISE_SE_SF_SF_EEDaS13_S14_SK_SP_EUlS13_E_NS1_11comp_targetILNS1_3genE5ELNS1_11target_archE942ELNS1_3gpuE9ELNS1_3repE0EEENS1_47radix_sort_onesweep_sort_config_static_selectorELNS0_4arch9wavefront6targetE0EEEvSK_.numbered_sgpr, 0
	.set _ZN7rocprim17ROCPRIM_400000_NS6detail17trampoline_kernelINS0_14default_configENS1_35radix_sort_onesweep_config_selectorIfNS0_10empty_typeEEEZZNS1_29radix_sort_onesweep_iterationIS3_Lb0EN6thrust23THRUST_200600_302600_NS6detail15normal_iteratorINS9_10device_ptrIfEEEESE_PS5_SF_jNS0_19identity_decomposerENS1_16block_id_wrapperIjLb1EEEEE10hipError_tT1_PNSt15iterator_traitsISK_E10value_typeET2_T3_PNSL_ISQ_E10value_typeET4_T5_PSV_SW_PNS1_23onesweep_lookback_stateEbbT6_jjT7_P12ihipStream_tbENKUlT_T0_SK_SP_E_clISE_SE_SF_SF_EEDaS13_S14_SK_SP_EUlS13_E_NS1_11comp_targetILNS1_3genE5ELNS1_11target_archE942ELNS1_3gpuE9ELNS1_3repE0EEENS1_47radix_sort_onesweep_sort_config_static_selectorELNS0_4arch9wavefront6targetE0EEEvSK_.num_named_barrier, 0
	.set _ZN7rocprim17ROCPRIM_400000_NS6detail17trampoline_kernelINS0_14default_configENS1_35radix_sort_onesweep_config_selectorIfNS0_10empty_typeEEEZZNS1_29radix_sort_onesweep_iterationIS3_Lb0EN6thrust23THRUST_200600_302600_NS6detail15normal_iteratorINS9_10device_ptrIfEEEESE_PS5_SF_jNS0_19identity_decomposerENS1_16block_id_wrapperIjLb1EEEEE10hipError_tT1_PNSt15iterator_traitsISK_E10value_typeET2_T3_PNSL_ISQ_E10value_typeET4_T5_PSV_SW_PNS1_23onesweep_lookback_stateEbbT6_jjT7_P12ihipStream_tbENKUlT_T0_SK_SP_E_clISE_SE_SF_SF_EEDaS13_S14_SK_SP_EUlS13_E_NS1_11comp_targetILNS1_3genE5ELNS1_11target_archE942ELNS1_3gpuE9ELNS1_3repE0EEENS1_47radix_sort_onesweep_sort_config_static_selectorELNS0_4arch9wavefront6targetE0EEEvSK_.private_seg_size, 0
	.set _ZN7rocprim17ROCPRIM_400000_NS6detail17trampoline_kernelINS0_14default_configENS1_35radix_sort_onesweep_config_selectorIfNS0_10empty_typeEEEZZNS1_29radix_sort_onesweep_iterationIS3_Lb0EN6thrust23THRUST_200600_302600_NS6detail15normal_iteratorINS9_10device_ptrIfEEEESE_PS5_SF_jNS0_19identity_decomposerENS1_16block_id_wrapperIjLb1EEEEE10hipError_tT1_PNSt15iterator_traitsISK_E10value_typeET2_T3_PNSL_ISQ_E10value_typeET4_T5_PSV_SW_PNS1_23onesweep_lookback_stateEbbT6_jjT7_P12ihipStream_tbENKUlT_T0_SK_SP_E_clISE_SE_SF_SF_EEDaS13_S14_SK_SP_EUlS13_E_NS1_11comp_targetILNS1_3genE5ELNS1_11target_archE942ELNS1_3gpuE9ELNS1_3repE0EEENS1_47radix_sort_onesweep_sort_config_static_selectorELNS0_4arch9wavefront6targetE0EEEvSK_.uses_vcc, 0
	.set _ZN7rocprim17ROCPRIM_400000_NS6detail17trampoline_kernelINS0_14default_configENS1_35radix_sort_onesweep_config_selectorIfNS0_10empty_typeEEEZZNS1_29radix_sort_onesweep_iterationIS3_Lb0EN6thrust23THRUST_200600_302600_NS6detail15normal_iteratorINS9_10device_ptrIfEEEESE_PS5_SF_jNS0_19identity_decomposerENS1_16block_id_wrapperIjLb1EEEEE10hipError_tT1_PNSt15iterator_traitsISK_E10value_typeET2_T3_PNSL_ISQ_E10value_typeET4_T5_PSV_SW_PNS1_23onesweep_lookback_stateEbbT6_jjT7_P12ihipStream_tbENKUlT_T0_SK_SP_E_clISE_SE_SF_SF_EEDaS13_S14_SK_SP_EUlS13_E_NS1_11comp_targetILNS1_3genE5ELNS1_11target_archE942ELNS1_3gpuE9ELNS1_3repE0EEENS1_47radix_sort_onesweep_sort_config_static_selectorELNS0_4arch9wavefront6targetE0EEEvSK_.uses_flat_scratch, 0
	.set _ZN7rocprim17ROCPRIM_400000_NS6detail17trampoline_kernelINS0_14default_configENS1_35radix_sort_onesweep_config_selectorIfNS0_10empty_typeEEEZZNS1_29radix_sort_onesweep_iterationIS3_Lb0EN6thrust23THRUST_200600_302600_NS6detail15normal_iteratorINS9_10device_ptrIfEEEESE_PS5_SF_jNS0_19identity_decomposerENS1_16block_id_wrapperIjLb1EEEEE10hipError_tT1_PNSt15iterator_traitsISK_E10value_typeET2_T3_PNSL_ISQ_E10value_typeET4_T5_PSV_SW_PNS1_23onesweep_lookback_stateEbbT6_jjT7_P12ihipStream_tbENKUlT_T0_SK_SP_E_clISE_SE_SF_SF_EEDaS13_S14_SK_SP_EUlS13_E_NS1_11comp_targetILNS1_3genE5ELNS1_11target_archE942ELNS1_3gpuE9ELNS1_3repE0EEENS1_47radix_sort_onesweep_sort_config_static_selectorELNS0_4arch9wavefront6targetE0EEEvSK_.has_dyn_sized_stack, 0
	.set _ZN7rocprim17ROCPRIM_400000_NS6detail17trampoline_kernelINS0_14default_configENS1_35radix_sort_onesweep_config_selectorIfNS0_10empty_typeEEEZZNS1_29radix_sort_onesweep_iterationIS3_Lb0EN6thrust23THRUST_200600_302600_NS6detail15normal_iteratorINS9_10device_ptrIfEEEESE_PS5_SF_jNS0_19identity_decomposerENS1_16block_id_wrapperIjLb1EEEEE10hipError_tT1_PNSt15iterator_traitsISK_E10value_typeET2_T3_PNSL_ISQ_E10value_typeET4_T5_PSV_SW_PNS1_23onesweep_lookback_stateEbbT6_jjT7_P12ihipStream_tbENKUlT_T0_SK_SP_E_clISE_SE_SF_SF_EEDaS13_S14_SK_SP_EUlS13_E_NS1_11comp_targetILNS1_3genE5ELNS1_11target_archE942ELNS1_3gpuE9ELNS1_3repE0EEENS1_47radix_sort_onesweep_sort_config_static_selectorELNS0_4arch9wavefront6targetE0EEEvSK_.has_recursion, 0
	.set _ZN7rocprim17ROCPRIM_400000_NS6detail17trampoline_kernelINS0_14default_configENS1_35radix_sort_onesweep_config_selectorIfNS0_10empty_typeEEEZZNS1_29radix_sort_onesweep_iterationIS3_Lb0EN6thrust23THRUST_200600_302600_NS6detail15normal_iteratorINS9_10device_ptrIfEEEESE_PS5_SF_jNS0_19identity_decomposerENS1_16block_id_wrapperIjLb1EEEEE10hipError_tT1_PNSt15iterator_traitsISK_E10value_typeET2_T3_PNSL_ISQ_E10value_typeET4_T5_PSV_SW_PNS1_23onesweep_lookback_stateEbbT6_jjT7_P12ihipStream_tbENKUlT_T0_SK_SP_E_clISE_SE_SF_SF_EEDaS13_S14_SK_SP_EUlS13_E_NS1_11comp_targetILNS1_3genE5ELNS1_11target_archE942ELNS1_3gpuE9ELNS1_3repE0EEENS1_47radix_sort_onesweep_sort_config_static_selectorELNS0_4arch9wavefront6targetE0EEEvSK_.has_indirect_call, 0
	.section	.AMDGPU.csdata,"",@progbits
; Kernel info:
; codeLenInByte = 0
; TotalNumSgprs: 0
; NumVgprs: 0
; ScratchSize: 0
; MemoryBound: 0
; FloatMode: 240
; IeeeMode: 1
; LDSByteSize: 0 bytes/workgroup (compile time only)
; SGPRBlocks: 0
; VGPRBlocks: 0
; NumSGPRsForWavesPerEU: 1
; NumVGPRsForWavesPerEU: 1
; Occupancy: 16
; WaveLimiterHint : 0
; COMPUTE_PGM_RSRC2:SCRATCH_EN: 0
; COMPUTE_PGM_RSRC2:USER_SGPR: 6
; COMPUTE_PGM_RSRC2:TRAP_HANDLER: 0
; COMPUTE_PGM_RSRC2:TGID_X_EN: 1
; COMPUTE_PGM_RSRC2:TGID_Y_EN: 0
; COMPUTE_PGM_RSRC2:TGID_Z_EN: 0
; COMPUTE_PGM_RSRC2:TIDIG_COMP_CNT: 0
	.section	.text._ZN7rocprim17ROCPRIM_400000_NS6detail17trampoline_kernelINS0_14default_configENS1_35radix_sort_onesweep_config_selectorIfNS0_10empty_typeEEEZZNS1_29radix_sort_onesweep_iterationIS3_Lb0EN6thrust23THRUST_200600_302600_NS6detail15normal_iteratorINS9_10device_ptrIfEEEESE_PS5_SF_jNS0_19identity_decomposerENS1_16block_id_wrapperIjLb1EEEEE10hipError_tT1_PNSt15iterator_traitsISK_E10value_typeET2_T3_PNSL_ISQ_E10value_typeET4_T5_PSV_SW_PNS1_23onesweep_lookback_stateEbbT6_jjT7_P12ihipStream_tbENKUlT_T0_SK_SP_E_clISE_SE_SF_SF_EEDaS13_S14_SK_SP_EUlS13_E_NS1_11comp_targetILNS1_3genE2ELNS1_11target_archE906ELNS1_3gpuE6ELNS1_3repE0EEENS1_47radix_sort_onesweep_sort_config_static_selectorELNS0_4arch9wavefront6targetE0EEEvSK_,"axG",@progbits,_ZN7rocprim17ROCPRIM_400000_NS6detail17trampoline_kernelINS0_14default_configENS1_35radix_sort_onesweep_config_selectorIfNS0_10empty_typeEEEZZNS1_29radix_sort_onesweep_iterationIS3_Lb0EN6thrust23THRUST_200600_302600_NS6detail15normal_iteratorINS9_10device_ptrIfEEEESE_PS5_SF_jNS0_19identity_decomposerENS1_16block_id_wrapperIjLb1EEEEE10hipError_tT1_PNSt15iterator_traitsISK_E10value_typeET2_T3_PNSL_ISQ_E10value_typeET4_T5_PSV_SW_PNS1_23onesweep_lookback_stateEbbT6_jjT7_P12ihipStream_tbENKUlT_T0_SK_SP_E_clISE_SE_SF_SF_EEDaS13_S14_SK_SP_EUlS13_E_NS1_11comp_targetILNS1_3genE2ELNS1_11target_archE906ELNS1_3gpuE6ELNS1_3repE0EEENS1_47radix_sort_onesweep_sort_config_static_selectorELNS0_4arch9wavefront6targetE0EEEvSK_,comdat
	.protected	_ZN7rocprim17ROCPRIM_400000_NS6detail17trampoline_kernelINS0_14default_configENS1_35radix_sort_onesweep_config_selectorIfNS0_10empty_typeEEEZZNS1_29radix_sort_onesweep_iterationIS3_Lb0EN6thrust23THRUST_200600_302600_NS6detail15normal_iteratorINS9_10device_ptrIfEEEESE_PS5_SF_jNS0_19identity_decomposerENS1_16block_id_wrapperIjLb1EEEEE10hipError_tT1_PNSt15iterator_traitsISK_E10value_typeET2_T3_PNSL_ISQ_E10value_typeET4_T5_PSV_SW_PNS1_23onesweep_lookback_stateEbbT6_jjT7_P12ihipStream_tbENKUlT_T0_SK_SP_E_clISE_SE_SF_SF_EEDaS13_S14_SK_SP_EUlS13_E_NS1_11comp_targetILNS1_3genE2ELNS1_11target_archE906ELNS1_3gpuE6ELNS1_3repE0EEENS1_47radix_sort_onesweep_sort_config_static_selectorELNS0_4arch9wavefront6targetE0EEEvSK_ ; -- Begin function _ZN7rocprim17ROCPRIM_400000_NS6detail17trampoline_kernelINS0_14default_configENS1_35radix_sort_onesweep_config_selectorIfNS0_10empty_typeEEEZZNS1_29radix_sort_onesweep_iterationIS3_Lb0EN6thrust23THRUST_200600_302600_NS6detail15normal_iteratorINS9_10device_ptrIfEEEESE_PS5_SF_jNS0_19identity_decomposerENS1_16block_id_wrapperIjLb1EEEEE10hipError_tT1_PNSt15iterator_traitsISK_E10value_typeET2_T3_PNSL_ISQ_E10value_typeET4_T5_PSV_SW_PNS1_23onesweep_lookback_stateEbbT6_jjT7_P12ihipStream_tbENKUlT_T0_SK_SP_E_clISE_SE_SF_SF_EEDaS13_S14_SK_SP_EUlS13_E_NS1_11comp_targetILNS1_3genE2ELNS1_11target_archE906ELNS1_3gpuE6ELNS1_3repE0EEENS1_47radix_sort_onesweep_sort_config_static_selectorELNS0_4arch9wavefront6targetE0EEEvSK_
	.globl	_ZN7rocprim17ROCPRIM_400000_NS6detail17trampoline_kernelINS0_14default_configENS1_35radix_sort_onesweep_config_selectorIfNS0_10empty_typeEEEZZNS1_29radix_sort_onesweep_iterationIS3_Lb0EN6thrust23THRUST_200600_302600_NS6detail15normal_iteratorINS9_10device_ptrIfEEEESE_PS5_SF_jNS0_19identity_decomposerENS1_16block_id_wrapperIjLb1EEEEE10hipError_tT1_PNSt15iterator_traitsISK_E10value_typeET2_T3_PNSL_ISQ_E10value_typeET4_T5_PSV_SW_PNS1_23onesweep_lookback_stateEbbT6_jjT7_P12ihipStream_tbENKUlT_T0_SK_SP_E_clISE_SE_SF_SF_EEDaS13_S14_SK_SP_EUlS13_E_NS1_11comp_targetILNS1_3genE2ELNS1_11target_archE906ELNS1_3gpuE6ELNS1_3repE0EEENS1_47radix_sort_onesweep_sort_config_static_selectorELNS0_4arch9wavefront6targetE0EEEvSK_
	.p2align	8
	.type	_ZN7rocprim17ROCPRIM_400000_NS6detail17trampoline_kernelINS0_14default_configENS1_35radix_sort_onesweep_config_selectorIfNS0_10empty_typeEEEZZNS1_29radix_sort_onesweep_iterationIS3_Lb0EN6thrust23THRUST_200600_302600_NS6detail15normal_iteratorINS9_10device_ptrIfEEEESE_PS5_SF_jNS0_19identity_decomposerENS1_16block_id_wrapperIjLb1EEEEE10hipError_tT1_PNSt15iterator_traitsISK_E10value_typeET2_T3_PNSL_ISQ_E10value_typeET4_T5_PSV_SW_PNS1_23onesweep_lookback_stateEbbT6_jjT7_P12ihipStream_tbENKUlT_T0_SK_SP_E_clISE_SE_SF_SF_EEDaS13_S14_SK_SP_EUlS13_E_NS1_11comp_targetILNS1_3genE2ELNS1_11target_archE906ELNS1_3gpuE6ELNS1_3repE0EEENS1_47radix_sort_onesweep_sort_config_static_selectorELNS0_4arch9wavefront6targetE0EEEvSK_,@function
_ZN7rocprim17ROCPRIM_400000_NS6detail17trampoline_kernelINS0_14default_configENS1_35radix_sort_onesweep_config_selectorIfNS0_10empty_typeEEEZZNS1_29radix_sort_onesweep_iterationIS3_Lb0EN6thrust23THRUST_200600_302600_NS6detail15normal_iteratorINS9_10device_ptrIfEEEESE_PS5_SF_jNS0_19identity_decomposerENS1_16block_id_wrapperIjLb1EEEEE10hipError_tT1_PNSt15iterator_traitsISK_E10value_typeET2_T3_PNSL_ISQ_E10value_typeET4_T5_PSV_SW_PNS1_23onesweep_lookback_stateEbbT6_jjT7_P12ihipStream_tbENKUlT_T0_SK_SP_E_clISE_SE_SF_SF_EEDaS13_S14_SK_SP_EUlS13_E_NS1_11comp_targetILNS1_3genE2ELNS1_11target_archE906ELNS1_3gpuE6ELNS1_3repE0EEENS1_47radix_sort_onesweep_sort_config_static_selectorELNS0_4arch9wavefront6targetE0EEEvSK_: ; @_ZN7rocprim17ROCPRIM_400000_NS6detail17trampoline_kernelINS0_14default_configENS1_35radix_sort_onesweep_config_selectorIfNS0_10empty_typeEEEZZNS1_29radix_sort_onesweep_iterationIS3_Lb0EN6thrust23THRUST_200600_302600_NS6detail15normal_iteratorINS9_10device_ptrIfEEEESE_PS5_SF_jNS0_19identity_decomposerENS1_16block_id_wrapperIjLb1EEEEE10hipError_tT1_PNSt15iterator_traitsISK_E10value_typeET2_T3_PNSL_ISQ_E10value_typeET4_T5_PSV_SW_PNS1_23onesweep_lookback_stateEbbT6_jjT7_P12ihipStream_tbENKUlT_T0_SK_SP_E_clISE_SE_SF_SF_EEDaS13_S14_SK_SP_EUlS13_E_NS1_11comp_targetILNS1_3genE2ELNS1_11target_archE906ELNS1_3gpuE6ELNS1_3repE0EEENS1_47radix_sort_onesweep_sort_config_static_selectorELNS0_4arch9wavefront6targetE0EEEvSK_
; %bb.0:
	.section	.rodata,"a",@progbits
	.p2align	6, 0x0
	.amdhsa_kernel _ZN7rocprim17ROCPRIM_400000_NS6detail17trampoline_kernelINS0_14default_configENS1_35radix_sort_onesweep_config_selectorIfNS0_10empty_typeEEEZZNS1_29radix_sort_onesweep_iterationIS3_Lb0EN6thrust23THRUST_200600_302600_NS6detail15normal_iteratorINS9_10device_ptrIfEEEESE_PS5_SF_jNS0_19identity_decomposerENS1_16block_id_wrapperIjLb1EEEEE10hipError_tT1_PNSt15iterator_traitsISK_E10value_typeET2_T3_PNSL_ISQ_E10value_typeET4_T5_PSV_SW_PNS1_23onesweep_lookback_stateEbbT6_jjT7_P12ihipStream_tbENKUlT_T0_SK_SP_E_clISE_SE_SF_SF_EEDaS13_S14_SK_SP_EUlS13_E_NS1_11comp_targetILNS1_3genE2ELNS1_11target_archE906ELNS1_3gpuE6ELNS1_3repE0EEENS1_47radix_sort_onesweep_sort_config_static_selectorELNS0_4arch9wavefront6targetE0EEEvSK_
		.amdhsa_group_segment_fixed_size 0
		.amdhsa_private_segment_fixed_size 0
		.amdhsa_kernarg_size 88
		.amdhsa_user_sgpr_count 6
		.amdhsa_user_sgpr_private_segment_buffer 1
		.amdhsa_user_sgpr_dispatch_ptr 0
		.amdhsa_user_sgpr_queue_ptr 0
		.amdhsa_user_sgpr_kernarg_segment_ptr 1
		.amdhsa_user_sgpr_dispatch_id 0
		.amdhsa_user_sgpr_flat_scratch_init 0
		.amdhsa_user_sgpr_private_segment_size 0
		.amdhsa_wavefront_size32 1
		.amdhsa_uses_dynamic_stack 0
		.amdhsa_system_sgpr_private_segment_wavefront_offset 0
		.amdhsa_system_sgpr_workgroup_id_x 1
		.amdhsa_system_sgpr_workgroup_id_y 0
		.amdhsa_system_sgpr_workgroup_id_z 0
		.amdhsa_system_sgpr_workgroup_info 0
		.amdhsa_system_vgpr_workitem_id 0
		.amdhsa_next_free_vgpr 1
		.amdhsa_next_free_sgpr 1
		.amdhsa_reserve_vcc 0
		.amdhsa_reserve_flat_scratch 0
		.amdhsa_float_round_mode_32 0
		.amdhsa_float_round_mode_16_64 0
		.amdhsa_float_denorm_mode_32 3
		.amdhsa_float_denorm_mode_16_64 3
		.amdhsa_dx10_clamp 1
		.amdhsa_ieee_mode 1
		.amdhsa_fp16_overflow 0
		.amdhsa_workgroup_processor_mode 1
		.amdhsa_memory_ordered 1
		.amdhsa_forward_progress 1
		.amdhsa_shared_vgpr_count 0
		.amdhsa_exception_fp_ieee_invalid_op 0
		.amdhsa_exception_fp_denorm_src 0
		.amdhsa_exception_fp_ieee_div_zero 0
		.amdhsa_exception_fp_ieee_overflow 0
		.amdhsa_exception_fp_ieee_underflow 0
		.amdhsa_exception_fp_ieee_inexact 0
		.amdhsa_exception_int_div_zero 0
	.end_amdhsa_kernel
	.section	.text._ZN7rocprim17ROCPRIM_400000_NS6detail17trampoline_kernelINS0_14default_configENS1_35radix_sort_onesweep_config_selectorIfNS0_10empty_typeEEEZZNS1_29radix_sort_onesweep_iterationIS3_Lb0EN6thrust23THRUST_200600_302600_NS6detail15normal_iteratorINS9_10device_ptrIfEEEESE_PS5_SF_jNS0_19identity_decomposerENS1_16block_id_wrapperIjLb1EEEEE10hipError_tT1_PNSt15iterator_traitsISK_E10value_typeET2_T3_PNSL_ISQ_E10value_typeET4_T5_PSV_SW_PNS1_23onesweep_lookback_stateEbbT6_jjT7_P12ihipStream_tbENKUlT_T0_SK_SP_E_clISE_SE_SF_SF_EEDaS13_S14_SK_SP_EUlS13_E_NS1_11comp_targetILNS1_3genE2ELNS1_11target_archE906ELNS1_3gpuE6ELNS1_3repE0EEENS1_47radix_sort_onesweep_sort_config_static_selectorELNS0_4arch9wavefront6targetE0EEEvSK_,"axG",@progbits,_ZN7rocprim17ROCPRIM_400000_NS6detail17trampoline_kernelINS0_14default_configENS1_35radix_sort_onesweep_config_selectorIfNS0_10empty_typeEEEZZNS1_29radix_sort_onesweep_iterationIS3_Lb0EN6thrust23THRUST_200600_302600_NS6detail15normal_iteratorINS9_10device_ptrIfEEEESE_PS5_SF_jNS0_19identity_decomposerENS1_16block_id_wrapperIjLb1EEEEE10hipError_tT1_PNSt15iterator_traitsISK_E10value_typeET2_T3_PNSL_ISQ_E10value_typeET4_T5_PSV_SW_PNS1_23onesweep_lookback_stateEbbT6_jjT7_P12ihipStream_tbENKUlT_T0_SK_SP_E_clISE_SE_SF_SF_EEDaS13_S14_SK_SP_EUlS13_E_NS1_11comp_targetILNS1_3genE2ELNS1_11target_archE906ELNS1_3gpuE6ELNS1_3repE0EEENS1_47radix_sort_onesweep_sort_config_static_selectorELNS0_4arch9wavefront6targetE0EEEvSK_,comdat
.Lfunc_end562:
	.size	_ZN7rocprim17ROCPRIM_400000_NS6detail17trampoline_kernelINS0_14default_configENS1_35radix_sort_onesweep_config_selectorIfNS0_10empty_typeEEEZZNS1_29radix_sort_onesweep_iterationIS3_Lb0EN6thrust23THRUST_200600_302600_NS6detail15normal_iteratorINS9_10device_ptrIfEEEESE_PS5_SF_jNS0_19identity_decomposerENS1_16block_id_wrapperIjLb1EEEEE10hipError_tT1_PNSt15iterator_traitsISK_E10value_typeET2_T3_PNSL_ISQ_E10value_typeET4_T5_PSV_SW_PNS1_23onesweep_lookback_stateEbbT6_jjT7_P12ihipStream_tbENKUlT_T0_SK_SP_E_clISE_SE_SF_SF_EEDaS13_S14_SK_SP_EUlS13_E_NS1_11comp_targetILNS1_3genE2ELNS1_11target_archE906ELNS1_3gpuE6ELNS1_3repE0EEENS1_47radix_sort_onesweep_sort_config_static_selectorELNS0_4arch9wavefront6targetE0EEEvSK_, .Lfunc_end562-_ZN7rocprim17ROCPRIM_400000_NS6detail17trampoline_kernelINS0_14default_configENS1_35radix_sort_onesweep_config_selectorIfNS0_10empty_typeEEEZZNS1_29radix_sort_onesweep_iterationIS3_Lb0EN6thrust23THRUST_200600_302600_NS6detail15normal_iteratorINS9_10device_ptrIfEEEESE_PS5_SF_jNS0_19identity_decomposerENS1_16block_id_wrapperIjLb1EEEEE10hipError_tT1_PNSt15iterator_traitsISK_E10value_typeET2_T3_PNSL_ISQ_E10value_typeET4_T5_PSV_SW_PNS1_23onesweep_lookback_stateEbbT6_jjT7_P12ihipStream_tbENKUlT_T0_SK_SP_E_clISE_SE_SF_SF_EEDaS13_S14_SK_SP_EUlS13_E_NS1_11comp_targetILNS1_3genE2ELNS1_11target_archE906ELNS1_3gpuE6ELNS1_3repE0EEENS1_47radix_sort_onesweep_sort_config_static_selectorELNS0_4arch9wavefront6targetE0EEEvSK_
                                        ; -- End function
	.set _ZN7rocprim17ROCPRIM_400000_NS6detail17trampoline_kernelINS0_14default_configENS1_35radix_sort_onesweep_config_selectorIfNS0_10empty_typeEEEZZNS1_29radix_sort_onesweep_iterationIS3_Lb0EN6thrust23THRUST_200600_302600_NS6detail15normal_iteratorINS9_10device_ptrIfEEEESE_PS5_SF_jNS0_19identity_decomposerENS1_16block_id_wrapperIjLb1EEEEE10hipError_tT1_PNSt15iterator_traitsISK_E10value_typeET2_T3_PNSL_ISQ_E10value_typeET4_T5_PSV_SW_PNS1_23onesweep_lookback_stateEbbT6_jjT7_P12ihipStream_tbENKUlT_T0_SK_SP_E_clISE_SE_SF_SF_EEDaS13_S14_SK_SP_EUlS13_E_NS1_11comp_targetILNS1_3genE2ELNS1_11target_archE906ELNS1_3gpuE6ELNS1_3repE0EEENS1_47radix_sort_onesweep_sort_config_static_selectorELNS0_4arch9wavefront6targetE0EEEvSK_.num_vgpr, 0
	.set _ZN7rocprim17ROCPRIM_400000_NS6detail17trampoline_kernelINS0_14default_configENS1_35radix_sort_onesweep_config_selectorIfNS0_10empty_typeEEEZZNS1_29radix_sort_onesweep_iterationIS3_Lb0EN6thrust23THRUST_200600_302600_NS6detail15normal_iteratorINS9_10device_ptrIfEEEESE_PS5_SF_jNS0_19identity_decomposerENS1_16block_id_wrapperIjLb1EEEEE10hipError_tT1_PNSt15iterator_traitsISK_E10value_typeET2_T3_PNSL_ISQ_E10value_typeET4_T5_PSV_SW_PNS1_23onesweep_lookback_stateEbbT6_jjT7_P12ihipStream_tbENKUlT_T0_SK_SP_E_clISE_SE_SF_SF_EEDaS13_S14_SK_SP_EUlS13_E_NS1_11comp_targetILNS1_3genE2ELNS1_11target_archE906ELNS1_3gpuE6ELNS1_3repE0EEENS1_47radix_sort_onesweep_sort_config_static_selectorELNS0_4arch9wavefront6targetE0EEEvSK_.num_agpr, 0
	.set _ZN7rocprim17ROCPRIM_400000_NS6detail17trampoline_kernelINS0_14default_configENS1_35radix_sort_onesweep_config_selectorIfNS0_10empty_typeEEEZZNS1_29radix_sort_onesweep_iterationIS3_Lb0EN6thrust23THRUST_200600_302600_NS6detail15normal_iteratorINS9_10device_ptrIfEEEESE_PS5_SF_jNS0_19identity_decomposerENS1_16block_id_wrapperIjLb1EEEEE10hipError_tT1_PNSt15iterator_traitsISK_E10value_typeET2_T3_PNSL_ISQ_E10value_typeET4_T5_PSV_SW_PNS1_23onesweep_lookback_stateEbbT6_jjT7_P12ihipStream_tbENKUlT_T0_SK_SP_E_clISE_SE_SF_SF_EEDaS13_S14_SK_SP_EUlS13_E_NS1_11comp_targetILNS1_3genE2ELNS1_11target_archE906ELNS1_3gpuE6ELNS1_3repE0EEENS1_47radix_sort_onesweep_sort_config_static_selectorELNS0_4arch9wavefront6targetE0EEEvSK_.numbered_sgpr, 0
	.set _ZN7rocprim17ROCPRIM_400000_NS6detail17trampoline_kernelINS0_14default_configENS1_35radix_sort_onesweep_config_selectorIfNS0_10empty_typeEEEZZNS1_29radix_sort_onesweep_iterationIS3_Lb0EN6thrust23THRUST_200600_302600_NS6detail15normal_iteratorINS9_10device_ptrIfEEEESE_PS5_SF_jNS0_19identity_decomposerENS1_16block_id_wrapperIjLb1EEEEE10hipError_tT1_PNSt15iterator_traitsISK_E10value_typeET2_T3_PNSL_ISQ_E10value_typeET4_T5_PSV_SW_PNS1_23onesweep_lookback_stateEbbT6_jjT7_P12ihipStream_tbENKUlT_T0_SK_SP_E_clISE_SE_SF_SF_EEDaS13_S14_SK_SP_EUlS13_E_NS1_11comp_targetILNS1_3genE2ELNS1_11target_archE906ELNS1_3gpuE6ELNS1_3repE0EEENS1_47radix_sort_onesweep_sort_config_static_selectorELNS0_4arch9wavefront6targetE0EEEvSK_.num_named_barrier, 0
	.set _ZN7rocprim17ROCPRIM_400000_NS6detail17trampoline_kernelINS0_14default_configENS1_35radix_sort_onesweep_config_selectorIfNS0_10empty_typeEEEZZNS1_29radix_sort_onesweep_iterationIS3_Lb0EN6thrust23THRUST_200600_302600_NS6detail15normal_iteratorINS9_10device_ptrIfEEEESE_PS5_SF_jNS0_19identity_decomposerENS1_16block_id_wrapperIjLb1EEEEE10hipError_tT1_PNSt15iterator_traitsISK_E10value_typeET2_T3_PNSL_ISQ_E10value_typeET4_T5_PSV_SW_PNS1_23onesweep_lookback_stateEbbT6_jjT7_P12ihipStream_tbENKUlT_T0_SK_SP_E_clISE_SE_SF_SF_EEDaS13_S14_SK_SP_EUlS13_E_NS1_11comp_targetILNS1_3genE2ELNS1_11target_archE906ELNS1_3gpuE6ELNS1_3repE0EEENS1_47radix_sort_onesweep_sort_config_static_selectorELNS0_4arch9wavefront6targetE0EEEvSK_.private_seg_size, 0
	.set _ZN7rocprim17ROCPRIM_400000_NS6detail17trampoline_kernelINS0_14default_configENS1_35radix_sort_onesweep_config_selectorIfNS0_10empty_typeEEEZZNS1_29radix_sort_onesweep_iterationIS3_Lb0EN6thrust23THRUST_200600_302600_NS6detail15normal_iteratorINS9_10device_ptrIfEEEESE_PS5_SF_jNS0_19identity_decomposerENS1_16block_id_wrapperIjLb1EEEEE10hipError_tT1_PNSt15iterator_traitsISK_E10value_typeET2_T3_PNSL_ISQ_E10value_typeET4_T5_PSV_SW_PNS1_23onesweep_lookback_stateEbbT6_jjT7_P12ihipStream_tbENKUlT_T0_SK_SP_E_clISE_SE_SF_SF_EEDaS13_S14_SK_SP_EUlS13_E_NS1_11comp_targetILNS1_3genE2ELNS1_11target_archE906ELNS1_3gpuE6ELNS1_3repE0EEENS1_47radix_sort_onesweep_sort_config_static_selectorELNS0_4arch9wavefront6targetE0EEEvSK_.uses_vcc, 0
	.set _ZN7rocprim17ROCPRIM_400000_NS6detail17trampoline_kernelINS0_14default_configENS1_35radix_sort_onesweep_config_selectorIfNS0_10empty_typeEEEZZNS1_29radix_sort_onesweep_iterationIS3_Lb0EN6thrust23THRUST_200600_302600_NS6detail15normal_iteratorINS9_10device_ptrIfEEEESE_PS5_SF_jNS0_19identity_decomposerENS1_16block_id_wrapperIjLb1EEEEE10hipError_tT1_PNSt15iterator_traitsISK_E10value_typeET2_T3_PNSL_ISQ_E10value_typeET4_T5_PSV_SW_PNS1_23onesweep_lookback_stateEbbT6_jjT7_P12ihipStream_tbENKUlT_T0_SK_SP_E_clISE_SE_SF_SF_EEDaS13_S14_SK_SP_EUlS13_E_NS1_11comp_targetILNS1_3genE2ELNS1_11target_archE906ELNS1_3gpuE6ELNS1_3repE0EEENS1_47radix_sort_onesweep_sort_config_static_selectorELNS0_4arch9wavefront6targetE0EEEvSK_.uses_flat_scratch, 0
	.set _ZN7rocprim17ROCPRIM_400000_NS6detail17trampoline_kernelINS0_14default_configENS1_35radix_sort_onesweep_config_selectorIfNS0_10empty_typeEEEZZNS1_29radix_sort_onesweep_iterationIS3_Lb0EN6thrust23THRUST_200600_302600_NS6detail15normal_iteratorINS9_10device_ptrIfEEEESE_PS5_SF_jNS0_19identity_decomposerENS1_16block_id_wrapperIjLb1EEEEE10hipError_tT1_PNSt15iterator_traitsISK_E10value_typeET2_T3_PNSL_ISQ_E10value_typeET4_T5_PSV_SW_PNS1_23onesweep_lookback_stateEbbT6_jjT7_P12ihipStream_tbENKUlT_T0_SK_SP_E_clISE_SE_SF_SF_EEDaS13_S14_SK_SP_EUlS13_E_NS1_11comp_targetILNS1_3genE2ELNS1_11target_archE906ELNS1_3gpuE6ELNS1_3repE0EEENS1_47radix_sort_onesweep_sort_config_static_selectorELNS0_4arch9wavefront6targetE0EEEvSK_.has_dyn_sized_stack, 0
	.set _ZN7rocprim17ROCPRIM_400000_NS6detail17trampoline_kernelINS0_14default_configENS1_35radix_sort_onesweep_config_selectorIfNS0_10empty_typeEEEZZNS1_29radix_sort_onesweep_iterationIS3_Lb0EN6thrust23THRUST_200600_302600_NS6detail15normal_iteratorINS9_10device_ptrIfEEEESE_PS5_SF_jNS0_19identity_decomposerENS1_16block_id_wrapperIjLb1EEEEE10hipError_tT1_PNSt15iterator_traitsISK_E10value_typeET2_T3_PNSL_ISQ_E10value_typeET4_T5_PSV_SW_PNS1_23onesweep_lookback_stateEbbT6_jjT7_P12ihipStream_tbENKUlT_T0_SK_SP_E_clISE_SE_SF_SF_EEDaS13_S14_SK_SP_EUlS13_E_NS1_11comp_targetILNS1_3genE2ELNS1_11target_archE906ELNS1_3gpuE6ELNS1_3repE0EEENS1_47radix_sort_onesweep_sort_config_static_selectorELNS0_4arch9wavefront6targetE0EEEvSK_.has_recursion, 0
	.set _ZN7rocprim17ROCPRIM_400000_NS6detail17trampoline_kernelINS0_14default_configENS1_35radix_sort_onesweep_config_selectorIfNS0_10empty_typeEEEZZNS1_29radix_sort_onesweep_iterationIS3_Lb0EN6thrust23THRUST_200600_302600_NS6detail15normal_iteratorINS9_10device_ptrIfEEEESE_PS5_SF_jNS0_19identity_decomposerENS1_16block_id_wrapperIjLb1EEEEE10hipError_tT1_PNSt15iterator_traitsISK_E10value_typeET2_T3_PNSL_ISQ_E10value_typeET4_T5_PSV_SW_PNS1_23onesweep_lookback_stateEbbT6_jjT7_P12ihipStream_tbENKUlT_T0_SK_SP_E_clISE_SE_SF_SF_EEDaS13_S14_SK_SP_EUlS13_E_NS1_11comp_targetILNS1_3genE2ELNS1_11target_archE906ELNS1_3gpuE6ELNS1_3repE0EEENS1_47radix_sort_onesweep_sort_config_static_selectorELNS0_4arch9wavefront6targetE0EEEvSK_.has_indirect_call, 0
	.section	.AMDGPU.csdata,"",@progbits
; Kernel info:
; codeLenInByte = 0
; TotalNumSgprs: 0
; NumVgprs: 0
; ScratchSize: 0
; MemoryBound: 0
; FloatMode: 240
; IeeeMode: 1
; LDSByteSize: 0 bytes/workgroup (compile time only)
; SGPRBlocks: 0
; VGPRBlocks: 0
; NumSGPRsForWavesPerEU: 1
; NumVGPRsForWavesPerEU: 1
; Occupancy: 16
; WaveLimiterHint : 0
; COMPUTE_PGM_RSRC2:SCRATCH_EN: 0
; COMPUTE_PGM_RSRC2:USER_SGPR: 6
; COMPUTE_PGM_RSRC2:TRAP_HANDLER: 0
; COMPUTE_PGM_RSRC2:TGID_X_EN: 1
; COMPUTE_PGM_RSRC2:TGID_Y_EN: 0
; COMPUTE_PGM_RSRC2:TGID_Z_EN: 0
; COMPUTE_PGM_RSRC2:TIDIG_COMP_CNT: 0
	.section	.text._ZN7rocprim17ROCPRIM_400000_NS6detail17trampoline_kernelINS0_14default_configENS1_35radix_sort_onesweep_config_selectorIfNS0_10empty_typeEEEZZNS1_29radix_sort_onesweep_iterationIS3_Lb0EN6thrust23THRUST_200600_302600_NS6detail15normal_iteratorINS9_10device_ptrIfEEEESE_PS5_SF_jNS0_19identity_decomposerENS1_16block_id_wrapperIjLb1EEEEE10hipError_tT1_PNSt15iterator_traitsISK_E10value_typeET2_T3_PNSL_ISQ_E10value_typeET4_T5_PSV_SW_PNS1_23onesweep_lookback_stateEbbT6_jjT7_P12ihipStream_tbENKUlT_T0_SK_SP_E_clISE_SE_SF_SF_EEDaS13_S14_SK_SP_EUlS13_E_NS1_11comp_targetILNS1_3genE4ELNS1_11target_archE910ELNS1_3gpuE8ELNS1_3repE0EEENS1_47radix_sort_onesweep_sort_config_static_selectorELNS0_4arch9wavefront6targetE0EEEvSK_,"axG",@progbits,_ZN7rocprim17ROCPRIM_400000_NS6detail17trampoline_kernelINS0_14default_configENS1_35radix_sort_onesweep_config_selectorIfNS0_10empty_typeEEEZZNS1_29radix_sort_onesweep_iterationIS3_Lb0EN6thrust23THRUST_200600_302600_NS6detail15normal_iteratorINS9_10device_ptrIfEEEESE_PS5_SF_jNS0_19identity_decomposerENS1_16block_id_wrapperIjLb1EEEEE10hipError_tT1_PNSt15iterator_traitsISK_E10value_typeET2_T3_PNSL_ISQ_E10value_typeET4_T5_PSV_SW_PNS1_23onesweep_lookback_stateEbbT6_jjT7_P12ihipStream_tbENKUlT_T0_SK_SP_E_clISE_SE_SF_SF_EEDaS13_S14_SK_SP_EUlS13_E_NS1_11comp_targetILNS1_3genE4ELNS1_11target_archE910ELNS1_3gpuE8ELNS1_3repE0EEENS1_47radix_sort_onesweep_sort_config_static_selectorELNS0_4arch9wavefront6targetE0EEEvSK_,comdat
	.protected	_ZN7rocprim17ROCPRIM_400000_NS6detail17trampoline_kernelINS0_14default_configENS1_35radix_sort_onesweep_config_selectorIfNS0_10empty_typeEEEZZNS1_29radix_sort_onesweep_iterationIS3_Lb0EN6thrust23THRUST_200600_302600_NS6detail15normal_iteratorINS9_10device_ptrIfEEEESE_PS5_SF_jNS0_19identity_decomposerENS1_16block_id_wrapperIjLb1EEEEE10hipError_tT1_PNSt15iterator_traitsISK_E10value_typeET2_T3_PNSL_ISQ_E10value_typeET4_T5_PSV_SW_PNS1_23onesweep_lookback_stateEbbT6_jjT7_P12ihipStream_tbENKUlT_T0_SK_SP_E_clISE_SE_SF_SF_EEDaS13_S14_SK_SP_EUlS13_E_NS1_11comp_targetILNS1_3genE4ELNS1_11target_archE910ELNS1_3gpuE8ELNS1_3repE0EEENS1_47radix_sort_onesweep_sort_config_static_selectorELNS0_4arch9wavefront6targetE0EEEvSK_ ; -- Begin function _ZN7rocprim17ROCPRIM_400000_NS6detail17trampoline_kernelINS0_14default_configENS1_35radix_sort_onesweep_config_selectorIfNS0_10empty_typeEEEZZNS1_29radix_sort_onesweep_iterationIS3_Lb0EN6thrust23THRUST_200600_302600_NS6detail15normal_iteratorINS9_10device_ptrIfEEEESE_PS5_SF_jNS0_19identity_decomposerENS1_16block_id_wrapperIjLb1EEEEE10hipError_tT1_PNSt15iterator_traitsISK_E10value_typeET2_T3_PNSL_ISQ_E10value_typeET4_T5_PSV_SW_PNS1_23onesweep_lookback_stateEbbT6_jjT7_P12ihipStream_tbENKUlT_T0_SK_SP_E_clISE_SE_SF_SF_EEDaS13_S14_SK_SP_EUlS13_E_NS1_11comp_targetILNS1_3genE4ELNS1_11target_archE910ELNS1_3gpuE8ELNS1_3repE0EEENS1_47radix_sort_onesweep_sort_config_static_selectorELNS0_4arch9wavefront6targetE0EEEvSK_
	.globl	_ZN7rocprim17ROCPRIM_400000_NS6detail17trampoline_kernelINS0_14default_configENS1_35radix_sort_onesweep_config_selectorIfNS0_10empty_typeEEEZZNS1_29radix_sort_onesweep_iterationIS3_Lb0EN6thrust23THRUST_200600_302600_NS6detail15normal_iteratorINS9_10device_ptrIfEEEESE_PS5_SF_jNS0_19identity_decomposerENS1_16block_id_wrapperIjLb1EEEEE10hipError_tT1_PNSt15iterator_traitsISK_E10value_typeET2_T3_PNSL_ISQ_E10value_typeET4_T5_PSV_SW_PNS1_23onesweep_lookback_stateEbbT6_jjT7_P12ihipStream_tbENKUlT_T0_SK_SP_E_clISE_SE_SF_SF_EEDaS13_S14_SK_SP_EUlS13_E_NS1_11comp_targetILNS1_3genE4ELNS1_11target_archE910ELNS1_3gpuE8ELNS1_3repE0EEENS1_47radix_sort_onesweep_sort_config_static_selectorELNS0_4arch9wavefront6targetE0EEEvSK_
	.p2align	8
	.type	_ZN7rocprim17ROCPRIM_400000_NS6detail17trampoline_kernelINS0_14default_configENS1_35radix_sort_onesweep_config_selectorIfNS0_10empty_typeEEEZZNS1_29radix_sort_onesweep_iterationIS3_Lb0EN6thrust23THRUST_200600_302600_NS6detail15normal_iteratorINS9_10device_ptrIfEEEESE_PS5_SF_jNS0_19identity_decomposerENS1_16block_id_wrapperIjLb1EEEEE10hipError_tT1_PNSt15iterator_traitsISK_E10value_typeET2_T3_PNSL_ISQ_E10value_typeET4_T5_PSV_SW_PNS1_23onesweep_lookback_stateEbbT6_jjT7_P12ihipStream_tbENKUlT_T0_SK_SP_E_clISE_SE_SF_SF_EEDaS13_S14_SK_SP_EUlS13_E_NS1_11comp_targetILNS1_3genE4ELNS1_11target_archE910ELNS1_3gpuE8ELNS1_3repE0EEENS1_47radix_sort_onesweep_sort_config_static_selectorELNS0_4arch9wavefront6targetE0EEEvSK_,@function
_ZN7rocprim17ROCPRIM_400000_NS6detail17trampoline_kernelINS0_14default_configENS1_35radix_sort_onesweep_config_selectorIfNS0_10empty_typeEEEZZNS1_29radix_sort_onesweep_iterationIS3_Lb0EN6thrust23THRUST_200600_302600_NS6detail15normal_iteratorINS9_10device_ptrIfEEEESE_PS5_SF_jNS0_19identity_decomposerENS1_16block_id_wrapperIjLb1EEEEE10hipError_tT1_PNSt15iterator_traitsISK_E10value_typeET2_T3_PNSL_ISQ_E10value_typeET4_T5_PSV_SW_PNS1_23onesweep_lookback_stateEbbT6_jjT7_P12ihipStream_tbENKUlT_T0_SK_SP_E_clISE_SE_SF_SF_EEDaS13_S14_SK_SP_EUlS13_E_NS1_11comp_targetILNS1_3genE4ELNS1_11target_archE910ELNS1_3gpuE8ELNS1_3repE0EEENS1_47radix_sort_onesweep_sort_config_static_selectorELNS0_4arch9wavefront6targetE0EEEvSK_: ; @_ZN7rocprim17ROCPRIM_400000_NS6detail17trampoline_kernelINS0_14default_configENS1_35radix_sort_onesweep_config_selectorIfNS0_10empty_typeEEEZZNS1_29radix_sort_onesweep_iterationIS3_Lb0EN6thrust23THRUST_200600_302600_NS6detail15normal_iteratorINS9_10device_ptrIfEEEESE_PS5_SF_jNS0_19identity_decomposerENS1_16block_id_wrapperIjLb1EEEEE10hipError_tT1_PNSt15iterator_traitsISK_E10value_typeET2_T3_PNSL_ISQ_E10value_typeET4_T5_PSV_SW_PNS1_23onesweep_lookback_stateEbbT6_jjT7_P12ihipStream_tbENKUlT_T0_SK_SP_E_clISE_SE_SF_SF_EEDaS13_S14_SK_SP_EUlS13_E_NS1_11comp_targetILNS1_3genE4ELNS1_11target_archE910ELNS1_3gpuE8ELNS1_3repE0EEENS1_47radix_sort_onesweep_sort_config_static_selectorELNS0_4arch9wavefront6targetE0EEEvSK_
; %bb.0:
	.section	.rodata,"a",@progbits
	.p2align	6, 0x0
	.amdhsa_kernel _ZN7rocprim17ROCPRIM_400000_NS6detail17trampoline_kernelINS0_14default_configENS1_35radix_sort_onesweep_config_selectorIfNS0_10empty_typeEEEZZNS1_29radix_sort_onesweep_iterationIS3_Lb0EN6thrust23THRUST_200600_302600_NS6detail15normal_iteratorINS9_10device_ptrIfEEEESE_PS5_SF_jNS0_19identity_decomposerENS1_16block_id_wrapperIjLb1EEEEE10hipError_tT1_PNSt15iterator_traitsISK_E10value_typeET2_T3_PNSL_ISQ_E10value_typeET4_T5_PSV_SW_PNS1_23onesweep_lookback_stateEbbT6_jjT7_P12ihipStream_tbENKUlT_T0_SK_SP_E_clISE_SE_SF_SF_EEDaS13_S14_SK_SP_EUlS13_E_NS1_11comp_targetILNS1_3genE4ELNS1_11target_archE910ELNS1_3gpuE8ELNS1_3repE0EEENS1_47radix_sort_onesweep_sort_config_static_selectorELNS0_4arch9wavefront6targetE0EEEvSK_
		.amdhsa_group_segment_fixed_size 0
		.amdhsa_private_segment_fixed_size 0
		.amdhsa_kernarg_size 88
		.amdhsa_user_sgpr_count 6
		.amdhsa_user_sgpr_private_segment_buffer 1
		.amdhsa_user_sgpr_dispatch_ptr 0
		.amdhsa_user_sgpr_queue_ptr 0
		.amdhsa_user_sgpr_kernarg_segment_ptr 1
		.amdhsa_user_sgpr_dispatch_id 0
		.amdhsa_user_sgpr_flat_scratch_init 0
		.amdhsa_user_sgpr_private_segment_size 0
		.amdhsa_wavefront_size32 1
		.amdhsa_uses_dynamic_stack 0
		.amdhsa_system_sgpr_private_segment_wavefront_offset 0
		.amdhsa_system_sgpr_workgroup_id_x 1
		.amdhsa_system_sgpr_workgroup_id_y 0
		.amdhsa_system_sgpr_workgroup_id_z 0
		.amdhsa_system_sgpr_workgroup_info 0
		.amdhsa_system_vgpr_workitem_id 0
		.amdhsa_next_free_vgpr 1
		.amdhsa_next_free_sgpr 1
		.amdhsa_reserve_vcc 0
		.amdhsa_reserve_flat_scratch 0
		.amdhsa_float_round_mode_32 0
		.amdhsa_float_round_mode_16_64 0
		.amdhsa_float_denorm_mode_32 3
		.amdhsa_float_denorm_mode_16_64 3
		.amdhsa_dx10_clamp 1
		.amdhsa_ieee_mode 1
		.amdhsa_fp16_overflow 0
		.amdhsa_workgroup_processor_mode 1
		.amdhsa_memory_ordered 1
		.amdhsa_forward_progress 1
		.amdhsa_shared_vgpr_count 0
		.amdhsa_exception_fp_ieee_invalid_op 0
		.amdhsa_exception_fp_denorm_src 0
		.amdhsa_exception_fp_ieee_div_zero 0
		.amdhsa_exception_fp_ieee_overflow 0
		.amdhsa_exception_fp_ieee_underflow 0
		.amdhsa_exception_fp_ieee_inexact 0
		.amdhsa_exception_int_div_zero 0
	.end_amdhsa_kernel
	.section	.text._ZN7rocprim17ROCPRIM_400000_NS6detail17trampoline_kernelINS0_14default_configENS1_35radix_sort_onesweep_config_selectorIfNS0_10empty_typeEEEZZNS1_29radix_sort_onesweep_iterationIS3_Lb0EN6thrust23THRUST_200600_302600_NS6detail15normal_iteratorINS9_10device_ptrIfEEEESE_PS5_SF_jNS0_19identity_decomposerENS1_16block_id_wrapperIjLb1EEEEE10hipError_tT1_PNSt15iterator_traitsISK_E10value_typeET2_T3_PNSL_ISQ_E10value_typeET4_T5_PSV_SW_PNS1_23onesweep_lookback_stateEbbT6_jjT7_P12ihipStream_tbENKUlT_T0_SK_SP_E_clISE_SE_SF_SF_EEDaS13_S14_SK_SP_EUlS13_E_NS1_11comp_targetILNS1_3genE4ELNS1_11target_archE910ELNS1_3gpuE8ELNS1_3repE0EEENS1_47radix_sort_onesweep_sort_config_static_selectorELNS0_4arch9wavefront6targetE0EEEvSK_,"axG",@progbits,_ZN7rocprim17ROCPRIM_400000_NS6detail17trampoline_kernelINS0_14default_configENS1_35radix_sort_onesweep_config_selectorIfNS0_10empty_typeEEEZZNS1_29radix_sort_onesweep_iterationIS3_Lb0EN6thrust23THRUST_200600_302600_NS6detail15normal_iteratorINS9_10device_ptrIfEEEESE_PS5_SF_jNS0_19identity_decomposerENS1_16block_id_wrapperIjLb1EEEEE10hipError_tT1_PNSt15iterator_traitsISK_E10value_typeET2_T3_PNSL_ISQ_E10value_typeET4_T5_PSV_SW_PNS1_23onesweep_lookback_stateEbbT6_jjT7_P12ihipStream_tbENKUlT_T0_SK_SP_E_clISE_SE_SF_SF_EEDaS13_S14_SK_SP_EUlS13_E_NS1_11comp_targetILNS1_3genE4ELNS1_11target_archE910ELNS1_3gpuE8ELNS1_3repE0EEENS1_47radix_sort_onesweep_sort_config_static_selectorELNS0_4arch9wavefront6targetE0EEEvSK_,comdat
.Lfunc_end563:
	.size	_ZN7rocprim17ROCPRIM_400000_NS6detail17trampoline_kernelINS0_14default_configENS1_35radix_sort_onesweep_config_selectorIfNS0_10empty_typeEEEZZNS1_29radix_sort_onesweep_iterationIS3_Lb0EN6thrust23THRUST_200600_302600_NS6detail15normal_iteratorINS9_10device_ptrIfEEEESE_PS5_SF_jNS0_19identity_decomposerENS1_16block_id_wrapperIjLb1EEEEE10hipError_tT1_PNSt15iterator_traitsISK_E10value_typeET2_T3_PNSL_ISQ_E10value_typeET4_T5_PSV_SW_PNS1_23onesweep_lookback_stateEbbT6_jjT7_P12ihipStream_tbENKUlT_T0_SK_SP_E_clISE_SE_SF_SF_EEDaS13_S14_SK_SP_EUlS13_E_NS1_11comp_targetILNS1_3genE4ELNS1_11target_archE910ELNS1_3gpuE8ELNS1_3repE0EEENS1_47radix_sort_onesweep_sort_config_static_selectorELNS0_4arch9wavefront6targetE0EEEvSK_, .Lfunc_end563-_ZN7rocprim17ROCPRIM_400000_NS6detail17trampoline_kernelINS0_14default_configENS1_35radix_sort_onesweep_config_selectorIfNS0_10empty_typeEEEZZNS1_29radix_sort_onesweep_iterationIS3_Lb0EN6thrust23THRUST_200600_302600_NS6detail15normal_iteratorINS9_10device_ptrIfEEEESE_PS5_SF_jNS0_19identity_decomposerENS1_16block_id_wrapperIjLb1EEEEE10hipError_tT1_PNSt15iterator_traitsISK_E10value_typeET2_T3_PNSL_ISQ_E10value_typeET4_T5_PSV_SW_PNS1_23onesweep_lookback_stateEbbT6_jjT7_P12ihipStream_tbENKUlT_T0_SK_SP_E_clISE_SE_SF_SF_EEDaS13_S14_SK_SP_EUlS13_E_NS1_11comp_targetILNS1_3genE4ELNS1_11target_archE910ELNS1_3gpuE8ELNS1_3repE0EEENS1_47radix_sort_onesweep_sort_config_static_selectorELNS0_4arch9wavefront6targetE0EEEvSK_
                                        ; -- End function
	.set _ZN7rocprim17ROCPRIM_400000_NS6detail17trampoline_kernelINS0_14default_configENS1_35radix_sort_onesweep_config_selectorIfNS0_10empty_typeEEEZZNS1_29radix_sort_onesweep_iterationIS3_Lb0EN6thrust23THRUST_200600_302600_NS6detail15normal_iteratorINS9_10device_ptrIfEEEESE_PS5_SF_jNS0_19identity_decomposerENS1_16block_id_wrapperIjLb1EEEEE10hipError_tT1_PNSt15iterator_traitsISK_E10value_typeET2_T3_PNSL_ISQ_E10value_typeET4_T5_PSV_SW_PNS1_23onesweep_lookback_stateEbbT6_jjT7_P12ihipStream_tbENKUlT_T0_SK_SP_E_clISE_SE_SF_SF_EEDaS13_S14_SK_SP_EUlS13_E_NS1_11comp_targetILNS1_3genE4ELNS1_11target_archE910ELNS1_3gpuE8ELNS1_3repE0EEENS1_47radix_sort_onesweep_sort_config_static_selectorELNS0_4arch9wavefront6targetE0EEEvSK_.num_vgpr, 0
	.set _ZN7rocprim17ROCPRIM_400000_NS6detail17trampoline_kernelINS0_14default_configENS1_35radix_sort_onesweep_config_selectorIfNS0_10empty_typeEEEZZNS1_29radix_sort_onesweep_iterationIS3_Lb0EN6thrust23THRUST_200600_302600_NS6detail15normal_iteratorINS9_10device_ptrIfEEEESE_PS5_SF_jNS0_19identity_decomposerENS1_16block_id_wrapperIjLb1EEEEE10hipError_tT1_PNSt15iterator_traitsISK_E10value_typeET2_T3_PNSL_ISQ_E10value_typeET4_T5_PSV_SW_PNS1_23onesweep_lookback_stateEbbT6_jjT7_P12ihipStream_tbENKUlT_T0_SK_SP_E_clISE_SE_SF_SF_EEDaS13_S14_SK_SP_EUlS13_E_NS1_11comp_targetILNS1_3genE4ELNS1_11target_archE910ELNS1_3gpuE8ELNS1_3repE0EEENS1_47radix_sort_onesweep_sort_config_static_selectorELNS0_4arch9wavefront6targetE0EEEvSK_.num_agpr, 0
	.set _ZN7rocprim17ROCPRIM_400000_NS6detail17trampoline_kernelINS0_14default_configENS1_35radix_sort_onesweep_config_selectorIfNS0_10empty_typeEEEZZNS1_29radix_sort_onesweep_iterationIS3_Lb0EN6thrust23THRUST_200600_302600_NS6detail15normal_iteratorINS9_10device_ptrIfEEEESE_PS5_SF_jNS0_19identity_decomposerENS1_16block_id_wrapperIjLb1EEEEE10hipError_tT1_PNSt15iterator_traitsISK_E10value_typeET2_T3_PNSL_ISQ_E10value_typeET4_T5_PSV_SW_PNS1_23onesweep_lookback_stateEbbT6_jjT7_P12ihipStream_tbENKUlT_T0_SK_SP_E_clISE_SE_SF_SF_EEDaS13_S14_SK_SP_EUlS13_E_NS1_11comp_targetILNS1_3genE4ELNS1_11target_archE910ELNS1_3gpuE8ELNS1_3repE0EEENS1_47radix_sort_onesweep_sort_config_static_selectorELNS0_4arch9wavefront6targetE0EEEvSK_.numbered_sgpr, 0
	.set _ZN7rocprim17ROCPRIM_400000_NS6detail17trampoline_kernelINS0_14default_configENS1_35radix_sort_onesweep_config_selectorIfNS0_10empty_typeEEEZZNS1_29radix_sort_onesweep_iterationIS3_Lb0EN6thrust23THRUST_200600_302600_NS6detail15normal_iteratorINS9_10device_ptrIfEEEESE_PS5_SF_jNS0_19identity_decomposerENS1_16block_id_wrapperIjLb1EEEEE10hipError_tT1_PNSt15iterator_traitsISK_E10value_typeET2_T3_PNSL_ISQ_E10value_typeET4_T5_PSV_SW_PNS1_23onesweep_lookback_stateEbbT6_jjT7_P12ihipStream_tbENKUlT_T0_SK_SP_E_clISE_SE_SF_SF_EEDaS13_S14_SK_SP_EUlS13_E_NS1_11comp_targetILNS1_3genE4ELNS1_11target_archE910ELNS1_3gpuE8ELNS1_3repE0EEENS1_47radix_sort_onesweep_sort_config_static_selectorELNS0_4arch9wavefront6targetE0EEEvSK_.num_named_barrier, 0
	.set _ZN7rocprim17ROCPRIM_400000_NS6detail17trampoline_kernelINS0_14default_configENS1_35radix_sort_onesweep_config_selectorIfNS0_10empty_typeEEEZZNS1_29radix_sort_onesweep_iterationIS3_Lb0EN6thrust23THRUST_200600_302600_NS6detail15normal_iteratorINS9_10device_ptrIfEEEESE_PS5_SF_jNS0_19identity_decomposerENS1_16block_id_wrapperIjLb1EEEEE10hipError_tT1_PNSt15iterator_traitsISK_E10value_typeET2_T3_PNSL_ISQ_E10value_typeET4_T5_PSV_SW_PNS1_23onesweep_lookback_stateEbbT6_jjT7_P12ihipStream_tbENKUlT_T0_SK_SP_E_clISE_SE_SF_SF_EEDaS13_S14_SK_SP_EUlS13_E_NS1_11comp_targetILNS1_3genE4ELNS1_11target_archE910ELNS1_3gpuE8ELNS1_3repE0EEENS1_47radix_sort_onesweep_sort_config_static_selectorELNS0_4arch9wavefront6targetE0EEEvSK_.private_seg_size, 0
	.set _ZN7rocprim17ROCPRIM_400000_NS6detail17trampoline_kernelINS0_14default_configENS1_35radix_sort_onesweep_config_selectorIfNS0_10empty_typeEEEZZNS1_29radix_sort_onesweep_iterationIS3_Lb0EN6thrust23THRUST_200600_302600_NS6detail15normal_iteratorINS9_10device_ptrIfEEEESE_PS5_SF_jNS0_19identity_decomposerENS1_16block_id_wrapperIjLb1EEEEE10hipError_tT1_PNSt15iterator_traitsISK_E10value_typeET2_T3_PNSL_ISQ_E10value_typeET4_T5_PSV_SW_PNS1_23onesweep_lookback_stateEbbT6_jjT7_P12ihipStream_tbENKUlT_T0_SK_SP_E_clISE_SE_SF_SF_EEDaS13_S14_SK_SP_EUlS13_E_NS1_11comp_targetILNS1_3genE4ELNS1_11target_archE910ELNS1_3gpuE8ELNS1_3repE0EEENS1_47radix_sort_onesweep_sort_config_static_selectorELNS0_4arch9wavefront6targetE0EEEvSK_.uses_vcc, 0
	.set _ZN7rocprim17ROCPRIM_400000_NS6detail17trampoline_kernelINS0_14default_configENS1_35radix_sort_onesweep_config_selectorIfNS0_10empty_typeEEEZZNS1_29radix_sort_onesweep_iterationIS3_Lb0EN6thrust23THRUST_200600_302600_NS6detail15normal_iteratorINS9_10device_ptrIfEEEESE_PS5_SF_jNS0_19identity_decomposerENS1_16block_id_wrapperIjLb1EEEEE10hipError_tT1_PNSt15iterator_traitsISK_E10value_typeET2_T3_PNSL_ISQ_E10value_typeET4_T5_PSV_SW_PNS1_23onesweep_lookback_stateEbbT6_jjT7_P12ihipStream_tbENKUlT_T0_SK_SP_E_clISE_SE_SF_SF_EEDaS13_S14_SK_SP_EUlS13_E_NS1_11comp_targetILNS1_3genE4ELNS1_11target_archE910ELNS1_3gpuE8ELNS1_3repE0EEENS1_47radix_sort_onesweep_sort_config_static_selectorELNS0_4arch9wavefront6targetE0EEEvSK_.uses_flat_scratch, 0
	.set _ZN7rocprim17ROCPRIM_400000_NS6detail17trampoline_kernelINS0_14default_configENS1_35radix_sort_onesweep_config_selectorIfNS0_10empty_typeEEEZZNS1_29radix_sort_onesweep_iterationIS3_Lb0EN6thrust23THRUST_200600_302600_NS6detail15normal_iteratorINS9_10device_ptrIfEEEESE_PS5_SF_jNS0_19identity_decomposerENS1_16block_id_wrapperIjLb1EEEEE10hipError_tT1_PNSt15iterator_traitsISK_E10value_typeET2_T3_PNSL_ISQ_E10value_typeET4_T5_PSV_SW_PNS1_23onesweep_lookback_stateEbbT6_jjT7_P12ihipStream_tbENKUlT_T0_SK_SP_E_clISE_SE_SF_SF_EEDaS13_S14_SK_SP_EUlS13_E_NS1_11comp_targetILNS1_3genE4ELNS1_11target_archE910ELNS1_3gpuE8ELNS1_3repE0EEENS1_47radix_sort_onesweep_sort_config_static_selectorELNS0_4arch9wavefront6targetE0EEEvSK_.has_dyn_sized_stack, 0
	.set _ZN7rocprim17ROCPRIM_400000_NS6detail17trampoline_kernelINS0_14default_configENS1_35radix_sort_onesweep_config_selectorIfNS0_10empty_typeEEEZZNS1_29radix_sort_onesweep_iterationIS3_Lb0EN6thrust23THRUST_200600_302600_NS6detail15normal_iteratorINS9_10device_ptrIfEEEESE_PS5_SF_jNS0_19identity_decomposerENS1_16block_id_wrapperIjLb1EEEEE10hipError_tT1_PNSt15iterator_traitsISK_E10value_typeET2_T3_PNSL_ISQ_E10value_typeET4_T5_PSV_SW_PNS1_23onesweep_lookback_stateEbbT6_jjT7_P12ihipStream_tbENKUlT_T0_SK_SP_E_clISE_SE_SF_SF_EEDaS13_S14_SK_SP_EUlS13_E_NS1_11comp_targetILNS1_3genE4ELNS1_11target_archE910ELNS1_3gpuE8ELNS1_3repE0EEENS1_47radix_sort_onesweep_sort_config_static_selectorELNS0_4arch9wavefront6targetE0EEEvSK_.has_recursion, 0
	.set _ZN7rocprim17ROCPRIM_400000_NS6detail17trampoline_kernelINS0_14default_configENS1_35radix_sort_onesweep_config_selectorIfNS0_10empty_typeEEEZZNS1_29radix_sort_onesweep_iterationIS3_Lb0EN6thrust23THRUST_200600_302600_NS6detail15normal_iteratorINS9_10device_ptrIfEEEESE_PS5_SF_jNS0_19identity_decomposerENS1_16block_id_wrapperIjLb1EEEEE10hipError_tT1_PNSt15iterator_traitsISK_E10value_typeET2_T3_PNSL_ISQ_E10value_typeET4_T5_PSV_SW_PNS1_23onesweep_lookback_stateEbbT6_jjT7_P12ihipStream_tbENKUlT_T0_SK_SP_E_clISE_SE_SF_SF_EEDaS13_S14_SK_SP_EUlS13_E_NS1_11comp_targetILNS1_3genE4ELNS1_11target_archE910ELNS1_3gpuE8ELNS1_3repE0EEENS1_47radix_sort_onesweep_sort_config_static_selectorELNS0_4arch9wavefront6targetE0EEEvSK_.has_indirect_call, 0
	.section	.AMDGPU.csdata,"",@progbits
; Kernel info:
; codeLenInByte = 0
; TotalNumSgprs: 0
; NumVgprs: 0
; ScratchSize: 0
; MemoryBound: 0
; FloatMode: 240
; IeeeMode: 1
; LDSByteSize: 0 bytes/workgroup (compile time only)
; SGPRBlocks: 0
; VGPRBlocks: 0
; NumSGPRsForWavesPerEU: 1
; NumVGPRsForWavesPerEU: 1
; Occupancy: 16
; WaveLimiterHint : 0
; COMPUTE_PGM_RSRC2:SCRATCH_EN: 0
; COMPUTE_PGM_RSRC2:USER_SGPR: 6
; COMPUTE_PGM_RSRC2:TRAP_HANDLER: 0
; COMPUTE_PGM_RSRC2:TGID_X_EN: 1
; COMPUTE_PGM_RSRC2:TGID_Y_EN: 0
; COMPUTE_PGM_RSRC2:TGID_Z_EN: 0
; COMPUTE_PGM_RSRC2:TIDIG_COMP_CNT: 0
	.section	.text._ZN7rocprim17ROCPRIM_400000_NS6detail17trampoline_kernelINS0_14default_configENS1_35radix_sort_onesweep_config_selectorIfNS0_10empty_typeEEEZZNS1_29radix_sort_onesweep_iterationIS3_Lb0EN6thrust23THRUST_200600_302600_NS6detail15normal_iteratorINS9_10device_ptrIfEEEESE_PS5_SF_jNS0_19identity_decomposerENS1_16block_id_wrapperIjLb1EEEEE10hipError_tT1_PNSt15iterator_traitsISK_E10value_typeET2_T3_PNSL_ISQ_E10value_typeET4_T5_PSV_SW_PNS1_23onesweep_lookback_stateEbbT6_jjT7_P12ihipStream_tbENKUlT_T0_SK_SP_E_clISE_SE_SF_SF_EEDaS13_S14_SK_SP_EUlS13_E_NS1_11comp_targetILNS1_3genE3ELNS1_11target_archE908ELNS1_3gpuE7ELNS1_3repE0EEENS1_47radix_sort_onesweep_sort_config_static_selectorELNS0_4arch9wavefront6targetE0EEEvSK_,"axG",@progbits,_ZN7rocprim17ROCPRIM_400000_NS6detail17trampoline_kernelINS0_14default_configENS1_35radix_sort_onesweep_config_selectorIfNS0_10empty_typeEEEZZNS1_29radix_sort_onesweep_iterationIS3_Lb0EN6thrust23THRUST_200600_302600_NS6detail15normal_iteratorINS9_10device_ptrIfEEEESE_PS5_SF_jNS0_19identity_decomposerENS1_16block_id_wrapperIjLb1EEEEE10hipError_tT1_PNSt15iterator_traitsISK_E10value_typeET2_T3_PNSL_ISQ_E10value_typeET4_T5_PSV_SW_PNS1_23onesweep_lookback_stateEbbT6_jjT7_P12ihipStream_tbENKUlT_T0_SK_SP_E_clISE_SE_SF_SF_EEDaS13_S14_SK_SP_EUlS13_E_NS1_11comp_targetILNS1_3genE3ELNS1_11target_archE908ELNS1_3gpuE7ELNS1_3repE0EEENS1_47radix_sort_onesweep_sort_config_static_selectorELNS0_4arch9wavefront6targetE0EEEvSK_,comdat
	.protected	_ZN7rocprim17ROCPRIM_400000_NS6detail17trampoline_kernelINS0_14default_configENS1_35radix_sort_onesweep_config_selectorIfNS0_10empty_typeEEEZZNS1_29radix_sort_onesweep_iterationIS3_Lb0EN6thrust23THRUST_200600_302600_NS6detail15normal_iteratorINS9_10device_ptrIfEEEESE_PS5_SF_jNS0_19identity_decomposerENS1_16block_id_wrapperIjLb1EEEEE10hipError_tT1_PNSt15iterator_traitsISK_E10value_typeET2_T3_PNSL_ISQ_E10value_typeET4_T5_PSV_SW_PNS1_23onesweep_lookback_stateEbbT6_jjT7_P12ihipStream_tbENKUlT_T0_SK_SP_E_clISE_SE_SF_SF_EEDaS13_S14_SK_SP_EUlS13_E_NS1_11comp_targetILNS1_3genE3ELNS1_11target_archE908ELNS1_3gpuE7ELNS1_3repE0EEENS1_47radix_sort_onesweep_sort_config_static_selectorELNS0_4arch9wavefront6targetE0EEEvSK_ ; -- Begin function _ZN7rocprim17ROCPRIM_400000_NS6detail17trampoline_kernelINS0_14default_configENS1_35radix_sort_onesweep_config_selectorIfNS0_10empty_typeEEEZZNS1_29radix_sort_onesweep_iterationIS3_Lb0EN6thrust23THRUST_200600_302600_NS6detail15normal_iteratorINS9_10device_ptrIfEEEESE_PS5_SF_jNS0_19identity_decomposerENS1_16block_id_wrapperIjLb1EEEEE10hipError_tT1_PNSt15iterator_traitsISK_E10value_typeET2_T3_PNSL_ISQ_E10value_typeET4_T5_PSV_SW_PNS1_23onesweep_lookback_stateEbbT6_jjT7_P12ihipStream_tbENKUlT_T0_SK_SP_E_clISE_SE_SF_SF_EEDaS13_S14_SK_SP_EUlS13_E_NS1_11comp_targetILNS1_3genE3ELNS1_11target_archE908ELNS1_3gpuE7ELNS1_3repE0EEENS1_47radix_sort_onesweep_sort_config_static_selectorELNS0_4arch9wavefront6targetE0EEEvSK_
	.globl	_ZN7rocprim17ROCPRIM_400000_NS6detail17trampoline_kernelINS0_14default_configENS1_35radix_sort_onesweep_config_selectorIfNS0_10empty_typeEEEZZNS1_29radix_sort_onesweep_iterationIS3_Lb0EN6thrust23THRUST_200600_302600_NS6detail15normal_iteratorINS9_10device_ptrIfEEEESE_PS5_SF_jNS0_19identity_decomposerENS1_16block_id_wrapperIjLb1EEEEE10hipError_tT1_PNSt15iterator_traitsISK_E10value_typeET2_T3_PNSL_ISQ_E10value_typeET4_T5_PSV_SW_PNS1_23onesweep_lookback_stateEbbT6_jjT7_P12ihipStream_tbENKUlT_T0_SK_SP_E_clISE_SE_SF_SF_EEDaS13_S14_SK_SP_EUlS13_E_NS1_11comp_targetILNS1_3genE3ELNS1_11target_archE908ELNS1_3gpuE7ELNS1_3repE0EEENS1_47radix_sort_onesweep_sort_config_static_selectorELNS0_4arch9wavefront6targetE0EEEvSK_
	.p2align	8
	.type	_ZN7rocprim17ROCPRIM_400000_NS6detail17trampoline_kernelINS0_14default_configENS1_35radix_sort_onesweep_config_selectorIfNS0_10empty_typeEEEZZNS1_29radix_sort_onesweep_iterationIS3_Lb0EN6thrust23THRUST_200600_302600_NS6detail15normal_iteratorINS9_10device_ptrIfEEEESE_PS5_SF_jNS0_19identity_decomposerENS1_16block_id_wrapperIjLb1EEEEE10hipError_tT1_PNSt15iterator_traitsISK_E10value_typeET2_T3_PNSL_ISQ_E10value_typeET4_T5_PSV_SW_PNS1_23onesweep_lookback_stateEbbT6_jjT7_P12ihipStream_tbENKUlT_T0_SK_SP_E_clISE_SE_SF_SF_EEDaS13_S14_SK_SP_EUlS13_E_NS1_11comp_targetILNS1_3genE3ELNS1_11target_archE908ELNS1_3gpuE7ELNS1_3repE0EEENS1_47radix_sort_onesweep_sort_config_static_selectorELNS0_4arch9wavefront6targetE0EEEvSK_,@function
_ZN7rocprim17ROCPRIM_400000_NS6detail17trampoline_kernelINS0_14default_configENS1_35radix_sort_onesweep_config_selectorIfNS0_10empty_typeEEEZZNS1_29radix_sort_onesweep_iterationIS3_Lb0EN6thrust23THRUST_200600_302600_NS6detail15normal_iteratorINS9_10device_ptrIfEEEESE_PS5_SF_jNS0_19identity_decomposerENS1_16block_id_wrapperIjLb1EEEEE10hipError_tT1_PNSt15iterator_traitsISK_E10value_typeET2_T3_PNSL_ISQ_E10value_typeET4_T5_PSV_SW_PNS1_23onesweep_lookback_stateEbbT6_jjT7_P12ihipStream_tbENKUlT_T0_SK_SP_E_clISE_SE_SF_SF_EEDaS13_S14_SK_SP_EUlS13_E_NS1_11comp_targetILNS1_3genE3ELNS1_11target_archE908ELNS1_3gpuE7ELNS1_3repE0EEENS1_47radix_sort_onesweep_sort_config_static_selectorELNS0_4arch9wavefront6targetE0EEEvSK_: ; @_ZN7rocprim17ROCPRIM_400000_NS6detail17trampoline_kernelINS0_14default_configENS1_35radix_sort_onesweep_config_selectorIfNS0_10empty_typeEEEZZNS1_29radix_sort_onesweep_iterationIS3_Lb0EN6thrust23THRUST_200600_302600_NS6detail15normal_iteratorINS9_10device_ptrIfEEEESE_PS5_SF_jNS0_19identity_decomposerENS1_16block_id_wrapperIjLb1EEEEE10hipError_tT1_PNSt15iterator_traitsISK_E10value_typeET2_T3_PNSL_ISQ_E10value_typeET4_T5_PSV_SW_PNS1_23onesweep_lookback_stateEbbT6_jjT7_P12ihipStream_tbENKUlT_T0_SK_SP_E_clISE_SE_SF_SF_EEDaS13_S14_SK_SP_EUlS13_E_NS1_11comp_targetILNS1_3genE3ELNS1_11target_archE908ELNS1_3gpuE7ELNS1_3repE0EEENS1_47radix_sort_onesweep_sort_config_static_selectorELNS0_4arch9wavefront6targetE0EEEvSK_
; %bb.0:
	.section	.rodata,"a",@progbits
	.p2align	6, 0x0
	.amdhsa_kernel _ZN7rocprim17ROCPRIM_400000_NS6detail17trampoline_kernelINS0_14default_configENS1_35radix_sort_onesweep_config_selectorIfNS0_10empty_typeEEEZZNS1_29radix_sort_onesweep_iterationIS3_Lb0EN6thrust23THRUST_200600_302600_NS6detail15normal_iteratorINS9_10device_ptrIfEEEESE_PS5_SF_jNS0_19identity_decomposerENS1_16block_id_wrapperIjLb1EEEEE10hipError_tT1_PNSt15iterator_traitsISK_E10value_typeET2_T3_PNSL_ISQ_E10value_typeET4_T5_PSV_SW_PNS1_23onesweep_lookback_stateEbbT6_jjT7_P12ihipStream_tbENKUlT_T0_SK_SP_E_clISE_SE_SF_SF_EEDaS13_S14_SK_SP_EUlS13_E_NS1_11comp_targetILNS1_3genE3ELNS1_11target_archE908ELNS1_3gpuE7ELNS1_3repE0EEENS1_47radix_sort_onesweep_sort_config_static_selectorELNS0_4arch9wavefront6targetE0EEEvSK_
		.amdhsa_group_segment_fixed_size 0
		.amdhsa_private_segment_fixed_size 0
		.amdhsa_kernarg_size 88
		.amdhsa_user_sgpr_count 6
		.amdhsa_user_sgpr_private_segment_buffer 1
		.amdhsa_user_sgpr_dispatch_ptr 0
		.amdhsa_user_sgpr_queue_ptr 0
		.amdhsa_user_sgpr_kernarg_segment_ptr 1
		.amdhsa_user_sgpr_dispatch_id 0
		.amdhsa_user_sgpr_flat_scratch_init 0
		.amdhsa_user_sgpr_private_segment_size 0
		.amdhsa_wavefront_size32 1
		.amdhsa_uses_dynamic_stack 0
		.amdhsa_system_sgpr_private_segment_wavefront_offset 0
		.amdhsa_system_sgpr_workgroup_id_x 1
		.amdhsa_system_sgpr_workgroup_id_y 0
		.amdhsa_system_sgpr_workgroup_id_z 0
		.amdhsa_system_sgpr_workgroup_info 0
		.amdhsa_system_vgpr_workitem_id 0
		.amdhsa_next_free_vgpr 1
		.amdhsa_next_free_sgpr 1
		.amdhsa_reserve_vcc 0
		.amdhsa_reserve_flat_scratch 0
		.amdhsa_float_round_mode_32 0
		.amdhsa_float_round_mode_16_64 0
		.amdhsa_float_denorm_mode_32 3
		.amdhsa_float_denorm_mode_16_64 3
		.amdhsa_dx10_clamp 1
		.amdhsa_ieee_mode 1
		.amdhsa_fp16_overflow 0
		.amdhsa_workgroup_processor_mode 1
		.amdhsa_memory_ordered 1
		.amdhsa_forward_progress 1
		.amdhsa_shared_vgpr_count 0
		.amdhsa_exception_fp_ieee_invalid_op 0
		.amdhsa_exception_fp_denorm_src 0
		.amdhsa_exception_fp_ieee_div_zero 0
		.amdhsa_exception_fp_ieee_overflow 0
		.amdhsa_exception_fp_ieee_underflow 0
		.amdhsa_exception_fp_ieee_inexact 0
		.amdhsa_exception_int_div_zero 0
	.end_amdhsa_kernel
	.section	.text._ZN7rocprim17ROCPRIM_400000_NS6detail17trampoline_kernelINS0_14default_configENS1_35radix_sort_onesweep_config_selectorIfNS0_10empty_typeEEEZZNS1_29radix_sort_onesweep_iterationIS3_Lb0EN6thrust23THRUST_200600_302600_NS6detail15normal_iteratorINS9_10device_ptrIfEEEESE_PS5_SF_jNS0_19identity_decomposerENS1_16block_id_wrapperIjLb1EEEEE10hipError_tT1_PNSt15iterator_traitsISK_E10value_typeET2_T3_PNSL_ISQ_E10value_typeET4_T5_PSV_SW_PNS1_23onesweep_lookback_stateEbbT6_jjT7_P12ihipStream_tbENKUlT_T0_SK_SP_E_clISE_SE_SF_SF_EEDaS13_S14_SK_SP_EUlS13_E_NS1_11comp_targetILNS1_3genE3ELNS1_11target_archE908ELNS1_3gpuE7ELNS1_3repE0EEENS1_47radix_sort_onesweep_sort_config_static_selectorELNS0_4arch9wavefront6targetE0EEEvSK_,"axG",@progbits,_ZN7rocprim17ROCPRIM_400000_NS6detail17trampoline_kernelINS0_14default_configENS1_35radix_sort_onesweep_config_selectorIfNS0_10empty_typeEEEZZNS1_29radix_sort_onesweep_iterationIS3_Lb0EN6thrust23THRUST_200600_302600_NS6detail15normal_iteratorINS9_10device_ptrIfEEEESE_PS5_SF_jNS0_19identity_decomposerENS1_16block_id_wrapperIjLb1EEEEE10hipError_tT1_PNSt15iterator_traitsISK_E10value_typeET2_T3_PNSL_ISQ_E10value_typeET4_T5_PSV_SW_PNS1_23onesweep_lookback_stateEbbT6_jjT7_P12ihipStream_tbENKUlT_T0_SK_SP_E_clISE_SE_SF_SF_EEDaS13_S14_SK_SP_EUlS13_E_NS1_11comp_targetILNS1_3genE3ELNS1_11target_archE908ELNS1_3gpuE7ELNS1_3repE0EEENS1_47radix_sort_onesweep_sort_config_static_selectorELNS0_4arch9wavefront6targetE0EEEvSK_,comdat
.Lfunc_end564:
	.size	_ZN7rocprim17ROCPRIM_400000_NS6detail17trampoline_kernelINS0_14default_configENS1_35radix_sort_onesweep_config_selectorIfNS0_10empty_typeEEEZZNS1_29radix_sort_onesweep_iterationIS3_Lb0EN6thrust23THRUST_200600_302600_NS6detail15normal_iteratorINS9_10device_ptrIfEEEESE_PS5_SF_jNS0_19identity_decomposerENS1_16block_id_wrapperIjLb1EEEEE10hipError_tT1_PNSt15iterator_traitsISK_E10value_typeET2_T3_PNSL_ISQ_E10value_typeET4_T5_PSV_SW_PNS1_23onesweep_lookback_stateEbbT6_jjT7_P12ihipStream_tbENKUlT_T0_SK_SP_E_clISE_SE_SF_SF_EEDaS13_S14_SK_SP_EUlS13_E_NS1_11comp_targetILNS1_3genE3ELNS1_11target_archE908ELNS1_3gpuE7ELNS1_3repE0EEENS1_47radix_sort_onesweep_sort_config_static_selectorELNS0_4arch9wavefront6targetE0EEEvSK_, .Lfunc_end564-_ZN7rocprim17ROCPRIM_400000_NS6detail17trampoline_kernelINS0_14default_configENS1_35radix_sort_onesweep_config_selectorIfNS0_10empty_typeEEEZZNS1_29radix_sort_onesweep_iterationIS3_Lb0EN6thrust23THRUST_200600_302600_NS6detail15normal_iteratorINS9_10device_ptrIfEEEESE_PS5_SF_jNS0_19identity_decomposerENS1_16block_id_wrapperIjLb1EEEEE10hipError_tT1_PNSt15iterator_traitsISK_E10value_typeET2_T3_PNSL_ISQ_E10value_typeET4_T5_PSV_SW_PNS1_23onesweep_lookback_stateEbbT6_jjT7_P12ihipStream_tbENKUlT_T0_SK_SP_E_clISE_SE_SF_SF_EEDaS13_S14_SK_SP_EUlS13_E_NS1_11comp_targetILNS1_3genE3ELNS1_11target_archE908ELNS1_3gpuE7ELNS1_3repE0EEENS1_47radix_sort_onesweep_sort_config_static_selectorELNS0_4arch9wavefront6targetE0EEEvSK_
                                        ; -- End function
	.set _ZN7rocprim17ROCPRIM_400000_NS6detail17trampoline_kernelINS0_14default_configENS1_35radix_sort_onesweep_config_selectorIfNS0_10empty_typeEEEZZNS1_29radix_sort_onesweep_iterationIS3_Lb0EN6thrust23THRUST_200600_302600_NS6detail15normal_iteratorINS9_10device_ptrIfEEEESE_PS5_SF_jNS0_19identity_decomposerENS1_16block_id_wrapperIjLb1EEEEE10hipError_tT1_PNSt15iterator_traitsISK_E10value_typeET2_T3_PNSL_ISQ_E10value_typeET4_T5_PSV_SW_PNS1_23onesweep_lookback_stateEbbT6_jjT7_P12ihipStream_tbENKUlT_T0_SK_SP_E_clISE_SE_SF_SF_EEDaS13_S14_SK_SP_EUlS13_E_NS1_11comp_targetILNS1_3genE3ELNS1_11target_archE908ELNS1_3gpuE7ELNS1_3repE0EEENS1_47radix_sort_onesweep_sort_config_static_selectorELNS0_4arch9wavefront6targetE0EEEvSK_.num_vgpr, 0
	.set _ZN7rocprim17ROCPRIM_400000_NS6detail17trampoline_kernelINS0_14default_configENS1_35radix_sort_onesweep_config_selectorIfNS0_10empty_typeEEEZZNS1_29radix_sort_onesweep_iterationIS3_Lb0EN6thrust23THRUST_200600_302600_NS6detail15normal_iteratorINS9_10device_ptrIfEEEESE_PS5_SF_jNS0_19identity_decomposerENS1_16block_id_wrapperIjLb1EEEEE10hipError_tT1_PNSt15iterator_traitsISK_E10value_typeET2_T3_PNSL_ISQ_E10value_typeET4_T5_PSV_SW_PNS1_23onesweep_lookback_stateEbbT6_jjT7_P12ihipStream_tbENKUlT_T0_SK_SP_E_clISE_SE_SF_SF_EEDaS13_S14_SK_SP_EUlS13_E_NS1_11comp_targetILNS1_3genE3ELNS1_11target_archE908ELNS1_3gpuE7ELNS1_3repE0EEENS1_47radix_sort_onesweep_sort_config_static_selectorELNS0_4arch9wavefront6targetE0EEEvSK_.num_agpr, 0
	.set _ZN7rocprim17ROCPRIM_400000_NS6detail17trampoline_kernelINS0_14default_configENS1_35radix_sort_onesweep_config_selectorIfNS0_10empty_typeEEEZZNS1_29radix_sort_onesweep_iterationIS3_Lb0EN6thrust23THRUST_200600_302600_NS6detail15normal_iteratorINS9_10device_ptrIfEEEESE_PS5_SF_jNS0_19identity_decomposerENS1_16block_id_wrapperIjLb1EEEEE10hipError_tT1_PNSt15iterator_traitsISK_E10value_typeET2_T3_PNSL_ISQ_E10value_typeET4_T5_PSV_SW_PNS1_23onesweep_lookback_stateEbbT6_jjT7_P12ihipStream_tbENKUlT_T0_SK_SP_E_clISE_SE_SF_SF_EEDaS13_S14_SK_SP_EUlS13_E_NS1_11comp_targetILNS1_3genE3ELNS1_11target_archE908ELNS1_3gpuE7ELNS1_3repE0EEENS1_47radix_sort_onesweep_sort_config_static_selectorELNS0_4arch9wavefront6targetE0EEEvSK_.numbered_sgpr, 0
	.set _ZN7rocprim17ROCPRIM_400000_NS6detail17trampoline_kernelINS0_14default_configENS1_35radix_sort_onesweep_config_selectorIfNS0_10empty_typeEEEZZNS1_29radix_sort_onesweep_iterationIS3_Lb0EN6thrust23THRUST_200600_302600_NS6detail15normal_iteratorINS9_10device_ptrIfEEEESE_PS5_SF_jNS0_19identity_decomposerENS1_16block_id_wrapperIjLb1EEEEE10hipError_tT1_PNSt15iterator_traitsISK_E10value_typeET2_T3_PNSL_ISQ_E10value_typeET4_T5_PSV_SW_PNS1_23onesweep_lookback_stateEbbT6_jjT7_P12ihipStream_tbENKUlT_T0_SK_SP_E_clISE_SE_SF_SF_EEDaS13_S14_SK_SP_EUlS13_E_NS1_11comp_targetILNS1_3genE3ELNS1_11target_archE908ELNS1_3gpuE7ELNS1_3repE0EEENS1_47radix_sort_onesweep_sort_config_static_selectorELNS0_4arch9wavefront6targetE0EEEvSK_.num_named_barrier, 0
	.set _ZN7rocprim17ROCPRIM_400000_NS6detail17trampoline_kernelINS0_14default_configENS1_35radix_sort_onesweep_config_selectorIfNS0_10empty_typeEEEZZNS1_29radix_sort_onesweep_iterationIS3_Lb0EN6thrust23THRUST_200600_302600_NS6detail15normal_iteratorINS9_10device_ptrIfEEEESE_PS5_SF_jNS0_19identity_decomposerENS1_16block_id_wrapperIjLb1EEEEE10hipError_tT1_PNSt15iterator_traitsISK_E10value_typeET2_T3_PNSL_ISQ_E10value_typeET4_T5_PSV_SW_PNS1_23onesweep_lookback_stateEbbT6_jjT7_P12ihipStream_tbENKUlT_T0_SK_SP_E_clISE_SE_SF_SF_EEDaS13_S14_SK_SP_EUlS13_E_NS1_11comp_targetILNS1_3genE3ELNS1_11target_archE908ELNS1_3gpuE7ELNS1_3repE0EEENS1_47radix_sort_onesweep_sort_config_static_selectorELNS0_4arch9wavefront6targetE0EEEvSK_.private_seg_size, 0
	.set _ZN7rocprim17ROCPRIM_400000_NS6detail17trampoline_kernelINS0_14default_configENS1_35radix_sort_onesweep_config_selectorIfNS0_10empty_typeEEEZZNS1_29radix_sort_onesweep_iterationIS3_Lb0EN6thrust23THRUST_200600_302600_NS6detail15normal_iteratorINS9_10device_ptrIfEEEESE_PS5_SF_jNS0_19identity_decomposerENS1_16block_id_wrapperIjLb1EEEEE10hipError_tT1_PNSt15iterator_traitsISK_E10value_typeET2_T3_PNSL_ISQ_E10value_typeET4_T5_PSV_SW_PNS1_23onesweep_lookback_stateEbbT6_jjT7_P12ihipStream_tbENKUlT_T0_SK_SP_E_clISE_SE_SF_SF_EEDaS13_S14_SK_SP_EUlS13_E_NS1_11comp_targetILNS1_3genE3ELNS1_11target_archE908ELNS1_3gpuE7ELNS1_3repE0EEENS1_47radix_sort_onesweep_sort_config_static_selectorELNS0_4arch9wavefront6targetE0EEEvSK_.uses_vcc, 0
	.set _ZN7rocprim17ROCPRIM_400000_NS6detail17trampoline_kernelINS0_14default_configENS1_35radix_sort_onesweep_config_selectorIfNS0_10empty_typeEEEZZNS1_29radix_sort_onesweep_iterationIS3_Lb0EN6thrust23THRUST_200600_302600_NS6detail15normal_iteratorINS9_10device_ptrIfEEEESE_PS5_SF_jNS0_19identity_decomposerENS1_16block_id_wrapperIjLb1EEEEE10hipError_tT1_PNSt15iterator_traitsISK_E10value_typeET2_T3_PNSL_ISQ_E10value_typeET4_T5_PSV_SW_PNS1_23onesweep_lookback_stateEbbT6_jjT7_P12ihipStream_tbENKUlT_T0_SK_SP_E_clISE_SE_SF_SF_EEDaS13_S14_SK_SP_EUlS13_E_NS1_11comp_targetILNS1_3genE3ELNS1_11target_archE908ELNS1_3gpuE7ELNS1_3repE0EEENS1_47radix_sort_onesweep_sort_config_static_selectorELNS0_4arch9wavefront6targetE0EEEvSK_.uses_flat_scratch, 0
	.set _ZN7rocprim17ROCPRIM_400000_NS6detail17trampoline_kernelINS0_14default_configENS1_35radix_sort_onesweep_config_selectorIfNS0_10empty_typeEEEZZNS1_29radix_sort_onesweep_iterationIS3_Lb0EN6thrust23THRUST_200600_302600_NS6detail15normal_iteratorINS9_10device_ptrIfEEEESE_PS5_SF_jNS0_19identity_decomposerENS1_16block_id_wrapperIjLb1EEEEE10hipError_tT1_PNSt15iterator_traitsISK_E10value_typeET2_T3_PNSL_ISQ_E10value_typeET4_T5_PSV_SW_PNS1_23onesweep_lookback_stateEbbT6_jjT7_P12ihipStream_tbENKUlT_T0_SK_SP_E_clISE_SE_SF_SF_EEDaS13_S14_SK_SP_EUlS13_E_NS1_11comp_targetILNS1_3genE3ELNS1_11target_archE908ELNS1_3gpuE7ELNS1_3repE0EEENS1_47radix_sort_onesweep_sort_config_static_selectorELNS0_4arch9wavefront6targetE0EEEvSK_.has_dyn_sized_stack, 0
	.set _ZN7rocprim17ROCPRIM_400000_NS6detail17trampoline_kernelINS0_14default_configENS1_35radix_sort_onesweep_config_selectorIfNS0_10empty_typeEEEZZNS1_29radix_sort_onesweep_iterationIS3_Lb0EN6thrust23THRUST_200600_302600_NS6detail15normal_iteratorINS9_10device_ptrIfEEEESE_PS5_SF_jNS0_19identity_decomposerENS1_16block_id_wrapperIjLb1EEEEE10hipError_tT1_PNSt15iterator_traitsISK_E10value_typeET2_T3_PNSL_ISQ_E10value_typeET4_T5_PSV_SW_PNS1_23onesweep_lookback_stateEbbT6_jjT7_P12ihipStream_tbENKUlT_T0_SK_SP_E_clISE_SE_SF_SF_EEDaS13_S14_SK_SP_EUlS13_E_NS1_11comp_targetILNS1_3genE3ELNS1_11target_archE908ELNS1_3gpuE7ELNS1_3repE0EEENS1_47radix_sort_onesweep_sort_config_static_selectorELNS0_4arch9wavefront6targetE0EEEvSK_.has_recursion, 0
	.set _ZN7rocprim17ROCPRIM_400000_NS6detail17trampoline_kernelINS0_14default_configENS1_35radix_sort_onesweep_config_selectorIfNS0_10empty_typeEEEZZNS1_29radix_sort_onesweep_iterationIS3_Lb0EN6thrust23THRUST_200600_302600_NS6detail15normal_iteratorINS9_10device_ptrIfEEEESE_PS5_SF_jNS0_19identity_decomposerENS1_16block_id_wrapperIjLb1EEEEE10hipError_tT1_PNSt15iterator_traitsISK_E10value_typeET2_T3_PNSL_ISQ_E10value_typeET4_T5_PSV_SW_PNS1_23onesweep_lookback_stateEbbT6_jjT7_P12ihipStream_tbENKUlT_T0_SK_SP_E_clISE_SE_SF_SF_EEDaS13_S14_SK_SP_EUlS13_E_NS1_11comp_targetILNS1_3genE3ELNS1_11target_archE908ELNS1_3gpuE7ELNS1_3repE0EEENS1_47radix_sort_onesweep_sort_config_static_selectorELNS0_4arch9wavefront6targetE0EEEvSK_.has_indirect_call, 0
	.section	.AMDGPU.csdata,"",@progbits
; Kernel info:
; codeLenInByte = 0
; TotalNumSgprs: 0
; NumVgprs: 0
; ScratchSize: 0
; MemoryBound: 0
; FloatMode: 240
; IeeeMode: 1
; LDSByteSize: 0 bytes/workgroup (compile time only)
; SGPRBlocks: 0
; VGPRBlocks: 0
; NumSGPRsForWavesPerEU: 1
; NumVGPRsForWavesPerEU: 1
; Occupancy: 16
; WaveLimiterHint : 0
; COMPUTE_PGM_RSRC2:SCRATCH_EN: 0
; COMPUTE_PGM_RSRC2:USER_SGPR: 6
; COMPUTE_PGM_RSRC2:TRAP_HANDLER: 0
; COMPUTE_PGM_RSRC2:TGID_X_EN: 1
; COMPUTE_PGM_RSRC2:TGID_Y_EN: 0
; COMPUTE_PGM_RSRC2:TGID_Z_EN: 0
; COMPUTE_PGM_RSRC2:TIDIG_COMP_CNT: 0
	.section	.text._ZN7rocprim17ROCPRIM_400000_NS6detail17trampoline_kernelINS0_14default_configENS1_35radix_sort_onesweep_config_selectorIfNS0_10empty_typeEEEZZNS1_29radix_sort_onesweep_iterationIS3_Lb0EN6thrust23THRUST_200600_302600_NS6detail15normal_iteratorINS9_10device_ptrIfEEEESE_PS5_SF_jNS0_19identity_decomposerENS1_16block_id_wrapperIjLb1EEEEE10hipError_tT1_PNSt15iterator_traitsISK_E10value_typeET2_T3_PNSL_ISQ_E10value_typeET4_T5_PSV_SW_PNS1_23onesweep_lookback_stateEbbT6_jjT7_P12ihipStream_tbENKUlT_T0_SK_SP_E_clISE_SE_SF_SF_EEDaS13_S14_SK_SP_EUlS13_E_NS1_11comp_targetILNS1_3genE10ELNS1_11target_archE1201ELNS1_3gpuE5ELNS1_3repE0EEENS1_47radix_sort_onesweep_sort_config_static_selectorELNS0_4arch9wavefront6targetE0EEEvSK_,"axG",@progbits,_ZN7rocprim17ROCPRIM_400000_NS6detail17trampoline_kernelINS0_14default_configENS1_35radix_sort_onesweep_config_selectorIfNS0_10empty_typeEEEZZNS1_29radix_sort_onesweep_iterationIS3_Lb0EN6thrust23THRUST_200600_302600_NS6detail15normal_iteratorINS9_10device_ptrIfEEEESE_PS5_SF_jNS0_19identity_decomposerENS1_16block_id_wrapperIjLb1EEEEE10hipError_tT1_PNSt15iterator_traitsISK_E10value_typeET2_T3_PNSL_ISQ_E10value_typeET4_T5_PSV_SW_PNS1_23onesweep_lookback_stateEbbT6_jjT7_P12ihipStream_tbENKUlT_T0_SK_SP_E_clISE_SE_SF_SF_EEDaS13_S14_SK_SP_EUlS13_E_NS1_11comp_targetILNS1_3genE10ELNS1_11target_archE1201ELNS1_3gpuE5ELNS1_3repE0EEENS1_47radix_sort_onesweep_sort_config_static_selectorELNS0_4arch9wavefront6targetE0EEEvSK_,comdat
	.protected	_ZN7rocprim17ROCPRIM_400000_NS6detail17trampoline_kernelINS0_14default_configENS1_35radix_sort_onesweep_config_selectorIfNS0_10empty_typeEEEZZNS1_29radix_sort_onesweep_iterationIS3_Lb0EN6thrust23THRUST_200600_302600_NS6detail15normal_iteratorINS9_10device_ptrIfEEEESE_PS5_SF_jNS0_19identity_decomposerENS1_16block_id_wrapperIjLb1EEEEE10hipError_tT1_PNSt15iterator_traitsISK_E10value_typeET2_T3_PNSL_ISQ_E10value_typeET4_T5_PSV_SW_PNS1_23onesweep_lookback_stateEbbT6_jjT7_P12ihipStream_tbENKUlT_T0_SK_SP_E_clISE_SE_SF_SF_EEDaS13_S14_SK_SP_EUlS13_E_NS1_11comp_targetILNS1_3genE10ELNS1_11target_archE1201ELNS1_3gpuE5ELNS1_3repE0EEENS1_47radix_sort_onesweep_sort_config_static_selectorELNS0_4arch9wavefront6targetE0EEEvSK_ ; -- Begin function _ZN7rocprim17ROCPRIM_400000_NS6detail17trampoline_kernelINS0_14default_configENS1_35radix_sort_onesweep_config_selectorIfNS0_10empty_typeEEEZZNS1_29radix_sort_onesweep_iterationIS3_Lb0EN6thrust23THRUST_200600_302600_NS6detail15normal_iteratorINS9_10device_ptrIfEEEESE_PS5_SF_jNS0_19identity_decomposerENS1_16block_id_wrapperIjLb1EEEEE10hipError_tT1_PNSt15iterator_traitsISK_E10value_typeET2_T3_PNSL_ISQ_E10value_typeET4_T5_PSV_SW_PNS1_23onesweep_lookback_stateEbbT6_jjT7_P12ihipStream_tbENKUlT_T0_SK_SP_E_clISE_SE_SF_SF_EEDaS13_S14_SK_SP_EUlS13_E_NS1_11comp_targetILNS1_3genE10ELNS1_11target_archE1201ELNS1_3gpuE5ELNS1_3repE0EEENS1_47radix_sort_onesweep_sort_config_static_selectorELNS0_4arch9wavefront6targetE0EEEvSK_
	.globl	_ZN7rocprim17ROCPRIM_400000_NS6detail17trampoline_kernelINS0_14default_configENS1_35radix_sort_onesweep_config_selectorIfNS0_10empty_typeEEEZZNS1_29radix_sort_onesweep_iterationIS3_Lb0EN6thrust23THRUST_200600_302600_NS6detail15normal_iteratorINS9_10device_ptrIfEEEESE_PS5_SF_jNS0_19identity_decomposerENS1_16block_id_wrapperIjLb1EEEEE10hipError_tT1_PNSt15iterator_traitsISK_E10value_typeET2_T3_PNSL_ISQ_E10value_typeET4_T5_PSV_SW_PNS1_23onesweep_lookback_stateEbbT6_jjT7_P12ihipStream_tbENKUlT_T0_SK_SP_E_clISE_SE_SF_SF_EEDaS13_S14_SK_SP_EUlS13_E_NS1_11comp_targetILNS1_3genE10ELNS1_11target_archE1201ELNS1_3gpuE5ELNS1_3repE0EEENS1_47radix_sort_onesweep_sort_config_static_selectorELNS0_4arch9wavefront6targetE0EEEvSK_
	.p2align	8
	.type	_ZN7rocprim17ROCPRIM_400000_NS6detail17trampoline_kernelINS0_14default_configENS1_35radix_sort_onesweep_config_selectorIfNS0_10empty_typeEEEZZNS1_29radix_sort_onesweep_iterationIS3_Lb0EN6thrust23THRUST_200600_302600_NS6detail15normal_iteratorINS9_10device_ptrIfEEEESE_PS5_SF_jNS0_19identity_decomposerENS1_16block_id_wrapperIjLb1EEEEE10hipError_tT1_PNSt15iterator_traitsISK_E10value_typeET2_T3_PNSL_ISQ_E10value_typeET4_T5_PSV_SW_PNS1_23onesweep_lookback_stateEbbT6_jjT7_P12ihipStream_tbENKUlT_T0_SK_SP_E_clISE_SE_SF_SF_EEDaS13_S14_SK_SP_EUlS13_E_NS1_11comp_targetILNS1_3genE10ELNS1_11target_archE1201ELNS1_3gpuE5ELNS1_3repE0EEENS1_47radix_sort_onesweep_sort_config_static_selectorELNS0_4arch9wavefront6targetE0EEEvSK_,@function
_ZN7rocprim17ROCPRIM_400000_NS6detail17trampoline_kernelINS0_14default_configENS1_35radix_sort_onesweep_config_selectorIfNS0_10empty_typeEEEZZNS1_29radix_sort_onesweep_iterationIS3_Lb0EN6thrust23THRUST_200600_302600_NS6detail15normal_iteratorINS9_10device_ptrIfEEEESE_PS5_SF_jNS0_19identity_decomposerENS1_16block_id_wrapperIjLb1EEEEE10hipError_tT1_PNSt15iterator_traitsISK_E10value_typeET2_T3_PNSL_ISQ_E10value_typeET4_T5_PSV_SW_PNS1_23onesweep_lookback_stateEbbT6_jjT7_P12ihipStream_tbENKUlT_T0_SK_SP_E_clISE_SE_SF_SF_EEDaS13_S14_SK_SP_EUlS13_E_NS1_11comp_targetILNS1_3genE10ELNS1_11target_archE1201ELNS1_3gpuE5ELNS1_3repE0EEENS1_47radix_sort_onesweep_sort_config_static_selectorELNS0_4arch9wavefront6targetE0EEEvSK_: ; @_ZN7rocprim17ROCPRIM_400000_NS6detail17trampoline_kernelINS0_14default_configENS1_35radix_sort_onesweep_config_selectorIfNS0_10empty_typeEEEZZNS1_29radix_sort_onesweep_iterationIS3_Lb0EN6thrust23THRUST_200600_302600_NS6detail15normal_iteratorINS9_10device_ptrIfEEEESE_PS5_SF_jNS0_19identity_decomposerENS1_16block_id_wrapperIjLb1EEEEE10hipError_tT1_PNSt15iterator_traitsISK_E10value_typeET2_T3_PNSL_ISQ_E10value_typeET4_T5_PSV_SW_PNS1_23onesweep_lookback_stateEbbT6_jjT7_P12ihipStream_tbENKUlT_T0_SK_SP_E_clISE_SE_SF_SF_EEDaS13_S14_SK_SP_EUlS13_E_NS1_11comp_targetILNS1_3genE10ELNS1_11target_archE1201ELNS1_3gpuE5ELNS1_3repE0EEENS1_47radix_sort_onesweep_sort_config_static_selectorELNS0_4arch9wavefront6targetE0EEEvSK_
; %bb.0:
	.section	.rodata,"a",@progbits
	.p2align	6, 0x0
	.amdhsa_kernel _ZN7rocprim17ROCPRIM_400000_NS6detail17trampoline_kernelINS0_14default_configENS1_35radix_sort_onesweep_config_selectorIfNS0_10empty_typeEEEZZNS1_29radix_sort_onesweep_iterationIS3_Lb0EN6thrust23THRUST_200600_302600_NS6detail15normal_iteratorINS9_10device_ptrIfEEEESE_PS5_SF_jNS0_19identity_decomposerENS1_16block_id_wrapperIjLb1EEEEE10hipError_tT1_PNSt15iterator_traitsISK_E10value_typeET2_T3_PNSL_ISQ_E10value_typeET4_T5_PSV_SW_PNS1_23onesweep_lookback_stateEbbT6_jjT7_P12ihipStream_tbENKUlT_T0_SK_SP_E_clISE_SE_SF_SF_EEDaS13_S14_SK_SP_EUlS13_E_NS1_11comp_targetILNS1_3genE10ELNS1_11target_archE1201ELNS1_3gpuE5ELNS1_3repE0EEENS1_47radix_sort_onesweep_sort_config_static_selectorELNS0_4arch9wavefront6targetE0EEEvSK_
		.amdhsa_group_segment_fixed_size 0
		.amdhsa_private_segment_fixed_size 0
		.amdhsa_kernarg_size 88
		.amdhsa_user_sgpr_count 6
		.amdhsa_user_sgpr_private_segment_buffer 1
		.amdhsa_user_sgpr_dispatch_ptr 0
		.amdhsa_user_sgpr_queue_ptr 0
		.amdhsa_user_sgpr_kernarg_segment_ptr 1
		.amdhsa_user_sgpr_dispatch_id 0
		.amdhsa_user_sgpr_flat_scratch_init 0
		.amdhsa_user_sgpr_private_segment_size 0
		.amdhsa_wavefront_size32 1
		.amdhsa_uses_dynamic_stack 0
		.amdhsa_system_sgpr_private_segment_wavefront_offset 0
		.amdhsa_system_sgpr_workgroup_id_x 1
		.amdhsa_system_sgpr_workgroup_id_y 0
		.amdhsa_system_sgpr_workgroup_id_z 0
		.amdhsa_system_sgpr_workgroup_info 0
		.amdhsa_system_vgpr_workitem_id 0
		.amdhsa_next_free_vgpr 1
		.amdhsa_next_free_sgpr 1
		.amdhsa_reserve_vcc 0
		.amdhsa_reserve_flat_scratch 0
		.amdhsa_float_round_mode_32 0
		.amdhsa_float_round_mode_16_64 0
		.amdhsa_float_denorm_mode_32 3
		.amdhsa_float_denorm_mode_16_64 3
		.amdhsa_dx10_clamp 1
		.amdhsa_ieee_mode 1
		.amdhsa_fp16_overflow 0
		.amdhsa_workgroup_processor_mode 1
		.amdhsa_memory_ordered 1
		.amdhsa_forward_progress 1
		.amdhsa_shared_vgpr_count 0
		.amdhsa_exception_fp_ieee_invalid_op 0
		.amdhsa_exception_fp_denorm_src 0
		.amdhsa_exception_fp_ieee_div_zero 0
		.amdhsa_exception_fp_ieee_overflow 0
		.amdhsa_exception_fp_ieee_underflow 0
		.amdhsa_exception_fp_ieee_inexact 0
		.amdhsa_exception_int_div_zero 0
	.end_amdhsa_kernel
	.section	.text._ZN7rocprim17ROCPRIM_400000_NS6detail17trampoline_kernelINS0_14default_configENS1_35radix_sort_onesweep_config_selectorIfNS0_10empty_typeEEEZZNS1_29radix_sort_onesweep_iterationIS3_Lb0EN6thrust23THRUST_200600_302600_NS6detail15normal_iteratorINS9_10device_ptrIfEEEESE_PS5_SF_jNS0_19identity_decomposerENS1_16block_id_wrapperIjLb1EEEEE10hipError_tT1_PNSt15iterator_traitsISK_E10value_typeET2_T3_PNSL_ISQ_E10value_typeET4_T5_PSV_SW_PNS1_23onesweep_lookback_stateEbbT6_jjT7_P12ihipStream_tbENKUlT_T0_SK_SP_E_clISE_SE_SF_SF_EEDaS13_S14_SK_SP_EUlS13_E_NS1_11comp_targetILNS1_3genE10ELNS1_11target_archE1201ELNS1_3gpuE5ELNS1_3repE0EEENS1_47radix_sort_onesweep_sort_config_static_selectorELNS0_4arch9wavefront6targetE0EEEvSK_,"axG",@progbits,_ZN7rocprim17ROCPRIM_400000_NS6detail17trampoline_kernelINS0_14default_configENS1_35radix_sort_onesweep_config_selectorIfNS0_10empty_typeEEEZZNS1_29radix_sort_onesweep_iterationIS3_Lb0EN6thrust23THRUST_200600_302600_NS6detail15normal_iteratorINS9_10device_ptrIfEEEESE_PS5_SF_jNS0_19identity_decomposerENS1_16block_id_wrapperIjLb1EEEEE10hipError_tT1_PNSt15iterator_traitsISK_E10value_typeET2_T3_PNSL_ISQ_E10value_typeET4_T5_PSV_SW_PNS1_23onesweep_lookback_stateEbbT6_jjT7_P12ihipStream_tbENKUlT_T0_SK_SP_E_clISE_SE_SF_SF_EEDaS13_S14_SK_SP_EUlS13_E_NS1_11comp_targetILNS1_3genE10ELNS1_11target_archE1201ELNS1_3gpuE5ELNS1_3repE0EEENS1_47radix_sort_onesweep_sort_config_static_selectorELNS0_4arch9wavefront6targetE0EEEvSK_,comdat
.Lfunc_end565:
	.size	_ZN7rocprim17ROCPRIM_400000_NS6detail17trampoline_kernelINS0_14default_configENS1_35radix_sort_onesweep_config_selectorIfNS0_10empty_typeEEEZZNS1_29radix_sort_onesweep_iterationIS3_Lb0EN6thrust23THRUST_200600_302600_NS6detail15normal_iteratorINS9_10device_ptrIfEEEESE_PS5_SF_jNS0_19identity_decomposerENS1_16block_id_wrapperIjLb1EEEEE10hipError_tT1_PNSt15iterator_traitsISK_E10value_typeET2_T3_PNSL_ISQ_E10value_typeET4_T5_PSV_SW_PNS1_23onesweep_lookback_stateEbbT6_jjT7_P12ihipStream_tbENKUlT_T0_SK_SP_E_clISE_SE_SF_SF_EEDaS13_S14_SK_SP_EUlS13_E_NS1_11comp_targetILNS1_3genE10ELNS1_11target_archE1201ELNS1_3gpuE5ELNS1_3repE0EEENS1_47radix_sort_onesweep_sort_config_static_selectorELNS0_4arch9wavefront6targetE0EEEvSK_, .Lfunc_end565-_ZN7rocprim17ROCPRIM_400000_NS6detail17trampoline_kernelINS0_14default_configENS1_35radix_sort_onesweep_config_selectorIfNS0_10empty_typeEEEZZNS1_29radix_sort_onesweep_iterationIS3_Lb0EN6thrust23THRUST_200600_302600_NS6detail15normal_iteratorINS9_10device_ptrIfEEEESE_PS5_SF_jNS0_19identity_decomposerENS1_16block_id_wrapperIjLb1EEEEE10hipError_tT1_PNSt15iterator_traitsISK_E10value_typeET2_T3_PNSL_ISQ_E10value_typeET4_T5_PSV_SW_PNS1_23onesweep_lookback_stateEbbT6_jjT7_P12ihipStream_tbENKUlT_T0_SK_SP_E_clISE_SE_SF_SF_EEDaS13_S14_SK_SP_EUlS13_E_NS1_11comp_targetILNS1_3genE10ELNS1_11target_archE1201ELNS1_3gpuE5ELNS1_3repE0EEENS1_47radix_sort_onesweep_sort_config_static_selectorELNS0_4arch9wavefront6targetE0EEEvSK_
                                        ; -- End function
	.set _ZN7rocprim17ROCPRIM_400000_NS6detail17trampoline_kernelINS0_14default_configENS1_35radix_sort_onesweep_config_selectorIfNS0_10empty_typeEEEZZNS1_29radix_sort_onesweep_iterationIS3_Lb0EN6thrust23THRUST_200600_302600_NS6detail15normal_iteratorINS9_10device_ptrIfEEEESE_PS5_SF_jNS0_19identity_decomposerENS1_16block_id_wrapperIjLb1EEEEE10hipError_tT1_PNSt15iterator_traitsISK_E10value_typeET2_T3_PNSL_ISQ_E10value_typeET4_T5_PSV_SW_PNS1_23onesweep_lookback_stateEbbT6_jjT7_P12ihipStream_tbENKUlT_T0_SK_SP_E_clISE_SE_SF_SF_EEDaS13_S14_SK_SP_EUlS13_E_NS1_11comp_targetILNS1_3genE10ELNS1_11target_archE1201ELNS1_3gpuE5ELNS1_3repE0EEENS1_47radix_sort_onesweep_sort_config_static_selectorELNS0_4arch9wavefront6targetE0EEEvSK_.num_vgpr, 0
	.set _ZN7rocprim17ROCPRIM_400000_NS6detail17trampoline_kernelINS0_14default_configENS1_35radix_sort_onesweep_config_selectorIfNS0_10empty_typeEEEZZNS1_29radix_sort_onesweep_iterationIS3_Lb0EN6thrust23THRUST_200600_302600_NS6detail15normal_iteratorINS9_10device_ptrIfEEEESE_PS5_SF_jNS0_19identity_decomposerENS1_16block_id_wrapperIjLb1EEEEE10hipError_tT1_PNSt15iterator_traitsISK_E10value_typeET2_T3_PNSL_ISQ_E10value_typeET4_T5_PSV_SW_PNS1_23onesweep_lookback_stateEbbT6_jjT7_P12ihipStream_tbENKUlT_T0_SK_SP_E_clISE_SE_SF_SF_EEDaS13_S14_SK_SP_EUlS13_E_NS1_11comp_targetILNS1_3genE10ELNS1_11target_archE1201ELNS1_3gpuE5ELNS1_3repE0EEENS1_47radix_sort_onesweep_sort_config_static_selectorELNS0_4arch9wavefront6targetE0EEEvSK_.num_agpr, 0
	.set _ZN7rocprim17ROCPRIM_400000_NS6detail17trampoline_kernelINS0_14default_configENS1_35radix_sort_onesweep_config_selectorIfNS0_10empty_typeEEEZZNS1_29radix_sort_onesweep_iterationIS3_Lb0EN6thrust23THRUST_200600_302600_NS6detail15normal_iteratorINS9_10device_ptrIfEEEESE_PS5_SF_jNS0_19identity_decomposerENS1_16block_id_wrapperIjLb1EEEEE10hipError_tT1_PNSt15iterator_traitsISK_E10value_typeET2_T3_PNSL_ISQ_E10value_typeET4_T5_PSV_SW_PNS1_23onesweep_lookback_stateEbbT6_jjT7_P12ihipStream_tbENKUlT_T0_SK_SP_E_clISE_SE_SF_SF_EEDaS13_S14_SK_SP_EUlS13_E_NS1_11comp_targetILNS1_3genE10ELNS1_11target_archE1201ELNS1_3gpuE5ELNS1_3repE0EEENS1_47radix_sort_onesweep_sort_config_static_selectorELNS0_4arch9wavefront6targetE0EEEvSK_.numbered_sgpr, 0
	.set _ZN7rocprim17ROCPRIM_400000_NS6detail17trampoline_kernelINS0_14default_configENS1_35radix_sort_onesweep_config_selectorIfNS0_10empty_typeEEEZZNS1_29radix_sort_onesweep_iterationIS3_Lb0EN6thrust23THRUST_200600_302600_NS6detail15normal_iteratorINS9_10device_ptrIfEEEESE_PS5_SF_jNS0_19identity_decomposerENS1_16block_id_wrapperIjLb1EEEEE10hipError_tT1_PNSt15iterator_traitsISK_E10value_typeET2_T3_PNSL_ISQ_E10value_typeET4_T5_PSV_SW_PNS1_23onesweep_lookback_stateEbbT6_jjT7_P12ihipStream_tbENKUlT_T0_SK_SP_E_clISE_SE_SF_SF_EEDaS13_S14_SK_SP_EUlS13_E_NS1_11comp_targetILNS1_3genE10ELNS1_11target_archE1201ELNS1_3gpuE5ELNS1_3repE0EEENS1_47radix_sort_onesweep_sort_config_static_selectorELNS0_4arch9wavefront6targetE0EEEvSK_.num_named_barrier, 0
	.set _ZN7rocprim17ROCPRIM_400000_NS6detail17trampoline_kernelINS0_14default_configENS1_35radix_sort_onesweep_config_selectorIfNS0_10empty_typeEEEZZNS1_29radix_sort_onesweep_iterationIS3_Lb0EN6thrust23THRUST_200600_302600_NS6detail15normal_iteratorINS9_10device_ptrIfEEEESE_PS5_SF_jNS0_19identity_decomposerENS1_16block_id_wrapperIjLb1EEEEE10hipError_tT1_PNSt15iterator_traitsISK_E10value_typeET2_T3_PNSL_ISQ_E10value_typeET4_T5_PSV_SW_PNS1_23onesweep_lookback_stateEbbT6_jjT7_P12ihipStream_tbENKUlT_T0_SK_SP_E_clISE_SE_SF_SF_EEDaS13_S14_SK_SP_EUlS13_E_NS1_11comp_targetILNS1_3genE10ELNS1_11target_archE1201ELNS1_3gpuE5ELNS1_3repE0EEENS1_47radix_sort_onesweep_sort_config_static_selectorELNS0_4arch9wavefront6targetE0EEEvSK_.private_seg_size, 0
	.set _ZN7rocprim17ROCPRIM_400000_NS6detail17trampoline_kernelINS0_14default_configENS1_35radix_sort_onesweep_config_selectorIfNS0_10empty_typeEEEZZNS1_29radix_sort_onesweep_iterationIS3_Lb0EN6thrust23THRUST_200600_302600_NS6detail15normal_iteratorINS9_10device_ptrIfEEEESE_PS5_SF_jNS0_19identity_decomposerENS1_16block_id_wrapperIjLb1EEEEE10hipError_tT1_PNSt15iterator_traitsISK_E10value_typeET2_T3_PNSL_ISQ_E10value_typeET4_T5_PSV_SW_PNS1_23onesweep_lookback_stateEbbT6_jjT7_P12ihipStream_tbENKUlT_T0_SK_SP_E_clISE_SE_SF_SF_EEDaS13_S14_SK_SP_EUlS13_E_NS1_11comp_targetILNS1_3genE10ELNS1_11target_archE1201ELNS1_3gpuE5ELNS1_3repE0EEENS1_47radix_sort_onesweep_sort_config_static_selectorELNS0_4arch9wavefront6targetE0EEEvSK_.uses_vcc, 0
	.set _ZN7rocprim17ROCPRIM_400000_NS6detail17trampoline_kernelINS0_14default_configENS1_35radix_sort_onesweep_config_selectorIfNS0_10empty_typeEEEZZNS1_29radix_sort_onesweep_iterationIS3_Lb0EN6thrust23THRUST_200600_302600_NS6detail15normal_iteratorINS9_10device_ptrIfEEEESE_PS5_SF_jNS0_19identity_decomposerENS1_16block_id_wrapperIjLb1EEEEE10hipError_tT1_PNSt15iterator_traitsISK_E10value_typeET2_T3_PNSL_ISQ_E10value_typeET4_T5_PSV_SW_PNS1_23onesweep_lookback_stateEbbT6_jjT7_P12ihipStream_tbENKUlT_T0_SK_SP_E_clISE_SE_SF_SF_EEDaS13_S14_SK_SP_EUlS13_E_NS1_11comp_targetILNS1_3genE10ELNS1_11target_archE1201ELNS1_3gpuE5ELNS1_3repE0EEENS1_47radix_sort_onesweep_sort_config_static_selectorELNS0_4arch9wavefront6targetE0EEEvSK_.uses_flat_scratch, 0
	.set _ZN7rocprim17ROCPRIM_400000_NS6detail17trampoline_kernelINS0_14default_configENS1_35radix_sort_onesweep_config_selectorIfNS0_10empty_typeEEEZZNS1_29radix_sort_onesweep_iterationIS3_Lb0EN6thrust23THRUST_200600_302600_NS6detail15normal_iteratorINS9_10device_ptrIfEEEESE_PS5_SF_jNS0_19identity_decomposerENS1_16block_id_wrapperIjLb1EEEEE10hipError_tT1_PNSt15iterator_traitsISK_E10value_typeET2_T3_PNSL_ISQ_E10value_typeET4_T5_PSV_SW_PNS1_23onesweep_lookback_stateEbbT6_jjT7_P12ihipStream_tbENKUlT_T0_SK_SP_E_clISE_SE_SF_SF_EEDaS13_S14_SK_SP_EUlS13_E_NS1_11comp_targetILNS1_3genE10ELNS1_11target_archE1201ELNS1_3gpuE5ELNS1_3repE0EEENS1_47radix_sort_onesweep_sort_config_static_selectorELNS0_4arch9wavefront6targetE0EEEvSK_.has_dyn_sized_stack, 0
	.set _ZN7rocprim17ROCPRIM_400000_NS6detail17trampoline_kernelINS0_14default_configENS1_35radix_sort_onesweep_config_selectorIfNS0_10empty_typeEEEZZNS1_29radix_sort_onesweep_iterationIS3_Lb0EN6thrust23THRUST_200600_302600_NS6detail15normal_iteratorINS9_10device_ptrIfEEEESE_PS5_SF_jNS0_19identity_decomposerENS1_16block_id_wrapperIjLb1EEEEE10hipError_tT1_PNSt15iterator_traitsISK_E10value_typeET2_T3_PNSL_ISQ_E10value_typeET4_T5_PSV_SW_PNS1_23onesweep_lookback_stateEbbT6_jjT7_P12ihipStream_tbENKUlT_T0_SK_SP_E_clISE_SE_SF_SF_EEDaS13_S14_SK_SP_EUlS13_E_NS1_11comp_targetILNS1_3genE10ELNS1_11target_archE1201ELNS1_3gpuE5ELNS1_3repE0EEENS1_47radix_sort_onesweep_sort_config_static_selectorELNS0_4arch9wavefront6targetE0EEEvSK_.has_recursion, 0
	.set _ZN7rocprim17ROCPRIM_400000_NS6detail17trampoline_kernelINS0_14default_configENS1_35radix_sort_onesweep_config_selectorIfNS0_10empty_typeEEEZZNS1_29radix_sort_onesweep_iterationIS3_Lb0EN6thrust23THRUST_200600_302600_NS6detail15normal_iteratorINS9_10device_ptrIfEEEESE_PS5_SF_jNS0_19identity_decomposerENS1_16block_id_wrapperIjLb1EEEEE10hipError_tT1_PNSt15iterator_traitsISK_E10value_typeET2_T3_PNSL_ISQ_E10value_typeET4_T5_PSV_SW_PNS1_23onesweep_lookback_stateEbbT6_jjT7_P12ihipStream_tbENKUlT_T0_SK_SP_E_clISE_SE_SF_SF_EEDaS13_S14_SK_SP_EUlS13_E_NS1_11comp_targetILNS1_3genE10ELNS1_11target_archE1201ELNS1_3gpuE5ELNS1_3repE0EEENS1_47radix_sort_onesweep_sort_config_static_selectorELNS0_4arch9wavefront6targetE0EEEvSK_.has_indirect_call, 0
	.section	.AMDGPU.csdata,"",@progbits
; Kernel info:
; codeLenInByte = 0
; TotalNumSgprs: 0
; NumVgprs: 0
; ScratchSize: 0
; MemoryBound: 0
; FloatMode: 240
; IeeeMode: 1
; LDSByteSize: 0 bytes/workgroup (compile time only)
; SGPRBlocks: 0
; VGPRBlocks: 0
; NumSGPRsForWavesPerEU: 1
; NumVGPRsForWavesPerEU: 1
; Occupancy: 16
; WaveLimiterHint : 0
; COMPUTE_PGM_RSRC2:SCRATCH_EN: 0
; COMPUTE_PGM_RSRC2:USER_SGPR: 6
; COMPUTE_PGM_RSRC2:TRAP_HANDLER: 0
; COMPUTE_PGM_RSRC2:TGID_X_EN: 1
; COMPUTE_PGM_RSRC2:TGID_Y_EN: 0
; COMPUTE_PGM_RSRC2:TGID_Z_EN: 0
; COMPUTE_PGM_RSRC2:TIDIG_COMP_CNT: 0
	.section	.text._ZN7rocprim17ROCPRIM_400000_NS6detail17trampoline_kernelINS0_14default_configENS1_35radix_sort_onesweep_config_selectorIfNS0_10empty_typeEEEZZNS1_29radix_sort_onesweep_iterationIS3_Lb0EN6thrust23THRUST_200600_302600_NS6detail15normal_iteratorINS9_10device_ptrIfEEEESE_PS5_SF_jNS0_19identity_decomposerENS1_16block_id_wrapperIjLb1EEEEE10hipError_tT1_PNSt15iterator_traitsISK_E10value_typeET2_T3_PNSL_ISQ_E10value_typeET4_T5_PSV_SW_PNS1_23onesweep_lookback_stateEbbT6_jjT7_P12ihipStream_tbENKUlT_T0_SK_SP_E_clISE_SE_SF_SF_EEDaS13_S14_SK_SP_EUlS13_E_NS1_11comp_targetILNS1_3genE9ELNS1_11target_archE1100ELNS1_3gpuE3ELNS1_3repE0EEENS1_47radix_sort_onesweep_sort_config_static_selectorELNS0_4arch9wavefront6targetE0EEEvSK_,"axG",@progbits,_ZN7rocprim17ROCPRIM_400000_NS6detail17trampoline_kernelINS0_14default_configENS1_35radix_sort_onesweep_config_selectorIfNS0_10empty_typeEEEZZNS1_29radix_sort_onesweep_iterationIS3_Lb0EN6thrust23THRUST_200600_302600_NS6detail15normal_iteratorINS9_10device_ptrIfEEEESE_PS5_SF_jNS0_19identity_decomposerENS1_16block_id_wrapperIjLb1EEEEE10hipError_tT1_PNSt15iterator_traitsISK_E10value_typeET2_T3_PNSL_ISQ_E10value_typeET4_T5_PSV_SW_PNS1_23onesweep_lookback_stateEbbT6_jjT7_P12ihipStream_tbENKUlT_T0_SK_SP_E_clISE_SE_SF_SF_EEDaS13_S14_SK_SP_EUlS13_E_NS1_11comp_targetILNS1_3genE9ELNS1_11target_archE1100ELNS1_3gpuE3ELNS1_3repE0EEENS1_47radix_sort_onesweep_sort_config_static_selectorELNS0_4arch9wavefront6targetE0EEEvSK_,comdat
	.protected	_ZN7rocprim17ROCPRIM_400000_NS6detail17trampoline_kernelINS0_14default_configENS1_35radix_sort_onesweep_config_selectorIfNS0_10empty_typeEEEZZNS1_29radix_sort_onesweep_iterationIS3_Lb0EN6thrust23THRUST_200600_302600_NS6detail15normal_iteratorINS9_10device_ptrIfEEEESE_PS5_SF_jNS0_19identity_decomposerENS1_16block_id_wrapperIjLb1EEEEE10hipError_tT1_PNSt15iterator_traitsISK_E10value_typeET2_T3_PNSL_ISQ_E10value_typeET4_T5_PSV_SW_PNS1_23onesweep_lookback_stateEbbT6_jjT7_P12ihipStream_tbENKUlT_T0_SK_SP_E_clISE_SE_SF_SF_EEDaS13_S14_SK_SP_EUlS13_E_NS1_11comp_targetILNS1_3genE9ELNS1_11target_archE1100ELNS1_3gpuE3ELNS1_3repE0EEENS1_47radix_sort_onesweep_sort_config_static_selectorELNS0_4arch9wavefront6targetE0EEEvSK_ ; -- Begin function _ZN7rocprim17ROCPRIM_400000_NS6detail17trampoline_kernelINS0_14default_configENS1_35radix_sort_onesweep_config_selectorIfNS0_10empty_typeEEEZZNS1_29radix_sort_onesweep_iterationIS3_Lb0EN6thrust23THRUST_200600_302600_NS6detail15normal_iteratorINS9_10device_ptrIfEEEESE_PS5_SF_jNS0_19identity_decomposerENS1_16block_id_wrapperIjLb1EEEEE10hipError_tT1_PNSt15iterator_traitsISK_E10value_typeET2_T3_PNSL_ISQ_E10value_typeET4_T5_PSV_SW_PNS1_23onesweep_lookback_stateEbbT6_jjT7_P12ihipStream_tbENKUlT_T0_SK_SP_E_clISE_SE_SF_SF_EEDaS13_S14_SK_SP_EUlS13_E_NS1_11comp_targetILNS1_3genE9ELNS1_11target_archE1100ELNS1_3gpuE3ELNS1_3repE0EEENS1_47radix_sort_onesweep_sort_config_static_selectorELNS0_4arch9wavefront6targetE0EEEvSK_
	.globl	_ZN7rocprim17ROCPRIM_400000_NS6detail17trampoline_kernelINS0_14default_configENS1_35radix_sort_onesweep_config_selectorIfNS0_10empty_typeEEEZZNS1_29radix_sort_onesweep_iterationIS3_Lb0EN6thrust23THRUST_200600_302600_NS6detail15normal_iteratorINS9_10device_ptrIfEEEESE_PS5_SF_jNS0_19identity_decomposerENS1_16block_id_wrapperIjLb1EEEEE10hipError_tT1_PNSt15iterator_traitsISK_E10value_typeET2_T3_PNSL_ISQ_E10value_typeET4_T5_PSV_SW_PNS1_23onesweep_lookback_stateEbbT6_jjT7_P12ihipStream_tbENKUlT_T0_SK_SP_E_clISE_SE_SF_SF_EEDaS13_S14_SK_SP_EUlS13_E_NS1_11comp_targetILNS1_3genE9ELNS1_11target_archE1100ELNS1_3gpuE3ELNS1_3repE0EEENS1_47radix_sort_onesweep_sort_config_static_selectorELNS0_4arch9wavefront6targetE0EEEvSK_
	.p2align	8
	.type	_ZN7rocprim17ROCPRIM_400000_NS6detail17trampoline_kernelINS0_14default_configENS1_35radix_sort_onesweep_config_selectorIfNS0_10empty_typeEEEZZNS1_29radix_sort_onesweep_iterationIS3_Lb0EN6thrust23THRUST_200600_302600_NS6detail15normal_iteratorINS9_10device_ptrIfEEEESE_PS5_SF_jNS0_19identity_decomposerENS1_16block_id_wrapperIjLb1EEEEE10hipError_tT1_PNSt15iterator_traitsISK_E10value_typeET2_T3_PNSL_ISQ_E10value_typeET4_T5_PSV_SW_PNS1_23onesweep_lookback_stateEbbT6_jjT7_P12ihipStream_tbENKUlT_T0_SK_SP_E_clISE_SE_SF_SF_EEDaS13_S14_SK_SP_EUlS13_E_NS1_11comp_targetILNS1_3genE9ELNS1_11target_archE1100ELNS1_3gpuE3ELNS1_3repE0EEENS1_47radix_sort_onesweep_sort_config_static_selectorELNS0_4arch9wavefront6targetE0EEEvSK_,@function
_ZN7rocprim17ROCPRIM_400000_NS6detail17trampoline_kernelINS0_14default_configENS1_35radix_sort_onesweep_config_selectorIfNS0_10empty_typeEEEZZNS1_29radix_sort_onesweep_iterationIS3_Lb0EN6thrust23THRUST_200600_302600_NS6detail15normal_iteratorINS9_10device_ptrIfEEEESE_PS5_SF_jNS0_19identity_decomposerENS1_16block_id_wrapperIjLb1EEEEE10hipError_tT1_PNSt15iterator_traitsISK_E10value_typeET2_T3_PNSL_ISQ_E10value_typeET4_T5_PSV_SW_PNS1_23onesweep_lookback_stateEbbT6_jjT7_P12ihipStream_tbENKUlT_T0_SK_SP_E_clISE_SE_SF_SF_EEDaS13_S14_SK_SP_EUlS13_E_NS1_11comp_targetILNS1_3genE9ELNS1_11target_archE1100ELNS1_3gpuE3ELNS1_3repE0EEENS1_47radix_sort_onesweep_sort_config_static_selectorELNS0_4arch9wavefront6targetE0EEEvSK_: ; @_ZN7rocprim17ROCPRIM_400000_NS6detail17trampoline_kernelINS0_14default_configENS1_35radix_sort_onesweep_config_selectorIfNS0_10empty_typeEEEZZNS1_29radix_sort_onesweep_iterationIS3_Lb0EN6thrust23THRUST_200600_302600_NS6detail15normal_iteratorINS9_10device_ptrIfEEEESE_PS5_SF_jNS0_19identity_decomposerENS1_16block_id_wrapperIjLb1EEEEE10hipError_tT1_PNSt15iterator_traitsISK_E10value_typeET2_T3_PNSL_ISQ_E10value_typeET4_T5_PSV_SW_PNS1_23onesweep_lookback_stateEbbT6_jjT7_P12ihipStream_tbENKUlT_T0_SK_SP_E_clISE_SE_SF_SF_EEDaS13_S14_SK_SP_EUlS13_E_NS1_11comp_targetILNS1_3genE9ELNS1_11target_archE1100ELNS1_3gpuE3ELNS1_3repE0EEENS1_47radix_sort_onesweep_sort_config_static_selectorELNS0_4arch9wavefront6targetE0EEEvSK_
; %bb.0:
	.section	.rodata,"a",@progbits
	.p2align	6, 0x0
	.amdhsa_kernel _ZN7rocprim17ROCPRIM_400000_NS6detail17trampoline_kernelINS0_14default_configENS1_35radix_sort_onesweep_config_selectorIfNS0_10empty_typeEEEZZNS1_29radix_sort_onesweep_iterationIS3_Lb0EN6thrust23THRUST_200600_302600_NS6detail15normal_iteratorINS9_10device_ptrIfEEEESE_PS5_SF_jNS0_19identity_decomposerENS1_16block_id_wrapperIjLb1EEEEE10hipError_tT1_PNSt15iterator_traitsISK_E10value_typeET2_T3_PNSL_ISQ_E10value_typeET4_T5_PSV_SW_PNS1_23onesweep_lookback_stateEbbT6_jjT7_P12ihipStream_tbENKUlT_T0_SK_SP_E_clISE_SE_SF_SF_EEDaS13_S14_SK_SP_EUlS13_E_NS1_11comp_targetILNS1_3genE9ELNS1_11target_archE1100ELNS1_3gpuE3ELNS1_3repE0EEENS1_47radix_sort_onesweep_sort_config_static_selectorELNS0_4arch9wavefront6targetE0EEEvSK_
		.amdhsa_group_segment_fixed_size 0
		.amdhsa_private_segment_fixed_size 0
		.amdhsa_kernarg_size 88
		.amdhsa_user_sgpr_count 6
		.amdhsa_user_sgpr_private_segment_buffer 1
		.amdhsa_user_sgpr_dispatch_ptr 0
		.amdhsa_user_sgpr_queue_ptr 0
		.amdhsa_user_sgpr_kernarg_segment_ptr 1
		.amdhsa_user_sgpr_dispatch_id 0
		.amdhsa_user_sgpr_flat_scratch_init 0
		.amdhsa_user_sgpr_private_segment_size 0
		.amdhsa_wavefront_size32 1
		.amdhsa_uses_dynamic_stack 0
		.amdhsa_system_sgpr_private_segment_wavefront_offset 0
		.amdhsa_system_sgpr_workgroup_id_x 1
		.amdhsa_system_sgpr_workgroup_id_y 0
		.amdhsa_system_sgpr_workgroup_id_z 0
		.amdhsa_system_sgpr_workgroup_info 0
		.amdhsa_system_vgpr_workitem_id 0
		.amdhsa_next_free_vgpr 1
		.amdhsa_next_free_sgpr 1
		.amdhsa_reserve_vcc 0
		.amdhsa_reserve_flat_scratch 0
		.amdhsa_float_round_mode_32 0
		.amdhsa_float_round_mode_16_64 0
		.amdhsa_float_denorm_mode_32 3
		.amdhsa_float_denorm_mode_16_64 3
		.amdhsa_dx10_clamp 1
		.amdhsa_ieee_mode 1
		.amdhsa_fp16_overflow 0
		.amdhsa_workgroup_processor_mode 1
		.amdhsa_memory_ordered 1
		.amdhsa_forward_progress 1
		.amdhsa_shared_vgpr_count 0
		.amdhsa_exception_fp_ieee_invalid_op 0
		.amdhsa_exception_fp_denorm_src 0
		.amdhsa_exception_fp_ieee_div_zero 0
		.amdhsa_exception_fp_ieee_overflow 0
		.amdhsa_exception_fp_ieee_underflow 0
		.amdhsa_exception_fp_ieee_inexact 0
		.amdhsa_exception_int_div_zero 0
	.end_amdhsa_kernel
	.section	.text._ZN7rocprim17ROCPRIM_400000_NS6detail17trampoline_kernelINS0_14default_configENS1_35radix_sort_onesweep_config_selectorIfNS0_10empty_typeEEEZZNS1_29radix_sort_onesweep_iterationIS3_Lb0EN6thrust23THRUST_200600_302600_NS6detail15normal_iteratorINS9_10device_ptrIfEEEESE_PS5_SF_jNS0_19identity_decomposerENS1_16block_id_wrapperIjLb1EEEEE10hipError_tT1_PNSt15iterator_traitsISK_E10value_typeET2_T3_PNSL_ISQ_E10value_typeET4_T5_PSV_SW_PNS1_23onesweep_lookback_stateEbbT6_jjT7_P12ihipStream_tbENKUlT_T0_SK_SP_E_clISE_SE_SF_SF_EEDaS13_S14_SK_SP_EUlS13_E_NS1_11comp_targetILNS1_3genE9ELNS1_11target_archE1100ELNS1_3gpuE3ELNS1_3repE0EEENS1_47radix_sort_onesweep_sort_config_static_selectorELNS0_4arch9wavefront6targetE0EEEvSK_,"axG",@progbits,_ZN7rocprim17ROCPRIM_400000_NS6detail17trampoline_kernelINS0_14default_configENS1_35radix_sort_onesweep_config_selectorIfNS0_10empty_typeEEEZZNS1_29radix_sort_onesweep_iterationIS3_Lb0EN6thrust23THRUST_200600_302600_NS6detail15normal_iteratorINS9_10device_ptrIfEEEESE_PS5_SF_jNS0_19identity_decomposerENS1_16block_id_wrapperIjLb1EEEEE10hipError_tT1_PNSt15iterator_traitsISK_E10value_typeET2_T3_PNSL_ISQ_E10value_typeET4_T5_PSV_SW_PNS1_23onesweep_lookback_stateEbbT6_jjT7_P12ihipStream_tbENKUlT_T0_SK_SP_E_clISE_SE_SF_SF_EEDaS13_S14_SK_SP_EUlS13_E_NS1_11comp_targetILNS1_3genE9ELNS1_11target_archE1100ELNS1_3gpuE3ELNS1_3repE0EEENS1_47radix_sort_onesweep_sort_config_static_selectorELNS0_4arch9wavefront6targetE0EEEvSK_,comdat
.Lfunc_end566:
	.size	_ZN7rocprim17ROCPRIM_400000_NS6detail17trampoline_kernelINS0_14default_configENS1_35radix_sort_onesweep_config_selectorIfNS0_10empty_typeEEEZZNS1_29radix_sort_onesweep_iterationIS3_Lb0EN6thrust23THRUST_200600_302600_NS6detail15normal_iteratorINS9_10device_ptrIfEEEESE_PS5_SF_jNS0_19identity_decomposerENS1_16block_id_wrapperIjLb1EEEEE10hipError_tT1_PNSt15iterator_traitsISK_E10value_typeET2_T3_PNSL_ISQ_E10value_typeET4_T5_PSV_SW_PNS1_23onesweep_lookback_stateEbbT6_jjT7_P12ihipStream_tbENKUlT_T0_SK_SP_E_clISE_SE_SF_SF_EEDaS13_S14_SK_SP_EUlS13_E_NS1_11comp_targetILNS1_3genE9ELNS1_11target_archE1100ELNS1_3gpuE3ELNS1_3repE0EEENS1_47radix_sort_onesweep_sort_config_static_selectorELNS0_4arch9wavefront6targetE0EEEvSK_, .Lfunc_end566-_ZN7rocprim17ROCPRIM_400000_NS6detail17trampoline_kernelINS0_14default_configENS1_35radix_sort_onesweep_config_selectorIfNS0_10empty_typeEEEZZNS1_29radix_sort_onesweep_iterationIS3_Lb0EN6thrust23THRUST_200600_302600_NS6detail15normal_iteratorINS9_10device_ptrIfEEEESE_PS5_SF_jNS0_19identity_decomposerENS1_16block_id_wrapperIjLb1EEEEE10hipError_tT1_PNSt15iterator_traitsISK_E10value_typeET2_T3_PNSL_ISQ_E10value_typeET4_T5_PSV_SW_PNS1_23onesweep_lookback_stateEbbT6_jjT7_P12ihipStream_tbENKUlT_T0_SK_SP_E_clISE_SE_SF_SF_EEDaS13_S14_SK_SP_EUlS13_E_NS1_11comp_targetILNS1_3genE9ELNS1_11target_archE1100ELNS1_3gpuE3ELNS1_3repE0EEENS1_47radix_sort_onesweep_sort_config_static_selectorELNS0_4arch9wavefront6targetE0EEEvSK_
                                        ; -- End function
	.set _ZN7rocprim17ROCPRIM_400000_NS6detail17trampoline_kernelINS0_14default_configENS1_35radix_sort_onesweep_config_selectorIfNS0_10empty_typeEEEZZNS1_29radix_sort_onesweep_iterationIS3_Lb0EN6thrust23THRUST_200600_302600_NS6detail15normal_iteratorINS9_10device_ptrIfEEEESE_PS5_SF_jNS0_19identity_decomposerENS1_16block_id_wrapperIjLb1EEEEE10hipError_tT1_PNSt15iterator_traitsISK_E10value_typeET2_T3_PNSL_ISQ_E10value_typeET4_T5_PSV_SW_PNS1_23onesweep_lookback_stateEbbT6_jjT7_P12ihipStream_tbENKUlT_T0_SK_SP_E_clISE_SE_SF_SF_EEDaS13_S14_SK_SP_EUlS13_E_NS1_11comp_targetILNS1_3genE9ELNS1_11target_archE1100ELNS1_3gpuE3ELNS1_3repE0EEENS1_47radix_sort_onesweep_sort_config_static_selectorELNS0_4arch9wavefront6targetE0EEEvSK_.num_vgpr, 0
	.set _ZN7rocprim17ROCPRIM_400000_NS6detail17trampoline_kernelINS0_14default_configENS1_35radix_sort_onesweep_config_selectorIfNS0_10empty_typeEEEZZNS1_29radix_sort_onesweep_iterationIS3_Lb0EN6thrust23THRUST_200600_302600_NS6detail15normal_iteratorINS9_10device_ptrIfEEEESE_PS5_SF_jNS0_19identity_decomposerENS1_16block_id_wrapperIjLb1EEEEE10hipError_tT1_PNSt15iterator_traitsISK_E10value_typeET2_T3_PNSL_ISQ_E10value_typeET4_T5_PSV_SW_PNS1_23onesweep_lookback_stateEbbT6_jjT7_P12ihipStream_tbENKUlT_T0_SK_SP_E_clISE_SE_SF_SF_EEDaS13_S14_SK_SP_EUlS13_E_NS1_11comp_targetILNS1_3genE9ELNS1_11target_archE1100ELNS1_3gpuE3ELNS1_3repE0EEENS1_47radix_sort_onesweep_sort_config_static_selectorELNS0_4arch9wavefront6targetE0EEEvSK_.num_agpr, 0
	.set _ZN7rocprim17ROCPRIM_400000_NS6detail17trampoline_kernelINS0_14default_configENS1_35radix_sort_onesweep_config_selectorIfNS0_10empty_typeEEEZZNS1_29radix_sort_onesweep_iterationIS3_Lb0EN6thrust23THRUST_200600_302600_NS6detail15normal_iteratorINS9_10device_ptrIfEEEESE_PS5_SF_jNS0_19identity_decomposerENS1_16block_id_wrapperIjLb1EEEEE10hipError_tT1_PNSt15iterator_traitsISK_E10value_typeET2_T3_PNSL_ISQ_E10value_typeET4_T5_PSV_SW_PNS1_23onesweep_lookback_stateEbbT6_jjT7_P12ihipStream_tbENKUlT_T0_SK_SP_E_clISE_SE_SF_SF_EEDaS13_S14_SK_SP_EUlS13_E_NS1_11comp_targetILNS1_3genE9ELNS1_11target_archE1100ELNS1_3gpuE3ELNS1_3repE0EEENS1_47radix_sort_onesweep_sort_config_static_selectorELNS0_4arch9wavefront6targetE0EEEvSK_.numbered_sgpr, 0
	.set _ZN7rocprim17ROCPRIM_400000_NS6detail17trampoline_kernelINS0_14default_configENS1_35radix_sort_onesweep_config_selectorIfNS0_10empty_typeEEEZZNS1_29radix_sort_onesweep_iterationIS3_Lb0EN6thrust23THRUST_200600_302600_NS6detail15normal_iteratorINS9_10device_ptrIfEEEESE_PS5_SF_jNS0_19identity_decomposerENS1_16block_id_wrapperIjLb1EEEEE10hipError_tT1_PNSt15iterator_traitsISK_E10value_typeET2_T3_PNSL_ISQ_E10value_typeET4_T5_PSV_SW_PNS1_23onesweep_lookback_stateEbbT6_jjT7_P12ihipStream_tbENKUlT_T0_SK_SP_E_clISE_SE_SF_SF_EEDaS13_S14_SK_SP_EUlS13_E_NS1_11comp_targetILNS1_3genE9ELNS1_11target_archE1100ELNS1_3gpuE3ELNS1_3repE0EEENS1_47radix_sort_onesweep_sort_config_static_selectorELNS0_4arch9wavefront6targetE0EEEvSK_.num_named_barrier, 0
	.set _ZN7rocprim17ROCPRIM_400000_NS6detail17trampoline_kernelINS0_14default_configENS1_35radix_sort_onesweep_config_selectorIfNS0_10empty_typeEEEZZNS1_29radix_sort_onesweep_iterationIS3_Lb0EN6thrust23THRUST_200600_302600_NS6detail15normal_iteratorINS9_10device_ptrIfEEEESE_PS5_SF_jNS0_19identity_decomposerENS1_16block_id_wrapperIjLb1EEEEE10hipError_tT1_PNSt15iterator_traitsISK_E10value_typeET2_T3_PNSL_ISQ_E10value_typeET4_T5_PSV_SW_PNS1_23onesweep_lookback_stateEbbT6_jjT7_P12ihipStream_tbENKUlT_T0_SK_SP_E_clISE_SE_SF_SF_EEDaS13_S14_SK_SP_EUlS13_E_NS1_11comp_targetILNS1_3genE9ELNS1_11target_archE1100ELNS1_3gpuE3ELNS1_3repE0EEENS1_47radix_sort_onesweep_sort_config_static_selectorELNS0_4arch9wavefront6targetE0EEEvSK_.private_seg_size, 0
	.set _ZN7rocprim17ROCPRIM_400000_NS6detail17trampoline_kernelINS0_14default_configENS1_35radix_sort_onesweep_config_selectorIfNS0_10empty_typeEEEZZNS1_29radix_sort_onesweep_iterationIS3_Lb0EN6thrust23THRUST_200600_302600_NS6detail15normal_iteratorINS9_10device_ptrIfEEEESE_PS5_SF_jNS0_19identity_decomposerENS1_16block_id_wrapperIjLb1EEEEE10hipError_tT1_PNSt15iterator_traitsISK_E10value_typeET2_T3_PNSL_ISQ_E10value_typeET4_T5_PSV_SW_PNS1_23onesweep_lookback_stateEbbT6_jjT7_P12ihipStream_tbENKUlT_T0_SK_SP_E_clISE_SE_SF_SF_EEDaS13_S14_SK_SP_EUlS13_E_NS1_11comp_targetILNS1_3genE9ELNS1_11target_archE1100ELNS1_3gpuE3ELNS1_3repE0EEENS1_47radix_sort_onesweep_sort_config_static_selectorELNS0_4arch9wavefront6targetE0EEEvSK_.uses_vcc, 0
	.set _ZN7rocprim17ROCPRIM_400000_NS6detail17trampoline_kernelINS0_14default_configENS1_35radix_sort_onesweep_config_selectorIfNS0_10empty_typeEEEZZNS1_29radix_sort_onesweep_iterationIS3_Lb0EN6thrust23THRUST_200600_302600_NS6detail15normal_iteratorINS9_10device_ptrIfEEEESE_PS5_SF_jNS0_19identity_decomposerENS1_16block_id_wrapperIjLb1EEEEE10hipError_tT1_PNSt15iterator_traitsISK_E10value_typeET2_T3_PNSL_ISQ_E10value_typeET4_T5_PSV_SW_PNS1_23onesweep_lookback_stateEbbT6_jjT7_P12ihipStream_tbENKUlT_T0_SK_SP_E_clISE_SE_SF_SF_EEDaS13_S14_SK_SP_EUlS13_E_NS1_11comp_targetILNS1_3genE9ELNS1_11target_archE1100ELNS1_3gpuE3ELNS1_3repE0EEENS1_47radix_sort_onesweep_sort_config_static_selectorELNS0_4arch9wavefront6targetE0EEEvSK_.uses_flat_scratch, 0
	.set _ZN7rocprim17ROCPRIM_400000_NS6detail17trampoline_kernelINS0_14default_configENS1_35radix_sort_onesweep_config_selectorIfNS0_10empty_typeEEEZZNS1_29radix_sort_onesweep_iterationIS3_Lb0EN6thrust23THRUST_200600_302600_NS6detail15normal_iteratorINS9_10device_ptrIfEEEESE_PS5_SF_jNS0_19identity_decomposerENS1_16block_id_wrapperIjLb1EEEEE10hipError_tT1_PNSt15iterator_traitsISK_E10value_typeET2_T3_PNSL_ISQ_E10value_typeET4_T5_PSV_SW_PNS1_23onesweep_lookback_stateEbbT6_jjT7_P12ihipStream_tbENKUlT_T0_SK_SP_E_clISE_SE_SF_SF_EEDaS13_S14_SK_SP_EUlS13_E_NS1_11comp_targetILNS1_3genE9ELNS1_11target_archE1100ELNS1_3gpuE3ELNS1_3repE0EEENS1_47radix_sort_onesweep_sort_config_static_selectorELNS0_4arch9wavefront6targetE0EEEvSK_.has_dyn_sized_stack, 0
	.set _ZN7rocprim17ROCPRIM_400000_NS6detail17trampoline_kernelINS0_14default_configENS1_35radix_sort_onesweep_config_selectorIfNS0_10empty_typeEEEZZNS1_29radix_sort_onesweep_iterationIS3_Lb0EN6thrust23THRUST_200600_302600_NS6detail15normal_iteratorINS9_10device_ptrIfEEEESE_PS5_SF_jNS0_19identity_decomposerENS1_16block_id_wrapperIjLb1EEEEE10hipError_tT1_PNSt15iterator_traitsISK_E10value_typeET2_T3_PNSL_ISQ_E10value_typeET4_T5_PSV_SW_PNS1_23onesweep_lookback_stateEbbT6_jjT7_P12ihipStream_tbENKUlT_T0_SK_SP_E_clISE_SE_SF_SF_EEDaS13_S14_SK_SP_EUlS13_E_NS1_11comp_targetILNS1_3genE9ELNS1_11target_archE1100ELNS1_3gpuE3ELNS1_3repE0EEENS1_47radix_sort_onesweep_sort_config_static_selectorELNS0_4arch9wavefront6targetE0EEEvSK_.has_recursion, 0
	.set _ZN7rocprim17ROCPRIM_400000_NS6detail17trampoline_kernelINS0_14default_configENS1_35radix_sort_onesweep_config_selectorIfNS0_10empty_typeEEEZZNS1_29radix_sort_onesweep_iterationIS3_Lb0EN6thrust23THRUST_200600_302600_NS6detail15normal_iteratorINS9_10device_ptrIfEEEESE_PS5_SF_jNS0_19identity_decomposerENS1_16block_id_wrapperIjLb1EEEEE10hipError_tT1_PNSt15iterator_traitsISK_E10value_typeET2_T3_PNSL_ISQ_E10value_typeET4_T5_PSV_SW_PNS1_23onesweep_lookback_stateEbbT6_jjT7_P12ihipStream_tbENKUlT_T0_SK_SP_E_clISE_SE_SF_SF_EEDaS13_S14_SK_SP_EUlS13_E_NS1_11comp_targetILNS1_3genE9ELNS1_11target_archE1100ELNS1_3gpuE3ELNS1_3repE0EEENS1_47radix_sort_onesweep_sort_config_static_selectorELNS0_4arch9wavefront6targetE0EEEvSK_.has_indirect_call, 0
	.section	.AMDGPU.csdata,"",@progbits
; Kernel info:
; codeLenInByte = 0
; TotalNumSgprs: 0
; NumVgprs: 0
; ScratchSize: 0
; MemoryBound: 0
; FloatMode: 240
; IeeeMode: 1
; LDSByteSize: 0 bytes/workgroup (compile time only)
; SGPRBlocks: 0
; VGPRBlocks: 0
; NumSGPRsForWavesPerEU: 1
; NumVGPRsForWavesPerEU: 1
; Occupancy: 16
; WaveLimiterHint : 0
; COMPUTE_PGM_RSRC2:SCRATCH_EN: 0
; COMPUTE_PGM_RSRC2:USER_SGPR: 6
; COMPUTE_PGM_RSRC2:TRAP_HANDLER: 0
; COMPUTE_PGM_RSRC2:TGID_X_EN: 1
; COMPUTE_PGM_RSRC2:TGID_Y_EN: 0
; COMPUTE_PGM_RSRC2:TGID_Z_EN: 0
; COMPUTE_PGM_RSRC2:TIDIG_COMP_CNT: 0
	.section	.text._ZN7rocprim17ROCPRIM_400000_NS6detail17trampoline_kernelINS0_14default_configENS1_35radix_sort_onesweep_config_selectorIfNS0_10empty_typeEEEZZNS1_29radix_sort_onesweep_iterationIS3_Lb0EN6thrust23THRUST_200600_302600_NS6detail15normal_iteratorINS9_10device_ptrIfEEEESE_PS5_SF_jNS0_19identity_decomposerENS1_16block_id_wrapperIjLb1EEEEE10hipError_tT1_PNSt15iterator_traitsISK_E10value_typeET2_T3_PNSL_ISQ_E10value_typeET4_T5_PSV_SW_PNS1_23onesweep_lookback_stateEbbT6_jjT7_P12ihipStream_tbENKUlT_T0_SK_SP_E_clISE_SE_SF_SF_EEDaS13_S14_SK_SP_EUlS13_E_NS1_11comp_targetILNS1_3genE8ELNS1_11target_archE1030ELNS1_3gpuE2ELNS1_3repE0EEENS1_47radix_sort_onesweep_sort_config_static_selectorELNS0_4arch9wavefront6targetE0EEEvSK_,"axG",@progbits,_ZN7rocprim17ROCPRIM_400000_NS6detail17trampoline_kernelINS0_14default_configENS1_35radix_sort_onesweep_config_selectorIfNS0_10empty_typeEEEZZNS1_29radix_sort_onesweep_iterationIS3_Lb0EN6thrust23THRUST_200600_302600_NS6detail15normal_iteratorINS9_10device_ptrIfEEEESE_PS5_SF_jNS0_19identity_decomposerENS1_16block_id_wrapperIjLb1EEEEE10hipError_tT1_PNSt15iterator_traitsISK_E10value_typeET2_T3_PNSL_ISQ_E10value_typeET4_T5_PSV_SW_PNS1_23onesweep_lookback_stateEbbT6_jjT7_P12ihipStream_tbENKUlT_T0_SK_SP_E_clISE_SE_SF_SF_EEDaS13_S14_SK_SP_EUlS13_E_NS1_11comp_targetILNS1_3genE8ELNS1_11target_archE1030ELNS1_3gpuE2ELNS1_3repE0EEENS1_47radix_sort_onesweep_sort_config_static_selectorELNS0_4arch9wavefront6targetE0EEEvSK_,comdat
	.protected	_ZN7rocprim17ROCPRIM_400000_NS6detail17trampoline_kernelINS0_14default_configENS1_35radix_sort_onesweep_config_selectorIfNS0_10empty_typeEEEZZNS1_29radix_sort_onesweep_iterationIS3_Lb0EN6thrust23THRUST_200600_302600_NS6detail15normal_iteratorINS9_10device_ptrIfEEEESE_PS5_SF_jNS0_19identity_decomposerENS1_16block_id_wrapperIjLb1EEEEE10hipError_tT1_PNSt15iterator_traitsISK_E10value_typeET2_T3_PNSL_ISQ_E10value_typeET4_T5_PSV_SW_PNS1_23onesweep_lookback_stateEbbT6_jjT7_P12ihipStream_tbENKUlT_T0_SK_SP_E_clISE_SE_SF_SF_EEDaS13_S14_SK_SP_EUlS13_E_NS1_11comp_targetILNS1_3genE8ELNS1_11target_archE1030ELNS1_3gpuE2ELNS1_3repE0EEENS1_47radix_sort_onesweep_sort_config_static_selectorELNS0_4arch9wavefront6targetE0EEEvSK_ ; -- Begin function _ZN7rocprim17ROCPRIM_400000_NS6detail17trampoline_kernelINS0_14default_configENS1_35radix_sort_onesweep_config_selectorIfNS0_10empty_typeEEEZZNS1_29radix_sort_onesweep_iterationIS3_Lb0EN6thrust23THRUST_200600_302600_NS6detail15normal_iteratorINS9_10device_ptrIfEEEESE_PS5_SF_jNS0_19identity_decomposerENS1_16block_id_wrapperIjLb1EEEEE10hipError_tT1_PNSt15iterator_traitsISK_E10value_typeET2_T3_PNSL_ISQ_E10value_typeET4_T5_PSV_SW_PNS1_23onesweep_lookback_stateEbbT6_jjT7_P12ihipStream_tbENKUlT_T0_SK_SP_E_clISE_SE_SF_SF_EEDaS13_S14_SK_SP_EUlS13_E_NS1_11comp_targetILNS1_3genE8ELNS1_11target_archE1030ELNS1_3gpuE2ELNS1_3repE0EEENS1_47radix_sort_onesweep_sort_config_static_selectorELNS0_4arch9wavefront6targetE0EEEvSK_
	.globl	_ZN7rocprim17ROCPRIM_400000_NS6detail17trampoline_kernelINS0_14default_configENS1_35radix_sort_onesweep_config_selectorIfNS0_10empty_typeEEEZZNS1_29radix_sort_onesweep_iterationIS3_Lb0EN6thrust23THRUST_200600_302600_NS6detail15normal_iteratorINS9_10device_ptrIfEEEESE_PS5_SF_jNS0_19identity_decomposerENS1_16block_id_wrapperIjLb1EEEEE10hipError_tT1_PNSt15iterator_traitsISK_E10value_typeET2_T3_PNSL_ISQ_E10value_typeET4_T5_PSV_SW_PNS1_23onesweep_lookback_stateEbbT6_jjT7_P12ihipStream_tbENKUlT_T0_SK_SP_E_clISE_SE_SF_SF_EEDaS13_S14_SK_SP_EUlS13_E_NS1_11comp_targetILNS1_3genE8ELNS1_11target_archE1030ELNS1_3gpuE2ELNS1_3repE0EEENS1_47radix_sort_onesweep_sort_config_static_selectorELNS0_4arch9wavefront6targetE0EEEvSK_
	.p2align	8
	.type	_ZN7rocprim17ROCPRIM_400000_NS6detail17trampoline_kernelINS0_14default_configENS1_35radix_sort_onesweep_config_selectorIfNS0_10empty_typeEEEZZNS1_29radix_sort_onesweep_iterationIS3_Lb0EN6thrust23THRUST_200600_302600_NS6detail15normal_iteratorINS9_10device_ptrIfEEEESE_PS5_SF_jNS0_19identity_decomposerENS1_16block_id_wrapperIjLb1EEEEE10hipError_tT1_PNSt15iterator_traitsISK_E10value_typeET2_T3_PNSL_ISQ_E10value_typeET4_T5_PSV_SW_PNS1_23onesweep_lookback_stateEbbT6_jjT7_P12ihipStream_tbENKUlT_T0_SK_SP_E_clISE_SE_SF_SF_EEDaS13_S14_SK_SP_EUlS13_E_NS1_11comp_targetILNS1_3genE8ELNS1_11target_archE1030ELNS1_3gpuE2ELNS1_3repE0EEENS1_47radix_sort_onesweep_sort_config_static_selectorELNS0_4arch9wavefront6targetE0EEEvSK_,@function
_ZN7rocprim17ROCPRIM_400000_NS6detail17trampoline_kernelINS0_14default_configENS1_35radix_sort_onesweep_config_selectorIfNS0_10empty_typeEEEZZNS1_29radix_sort_onesweep_iterationIS3_Lb0EN6thrust23THRUST_200600_302600_NS6detail15normal_iteratorINS9_10device_ptrIfEEEESE_PS5_SF_jNS0_19identity_decomposerENS1_16block_id_wrapperIjLb1EEEEE10hipError_tT1_PNSt15iterator_traitsISK_E10value_typeET2_T3_PNSL_ISQ_E10value_typeET4_T5_PSV_SW_PNS1_23onesweep_lookback_stateEbbT6_jjT7_P12ihipStream_tbENKUlT_T0_SK_SP_E_clISE_SE_SF_SF_EEDaS13_S14_SK_SP_EUlS13_E_NS1_11comp_targetILNS1_3genE8ELNS1_11target_archE1030ELNS1_3gpuE2ELNS1_3repE0EEENS1_47radix_sort_onesweep_sort_config_static_selectorELNS0_4arch9wavefront6targetE0EEEvSK_: ; @_ZN7rocprim17ROCPRIM_400000_NS6detail17trampoline_kernelINS0_14default_configENS1_35radix_sort_onesweep_config_selectorIfNS0_10empty_typeEEEZZNS1_29radix_sort_onesweep_iterationIS3_Lb0EN6thrust23THRUST_200600_302600_NS6detail15normal_iteratorINS9_10device_ptrIfEEEESE_PS5_SF_jNS0_19identity_decomposerENS1_16block_id_wrapperIjLb1EEEEE10hipError_tT1_PNSt15iterator_traitsISK_E10value_typeET2_T3_PNSL_ISQ_E10value_typeET4_T5_PSV_SW_PNS1_23onesweep_lookback_stateEbbT6_jjT7_P12ihipStream_tbENKUlT_T0_SK_SP_E_clISE_SE_SF_SF_EEDaS13_S14_SK_SP_EUlS13_E_NS1_11comp_targetILNS1_3genE8ELNS1_11target_archE1030ELNS1_3gpuE2ELNS1_3repE0EEENS1_47radix_sort_onesweep_sort_config_static_selectorELNS0_4arch9wavefront6targetE0EEEvSK_
; %bb.0:
	s_clause 0x2
	s_load_dwordx4 s[12:15], s[4:5], 0x28
	s_load_dwordx2 s[10:11], s[4:5], 0x38
	s_load_dwordx4 s[20:23], s[4:5], 0x44
	v_cmp_eq_u32_e64 s0, 0, v0
	s_and_saveexec_b32 s1, s0
	s_cbranch_execz .LBB567_4
; %bb.1:
	s_mov_b32 s3, exec_lo
	s_mov_b32 s2, exec_lo
	v_mbcnt_lo_u32_b32 v3, s3, 0
                                        ; implicit-def: $vgpr4
	v_cmpx_eq_u32_e32 0, v3
	s_cbranch_execz .LBB567_3
; %bb.2:
	s_load_dwordx2 s[8:9], s[4:5], 0x50
	s_bcnt1_i32_b32 s3, s3
	v_mov_b32_e32 v4, 0
	v_mov_b32_e32 v5, s3
	s_waitcnt lgkmcnt(0)
	global_atomic_add v4, v4, v5, s[8:9] glc
.LBB567_3:
	s_or_b32 exec_lo, exec_lo, s2
	s_waitcnt vmcnt(0)
	v_readfirstlane_b32 s2, v4
	v_mov_b32_e32 v4, 0
	v_add_nc_u32_e32 v3, s2, v3
	ds_write_b32 v4, v3 offset:36992
.LBB567_4:
	s_or_b32 exec_lo, exec_lo, s1
	v_mov_b32_e32 v3, 0
	s_clause 0x1
	s_load_dwordx4 s[16:19], s[4:5], 0x0
	s_load_dword s1, s[4:5], 0x20
	s_waitcnt lgkmcnt(0)
	s_barrier
	buffer_gl0_inv
	ds_read_b32 v3, v3 offset:36992
	v_mbcnt_lo_u32_b32 v11, -1, 0
	v_and_b32_e32 v12, 0x3e0, v0
	s_mov_b32 s2, -1
	s_waitcnt lgkmcnt(0)
	s_barrier
	buffer_gl0_inv
	v_readfirstlane_b32 s23, v3
	v_cmp_le_u32_e32 vcc_lo, s22, v3
	s_mul_i32 s24, s23, 0x1800
	s_cbranch_vccz .LBB567_64
; %bb.5:
	s_mov_b32 s25, 0
	s_mulk_i32 s22, 0xe800
	v_mul_u32_u24_e32 v3, 6, v12
	v_lshlrev_b32_e32 v4, 2, v11
	s_lshl_b64 s[2:3], s[24:25], 2
	s_add_i32 s22, s22, s1
	s_add_u32 s1, s16, s2
	s_addc_u32 s2, s17, s3
	v_lshlrev_b32_e32 v5, 2, v3
	v_add_co_u32 v4, s1, s1, v4
	v_add_co_ci_u32_e64 v6, null, s2, 0, s1
	v_or_b32_e32 v13, v11, v3
	v_bfrev_b32_e32 v3, -2
	v_add_co_u32 v9, vcc_lo, v4, v5
	v_add_co_ci_u32_e64 v10, null, 0, v6, vcc_lo
	v_mov_b32_e32 v4, v3
	v_mov_b32_e32 v5, v3
	;; [unrolled: 1-line block ×5, first 2 shown]
	s_mov_b32 s1, exec_lo
	v_cmpx_gt_u32_e64 s22, v13
	s_cbranch_execz .LBB567_7
; %bb.6:
	global_load_dword v14, v[9:10], off
	v_mov_b32_e32 v15, v3
	v_mov_b32_e32 v16, v3
	;; [unrolled: 1-line block ×5, first 2 shown]
	s_waitcnt vmcnt(0)
	v_mov_b32_e32 v3, v14
	v_mov_b32_e32 v4, v15
	;; [unrolled: 1-line block ×6, first 2 shown]
.LBB567_7:
	s_or_b32 exec_lo, exec_lo, s1
	v_or_b32_e32 v14, 32, v13
	s_mov_b32 s1, exec_lo
	v_cmpx_gt_u32_e64 s22, v14
	s_cbranch_execz .LBB567_9
; %bb.8:
	global_load_dword v4, v[9:10], off offset:128
.LBB567_9:
	s_or_b32 exec_lo, exec_lo, s1
	v_add_nc_u32_e32 v14, 64, v13
	s_mov_b32 s1, exec_lo
	v_cmpx_gt_u32_e64 s22, v14
	s_cbranch_execz .LBB567_11
; %bb.10:
	global_load_dword v5, v[9:10], off offset:256
.LBB567_11:
	s_or_b32 exec_lo, exec_lo, s1
	v_add_nc_u32_e32 v14, 0x60, v13
	;; [unrolled: 8-line block ×4, first 2 shown]
	s_mov_b32 s1, exec_lo
	v_cmpx_gt_u32_e64 s22, v13
	s_cbranch_execz .LBB567_17
; %bb.16:
	global_load_dword v8, v[9:10], off offset:640
.LBB567_17:
	s_or_b32 exec_lo, exec_lo, s1
	s_clause 0x1
	s_load_dword s1, s[4:5], 0x64
	s_load_dword s25, s[4:5], 0x58
	s_add_u32 s2, s4, 0x58
	s_addc_u32 s3, s5, 0
	v_mov_b32_e32 v10, 0
	v_cmp_lt_i32_e32 vcc_lo, -1, v3
	v_cndmask_b32_e64 v13, -1, 0x80000000, vcc_lo
	v_xor_b32_e32 v13, v13, v3
	v_cmp_ne_u32_e32 vcc_lo, 0x7fffffff, v13
	s_waitcnt lgkmcnt(0)
	s_lshr_b32 s7, s1, 16
	s_cmp_lt_u32 s6, s25
	s_cselect_b32 s1, 12, 18
	v_cndmask_b32_e32 v3, 0x80000000, v13, vcc_lo
	s_add_u32 s2, s2, s1
	s_addc_u32 s3, s3, 0
	s_lshl_b32 s1, -1, s21
	global_load_ushort v9, v10, s[2:3]
	v_lshrrev_b32_e32 v3, s20, v3
	s_not_b32 s26, s1
	v_and_b32_e32 v3, s26, v3
	v_and_b32_e32 v14, 1, v3
	v_lshlrev_b32_e32 v15, 30, v3
	v_lshlrev_b32_e32 v16, 29, v3
	;; [unrolled: 1-line block ×4, first 2 shown]
	v_add_co_u32 v14, s1, v14, -1
	v_cndmask_b32_e64 v17, 0, 1, s1
	v_not_b32_e32 v21, v15
	v_cmp_gt_i32_e64 s1, 0, v15
	v_not_b32_e32 v15, v16
	v_lshlrev_b32_e32 v20, 26, v3
	v_cmp_ne_u32_e32 vcc_lo, 0, v17
	v_ashrrev_i32_e32 v21, 31, v21
	v_lshlrev_b32_e32 v17, 25, v3
	v_ashrrev_i32_e32 v15, 31, v15
	v_xor_b32_e32 v14, vcc_lo, v14
	v_cmp_gt_i32_e32 vcc_lo, 0, v16
	v_not_b32_e32 v16, v18
	v_xor_b32_e32 v21, s1, v21
	v_cmp_gt_i32_e64 s1, 0, v18
	v_and_b32_e32 v14, exec_lo, v14
	v_not_b32_e32 v18, v19
	v_ashrrev_i32_e32 v16, 31, v16
	v_xor_b32_e32 v15, vcc_lo, v15
	v_cmp_gt_i32_e32 vcc_lo, 0, v19
	v_and_b32_e32 v14, v14, v21
	v_not_b32_e32 v19, v20
	v_ashrrev_i32_e32 v18, 31, v18
	v_xor_b32_e32 v16, s1, v16
	v_cmp_gt_i32_e64 s1, 0, v20
	v_and_b32_e32 v14, v14, v15
	v_not_b32_e32 v15, v17
	v_ashrrev_i32_e32 v19, 31, v19
	v_xor_b32_e32 v18, vcc_lo, v18
	v_cmp_gt_i32_e32 vcc_lo, 0, v17
	v_and_b32_e32 v14, v14, v16
	v_lshlrev_b32_e32 v16, 24, v3
	v_ashrrev_i32_e32 v15, 31, v15
	v_xor_b32_e32 v17, s1, v19
	v_and_b32_e32 v14, v14, v18
	v_not_b32_e32 v18, v16
	v_xor_b32_e32 v15, vcc_lo, v15
	v_cmp_gt_i32_e32 vcc_lo, 0, v16
	v_mul_u32_u24_e32 v16, 36, v0
	v_and_b32_e32 v14, v14, v17
	v_mad_u32_u24 v17, v2, s7, v1
	v_ashrrev_i32_e32 v18, 31, v18
	ds_write2_b32 v16, v10, v10 offset0:32 offset1:33
	v_and_b32_e32 v19, v14, v15
	ds_write2_b32 v16, v10, v10 offset0:34 offset1:35
	ds_write2_b32 v16, v10, v10 offset0:36 offset1:37
	;; [unrolled: 1-line block ×3, first 2 shown]
	ds_write_b32 v16, v10 offset:160
	s_waitcnt vmcnt(0) lgkmcnt(0)
	s_barrier
	buffer_gl0_inv
	; wave barrier
	v_mad_u64_u32 v[14:15], null, v17, v9, v[0:1]
	v_xor_b32_e32 v9, vcc_lo, v18
	v_mul_lo_u32 v17, 0x84, v3
	v_and_b32_e32 v9, v19, v9
	v_lshrrev_b32_e32 v14, 3, v14
	v_mbcnt_lo_u32_b32 v15, v9, 0
	v_and_b32_e32 v3, 0x1ffffffc, v14
	v_cmp_ne_u32_e64 s1, 0, v9
	v_cmp_eq_u32_e32 vcc_lo, 0, v15
	v_add_nc_u32_e32 v17, v3, v17
	s_and_b32 s2, s1, vcc_lo
	s_and_saveexec_b32 s1, s2
; %bb.18:
	v_bcnt_u32_b32 v9, v9, 0
	ds_write_b32 v17, v9 offset:128
; %bb.19:
	s_or_b32 exec_lo, exec_lo, s1
	v_cmp_lt_i32_e32 vcc_lo, -1, v4
	; wave barrier
	v_cndmask_b32_e64 v9, -1, 0x80000000, vcc_lo
	v_xor_b32_e32 v14, v9, v4
	v_cmp_ne_u32_e32 vcc_lo, 0x7fffffff, v14
	v_cndmask_b32_e32 v4, 0x80000000, v14, vcc_lo
	v_lshrrev_b32_e32 v4, s20, v4
	v_and_b32_e32 v4, s26, v4
	v_and_b32_e32 v10, 1, v4
	v_lshlrev_b32_e32 v18, 30, v4
	v_lshlrev_b32_e32 v19, 29, v4
	;; [unrolled: 1-line block ×4, first 2 shown]
	v_add_co_u32 v10, s1, v10, -1
	v_cndmask_b32_e64 v21, 0, 1, s1
	v_not_b32_e32 v25, v18
	v_cmp_gt_i32_e64 s1, 0, v18
	v_not_b32_e32 v18, v19
	v_lshlrev_b32_e32 v23, 26, v4
	v_cmp_ne_u32_e32 vcc_lo, 0, v21
	v_ashrrev_i32_e32 v21, 31, v25
	v_lshlrev_b32_e32 v24, 25, v4
	v_ashrrev_i32_e32 v18, 31, v18
	v_mul_lo_u32 v9, 0x84, v4
	v_xor_b32_e32 v10, vcc_lo, v10
	v_cmp_gt_i32_e32 vcc_lo, 0, v19
	v_not_b32_e32 v19, v20
	v_xor_b32_e32 v21, s1, v21
	v_cmp_gt_i32_e64 s1, 0, v20
	v_and_b32_e32 v10, exec_lo, v10
	v_not_b32_e32 v20, v22
	v_ashrrev_i32_e32 v19, 31, v19
	v_xor_b32_e32 v18, vcc_lo, v18
	v_cmp_gt_i32_e32 vcc_lo, 0, v22
	v_and_b32_e32 v10, v10, v21
	v_not_b32_e32 v21, v23
	v_ashrrev_i32_e32 v20, 31, v20
	v_xor_b32_e32 v19, s1, v19
	v_lshlrev_b32_e32 v4, 24, v4
	v_and_b32_e32 v10, v10, v18
	v_cmp_gt_i32_e64 s1, 0, v23
	v_not_b32_e32 v18, v24
	v_ashrrev_i32_e32 v21, 31, v21
	v_xor_b32_e32 v20, vcc_lo, v20
	v_and_b32_e32 v10, v10, v19
	v_cmp_gt_i32_e32 vcc_lo, 0, v24
	v_not_b32_e32 v19, v4
	v_ashrrev_i32_e32 v18, 31, v18
	v_xor_b32_e32 v21, s1, v21
	v_and_b32_e32 v10, v10, v20
	v_cmp_gt_i32_e64 s1, 0, v4
	v_ashrrev_i32_e32 v4, 31, v19
	v_xor_b32_e32 v18, vcc_lo, v18
	v_and_b32_e32 v10, v10, v21
	v_add_nc_u32_e32 v21, v3, v9
	v_xor_b32_e32 v4, s1, v4
	v_and_b32_e32 v9, v10, v18
	ds_read_b32 v19, v21 offset:128
	; wave barrier
	v_and_b32_e32 v4, v9, v4
	v_mbcnt_lo_u32_b32 v20, v4, 0
	v_cmp_ne_u32_e64 s1, 0, v4
	v_cmp_eq_u32_e32 vcc_lo, 0, v20
	s_and_b32 s2, s1, vcc_lo
	s_and_saveexec_b32 s1, s2
	s_cbranch_execz .LBB567_21
; %bb.20:
	s_waitcnt lgkmcnt(0)
	v_bcnt_u32_b32 v4, v4, v19
	ds_write_b32 v21, v4 offset:128
.LBB567_21:
	s_or_b32 exec_lo, exec_lo, s1
	v_cmp_lt_i32_e32 vcc_lo, -1, v5
	; wave barrier
	v_cndmask_b32_e64 v4, -1, 0x80000000, vcc_lo
	v_xor_b32_e32 v18, v4, v5
	v_cmp_ne_u32_e32 vcc_lo, 0x7fffffff, v18
	v_cndmask_b32_e32 v4, 0x80000000, v18, vcc_lo
	v_lshrrev_b32_e32 v4, s20, v4
	v_and_b32_e32 v4, s26, v4
	v_and_b32_e32 v9, 1, v4
	v_lshlrev_b32_e32 v10, 30, v4
	v_lshlrev_b32_e32 v22, 29, v4
	;; [unrolled: 1-line block ×4, first 2 shown]
	v_add_co_u32 v9, s1, v9, -1
	v_cndmask_b32_e64 v24, 0, 1, s1
	v_not_b32_e32 v28, v10
	v_cmp_gt_i32_e64 s1, 0, v10
	v_not_b32_e32 v10, v22
	v_lshlrev_b32_e32 v26, 26, v4
	v_cmp_ne_u32_e32 vcc_lo, 0, v24
	v_ashrrev_i32_e32 v24, 31, v28
	v_lshlrev_b32_e32 v27, 25, v4
	v_ashrrev_i32_e32 v10, 31, v10
	v_mul_lo_u32 v5, 0x84, v4
	v_xor_b32_e32 v9, vcc_lo, v9
	v_cmp_gt_i32_e32 vcc_lo, 0, v22
	v_not_b32_e32 v22, v23
	v_xor_b32_e32 v24, s1, v24
	v_cmp_gt_i32_e64 s1, 0, v23
	v_and_b32_e32 v9, exec_lo, v9
	v_not_b32_e32 v23, v25
	v_ashrrev_i32_e32 v22, 31, v22
	v_xor_b32_e32 v10, vcc_lo, v10
	v_cmp_gt_i32_e32 vcc_lo, 0, v25
	v_and_b32_e32 v9, v9, v24
	v_not_b32_e32 v24, v26
	v_ashrrev_i32_e32 v23, 31, v23
	v_xor_b32_e32 v22, s1, v22
	v_lshlrev_b32_e32 v4, 24, v4
	v_and_b32_e32 v9, v9, v10
	v_cmp_gt_i32_e64 s1, 0, v26
	v_not_b32_e32 v10, v27
	v_ashrrev_i32_e32 v24, 31, v24
	v_xor_b32_e32 v23, vcc_lo, v23
	v_and_b32_e32 v9, v9, v22
	v_cmp_gt_i32_e32 vcc_lo, 0, v27
	v_not_b32_e32 v22, v4
	v_ashrrev_i32_e32 v10, 31, v10
	v_xor_b32_e32 v24, s1, v24
	v_and_b32_e32 v9, v9, v23
	v_cmp_gt_i32_e64 s1, 0, v4
	v_ashrrev_i32_e32 v4, 31, v22
	v_xor_b32_e32 v10, vcc_lo, v10
	v_add_nc_u32_e32 v25, v3, v5
	v_and_b32_e32 v9, v9, v24
	v_xor_b32_e32 v4, s1, v4
	ds_read_b32 v23, v25 offset:128
	v_and_b32_e32 v5, v9, v10
	; wave barrier
	v_and_b32_e32 v4, v5, v4
	v_mbcnt_lo_u32_b32 v24, v4, 0
	v_cmp_ne_u32_e64 s1, 0, v4
	v_cmp_eq_u32_e32 vcc_lo, 0, v24
	s_and_b32 s2, s1, vcc_lo
	s_and_saveexec_b32 s1, s2
	s_cbranch_execz .LBB567_23
; %bb.22:
	s_waitcnt lgkmcnt(0)
	v_bcnt_u32_b32 v4, v4, v23
	ds_write_b32 v25, v4 offset:128
.LBB567_23:
	s_or_b32 exec_lo, exec_lo, s1
	v_cmp_lt_i32_e32 vcc_lo, -1, v6
	; wave barrier
	v_cndmask_b32_e64 v4, -1, 0x80000000, vcc_lo
	v_xor_b32_e32 v22, v4, v6
	v_cmp_ne_u32_e32 vcc_lo, 0x7fffffff, v22
	v_cndmask_b32_e32 v4, 0x80000000, v22, vcc_lo
	v_lshrrev_b32_e32 v4, s20, v4
	v_and_b32_e32 v4, s26, v4
	v_and_b32_e32 v6, 1, v4
	v_lshlrev_b32_e32 v9, 30, v4
	v_lshlrev_b32_e32 v10, 29, v4
	;; [unrolled: 1-line block ×4, first 2 shown]
	v_add_co_u32 v6, s1, v6, -1
	v_cndmask_b32_e64 v27, 0, 1, s1
	v_not_b32_e32 v31, v9
	v_cmp_gt_i32_e64 s1, 0, v9
	v_not_b32_e32 v9, v10
	v_lshlrev_b32_e32 v29, 26, v4
	v_cmp_ne_u32_e32 vcc_lo, 0, v27
	v_ashrrev_i32_e32 v27, 31, v31
	v_lshlrev_b32_e32 v30, 25, v4
	v_ashrrev_i32_e32 v9, 31, v9
	v_mul_lo_u32 v5, 0x84, v4
	v_xor_b32_e32 v6, vcc_lo, v6
	v_cmp_gt_i32_e32 vcc_lo, 0, v10
	v_not_b32_e32 v10, v26
	v_xor_b32_e32 v27, s1, v27
	v_cmp_gt_i32_e64 s1, 0, v26
	v_and_b32_e32 v6, exec_lo, v6
	v_not_b32_e32 v26, v28
	v_ashrrev_i32_e32 v10, 31, v10
	v_xor_b32_e32 v9, vcc_lo, v9
	v_cmp_gt_i32_e32 vcc_lo, 0, v28
	v_and_b32_e32 v6, v6, v27
	v_not_b32_e32 v27, v29
	v_ashrrev_i32_e32 v26, 31, v26
	v_xor_b32_e32 v10, s1, v10
	v_lshlrev_b32_e32 v4, 24, v4
	v_and_b32_e32 v6, v6, v9
	v_cmp_gt_i32_e64 s1, 0, v29
	v_not_b32_e32 v9, v30
	v_ashrrev_i32_e32 v27, 31, v27
	v_xor_b32_e32 v26, vcc_lo, v26
	v_and_b32_e32 v6, v6, v10
	v_cmp_gt_i32_e32 vcc_lo, 0, v30
	v_not_b32_e32 v10, v4
	v_ashrrev_i32_e32 v9, 31, v9
	v_xor_b32_e32 v27, s1, v27
	v_and_b32_e32 v6, v6, v26
	v_cmp_gt_i32_e64 s1, 0, v4
	v_ashrrev_i32_e32 v4, 31, v10
	v_xor_b32_e32 v9, vcc_lo, v9
	v_add_nc_u32_e32 v29, v3, v5
	v_and_b32_e32 v6, v6, v27
	v_xor_b32_e32 v4, s1, v4
	ds_read_b32 v26, v29 offset:128
	v_and_b32_e32 v5, v6, v9
	; wave barrier
	v_and_b32_e32 v4, v5, v4
	v_mbcnt_lo_u32_b32 v28, v4, 0
	v_cmp_ne_u32_e64 s1, 0, v4
	v_cmp_eq_u32_e32 vcc_lo, 0, v28
	s_and_b32 s2, s1, vcc_lo
	s_and_saveexec_b32 s1, s2
	s_cbranch_execz .LBB567_25
; %bb.24:
	s_waitcnt lgkmcnt(0)
	v_bcnt_u32_b32 v4, v4, v26
	ds_write_b32 v29, v4 offset:128
.LBB567_25:
	s_or_b32 exec_lo, exec_lo, s1
	v_cmp_lt_i32_e32 vcc_lo, -1, v7
	; wave barrier
	v_cndmask_b32_e64 v4, -1, 0x80000000, vcc_lo
	v_xor_b32_e32 v27, v4, v7
	v_cmp_ne_u32_e32 vcc_lo, 0x7fffffff, v27
	v_cndmask_b32_e32 v4, 0x80000000, v27, vcc_lo
	v_lshrrev_b32_e32 v4, s20, v4
	v_and_b32_e32 v4, s26, v4
	v_and_b32_e32 v6, 1, v4
	v_lshlrev_b32_e32 v7, 30, v4
	v_lshlrev_b32_e32 v9, 29, v4
	;; [unrolled: 1-line block ×4, first 2 shown]
	v_add_co_u32 v6, s1, v6, -1
	v_cndmask_b32_e64 v30, 0, 1, s1
	v_not_b32_e32 v34, v7
	v_cmp_gt_i32_e64 s1, 0, v7
	v_not_b32_e32 v7, v9
	v_lshlrev_b32_e32 v32, 26, v4
	v_cmp_ne_u32_e32 vcc_lo, 0, v30
	v_ashrrev_i32_e32 v30, 31, v34
	v_lshlrev_b32_e32 v33, 25, v4
	v_ashrrev_i32_e32 v7, 31, v7
	v_mul_lo_u32 v5, 0x84, v4
	v_xor_b32_e32 v6, vcc_lo, v6
	v_cmp_gt_i32_e32 vcc_lo, 0, v9
	v_not_b32_e32 v9, v10
	v_xor_b32_e32 v30, s1, v30
	v_cmp_gt_i32_e64 s1, 0, v10
	v_and_b32_e32 v6, exec_lo, v6
	v_not_b32_e32 v10, v31
	v_ashrrev_i32_e32 v9, 31, v9
	v_xor_b32_e32 v7, vcc_lo, v7
	v_cmp_gt_i32_e32 vcc_lo, 0, v31
	v_and_b32_e32 v6, v6, v30
	v_not_b32_e32 v30, v32
	v_ashrrev_i32_e32 v10, 31, v10
	v_xor_b32_e32 v9, s1, v9
	v_lshlrev_b32_e32 v4, 24, v4
	v_and_b32_e32 v6, v6, v7
	v_cmp_gt_i32_e64 s1, 0, v32
	v_not_b32_e32 v7, v33
	v_ashrrev_i32_e32 v30, 31, v30
	v_xor_b32_e32 v10, vcc_lo, v10
	v_and_b32_e32 v6, v6, v9
	v_cmp_gt_i32_e32 vcc_lo, 0, v33
	v_not_b32_e32 v9, v4
	v_ashrrev_i32_e32 v7, 31, v7
	v_xor_b32_e32 v30, s1, v30
	v_and_b32_e32 v6, v6, v10
	v_cmp_gt_i32_e64 s1, 0, v4
	v_ashrrev_i32_e32 v4, 31, v9
	v_xor_b32_e32 v7, vcc_lo, v7
	v_add_nc_u32_e32 v33, v3, v5
	v_and_b32_e32 v6, v6, v30
	v_xor_b32_e32 v4, s1, v4
	ds_read_b32 v30, v33 offset:128
	v_and_b32_e32 v5, v6, v7
	; wave barrier
	v_and_b32_e32 v4, v5, v4
	v_mbcnt_lo_u32_b32 v31, v4, 0
	v_cmp_ne_u32_e64 s1, 0, v4
	v_cmp_eq_u32_e32 vcc_lo, 0, v31
	s_and_b32 s2, s1, vcc_lo
	s_and_saveexec_b32 s1, s2
	s_cbranch_execz .LBB567_27
; %bb.26:
	s_waitcnt lgkmcnt(0)
	v_bcnt_u32_b32 v4, v4, v30
	ds_write_b32 v33, v4 offset:128
.LBB567_27:
	s_or_b32 exec_lo, exec_lo, s1
	v_cmp_lt_i32_e32 vcc_lo, -1, v8
	; wave barrier
	v_cndmask_b32_e64 v4, -1, 0x80000000, vcc_lo
	v_xor_b32_e32 v32, v4, v8
	v_cmp_ne_u32_e32 vcc_lo, 0x7fffffff, v32
	v_cndmask_b32_e32 v4, 0x80000000, v32, vcc_lo
	v_lshrrev_b32_e32 v4, s20, v4
	v_and_b32_e32 v4, s26, v4
	v_and_b32_e32 v6, 1, v4
	v_lshlrev_b32_e32 v7, 30, v4
	v_lshlrev_b32_e32 v8, 29, v4
	;; [unrolled: 1-line block ×4, first 2 shown]
	v_add_co_u32 v6, s1, v6, -1
	v_cndmask_b32_e64 v10, 0, 1, s1
	v_not_b32_e32 v37, v7
	v_cmp_gt_i32_e64 s1, 0, v7
	v_not_b32_e32 v7, v8
	v_lshlrev_b32_e32 v35, 26, v4
	v_cmp_ne_u32_e32 vcc_lo, 0, v10
	v_ashrrev_i32_e32 v10, 31, v37
	v_lshlrev_b32_e32 v36, 25, v4
	v_ashrrev_i32_e32 v7, 31, v7
	v_mul_lo_u32 v5, 0x84, v4
	v_xor_b32_e32 v6, vcc_lo, v6
	v_cmp_gt_i32_e32 vcc_lo, 0, v8
	v_not_b32_e32 v8, v9
	v_xor_b32_e32 v10, s1, v10
	v_cmp_gt_i32_e64 s1, 0, v9
	v_and_b32_e32 v6, exec_lo, v6
	v_not_b32_e32 v9, v34
	v_ashrrev_i32_e32 v8, 31, v8
	v_xor_b32_e32 v7, vcc_lo, v7
	v_cmp_gt_i32_e32 vcc_lo, 0, v34
	v_and_b32_e32 v6, v6, v10
	v_not_b32_e32 v10, v35
	v_ashrrev_i32_e32 v9, 31, v9
	v_xor_b32_e32 v8, s1, v8
	v_lshlrev_b32_e32 v4, 24, v4
	v_and_b32_e32 v6, v6, v7
	v_cmp_gt_i32_e64 s1, 0, v35
	v_not_b32_e32 v7, v36
	v_ashrrev_i32_e32 v10, 31, v10
	v_xor_b32_e32 v9, vcc_lo, v9
	v_and_b32_e32 v6, v6, v8
	v_cmp_gt_i32_e32 vcc_lo, 0, v36
	v_not_b32_e32 v8, v4
	v_ashrrev_i32_e32 v7, 31, v7
	v_xor_b32_e32 v10, s1, v10
	v_and_b32_e32 v6, v6, v9
	v_cmp_gt_i32_e64 s1, 0, v4
	v_ashrrev_i32_e32 v4, 31, v8
	v_xor_b32_e32 v7, vcc_lo, v7
	v_add_nc_u32_e32 v36, v3, v5
	v_and_b32_e32 v6, v6, v10
	v_xor_b32_e32 v3, s1, v4
	ds_read_b32 v34, v36 offset:128
	v_and_b32_e32 v4, v6, v7
	; wave barrier
	v_and_b32_e32 v3, v4, v3
	v_mbcnt_lo_u32_b32 v35, v3, 0
	v_cmp_ne_u32_e64 s1, 0, v3
	v_cmp_eq_u32_e32 vcc_lo, 0, v35
	s_and_b32 s2, s1, vcc_lo
	s_and_saveexec_b32 s1, s2
	s_cbranch_execz .LBB567_29
; %bb.28:
	s_waitcnt lgkmcnt(0)
	v_bcnt_u32_b32 v3, v3, v34
	ds_write_b32 v36, v3 offset:128
.LBB567_29:
	s_or_b32 exec_lo, exec_lo, s1
	; wave barrier
	s_waitcnt lgkmcnt(0)
	s_barrier
	buffer_gl0_inv
	ds_read2_b32 v[9:10], v16 offset0:32 offset1:33
	ds_read2_b32 v[7:8], v16 offset0:34 offset1:35
	;; [unrolled: 1-line block ×4, first 2 shown]
	ds_read_b32 v37, v16 offset:160
	v_and_b32_e32 v40, 16, v11
	v_and_b32_e32 v41, 31, v0
	s_mov_b32 s9, exec_lo
	v_cmp_eq_u32_e64 s7, 0, v40
	s_waitcnt lgkmcnt(3)
	v_add3_u32 v38, v10, v9, v7
	s_waitcnt lgkmcnt(2)
	v_add3_u32 v38, v38, v8, v5
	;; [unrolled: 2-line block ×4, first 2 shown]
	v_and_b32_e32 v38, 15, v11
	v_mov_b32_dpp v39, v37 row_shr:1 row_mask:0xf bank_mask:0xf
	v_cmp_eq_u32_e32 vcc_lo, 0, v38
	v_cmp_lt_u32_e64 s1, 1, v38
	v_cmp_lt_u32_e64 s2, 3, v38
	;; [unrolled: 1-line block ×3, first 2 shown]
	v_cndmask_b32_e64 v39, v39, 0, vcc_lo
	v_add_nc_u32_e32 v37, v39, v37
	v_mov_b32_dpp v39, v37 row_shr:2 row_mask:0xf bank_mask:0xf
	v_cndmask_b32_e64 v39, 0, v39, s1
	v_add_nc_u32_e32 v37, v37, v39
	v_mov_b32_dpp v39, v37 row_shr:4 row_mask:0xf bank_mask:0xf
	v_cndmask_b32_e64 v39, 0, v39, s2
	;; [unrolled: 3-line block ×3, first 2 shown]
	v_bfe_i32 v39, v11, 4, 1
	v_add_nc_u32_e32 v37, v37, v38
	ds_swizzle_b32 v38, v37 offset:swizzle(BROADCAST,32,15)
	s_waitcnt lgkmcnt(0)
	v_and_b32_e32 v39, v39, v38
	v_lshrrev_b32_e32 v38, 5, v0
	v_add_nc_u32_e32 v37, v37, v39
	v_cmpx_eq_u32_e32 31, v41
; %bb.30:
	v_lshlrev_b32_e32 v39, 2, v38
	ds_write_b32 v39, v37
; %bb.31:
	s_or_b32 exec_lo, exec_lo, s9
	v_cmp_lt_u32_e64 s8, 31, v0
	s_mov_b32 s27, exec_lo
	s_waitcnt lgkmcnt(0)
	s_barrier
	buffer_gl0_inv
	v_cmpx_gt_u32_e32 32, v0
	s_cbranch_execz .LBB567_33
; %bb.32:
	v_lshlrev_b32_e32 v39, 2, v0
	ds_read_b32 v40, v39
	s_waitcnt lgkmcnt(0)
	v_mov_b32_dpp v41, v40 row_shr:1 row_mask:0xf bank_mask:0xf
	v_cndmask_b32_e64 v41, v41, 0, vcc_lo
	v_add_nc_u32_e32 v40, v41, v40
	v_mov_b32_dpp v41, v40 row_shr:2 row_mask:0xf bank_mask:0xf
	v_cndmask_b32_e64 v41, 0, v41, s1
	v_add_nc_u32_e32 v40, v40, v41
	v_mov_b32_dpp v41, v40 row_shr:4 row_mask:0xf bank_mask:0xf
	v_cndmask_b32_e64 v41, 0, v41, s2
	;; [unrolled: 3-line block ×3, first 2 shown]
	v_add_nc_u32_e32 v40, v40, v41
	ds_swizzle_b32 v41, v40 offset:swizzle(BROADCAST,32,15)
	s_waitcnt lgkmcnt(0)
	v_cndmask_b32_e64 v41, v41, 0, s7
	v_add_nc_u32_e32 v40, v40, v41
	ds_write_b32 v39, v40
.LBB567_33:
	s_or_b32 exec_lo, exec_lo, s27
	v_mov_b32_e32 v39, 0
	s_waitcnt lgkmcnt(0)
	s_barrier
	buffer_gl0_inv
	s_and_saveexec_b32 s1, s8
; %bb.34:
	v_lshl_add_u32 v38, v38, 2, -4
	ds_read_b32 v39, v38
; %bb.35:
	s_or_b32 exec_lo, exec_lo, s1
	v_sub_co_u32 v38, vcc_lo, v11, 1
	s_waitcnt lgkmcnt(0)
	v_add_nc_u32_e32 v37, v39, v37
	v_cmp_gt_i32_e64 s1, 0, v38
	v_cndmask_b32_e64 v38, v38, v11, s1
	v_cmp_gt_u32_e64 s1, 0x100, v0
	v_lshlrev_b32_e32 v38, 2, v38
	ds_bpermute_b32 v37, v38, v37
	s_waitcnt lgkmcnt(0)
	v_cndmask_b32_e32 v37, v37, v39, vcc_lo
	v_cmp_lt_u32_e32 vcc_lo, 0xff, v0
	v_cndmask_b32_e64 v37, v37, 0, s0
	v_add_nc_u32_e32 v9, v37, v9
	v_add_nc_u32_e32 v10, v9, v10
	;; [unrolled: 1-line block ×8, first 2 shown]
	ds_write2_b32 v16, v37, v9 offset0:32 offset1:33
	ds_write2_b32 v16, v10, v7 offset0:34 offset1:35
	;; [unrolled: 1-line block ×4, first 2 shown]
	ds_write_b32 v16, v4 offset:160
	s_waitcnt lgkmcnt(0)
	s_barrier
	buffer_gl0_inv
	ds_read_b32 v7, v17 offset:128
	ds_read_b32 v8, v21 offset:128
	;; [unrolled: 1-line block ×6, first 2 shown]
                                        ; implicit-def: $vgpr9
                                        ; implicit-def: $vgpr10
	s_and_saveexec_b32 s3, s1
	s_cbranch_execz .LBB567_39
; %bb.36:
	v_mul_u32_u24_e32 v9, 0x84, v0
	v_add_nc_u32_e32 v16, 1, v0
	v_mov_b32_e32 v10, 0x1800
	s_mov_b32 s7, exec_lo
	ds_read_b32 v9, v9 offset:128
	v_cmpx_ne_u32_e32 0x100, v16
; %bb.37:
	v_mul_u32_u24_e32 v10, 0x84, v16
	ds_read_b32 v10, v10 offset:128
; %bb.38:
	s_or_b32 exec_lo, exec_lo, s7
	s_waitcnt lgkmcnt(0)
	v_sub_nc_u32_e32 v10, v10, v9
.LBB567_39:
	s_or_b32 exec_lo, exec_lo, s3
	v_lshlrev_b32_e32 v15, 2, v15
	s_waitcnt lgkmcnt(4)
	v_lshlrev_b32_e32 v8, 2, v8
	v_lshlrev_b32_e32 v16, 2, v20
	;; [unrolled: 1-line block ×3, first 2 shown]
	s_waitcnt lgkmcnt(0)
	v_lshl_add_u32 v7, v7, 2, v15
	s_barrier
	buffer_gl0_inv
	v_lshlrev_b32_e32 v6, 2, v6
	v_add3_u32 v8, v8, v16, v17
	ds_write_b32 v7, v13 offset:1024
	v_lshlrev_b32_e32 v7, 2, v24
	v_lshlrev_b32_e32 v13, 2, v23
	;; [unrolled: 1-line block ×11, first 2 shown]
	v_add3_u32 v6, v6, v7, v13
	v_add3_u32 v7, v4, v17, v19
	v_mov_b32_e32 v4, 0
	v_lshlrev_b32_e32 v13, 2, v0
	v_add3_u32 v5, v5, v15, v16
	v_add3_u32 v3, v3, v20, v21
	ds_write_b32 v8, v14 offset:1024
	ds_write_b32 v6, v18 offset:1024
	;; [unrolled: 1-line block ×5, first 2 shown]
	s_and_saveexec_b32 s2, s1
	s_cbranch_execz .LBB567_49
; %bb.40:
	v_lshl_add_u32 v3, s23, 8, v0
	v_mov_b32_e32 v14, 0
	s_mov_b32 s3, 0
	s_mov_b32 s7, s23
	v_lshlrev_b64 v[5:6], 2, v[3:4]
	v_or_b32_e32 v3, 2.0, v10
	v_add_co_u32 v5, s1, s10, v5
	v_add_co_ci_u32_e64 v6, null, s11, v6, s1
                                        ; implicit-def: $sgpr1
	global_store_dword v[5:6], v3, off
	s_branch .LBB567_43
	.p2align	6
.LBB567_41:                             ;   in Loop: Header=BB567_43 Depth=1
	s_or_b32 exec_lo, exec_lo, s9
.LBB567_42:                             ;   in Loop: Header=BB567_43 Depth=1
	s_or_b32 exec_lo, exec_lo, s8
	v_and_b32_e32 v7, 0x3fffffff, v3
	v_cmp_gt_i32_e64 s1, -2.0, v3
	v_add_nc_u32_e32 v14, v7, v14
	s_and_b32 s8, exec_lo, s1
	s_or_b32 s3, s8, s3
	s_andn2_b32 exec_lo, exec_lo, s3
	s_cbranch_execz .LBB567_48
.LBB567_43:                             ; =>This Loop Header: Depth=1
                                        ;     Child Loop BB567_46 Depth 2
	s_or_b32 s1, s1, exec_lo
	s_cmp_eq_u32 s7, 0
	s_cbranch_scc1 .LBB567_47
; %bb.44:                               ;   in Loop: Header=BB567_43 Depth=1
	s_add_i32 s7, s7, -1
	s_mov_b32 s8, exec_lo
	v_lshl_or_b32 v3, s7, 8, v0
	v_lshlrev_b64 v[7:8], 2, v[3:4]
	v_add_co_u32 v7, s1, s10, v7
	v_add_co_ci_u32_e64 v8, null, s11, v8, s1
	global_load_dword v3, v[7:8], off glc dlc
	s_waitcnt vmcnt(0)
	v_cmpx_gt_u32_e32 2.0, v3
	s_cbranch_execz .LBB567_42
; %bb.45:                               ;   in Loop: Header=BB567_43 Depth=1
	s_mov_b32 s9, 0
.LBB567_46:                             ;   Parent Loop BB567_43 Depth=1
                                        ; =>  This Inner Loop Header: Depth=2
	global_load_dword v3, v[7:8], off glc dlc
	s_waitcnt vmcnt(0)
	v_cmp_lt_u32_e64 s1, 0x3fffffff, v3
	s_or_b32 s9, s1, s9
	s_andn2_b32 exec_lo, exec_lo, s9
	s_cbranch_execnz .LBB567_46
	s_branch .LBB567_41
.LBB567_47:                             ;   in Loop: Header=BB567_43 Depth=1
                                        ; implicit-def: $sgpr7
	s_and_b32 s8, exec_lo, s1
	s_or_b32 s3, s8, s3
	s_andn2_b32 exec_lo, exec_lo, s3
	s_cbranch_execnz .LBB567_43
.LBB567_48:
	s_or_b32 exec_lo, exec_lo, s3
	v_add_nc_u32_e32 v3, v14, v10
	v_sub_nc_u32_e32 v4, v14, v9
	v_or_b32_e32 v3, 0x80000000, v3
	global_store_dword v[5:6], v3, off
	global_load_dword v3, v13, s[12:13]
	s_waitcnt vmcnt(0)
	v_add_nc_u32_e32 v3, v4, v3
	ds_write_b32 v13, v3
.LBB567_49:
	s_or_b32 exec_lo, exec_lo, s2
	s_mov_b32 s2, exec_lo
	s_waitcnt lgkmcnt(0)
	s_waitcnt_vscnt null, 0x0
	s_barrier
	buffer_gl0_inv
	v_cmpx_gt_u32_e64 s22, v0
	s_cbranch_execz .LBB567_51
; %bb.50:
	ds_read_b32 v5, v13 offset:1024
	v_mov_b32_e32 v4, 0
	s_waitcnt lgkmcnt(0)
	v_cmp_ne_u32_e64 s1, 0x7fffffff, v5
	v_cndmask_b32_e64 v3, 0x80000000, v5, s1
	v_cmp_lt_i32_e64 s1, -1, v5
	v_lshrrev_b32_e32 v3, s20, v3
	v_cndmask_b32_e64 v6, 0x80000000, -1, s1
	v_and_b32_e32 v3, s26, v3
	v_xor_b32_e32 v5, v6, v5
	v_lshlrev_b32_e32 v3, 2, v3
	ds_read_b32 v3, v3
	s_waitcnt lgkmcnt(0)
	v_add_nc_u32_e32 v3, v3, v0
	v_lshlrev_b64 v[3:4], 2, v[3:4]
	v_add_co_u32 v3, s1, s18, v3
	v_add_co_ci_u32_e64 v4, null, s19, v4, s1
	global_store_dword v[3:4], v5, off
.LBB567_51:
	s_or_b32 exec_lo, exec_lo, s2
	v_or_b32_e32 v3, 0x400, v0
	s_mov_b32 s2, exec_lo
	v_cmpx_gt_u32_e64 s22, v3
	s_cbranch_execz .LBB567_53
; %bb.52:
	ds_read_b32 v5, v13 offset:5120
	s_waitcnt lgkmcnt(0)
	v_cmp_ne_u32_e64 s1, 0x7fffffff, v5
	v_cndmask_b32_e64 v4, 0x80000000, v5, s1
	v_cmp_lt_i32_e64 s1, -1, v5
	v_lshrrev_b32_e32 v4, s20, v4
	v_and_b32_e32 v4, s26, v4
	v_lshlrev_b32_e32 v4, 2, v4
	ds_read_b32 v6, v4
	v_mov_b32_e32 v4, 0
	s_waitcnt lgkmcnt(0)
	v_add_nc_u32_e32 v3, v6, v3
	v_cndmask_b32_e64 v6, 0x80000000, -1, s1
	v_lshlrev_b64 v[3:4], 2, v[3:4]
	v_xor_b32_e32 v5, v6, v5
	v_add_co_u32 v3, s1, s18, v3
	v_add_co_ci_u32_e64 v4, null, s19, v4, s1
	global_store_dword v[3:4], v5, off
.LBB567_53:
	s_or_b32 exec_lo, exec_lo, s2
	v_or_b32_e32 v3, 0x800, v0
	s_mov_b32 s2, exec_lo
	v_cmpx_gt_u32_e64 s22, v3
	s_cbranch_execz .LBB567_55
; %bb.54:
	ds_read_b32 v5, v13 offset:9216
	s_waitcnt lgkmcnt(0)
	v_cmp_ne_u32_e64 s1, 0x7fffffff, v5
	v_cndmask_b32_e64 v4, 0x80000000, v5, s1
	v_cmp_lt_i32_e64 s1, -1, v5
	v_lshrrev_b32_e32 v4, s20, v4
	v_and_b32_e32 v4, s26, v4
	v_lshlrev_b32_e32 v4, 2, v4
	ds_read_b32 v6, v4
	v_mov_b32_e32 v4, 0
	s_waitcnt lgkmcnt(0)
	v_add_nc_u32_e32 v3, v6, v3
	v_cndmask_b32_e64 v6, 0x80000000, -1, s1
	v_lshlrev_b64 v[3:4], 2, v[3:4]
	v_xor_b32_e32 v5, v6, v5
	v_add_co_u32 v3, s1, s18, v3
	v_add_co_ci_u32_e64 v4, null, s19, v4, s1
	global_store_dword v[3:4], v5, off
.LBB567_55:
	;; [unrolled: 25-line block ×5, first 2 shown]
	s_or_b32 exec_lo, exec_lo, s2
	s_add_i32 s25, s25, -1
	s_cmp_eq_u32 s23, s25
	s_cselect_b32 s1, -1, 0
	s_xor_b32 s2, vcc_lo, -1
	s_and_b32 s2, s2, s1
	s_and_saveexec_b32 s1, s2
	s_cbranch_execz .LBB567_63
; %bb.62:
	ds_read_b32 v3, v13
	s_waitcnt lgkmcnt(0)
	v_add3_u32 v3, v9, v10, v3
	global_store_dword v13, v3, s[14:15]
.LBB567_63:
	s_or_b32 exec_lo, exec_lo, s1
	s_mov_b32 s2, 0
.LBB567_64:
	s_and_b32 vcc_lo, exec_lo, s2
	s_cbranch_vccz .LBB567_99
; %bb.65:
	s_mov_b32 s25, 0
	v_mul_u32_u24_e32 v3, 6, v12
	v_lshlrev_b32_e32 v4, 2, v11
	s_lshl_b64 s[2:3], s[24:25], 2
	v_mov_b32_e32 v14, 0
	s_add_u32 s1, s16, s2
	s_addc_u32 s2, s17, s3
	v_lshlrev_b32_e32 v3, 2, v3
	v_add_co_u32 v4, s1, s1, v4
	v_add_co_ci_u32_e64 v5, null, s2, 0, s1
	s_add_u32 s2, s4, 0x58
	v_add_co_u32 v8, vcc_lo, v4, v3
	v_add_co_ci_u32_e64 v9, null, 0, v5, vcc_lo
	s_addc_u32 s3, s5, 0
	global_load_dword v10, v[8:9], off
	s_clause 0x1
	s_load_dword s1, s[4:5], 0x64
	s_load_dword s7, s[4:5], 0x58
	s_waitcnt lgkmcnt(0)
	s_lshr_b32 s4, s1, 16
	s_cmp_lt_u32 s6, s7
	v_mad_u32_u24 v1, v2, s4, v1
	s_cselect_b32 s1, 12, 18
	s_add_u32 s2, s2, s1
	s_addc_u32 s3, s3, 0
	global_load_ushort v12, v14, s[2:3]
	s_clause 0x4
	global_load_dword v7, v[8:9], off offset:128
	global_load_dword v6, v[8:9], off offset:256
	;; [unrolled: 1-line block ×5, first 2 shown]
	s_lshl_b32 s1, -1, s21
	s_not_b32 s8, s1
	s_waitcnt vmcnt(6)
	v_cmp_lt_i32_e32 vcc_lo, -1, v10
	v_cndmask_b32_e64 v8, -1, 0x80000000, vcc_lo
	v_xor_b32_e32 v9, v8, v10
	v_cmp_ne_u32_e32 vcc_lo, 0x7fffffff, v9
	v_cndmask_b32_e32 v8, 0x80000000, v9, vcc_lo
	s_waitcnt vmcnt(5)
	v_mad_u64_u32 v[1:2], null, v1, v12, v[0:1]
	v_lshrrev_b32_e32 v8, s20, v8
	v_and_b32_e32 v8, s8, v8
	v_lshrrev_b32_e32 v1, 3, v1
	v_and_b32_e32 v10, 1, v8
	v_lshlrev_b32_e32 v13, 30, v8
	v_lshlrev_b32_e32 v15, 29, v8
	;; [unrolled: 1-line block ×4, first 2 shown]
	v_add_co_u32 v10, s1, v10, -1
	v_cndmask_b32_e64 v17, 0, 1, s1
	v_not_b32_e32 v21, v13
	v_cmp_gt_i32_e64 s1, 0, v13
	v_not_b32_e32 v13, v15
	v_lshlrev_b32_e32 v19, 26, v8
	v_cmp_ne_u32_e32 vcc_lo, 0, v17
	v_ashrrev_i32_e32 v21, 31, v21
	v_lshlrev_b32_e32 v20, 25, v8
	v_ashrrev_i32_e32 v13, 31, v13
	v_lshlrev_b32_e32 v17, 24, v8
	v_xor_b32_e32 v10, vcc_lo, v10
	v_cmp_gt_i32_e32 vcc_lo, 0, v15
	v_not_b32_e32 v15, v16
	v_xor_b32_e32 v21, s1, v21
	v_cmp_gt_i32_e64 s1, 0, v16
	v_and_b32_e32 v10, exec_lo, v10
	v_not_b32_e32 v16, v18
	v_ashrrev_i32_e32 v15, 31, v15
	v_xor_b32_e32 v13, vcc_lo, v13
	v_cmp_gt_i32_e32 vcc_lo, 0, v18
	v_and_b32_e32 v10, v10, v21
	v_not_b32_e32 v18, v19
	v_ashrrev_i32_e32 v16, 31, v16
	v_xor_b32_e32 v15, s1, v15
	v_cmp_gt_i32_e64 s1, 0, v19
	v_and_b32_e32 v10, v10, v13
	v_not_b32_e32 v13, v20
	v_ashrrev_i32_e32 v18, 31, v18
	v_xor_b32_e32 v16, vcc_lo, v16
	v_cmp_gt_i32_e32 vcc_lo, 0, v20
	v_and_b32_e32 v10, v10, v15
	v_not_b32_e32 v15, v17
	v_ashrrev_i32_e32 v13, 31, v13
	v_xor_b32_e32 v18, s1, v18
	v_cmp_gt_i32_e64 s1, 0, v17
	v_and_b32_e32 v10, v10, v16
	v_ashrrev_i32_e32 v15, 31, v15
	v_xor_b32_e32 v16, vcc_lo, v13
	v_mul_lo_u32 v8, 0x84, v8
	v_mul_u32_u24_e32 v13, 36, v0
	v_and_b32_e32 v10, v10, v18
	v_xor_b32_e32 v2, s1, v15
	v_and_b32_e32 v1, 0x1ffffffc, v1
	ds_write2_b32 v13, v14, v14 offset0:32 offset1:33
	v_and_b32_e32 v10, v10, v16
	ds_write2_b32 v13, v14, v14 offset0:34 offset1:35
	ds_write2_b32 v13, v14, v14 offset0:36 offset1:37
	;; [unrolled: 1-line block ×3, first 2 shown]
	ds_write_b32 v13, v14 offset:160
	v_add_nc_u32_e32 v14, v1, v8
	s_waitcnt vmcnt(0) lgkmcnt(0)
	s_waitcnt_vscnt null, 0x0
	v_and_b32_e32 v2, v10, v2
	s_barrier
	buffer_gl0_inv
	; wave barrier
	v_mbcnt_lo_u32_b32 v12, v2, 0
	v_cmp_ne_u32_e64 s1, 0, v2
	v_cmp_eq_u32_e32 vcc_lo, 0, v12
	s_and_b32 s2, s1, vcc_lo
	s_and_saveexec_b32 s1, s2
; %bb.66:
	v_bcnt_u32_b32 v2, v2, 0
	ds_write_b32 v14, v2 offset:128
; %bb.67:
	s_or_b32 exec_lo, exec_lo, s1
	v_cmp_lt_i32_e32 vcc_lo, -1, v7
	; wave barrier
	v_cndmask_b32_e64 v2, -1, 0x80000000, vcc_lo
	v_xor_b32_e32 v10, v2, v7
	v_cmp_ne_u32_e32 vcc_lo, 0x7fffffff, v10
	v_cndmask_b32_e32 v2, 0x80000000, v10, vcc_lo
	v_lshrrev_b32_e32 v2, s20, v2
	v_and_b32_e32 v2, s8, v2
	v_and_b32_e32 v8, 1, v2
	v_lshlrev_b32_e32 v15, 30, v2
	v_lshlrev_b32_e32 v16, 29, v2
	;; [unrolled: 1-line block ×4, first 2 shown]
	v_add_co_u32 v8, s1, v8, -1
	v_cndmask_b32_e64 v18, 0, 1, s1
	v_not_b32_e32 v22, v15
	v_cmp_gt_i32_e64 s1, 0, v15
	v_not_b32_e32 v15, v16
	v_lshlrev_b32_e32 v20, 26, v2
	v_cmp_ne_u32_e32 vcc_lo, 0, v18
	v_ashrrev_i32_e32 v18, 31, v22
	v_lshlrev_b32_e32 v21, 25, v2
	v_ashrrev_i32_e32 v15, 31, v15
	v_mul_lo_u32 v7, 0x84, v2
	v_xor_b32_e32 v8, vcc_lo, v8
	v_cmp_gt_i32_e32 vcc_lo, 0, v16
	v_not_b32_e32 v16, v17
	v_xor_b32_e32 v18, s1, v18
	v_cmp_gt_i32_e64 s1, 0, v17
	v_and_b32_e32 v8, exec_lo, v8
	v_not_b32_e32 v17, v19
	v_ashrrev_i32_e32 v16, 31, v16
	v_xor_b32_e32 v15, vcc_lo, v15
	v_cmp_gt_i32_e32 vcc_lo, 0, v19
	v_and_b32_e32 v8, v8, v18
	v_not_b32_e32 v18, v20
	v_ashrrev_i32_e32 v17, 31, v17
	v_xor_b32_e32 v16, s1, v16
	v_lshlrev_b32_e32 v2, 24, v2
	v_and_b32_e32 v8, v8, v15
	v_cmp_gt_i32_e64 s1, 0, v20
	v_not_b32_e32 v15, v21
	v_ashrrev_i32_e32 v18, 31, v18
	v_xor_b32_e32 v17, vcc_lo, v17
	v_and_b32_e32 v8, v8, v16
	v_cmp_gt_i32_e32 vcc_lo, 0, v21
	v_not_b32_e32 v16, v2
	v_ashrrev_i32_e32 v15, 31, v15
	v_xor_b32_e32 v18, s1, v18
	v_and_b32_e32 v8, v8, v17
	v_cmp_gt_i32_e64 s1, 0, v2
	v_ashrrev_i32_e32 v2, 31, v16
	v_xor_b32_e32 v15, vcc_lo, v15
	v_and_b32_e32 v8, v8, v18
	v_add_nc_u32_e32 v18, v1, v7
	v_xor_b32_e32 v2, s1, v2
	v_and_b32_e32 v7, v8, v15
	ds_read_b32 v16, v18 offset:128
	; wave barrier
	v_and_b32_e32 v2, v7, v2
	v_mbcnt_lo_u32_b32 v17, v2, 0
	v_cmp_ne_u32_e64 s1, 0, v2
	v_cmp_eq_u32_e32 vcc_lo, 0, v17
	s_and_b32 s2, s1, vcc_lo
	s_and_saveexec_b32 s1, s2
	s_cbranch_execz .LBB567_69
; %bb.68:
	s_waitcnt lgkmcnt(0)
	v_bcnt_u32_b32 v2, v2, v16
	ds_write_b32 v18, v2 offset:128
.LBB567_69:
	s_or_b32 exec_lo, exec_lo, s1
	v_cmp_lt_i32_e32 vcc_lo, -1, v6
	; wave barrier
	v_cndmask_b32_e64 v2, -1, 0x80000000, vcc_lo
	v_xor_b32_e32 v15, v2, v6
	v_cmp_ne_u32_e32 vcc_lo, 0x7fffffff, v15
	v_cndmask_b32_e32 v2, 0x80000000, v15, vcc_lo
	v_lshrrev_b32_e32 v2, s20, v2
	v_and_b32_e32 v2, s8, v2
	v_and_b32_e32 v7, 1, v2
	v_lshlrev_b32_e32 v8, 30, v2
	v_lshlrev_b32_e32 v19, 29, v2
	;; [unrolled: 1-line block ×4, first 2 shown]
	v_add_co_u32 v7, s1, v7, -1
	v_cndmask_b32_e64 v21, 0, 1, s1
	v_not_b32_e32 v25, v8
	v_cmp_gt_i32_e64 s1, 0, v8
	v_not_b32_e32 v8, v19
	v_lshlrev_b32_e32 v23, 26, v2
	v_cmp_ne_u32_e32 vcc_lo, 0, v21
	v_ashrrev_i32_e32 v21, 31, v25
	v_lshlrev_b32_e32 v24, 25, v2
	v_ashrrev_i32_e32 v8, 31, v8
	v_mul_lo_u32 v6, 0x84, v2
	v_xor_b32_e32 v7, vcc_lo, v7
	v_cmp_gt_i32_e32 vcc_lo, 0, v19
	v_not_b32_e32 v19, v20
	v_xor_b32_e32 v21, s1, v21
	v_cmp_gt_i32_e64 s1, 0, v20
	v_and_b32_e32 v7, exec_lo, v7
	v_not_b32_e32 v20, v22
	v_ashrrev_i32_e32 v19, 31, v19
	v_xor_b32_e32 v8, vcc_lo, v8
	v_cmp_gt_i32_e32 vcc_lo, 0, v22
	v_and_b32_e32 v7, v7, v21
	v_not_b32_e32 v21, v23
	v_ashrrev_i32_e32 v20, 31, v20
	v_xor_b32_e32 v19, s1, v19
	v_lshlrev_b32_e32 v2, 24, v2
	v_and_b32_e32 v7, v7, v8
	v_cmp_gt_i32_e64 s1, 0, v23
	v_not_b32_e32 v8, v24
	v_ashrrev_i32_e32 v21, 31, v21
	v_xor_b32_e32 v20, vcc_lo, v20
	v_and_b32_e32 v7, v7, v19
	v_cmp_gt_i32_e32 vcc_lo, 0, v24
	v_not_b32_e32 v19, v2
	v_ashrrev_i32_e32 v8, 31, v8
	v_xor_b32_e32 v21, s1, v21
	v_and_b32_e32 v7, v7, v20
	v_cmp_gt_i32_e64 s1, 0, v2
	v_ashrrev_i32_e32 v2, 31, v19
	v_xor_b32_e32 v8, vcc_lo, v8
	v_add_nc_u32_e32 v22, v1, v6
	v_and_b32_e32 v7, v7, v21
	v_xor_b32_e32 v2, s1, v2
	ds_read_b32 v19, v22 offset:128
	v_and_b32_e32 v6, v7, v8
	; wave barrier
	v_and_b32_e32 v2, v6, v2
	v_mbcnt_lo_u32_b32 v21, v2, 0
	v_cmp_ne_u32_e64 s1, 0, v2
	v_cmp_eq_u32_e32 vcc_lo, 0, v21
	s_and_b32 s2, s1, vcc_lo
	s_and_saveexec_b32 s1, s2
	s_cbranch_execz .LBB567_71
; %bb.70:
	s_waitcnt lgkmcnt(0)
	v_bcnt_u32_b32 v2, v2, v19
	ds_write_b32 v22, v2 offset:128
.LBB567_71:
	s_or_b32 exec_lo, exec_lo, s1
	v_cmp_lt_i32_e32 vcc_lo, -1, v5
	; wave barrier
	v_cndmask_b32_e64 v2, -1, 0x80000000, vcc_lo
	v_xor_b32_e32 v20, v2, v5
	v_cmp_ne_u32_e32 vcc_lo, 0x7fffffff, v20
	v_cndmask_b32_e32 v2, 0x80000000, v20, vcc_lo
	v_lshrrev_b32_e32 v2, s20, v2
	v_and_b32_e32 v2, s8, v2
	v_and_b32_e32 v6, 1, v2
	v_lshlrev_b32_e32 v7, 30, v2
	v_lshlrev_b32_e32 v8, 29, v2
	;; [unrolled: 1-line block ×4, first 2 shown]
	v_add_co_u32 v6, s1, v6, -1
	v_cndmask_b32_e64 v24, 0, 1, s1
	v_not_b32_e32 v28, v7
	v_cmp_gt_i32_e64 s1, 0, v7
	v_not_b32_e32 v7, v8
	v_lshlrev_b32_e32 v26, 26, v2
	v_cmp_ne_u32_e32 vcc_lo, 0, v24
	v_ashrrev_i32_e32 v24, 31, v28
	v_lshlrev_b32_e32 v27, 25, v2
	v_ashrrev_i32_e32 v7, 31, v7
	v_mul_lo_u32 v5, 0x84, v2
	v_xor_b32_e32 v6, vcc_lo, v6
	v_cmp_gt_i32_e32 vcc_lo, 0, v8
	v_not_b32_e32 v8, v23
	v_xor_b32_e32 v24, s1, v24
	v_cmp_gt_i32_e64 s1, 0, v23
	v_and_b32_e32 v6, exec_lo, v6
	v_not_b32_e32 v23, v25
	v_ashrrev_i32_e32 v8, 31, v8
	v_xor_b32_e32 v7, vcc_lo, v7
	v_cmp_gt_i32_e32 vcc_lo, 0, v25
	v_and_b32_e32 v6, v6, v24
	v_not_b32_e32 v24, v26
	v_ashrrev_i32_e32 v23, 31, v23
	v_xor_b32_e32 v8, s1, v8
	v_lshlrev_b32_e32 v2, 24, v2
	v_and_b32_e32 v6, v6, v7
	v_cmp_gt_i32_e64 s1, 0, v26
	v_not_b32_e32 v7, v27
	v_ashrrev_i32_e32 v24, 31, v24
	v_xor_b32_e32 v23, vcc_lo, v23
	v_and_b32_e32 v6, v6, v8
	v_cmp_gt_i32_e32 vcc_lo, 0, v27
	v_not_b32_e32 v8, v2
	v_ashrrev_i32_e32 v7, 31, v7
	v_xor_b32_e32 v24, s1, v24
	v_and_b32_e32 v6, v6, v23
	v_cmp_gt_i32_e64 s1, 0, v2
	v_ashrrev_i32_e32 v2, 31, v8
	v_xor_b32_e32 v7, vcc_lo, v7
	v_add_nc_u32_e32 v27, v1, v5
	v_and_b32_e32 v6, v6, v24
	v_xor_b32_e32 v2, s1, v2
	ds_read_b32 v24, v27 offset:128
	v_and_b32_e32 v5, v6, v7
	; wave barrier
	v_and_b32_e32 v2, v5, v2
	v_mbcnt_lo_u32_b32 v26, v2, 0
	v_cmp_ne_u32_e64 s1, 0, v2
	v_cmp_eq_u32_e32 vcc_lo, 0, v26
	s_and_b32 s2, s1, vcc_lo
	s_and_saveexec_b32 s1, s2
	s_cbranch_execz .LBB567_73
; %bb.72:
	s_waitcnt lgkmcnt(0)
	v_bcnt_u32_b32 v2, v2, v24
	ds_write_b32 v27, v2 offset:128
.LBB567_73:
	s_or_b32 exec_lo, exec_lo, s1
	v_cmp_lt_i32_e32 vcc_lo, -1, v4
	; wave barrier
	v_cndmask_b32_e64 v2, -1, 0x80000000, vcc_lo
	v_xor_b32_e32 v25, v2, v4
	v_cmp_ne_u32_e32 vcc_lo, 0x7fffffff, v25
	v_cndmask_b32_e32 v2, 0x80000000, v25, vcc_lo
	v_lshrrev_b32_e32 v2, s20, v2
	v_and_b32_e32 v2, s8, v2
	v_and_b32_e32 v5, 1, v2
	v_lshlrev_b32_e32 v6, 30, v2
	v_lshlrev_b32_e32 v7, 29, v2
	;; [unrolled: 1-line block ×4, first 2 shown]
	v_add_co_u32 v5, s1, v5, -1
	v_cndmask_b32_e64 v23, 0, 1, s1
	v_not_b32_e32 v31, v6
	v_cmp_gt_i32_e64 s1, 0, v6
	v_not_b32_e32 v6, v7
	v_lshlrev_b32_e32 v29, 26, v2
	v_cmp_ne_u32_e32 vcc_lo, 0, v23
	v_ashrrev_i32_e32 v23, 31, v31
	v_lshlrev_b32_e32 v30, 25, v2
	v_ashrrev_i32_e32 v6, 31, v6
	v_mul_lo_u32 v4, 0x84, v2
	v_xor_b32_e32 v5, vcc_lo, v5
	v_cmp_gt_i32_e32 vcc_lo, 0, v7
	v_not_b32_e32 v7, v8
	v_xor_b32_e32 v23, s1, v23
	v_cmp_gt_i32_e64 s1, 0, v8
	v_and_b32_e32 v5, exec_lo, v5
	v_not_b32_e32 v8, v28
	v_ashrrev_i32_e32 v7, 31, v7
	v_xor_b32_e32 v6, vcc_lo, v6
	v_cmp_gt_i32_e32 vcc_lo, 0, v28
	v_and_b32_e32 v5, v5, v23
	v_not_b32_e32 v23, v29
	v_ashrrev_i32_e32 v8, 31, v8
	v_xor_b32_e32 v7, s1, v7
	v_lshlrev_b32_e32 v2, 24, v2
	v_and_b32_e32 v5, v5, v6
	v_cmp_gt_i32_e64 s1, 0, v29
	v_not_b32_e32 v6, v30
	v_ashrrev_i32_e32 v23, 31, v23
	v_xor_b32_e32 v8, vcc_lo, v8
	v_and_b32_e32 v5, v5, v7
	v_cmp_gt_i32_e32 vcc_lo, 0, v30
	v_not_b32_e32 v7, v2
	v_ashrrev_i32_e32 v6, 31, v6
	v_xor_b32_e32 v23, s1, v23
	v_and_b32_e32 v5, v5, v8
	v_cmp_gt_i32_e64 s1, 0, v2
	v_ashrrev_i32_e32 v2, 31, v7
	v_xor_b32_e32 v6, vcc_lo, v6
	v_add_nc_u32_e32 v31, v1, v4
	v_and_b32_e32 v5, v5, v23
	v_xor_b32_e32 v2, s1, v2
	ds_read_b32 v28, v31 offset:128
	v_and_b32_e32 v4, v5, v6
	; wave barrier
	v_and_b32_e32 v2, v4, v2
	v_mbcnt_lo_u32_b32 v29, v2, 0
	v_cmp_ne_u32_e64 s1, 0, v2
	v_cmp_eq_u32_e32 vcc_lo, 0, v29
	s_and_b32 s2, s1, vcc_lo
	s_and_saveexec_b32 s1, s2
	s_cbranch_execz .LBB567_75
; %bb.74:
	s_waitcnt lgkmcnt(0)
	v_bcnt_u32_b32 v2, v2, v28
	ds_write_b32 v31, v2 offset:128
.LBB567_75:
	s_or_b32 exec_lo, exec_lo, s1
	v_cmp_lt_i32_e32 vcc_lo, -1, v3
	; wave barrier
	v_cndmask_b32_e64 v2, -1, 0x80000000, vcc_lo
	v_xor_b32_e32 v30, v2, v3
	v_cmp_ne_u32_e32 vcc_lo, 0x7fffffff, v30
	v_cndmask_b32_e32 v2, 0x80000000, v30, vcc_lo
	v_lshrrev_b32_e32 v2, s20, v2
	v_and_b32_e32 v2, s8, v2
	v_and_b32_e32 v4, 1, v2
	v_lshlrev_b32_e32 v5, 30, v2
	v_lshlrev_b32_e32 v6, 29, v2
	;; [unrolled: 1-line block ×4, first 2 shown]
	v_add_co_u32 v4, s1, v4, -1
	v_cndmask_b32_e64 v8, 0, 1, s1
	v_not_b32_e32 v34, v5
	v_cmp_gt_i32_e64 s1, 0, v5
	v_not_b32_e32 v5, v6
	v_lshlrev_b32_e32 v32, 26, v2
	v_cmp_ne_u32_e32 vcc_lo, 0, v8
	v_ashrrev_i32_e32 v8, 31, v34
	v_lshlrev_b32_e32 v33, 25, v2
	v_ashrrev_i32_e32 v5, 31, v5
	v_mul_lo_u32 v3, 0x84, v2
	v_xor_b32_e32 v4, vcc_lo, v4
	v_cmp_gt_i32_e32 vcc_lo, 0, v6
	v_not_b32_e32 v6, v7
	v_xor_b32_e32 v8, s1, v8
	v_cmp_gt_i32_e64 s1, 0, v7
	v_and_b32_e32 v4, exec_lo, v4
	v_not_b32_e32 v7, v23
	v_ashrrev_i32_e32 v6, 31, v6
	v_xor_b32_e32 v5, vcc_lo, v5
	v_cmp_gt_i32_e32 vcc_lo, 0, v23
	v_and_b32_e32 v4, v4, v8
	v_not_b32_e32 v8, v32
	v_ashrrev_i32_e32 v7, 31, v7
	v_xor_b32_e32 v6, s1, v6
	v_lshlrev_b32_e32 v2, 24, v2
	v_and_b32_e32 v4, v4, v5
	v_cmp_gt_i32_e64 s1, 0, v32
	v_not_b32_e32 v5, v33
	v_ashrrev_i32_e32 v8, 31, v8
	v_xor_b32_e32 v7, vcc_lo, v7
	v_and_b32_e32 v4, v4, v6
	v_cmp_gt_i32_e32 vcc_lo, 0, v33
	v_not_b32_e32 v6, v2
	v_ashrrev_i32_e32 v5, 31, v5
	v_xor_b32_e32 v8, s1, v8
	v_and_b32_e32 v4, v4, v7
	v_cmp_gt_i32_e64 s1, 0, v2
	v_ashrrev_i32_e32 v2, 31, v6
	v_xor_b32_e32 v5, vcc_lo, v5
	v_add_nc_u32_e32 v34, v1, v3
	v_and_b32_e32 v4, v4, v8
	v_xor_b32_e32 v1, s1, v2
	ds_read_b32 v32, v34 offset:128
	v_and_b32_e32 v2, v4, v5
	; wave barrier
	v_and_b32_e32 v1, v2, v1
	v_mbcnt_lo_u32_b32 v33, v1, 0
	v_cmp_ne_u32_e64 s1, 0, v1
	v_cmp_eq_u32_e32 vcc_lo, 0, v33
	s_and_b32 s2, s1, vcc_lo
	s_and_saveexec_b32 s1, s2
	s_cbranch_execz .LBB567_77
; %bb.76:
	s_waitcnt lgkmcnt(0)
	v_bcnt_u32_b32 v1, v1, v32
	ds_write_b32 v34, v1 offset:128
.LBB567_77:
	s_or_b32 exec_lo, exec_lo, s1
	; wave barrier
	s_waitcnt lgkmcnt(0)
	s_barrier
	buffer_gl0_inv
	ds_read2_b32 v[7:8], v13 offset0:32 offset1:33
	ds_read2_b32 v[5:6], v13 offset0:34 offset1:35
	;; [unrolled: 1-line block ×4, first 2 shown]
	ds_read_b32 v23, v13 offset:160
	v_and_b32_e32 v37, 16, v11
	v_and_b32_e32 v38, 31, v0
	s_mov_b32 s6, exec_lo
	v_cmp_eq_u32_e64 s4, 0, v37
	s_waitcnt lgkmcnt(3)
	v_add3_u32 v35, v8, v7, v5
	s_waitcnt lgkmcnt(2)
	v_add3_u32 v35, v35, v6, v3
	s_waitcnt lgkmcnt(1)
	v_add3_u32 v35, v35, v4, v1
	s_waitcnt lgkmcnt(0)
	v_add3_u32 v23, v35, v2, v23
	v_and_b32_e32 v35, 15, v11
	v_mov_b32_dpp v36, v23 row_shr:1 row_mask:0xf bank_mask:0xf
	v_cmp_eq_u32_e32 vcc_lo, 0, v35
	v_cmp_lt_u32_e64 s1, 1, v35
	v_cmp_lt_u32_e64 s2, 3, v35
	;; [unrolled: 1-line block ×3, first 2 shown]
	v_cndmask_b32_e64 v36, v36, 0, vcc_lo
	v_add_nc_u32_e32 v23, v36, v23
	v_mov_b32_dpp v36, v23 row_shr:2 row_mask:0xf bank_mask:0xf
	v_cndmask_b32_e64 v36, 0, v36, s1
	v_add_nc_u32_e32 v23, v23, v36
	v_mov_b32_dpp v36, v23 row_shr:4 row_mask:0xf bank_mask:0xf
	v_cndmask_b32_e64 v36, 0, v36, s2
	;; [unrolled: 3-line block ×3, first 2 shown]
	v_bfe_i32 v36, v11, 4, 1
	v_add_nc_u32_e32 v23, v23, v35
	ds_swizzle_b32 v35, v23 offset:swizzle(BROADCAST,32,15)
	s_waitcnt lgkmcnt(0)
	v_and_b32_e32 v35, v36, v35
	v_lshrrev_b32_e32 v36, 5, v0
	v_add_nc_u32_e32 v35, v23, v35
	v_cmpx_eq_u32_e32 31, v38
; %bb.78:
	v_lshlrev_b32_e32 v23, 2, v36
	ds_write_b32 v23, v35
; %bb.79:
	s_or_b32 exec_lo, exec_lo, s6
	v_cmp_lt_u32_e64 s5, 31, v0
	v_lshlrev_b32_e32 v23, 2, v0
	s_mov_b32 s9, exec_lo
	s_waitcnt lgkmcnt(0)
	s_barrier
	buffer_gl0_inv
	v_cmpx_gt_u32_e32 32, v0
	s_cbranch_execz .LBB567_81
; %bb.80:
	ds_read_b32 v37, v23
	s_waitcnt lgkmcnt(0)
	v_mov_b32_dpp v38, v37 row_shr:1 row_mask:0xf bank_mask:0xf
	v_cndmask_b32_e64 v38, v38, 0, vcc_lo
	v_add_nc_u32_e32 v37, v38, v37
	v_mov_b32_dpp v38, v37 row_shr:2 row_mask:0xf bank_mask:0xf
	v_cndmask_b32_e64 v38, 0, v38, s1
	v_add_nc_u32_e32 v37, v37, v38
	v_mov_b32_dpp v38, v37 row_shr:4 row_mask:0xf bank_mask:0xf
	v_cndmask_b32_e64 v38, 0, v38, s2
	;; [unrolled: 3-line block ×3, first 2 shown]
	v_add_nc_u32_e32 v37, v37, v38
	ds_swizzle_b32 v38, v37 offset:swizzle(BROADCAST,32,15)
	s_waitcnt lgkmcnt(0)
	v_cndmask_b32_e64 v38, v38, 0, s4
	v_add_nc_u32_e32 v37, v37, v38
	ds_write_b32 v23, v37
.LBB567_81:
	s_or_b32 exec_lo, exec_lo, s9
	v_mov_b32_e32 v37, 0
	s_waitcnt lgkmcnt(0)
	s_barrier
	buffer_gl0_inv
	s_and_saveexec_b32 s1, s5
; %bb.82:
	v_lshl_add_u32 v36, v36, 2, -4
	ds_read_b32 v37, v36
; %bb.83:
	s_or_b32 exec_lo, exec_lo, s1
	v_sub_co_u32 v36, vcc_lo, v11, 1
	s_waitcnt lgkmcnt(0)
	v_add_nc_u32_e32 v35, v37, v35
	v_cmp_gt_i32_e64 s1, 0, v36
	v_cndmask_b32_e64 v11, v36, v11, s1
	v_lshlrev_b32_e32 v11, 2, v11
	ds_bpermute_b32 v11, v11, v35
	s_waitcnt lgkmcnt(0)
	v_cndmask_b32_e32 v11, v11, v37, vcc_lo
	v_cmp_lt_u32_e32 vcc_lo, 0xff, v0
	v_cndmask_b32_e64 v11, v11, 0, s0
	v_cmp_gt_u32_e64 s0, 0x100, v0
	v_add_nc_u32_e32 v7, v11, v7
	v_add_nc_u32_e32 v8, v7, v8
	;; [unrolled: 1-line block ×8, first 2 shown]
	ds_write2_b32 v13, v11, v7 offset0:32 offset1:33
	ds_write2_b32 v13, v8, v5 offset0:34 offset1:35
	;; [unrolled: 1-line block ×4, first 2 shown]
	ds_write_b32 v13, v2 offset:160
	s_waitcnt lgkmcnt(0)
	s_barrier
	buffer_gl0_inv
	ds_read_b32 v5, v14 offset:128
	ds_read_b32 v6, v18 offset:128
	;; [unrolled: 1-line block ×6, first 2 shown]
                                        ; implicit-def: $vgpr7
                                        ; implicit-def: $vgpr8
	s_and_saveexec_b32 s2, s0
	s_cbranch_execz .LBB567_87
; %bb.84:
	v_mul_u32_u24_e32 v7, 0x84, v0
	v_add_nc_u32_e32 v11, 1, v0
	v_mov_b32_e32 v8, 0x1800
	s_mov_b32 s3, exec_lo
	ds_read_b32 v7, v7 offset:128
	v_cmpx_ne_u32_e32 0x100, v11
; %bb.85:
	v_mul_u32_u24_e32 v8, 0x84, v11
	ds_read_b32 v8, v8 offset:128
; %bb.86:
	s_or_b32 exec_lo, exec_lo, s3
	s_waitcnt lgkmcnt(0)
	v_sub_nc_u32_e32 v8, v8, v7
.LBB567_87:
	s_or_b32 exec_lo, exec_lo, s2
	v_lshlrev_b32_e32 v11, 2, v12
	s_waitcnt lgkmcnt(4)
	v_lshlrev_b32_e32 v6, 2, v6
	v_lshlrev_b32_e32 v12, 2, v17
	;; [unrolled: 1-line block ×3, first 2 shown]
	s_waitcnt lgkmcnt(0)
	v_lshl_add_u32 v5, v5, 2, v11
	s_barrier
	buffer_gl0_inv
	v_lshlrev_b32_e32 v4, 2, v4
	v_add3_u32 v6, v6, v12, v13
	ds_write_b32 v5, v9 offset:1024
	v_lshlrev_b32_e32 v5, 2, v21
	v_lshlrev_b32_e32 v9, 2, v19
	;; [unrolled: 1-line block ×11, first 2 shown]
	v_add3_u32 v4, v4, v5, v9
	v_add3_u32 v5, v2, v13, v14
	v_mov_b32_e32 v2, 0
	v_add3_u32 v3, v3, v11, v12
	v_add3_u32 v1, v1, v16, v17
	ds_write_b32 v6, v10 offset:1024
	ds_write_b32 v4, v15 offset:1024
	;; [unrolled: 1-line block ×5, first 2 shown]
	s_and_saveexec_b32 s1, s0
	s_cbranch_execz .LBB567_97
; %bb.88:
	v_lshl_add_u32 v1, s23, 8, v0
	v_mov_b32_e32 v9, 0
	s_mov_b32 s2, 0
	s_mov_b32 s3, s23
	v_lshlrev_b64 v[3:4], 2, v[1:2]
	v_or_b32_e32 v1, 2.0, v8
	v_add_co_u32 v3, s0, s10, v3
	v_add_co_ci_u32_e64 v4, null, s11, v4, s0
                                        ; implicit-def: $sgpr0
	global_store_dword v[3:4], v1, off
	s_branch .LBB567_91
	.p2align	6
.LBB567_89:                             ;   in Loop: Header=BB567_91 Depth=1
	s_or_b32 exec_lo, exec_lo, s5
.LBB567_90:                             ;   in Loop: Header=BB567_91 Depth=1
	s_or_b32 exec_lo, exec_lo, s4
	v_and_b32_e32 v5, 0x3fffffff, v1
	v_cmp_gt_i32_e64 s0, -2.0, v1
	v_add_nc_u32_e32 v9, v5, v9
	s_and_b32 s4, exec_lo, s0
	s_or_b32 s2, s4, s2
	s_andn2_b32 exec_lo, exec_lo, s2
	s_cbranch_execz .LBB567_96
.LBB567_91:                             ; =>This Loop Header: Depth=1
                                        ;     Child Loop BB567_94 Depth 2
	s_or_b32 s0, s0, exec_lo
	s_cmp_eq_u32 s3, 0
	s_cbranch_scc1 .LBB567_95
; %bb.92:                               ;   in Loop: Header=BB567_91 Depth=1
	s_add_i32 s3, s3, -1
	s_mov_b32 s4, exec_lo
	v_lshl_or_b32 v1, s3, 8, v0
	v_lshlrev_b64 v[5:6], 2, v[1:2]
	v_add_co_u32 v5, s0, s10, v5
	v_add_co_ci_u32_e64 v6, null, s11, v6, s0
	global_load_dword v1, v[5:6], off glc dlc
	s_waitcnt vmcnt(0)
	v_cmpx_gt_u32_e32 2.0, v1
	s_cbranch_execz .LBB567_90
; %bb.93:                               ;   in Loop: Header=BB567_91 Depth=1
	s_mov_b32 s5, 0
.LBB567_94:                             ;   Parent Loop BB567_91 Depth=1
                                        ; =>  This Inner Loop Header: Depth=2
	global_load_dword v1, v[5:6], off glc dlc
	s_waitcnt vmcnt(0)
	v_cmp_lt_u32_e64 s0, 0x3fffffff, v1
	s_or_b32 s5, s0, s5
	s_andn2_b32 exec_lo, exec_lo, s5
	s_cbranch_execnz .LBB567_94
	s_branch .LBB567_89
.LBB567_95:                             ;   in Loop: Header=BB567_91 Depth=1
                                        ; implicit-def: $sgpr3
	s_and_b32 s4, exec_lo, s0
	s_or_b32 s2, s4, s2
	s_andn2_b32 exec_lo, exec_lo, s2
	s_cbranch_execnz .LBB567_91
.LBB567_96:
	s_or_b32 exec_lo, exec_lo, s2
	v_add_nc_u32_e32 v1, v9, v8
	v_sub_nc_u32_e32 v2, v9, v7
	v_or_b32_e32 v1, 0x80000000, v1
	global_store_dword v[3:4], v1, off
	global_load_dword v1, v23, s[12:13]
	s_waitcnt vmcnt(0)
	v_add_nc_u32_e32 v1, v2, v1
	ds_write_b32 v23, v1
.LBB567_97:
	s_or_b32 exec_lo, exec_lo, s1
	s_waitcnt lgkmcnt(0)
	s_waitcnt_vscnt null, 0x0
	s_barrier
	buffer_gl0_inv
	ds_read2st64_b32 v[1:2], v23 offset0:4 offset1:20
	ds_read2st64_b32 v[3:4], v23 offset0:36 offset1:52
	;; [unrolled: 1-line block ×3, first 2 shown]
	v_mov_b32_e32 v10, 0
	s_add_i32 s7, s7, -1
	s_cmp_eq_u32 s23, s7
	s_waitcnt lgkmcnt(2)
	v_cmp_ne_u32_e64 s0, 0x7fffffff, v1
	v_cndmask_b32_e64 v9, 0x80000000, v1, s0
	v_cmp_lt_i32_e64 s0, -1, v1
	v_lshrrev_b32_e32 v9, s20, v9
	v_cndmask_b32_e64 v11, 0x80000000, -1, s0
	v_cmp_ne_u32_e64 s0, 0x7fffffff, v2
	v_and_b32_e32 v9, s8, v9
	v_xor_b32_e32 v24, v11, v1
	v_cndmask_b32_e64 v12, 0x80000000, v2, s0
	v_cmp_lt_i32_e64 s0, -1, v2
	v_lshlrev_b32_e32 v9, 2, v9
	v_lshrrev_b32_e32 v12, s20, v12
	v_cndmask_b32_e64 v13, 0x80000000, -1, s0
	s_waitcnt lgkmcnt(1)
	v_cmp_ne_u32_e64 s0, 0x7fffffff, v3
	ds_read_b32 v9, v9
	v_and_b32_e32 v12, s8, v12
	v_cndmask_b32_e64 v14, 0x80000000, v3, s0
	v_cmp_ne_u32_e64 s0, 0x7fffffff, v4
	v_lshlrev_b32_e32 v12, 2, v12
	v_lshrrev_b32_e32 v14, s20, v14
	v_cndmask_b32_e64 v15, 0x80000000, v4, s0
	s_waitcnt lgkmcnt(1)
	v_cmp_ne_u32_e64 s0, 0x7fffffff, v5
	ds_read_b32 v18, v12
	v_and_b32_e32 v14, s8, v14
	v_lshrrev_b32_e32 v15, s20, v15
	v_cndmask_b32_e64 v16, 0x80000000, v5, s0
	v_cmp_ne_u32_e64 s0, 0x7fffffff, v6
	v_lshlrev_b32_e32 v12, 2, v14
	v_and_b32_e32 v15, s8, v15
	v_lshrrev_b32_e32 v16, s20, v16
	v_cndmask_b32_e64 v17, 0x80000000, v6, s0
	v_cmp_lt_i32_e64 s0, -1, v3
	ds_read_b32 v19, v12
	v_lshlrev_b32_e32 v15, 2, v15
	v_and_b32_e32 v16, s8, v16
	v_lshrrev_b32_e32 v17, s20, v17
	v_cndmask_b32_e64 v14, 0x80000000, -1, s0
	v_cmp_lt_i32_e64 s0, -1, v4
	s_waitcnt lgkmcnt(2)
	v_add_nc_u32_e32 v9, v9, v0
	v_lshlrev_b32_e32 v16, 2, v16
	v_and_b32_e32 v17, s8, v17
	v_xor_b32_e32 v25, v14, v3
	v_lshlrev_b32_e32 v12, 2, v17
	ds_read_b32 v15, v15
	ds_read_b32 v16, v16
	;; [unrolled: 1-line block ×3, first 2 shown]
	v_cndmask_b32_e64 v17, 0x80000000, -1, s0
	v_cmp_lt_i32_e64 s0, -1, v5
	v_lshlrev_b64 v[11:12], 2, v[9:10]
	s_waitcnt lgkmcnt(4)
	v_add3_u32 v9, v18, v0, 0x400
	v_xor_b32_e32 v18, v13, v2
	v_xor_b32_e32 v17, v17, v4
	v_cndmask_b32_e64 v21, 0x80000000, -1, s0
	v_cmp_lt_i32_e64 s0, -1, v6
	v_lshlrev_b64 v[1:2], 2, v[9:10]
	s_waitcnt lgkmcnt(3)
	v_add3_u32 v9, v19, v0, 0x800
	v_xor_b32_e32 v5, v21, v5
	v_cndmask_b32_e64 v22, 0x80000000, -1, s0
	v_add_co_u32 v3, s0, s18, v11
	v_add_co_ci_u32_e64 v4, null, s19, v12, s0
	v_lshlrev_b64 v[11:12], 2, v[9:10]
	s_waitcnt lgkmcnt(2)
	v_add3_u32 v9, v15, v0, 0xc00
	v_add_co_u32 v1, s0, s18, v1
	v_add_co_ci_u32_e64 v2, null, s19, v2, s0
	v_lshlrev_b64 v[13:14], 2, v[9:10]
	s_waitcnt lgkmcnt(1)
	v_add3_u32 v9, v16, v0, 0x1000
	;; [unrolled: 5-line block ×3, first 2 shown]
	global_store_dword v[3:4], v24, off
	global_store_dword v[1:2], v18, off
	;; [unrolled: 1-line block ×3, first 2 shown]
	v_add_co_u32 v13, s0, s18, v13
	v_add_co_ci_u32_e64 v14, null, s19, v14, s0
	v_lshlrev_b64 v[0:1], 2, v[9:10]
	v_add_co_u32 v2, s0, s18, v15
	v_add_co_ci_u32_e64 v3, null, s19, v16, s0
	v_xor_b32_e32 v4, v22, v6
	v_add_co_u32 v0, s0, s18, v0
	v_add_co_ci_u32_e64 v1, null, s19, v1, s0
	s_cselect_b32 s0, -1, 0
	s_xor_b32 s1, vcc_lo, -1
	global_store_dword v[13:14], v17, off
	s_and_b32 s0, s1, s0
	global_store_dword v[2:3], v5, off
	global_store_dword v[0:1], v4, off
	s_and_saveexec_b32 s1, s0
	s_cbranch_execz .LBB567_99
; %bb.98:
	ds_read_b32 v0, v23
	s_waitcnt lgkmcnt(0)
	v_add3_u32 v0, v7, v8, v0
	global_store_dword v23, v0, s[14:15]
.LBB567_99:
	s_endpgm
	.section	.rodata,"a",@progbits
	.p2align	6, 0x0
	.amdhsa_kernel _ZN7rocprim17ROCPRIM_400000_NS6detail17trampoline_kernelINS0_14default_configENS1_35radix_sort_onesweep_config_selectorIfNS0_10empty_typeEEEZZNS1_29radix_sort_onesweep_iterationIS3_Lb0EN6thrust23THRUST_200600_302600_NS6detail15normal_iteratorINS9_10device_ptrIfEEEESE_PS5_SF_jNS0_19identity_decomposerENS1_16block_id_wrapperIjLb1EEEEE10hipError_tT1_PNSt15iterator_traitsISK_E10value_typeET2_T3_PNSL_ISQ_E10value_typeET4_T5_PSV_SW_PNS1_23onesweep_lookback_stateEbbT6_jjT7_P12ihipStream_tbENKUlT_T0_SK_SP_E_clISE_SE_SF_SF_EEDaS13_S14_SK_SP_EUlS13_E_NS1_11comp_targetILNS1_3genE8ELNS1_11target_archE1030ELNS1_3gpuE2ELNS1_3repE0EEENS1_47radix_sort_onesweep_sort_config_static_selectorELNS0_4arch9wavefront6targetE0EEEvSK_
		.amdhsa_group_segment_fixed_size 37000
		.amdhsa_private_segment_fixed_size 0
		.amdhsa_kernarg_size 344
		.amdhsa_user_sgpr_count 6
		.amdhsa_user_sgpr_private_segment_buffer 1
		.amdhsa_user_sgpr_dispatch_ptr 0
		.amdhsa_user_sgpr_queue_ptr 0
		.amdhsa_user_sgpr_kernarg_segment_ptr 1
		.amdhsa_user_sgpr_dispatch_id 0
		.amdhsa_user_sgpr_flat_scratch_init 0
		.amdhsa_user_sgpr_private_segment_size 0
		.amdhsa_wavefront_size32 1
		.amdhsa_uses_dynamic_stack 0
		.amdhsa_system_sgpr_private_segment_wavefront_offset 0
		.amdhsa_system_sgpr_workgroup_id_x 1
		.amdhsa_system_sgpr_workgroup_id_y 0
		.amdhsa_system_sgpr_workgroup_id_z 0
		.amdhsa_system_sgpr_workgroup_info 0
		.amdhsa_system_vgpr_workitem_id 2
		.amdhsa_next_free_vgpr 42
		.amdhsa_next_free_sgpr 28
		.amdhsa_reserve_vcc 1
		.amdhsa_reserve_flat_scratch 0
		.amdhsa_float_round_mode_32 0
		.amdhsa_float_round_mode_16_64 0
		.amdhsa_float_denorm_mode_32 3
		.amdhsa_float_denorm_mode_16_64 3
		.amdhsa_dx10_clamp 1
		.amdhsa_ieee_mode 1
		.amdhsa_fp16_overflow 0
		.amdhsa_workgroup_processor_mode 1
		.amdhsa_memory_ordered 1
		.amdhsa_forward_progress 1
		.amdhsa_shared_vgpr_count 0
		.amdhsa_exception_fp_ieee_invalid_op 0
		.amdhsa_exception_fp_denorm_src 0
		.amdhsa_exception_fp_ieee_div_zero 0
		.amdhsa_exception_fp_ieee_overflow 0
		.amdhsa_exception_fp_ieee_underflow 0
		.amdhsa_exception_fp_ieee_inexact 0
		.amdhsa_exception_int_div_zero 0
	.end_amdhsa_kernel
	.section	.text._ZN7rocprim17ROCPRIM_400000_NS6detail17trampoline_kernelINS0_14default_configENS1_35radix_sort_onesweep_config_selectorIfNS0_10empty_typeEEEZZNS1_29radix_sort_onesweep_iterationIS3_Lb0EN6thrust23THRUST_200600_302600_NS6detail15normal_iteratorINS9_10device_ptrIfEEEESE_PS5_SF_jNS0_19identity_decomposerENS1_16block_id_wrapperIjLb1EEEEE10hipError_tT1_PNSt15iterator_traitsISK_E10value_typeET2_T3_PNSL_ISQ_E10value_typeET4_T5_PSV_SW_PNS1_23onesweep_lookback_stateEbbT6_jjT7_P12ihipStream_tbENKUlT_T0_SK_SP_E_clISE_SE_SF_SF_EEDaS13_S14_SK_SP_EUlS13_E_NS1_11comp_targetILNS1_3genE8ELNS1_11target_archE1030ELNS1_3gpuE2ELNS1_3repE0EEENS1_47radix_sort_onesweep_sort_config_static_selectorELNS0_4arch9wavefront6targetE0EEEvSK_,"axG",@progbits,_ZN7rocprim17ROCPRIM_400000_NS6detail17trampoline_kernelINS0_14default_configENS1_35radix_sort_onesweep_config_selectorIfNS0_10empty_typeEEEZZNS1_29radix_sort_onesweep_iterationIS3_Lb0EN6thrust23THRUST_200600_302600_NS6detail15normal_iteratorINS9_10device_ptrIfEEEESE_PS5_SF_jNS0_19identity_decomposerENS1_16block_id_wrapperIjLb1EEEEE10hipError_tT1_PNSt15iterator_traitsISK_E10value_typeET2_T3_PNSL_ISQ_E10value_typeET4_T5_PSV_SW_PNS1_23onesweep_lookback_stateEbbT6_jjT7_P12ihipStream_tbENKUlT_T0_SK_SP_E_clISE_SE_SF_SF_EEDaS13_S14_SK_SP_EUlS13_E_NS1_11comp_targetILNS1_3genE8ELNS1_11target_archE1030ELNS1_3gpuE2ELNS1_3repE0EEENS1_47radix_sort_onesweep_sort_config_static_selectorELNS0_4arch9wavefront6targetE0EEEvSK_,comdat
.Lfunc_end567:
	.size	_ZN7rocprim17ROCPRIM_400000_NS6detail17trampoline_kernelINS0_14default_configENS1_35radix_sort_onesweep_config_selectorIfNS0_10empty_typeEEEZZNS1_29radix_sort_onesweep_iterationIS3_Lb0EN6thrust23THRUST_200600_302600_NS6detail15normal_iteratorINS9_10device_ptrIfEEEESE_PS5_SF_jNS0_19identity_decomposerENS1_16block_id_wrapperIjLb1EEEEE10hipError_tT1_PNSt15iterator_traitsISK_E10value_typeET2_T3_PNSL_ISQ_E10value_typeET4_T5_PSV_SW_PNS1_23onesweep_lookback_stateEbbT6_jjT7_P12ihipStream_tbENKUlT_T0_SK_SP_E_clISE_SE_SF_SF_EEDaS13_S14_SK_SP_EUlS13_E_NS1_11comp_targetILNS1_3genE8ELNS1_11target_archE1030ELNS1_3gpuE2ELNS1_3repE0EEENS1_47radix_sort_onesweep_sort_config_static_selectorELNS0_4arch9wavefront6targetE0EEEvSK_, .Lfunc_end567-_ZN7rocprim17ROCPRIM_400000_NS6detail17trampoline_kernelINS0_14default_configENS1_35radix_sort_onesweep_config_selectorIfNS0_10empty_typeEEEZZNS1_29radix_sort_onesweep_iterationIS3_Lb0EN6thrust23THRUST_200600_302600_NS6detail15normal_iteratorINS9_10device_ptrIfEEEESE_PS5_SF_jNS0_19identity_decomposerENS1_16block_id_wrapperIjLb1EEEEE10hipError_tT1_PNSt15iterator_traitsISK_E10value_typeET2_T3_PNSL_ISQ_E10value_typeET4_T5_PSV_SW_PNS1_23onesweep_lookback_stateEbbT6_jjT7_P12ihipStream_tbENKUlT_T0_SK_SP_E_clISE_SE_SF_SF_EEDaS13_S14_SK_SP_EUlS13_E_NS1_11comp_targetILNS1_3genE8ELNS1_11target_archE1030ELNS1_3gpuE2ELNS1_3repE0EEENS1_47radix_sort_onesweep_sort_config_static_selectorELNS0_4arch9wavefront6targetE0EEEvSK_
                                        ; -- End function
	.set _ZN7rocprim17ROCPRIM_400000_NS6detail17trampoline_kernelINS0_14default_configENS1_35radix_sort_onesweep_config_selectorIfNS0_10empty_typeEEEZZNS1_29radix_sort_onesweep_iterationIS3_Lb0EN6thrust23THRUST_200600_302600_NS6detail15normal_iteratorINS9_10device_ptrIfEEEESE_PS5_SF_jNS0_19identity_decomposerENS1_16block_id_wrapperIjLb1EEEEE10hipError_tT1_PNSt15iterator_traitsISK_E10value_typeET2_T3_PNSL_ISQ_E10value_typeET4_T5_PSV_SW_PNS1_23onesweep_lookback_stateEbbT6_jjT7_P12ihipStream_tbENKUlT_T0_SK_SP_E_clISE_SE_SF_SF_EEDaS13_S14_SK_SP_EUlS13_E_NS1_11comp_targetILNS1_3genE8ELNS1_11target_archE1030ELNS1_3gpuE2ELNS1_3repE0EEENS1_47radix_sort_onesweep_sort_config_static_selectorELNS0_4arch9wavefront6targetE0EEEvSK_.num_vgpr, 42
	.set _ZN7rocprim17ROCPRIM_400000_NS6detail17trampoline_kernelINS0_14default_configENS1_35radix_sort_onesweep_config_selectorIfNS0_10empty_typeEEEZZNS1_29radix_sort_onesweep_iterationIS3_Lb0EN6thrust23THRUST_200600_302600_NS6detail15normal_iteratorINS9_10device_ptrIfEEEESE_PS5_SF_jNS0_19identity_decomposerENS1_16block_id_wrapperIjLb1EEEEE10hipError_tT1_PNSt15iterator_traitsISK_E10value_typeET2_T3_PNSL_ISQ_E10value_typeET4_T5_PSV_SW_PNS1_23onesweep_lookback_stateEbbT6_jjT7_P12ihipStream_tbENKUlT_T0_SK_SP_E_clISE_SE_SF_SF_EEDaS13_S14_SK_SP_EUlS13_E_NS1_11comp_targetILNS1_3genE8ELNS1_11target_archE1030ELNS1_3gpuE2ELNS1_3repE0EEENS1_47radix_sort_onesweep_sort_config_static_selectorELNS0_4arch9wavefront6targetE0EEEvSK_.num_agpr, 0
	.set _ZN7rocprim17ROCPRIM_400000_NS6detail17trampoline_kernelINS0_14default_configENS1_35radix_sort_onesweep_config_selectorIfNS0_10empty_typeEEEZZNS1_29radix_sort_onesweep_iterationIS3_Lb0EN6thrust23THRUST_200600_302600_NS6detail15normal_iteratorINS9_10device_ptrIfEEEESE_PS5_SF_jNS0_19identity_decomposerENS1_16block_id_wrapperIjLb1EEEEE10hipError_tT1_PNSt15iterator_traitsISK_E10value_typeET2_T3_PNSL_ISQ_E10value_typeET4_T5_PSV_SW_PNS1_23onesweep_lookback_stateEbbT6_jjT7_P12ihipStream_tbENKUlT_T0_SK_SP_E_clISE_SE_SF_SF_EEDaS13_S14_SK_SP_EUlS13_E_NS1_11comp_targetILNS1_3genE8ELNS1_11target_archE1030ELNS1_3gpuE2ELNS1_3repE0EEENS1_47radix_sort_onesweep_sort_config_static_selectorELNS0_4arch9wavefront6targetE0EEEvSK_.numbered_sgpr, 28
	.set _ZN7rocprim17ROCPRIM_400000_NS6detail17trampoline_kernelINS0_14default_configENS1_35radix_sort_onesweep_config_selectorIfNS0_10empty_typeEEEZZNS1_29radix_sort_onesweep_iterationIS3_Lb0EN6thrust23THRUST_200600_302600_NS6detail15normal_iteratorINS9_10device_ptrIfEEEESE_PS5_SF_jNS0_19identity_decomposerENS1_16block_id_wrapperIjLb1EEEEE10hipError_tT1_PNSt15iterator_traitsISK_E10value_typeET2_T3_PNSL_ISQ_E10value_typeET4_T5_PSV_SW_PNS1_23onesweep_lookback_stateEbbT6_jjT7_P12ihipStream_tbENKUlT_T0_SK_SP_E_clISE_SE_SF_SF_EEDaS13_S14_SK_SP_EUlS13_E_NS1_11comp_targetILNS1_3genE8ELNS1_11target_archE1030ELNS1_3gpuE2ELNS1_3repE0EEENS1_47radix_sort_onesweep_sort_config_static_selectorELNS0_4arch9wavefront6targetE0EEEvSK_.num_named_barrier, 0
	.set _ZN7rocprim17ROCPRIM_400000_NS6detail17trampoline_kernelINS0_14default_configENS1_35radix_sort_onesweep_config_selectorIfNS0_10empty_typeEEEZZNS1_29radix_sort_onesweep_iterationIS3_Lb0EN6thrust23THRUST_200600_302600_NS6detail15normal_iteratorINS9_10device_ptrIfEEEESE_PS5_SF_jNS0_19identity_decomposerENS1_16block_id_wrapperIjLb1EEEEE10hipError_tT1_PNSt15iterator_traitsISK_E10value_typeET2_T3_PNSL_ISQ_E10value_typeET4_T5_PSV_SW_PNS1_23onesweep_lookback_stateEbbT6_jjT7_P12ihipStream_tbENKUlT_T0_SK_SP_E_clISE_SE_SF_SF_EEDaS13_S14_SK_SP_EUlS13_E_NS1_11comp_targetILNS1_3genE8ELNS1_11target_archE1030ELNS1_3gpuE2ELNS1_3repE0EEENS1_47radix_sort_onesweep_sort_config_static_selectorELNS0_4arch9wavefront6targetE0EEEvSK_.private_seg_size, 0
	.set _ZN7rocprim17ROCPRIM_400000_NS6detail17trampoline_kernelINS0_14default_configENS1_35radix_sort_onesweep_config_selectorIfNS0_10empty_typeEEEZZNS1_29radix_sort_onesweep_iterationIS3_Lb0EN6thrust23THRUST_200600_302600_NS6detail15normal_iteratorINS9_10device_ptrIfEEEESE_PS5_SF_jNS0_19identity_decomposerENS1_16block_id_wrapperIjLb1EEEEE10hipError_tT1_PNSt15iterator_traitsISK_E10value_typeET2_T3_PNSL_ISQ_E10value_typeET4_T5_PSV_SW_PNS1_23onesweep_lookback_stateEbbT6_jjT7_P12ihipStream_tbENKUlT_T0_SK_SP_E_clISE_SE_SF_SF_EEDaS13_S14_SK_SP_EUlS13_E_NS1_11comp_targetILNS1_3genE8ELNS1_11target_archE1030ELNS1_3gpuE2ELNS1_3repE0EEENS1_47radix_sort_onesweep_sort_config_static_selectorELNS0_4arch9wavefront6targetE0EEEvSK_.uses_vcc, 1
	.set _ZN7rocprim17ROCPRIM_400000_NS6detail17trampoline_kernelINS0_14default_configENS1_35radix_sort_onesweep_config_selectorIfNS0_10empty_typeEEEZZNS1_29radix_sort_onesweep_iterationIS3_Lb0EN6thrust23THRUST_200600_302600_NS6detail15normal_iteratorINS9_10device_ptrIfEEEESE_PS5_SF_jNS0_19identity_decomposerENS1_16block_id_wrapperIjLb1EEEEE10hipError_tT1_PNSt15iterator_traitsISK_E10value_typeET2_T3_PNSL_ISQ_E10value_typeET4_T5_PSV_SW_PNS1_23onesweep_lookback_stateEbbT6_jjT7_P12ihipStream_tbENKUlT_T0_SK_SP_E_clISE_SE_SF_SF_EEDaS13_S14_SK_SP_EUlS13_E_NS1_11comp_targetILNS1_3genE8ELNS1_11target_archE1030ELNS1_3gpuE2ELNS1_3repE0EEENS1_47radix_sort_onesweep_sort_config_static_selectorELNS0_4arch9wavefront6targetE0EEEvSK_.uses_flat_scratch, 0
	.set _ZN7rocprim17ROCPRIM_400000_NS6detail17trampoline_kernelINS0_14default_configENS1_35radix_sort_onesweep_config_selectorIfNS0_10empty_typeEEEZZNS1_29radix_sort_onesweep_iterationIS3_Lb0EN6thrust23THRUST_200600_302600_NS6detail15normal_iteratorINS9_10device_ptrIfEEEESE_PS5_SF_jNS0_19identity_decomposerENS1_16block_id_wrapperIjLb1EEEEE10hipError_tT1_PNSt15iterator_traitsISK_E10value_typeET2_T3_PNSL_ISQ_E10value_typeET4_T5_PSV_SW_PNS1_23onesweep_lookback_stateEbbT6_jjT7_P12ihipStream_tbENKUlT_T0_SK_SP_E_clISE_SE_SF_SF_EEDaS13_S14_SK_SP_EUlS13_E_NS1_11comp_targetILNS1_3genE8ELNS1_11target_archE1030ELNS1_3gpuE2ELNS1_3repE0EEENS1_47radix_sort_onesweep_sort_config_static_selectorELNS0_4arch9wavefront6targetE0EEEvSK_.has_dyn_sized_stack, 0
	.set _ZN7rocprim17ROCPRIM_400000_NS6detail17trampoline_kernelINS0_14default_configENS1_35radix_sort_onesweep_config_selectorIfNS0_10empty_typeEEEZZNS1_29radix_sort_onesweep_iterationIS3_Lb0EN6thrust23THRUST_200600_302600_NS6detail15normal_iteratorINS9_10device_ptrIfEEEESE_PS5_SF_jNS0_19identity_decomposerENS1_16block_id_wrapperIjLb1EEEEE10hipError_tT1_PNSt15iterator_traitsISK_E10value_typeET2_T3_PNSL_ISQ_E10value_typeET4_T5_PSV_SW_PNS1_23onesweep_lookback_stateEbbT6_jjT7_P12ihipStream_tbENKUlT_T0_SK_SP_E_clISE_SE_SF_SF_EEDaS13_S14_SK_SP_EUlS13_E_NS1_11comp_targetILNS1_3genE8ELNS1_11target_archE1030ELNS1_3gpuE2ELNS1_3repE0EEENS1_47radix_sort_onesweep_sort_config_static_selectorELNS0_4arch9wavefront6targetE0EEEvSK_.has_recursion, 0
	.set _ZN7rocprim17ROCPRIM_400000_NS6detail17trampoline_kernelINS0_14default_configENS1_35radix_sort_onesweep_config_selectorIfNS0_10empty_typeEEEZZNS1_29radix_sort_onesweep_iterationIS3_Lb0EN6thrust23THRUST_200600_302600_NS6detail15normal_iteratorINS9_10device_ptrIfEEEESE_PS5_SF_jNS0_19identity_decomposerENS1_16block_id_wrapperIjLb1EEEEE10hipError_tT1_PNSt15iterator_traitsISK_E10value_typeET2_T3_PNSL_ISQ_E10value_typeET4_T5_PSV_SW_PNS1_23onesweep_lookback_stateEbbT6_jjT7_P12ihipStream_tbENKUlT_T0_SK_SP_E_clISE_SE_SF_SF_EEDaS13_S14_SK_SP_EUlS13_E_NS1_11comp_targetILNS1_3genE8ELNS1_11target_archE1030ELNS1_3gpuE2ELNS1_3repE0EEENS1_47radix_sort_onesweep_sort_config_static_selectorELNS0_4arch9wavefront6targetE0EEEvSK_.has_indirect_call, 0
	.section	.AMDGPU.csdata,"",@progbits
; Kernel info:
; codeLenInByte = 9488
; TotalNumSgprs: 30
; NumVgprs: 42
; ScratchSize: 0
; MemoryBound: 0
; FloatMode: 240
; IeeeMode: 1
; LDSByteSize: 37000 bytes/workgroup (compile time only)
; SGPRBlocks: 0
; VGPRBlocks: 5
; NumSGPRsForWavesPerEU: 30
; NumVGPRsForWavesPerEU: 42
; Occupancy: 16
; WaveLimiterHint : 1
; COMPUTE_PGM_RSRC2:SCRATCH_EN: 0
; COMPUTE_PGM_RSRC2:USER_SGPR: 6
; COMPUTE_PGM_RSRC2:TRAP_HANDLER: 0
; COMPUTE_PGM_RSRC2:TGID_X_EN: 1
; COMPUTE_PGM_RSRC2:TGID_Y_EN: 0
; COMPUTE_PGM_RSRC2:TGID_Z_EN: 0
; COMPUTE_PGM_RSRC2:TIDIG_COMP_CNT: 2
	.section	.text._ZN7rocprim17ROCPRIM_400000_NS6detail17trampoline_kernelINS0_14default_configENS1_35radix_sort_onesweep_config_selectorIfNS0_10empty_typeEEEZZNS1_29radix_sort_onesweep_iterationIS3_Lb0EN6thrust23THRUST_200600_302600_NS6detail15normal_iteratorINS9_10device_ptrIfEEEESE_PS5_SF_jNS0_19identity_decomposerENS1_16block_id_wrapperIjLb1EEEEE10hipError_tT1_PNSt15iterator_traitsISK_E10value_typeET2_T3_PNSL_ISQ_E10value_typeET4_T5_PSV_SW_PNS1_23onesweep_lookback_stateEbbT6_jjT7_P12ihipStream_tbENKUlT_T0_SK_SP_E_clISE_PfSF_SF_EEDaS13_S14_SK_SP_EUlS13_E_NS1_11comp_targetILNS1_3genE0ELNS1_11target_archE4294967295ELNS1_3gpuE0ELNS1_3repE0EEENS1_47radix_sort_onesweep_sort_config_static_selectorELNS0_4arch9wavefront6targetE0EEEvSK_,"axG",@progbits,_ZN7rocprim17ROCPRIM_400000_NS6detail17trampoline_kernelINS0_14default_configENS1_35radix_sort_onesweep_config_selectorIfNS0_10empty_typeEEEZZNS1_29radix_sort_onesweep_iterationIS3_Lb0EN6thrust23THRUST_200600_302600_NS6detail15normal_iteratorINS9_10device_ptrIfEEEESE_PS5_SF_jNS0_19identity_decomposerENS1_16block_id_wrapperIjLb1EEEEE10hipError_tT1_PNSt15iterator_traitsISK_E10value_typeET2_T3_PNSL_ISQ_E10value_typeET4_T5_PSV_SW_PNS1_23onesweep_lookback_stateEbbT6_jjT7_P12ihipStream_tbENKUlT_T0_SK_SP_E_clISE_PfSF_SF_EEDaS13_S14_SK_SP_EUlS13_E_NS1_11comp_targetILNS1_3genE0ELNS1_11target_archE4294967295ELNS1_3gpuE0ELNS1_3repE0EEENS1_47radix_sort_onesweep_sort_config_static_selectorELNS0_4arch9wavefront6targetE0EEEvSK_,comdat
	.protected	_ZN7rocprim17ROCPRIM_400000_NS6detail17trampoline_kernelINS0_14default_configENS1_35radix_sort_onesweep_config_selectorIfNS0_10empty_typeEEEZZNS1_29radix_sort_onesweep_iterationIS3_Lb0EN6thrust23THRUST_200600_302600_NS6detail15normal_iteratorINS9_10device_ptrIfEEEESE_PS5_SF_jNS0_19identity_decomposerENS1_16block_id_wrapperIjLb1EEEEE10hipError_tT1_PNSt15iterator_traitsISK_E10value_typeET2_T3_PNSL_ISQ_E10value_typeET4_T5_PSV_SW_PNS1_23onesweep_lookback_stateEbbT6_jjT7_P12ihipStream_tbENKUlT_T0_SK_SP_E_clISE_PfSF_SF_EEDaS13_S14_SK_SP_EUlS13_E_NS1_11comp_targetILNS1_3genE0ELNS1_11target_archE4294967295ELNS1_3gpuE0ELNS1_3repE0EEENS1_47radix_sort_onesweep_sort_config_static_selectorELNS0_4arch9wavefront6targetE0EEEvSK_ ; -- Begin function _ZN7rocprim17ROCPRIM_400000_NS6detail17trampoline_kernelINS0_14default_configENS1_35radix_sort_onesweep_config_selectorIfNS0_10empty_typeEEEZZNS1_29radix_sort_onesweep_iterationIS3_Lb0EN6thrust23THRUST_200600_302600_NS6detail15normal_iteratorINS9_10device_ptrIfEEEESE_PS5_SF_jNS0_19identity_decomposerENS1_16block_id_wrapperIjLb1EEEEE10hipError_tT1_PNSt15iterator_traitsISK_E10value_typeET2_T3_PNSL_ISQ_E10value_typeET4_T5_PSV_SW_PNS1_23onesweep_lookback_stateEbbT6_jjT7_P12ihipStream_tbENKUlT_T0_SK_SP_E_clISE_PfSF_SF_EEDaS13_S14_SK_SP_EUlS13_E_NS1_11comp_targetILNS1_3genE0ELNS1_11target_archE4294967295ELNS1_3gpuE0ELNS1_3repE0EEENS1_47radix_sort_onesweep_sort_config_static_selectorELNS0_4arch9wavefront6targetE0EEEvSK_
	.globl	_ZN7rocprim17ROCPRIM_400000_NS6detail17trampoline_kernelINS0_14default_configENS1_35radix_sort_onesweep_config_selectorIfNS0_10empty_typeEEEZZNS1_29radix_sort_onesweep_iterationIS3_Lb0EN6thrust23THRUST_200600_302600_NS6detail15normal_iteratorINS9_10device_ptrIfEEEESE_PS5_SF_jNS0_19identity_decomposerENS1_16block_id_wrapperIjLb1EEEEE10hipError_tT1_PNSt15iterator_traitsISK_E10value_typeET2_T3_PNSL_ISQ_E10value_typeET4_T5_PSV_SW_PNS1_23onesweep_lookback_stateEbbT6_jjT7_P12ihipStream_tbENKUlT_T0_SK_SP_E_clISE_PfSF_SF_EEDaS13_S14_SK_SP_EUlS13_E_NS1_11comp_targetILNS1_3genE0ELNS1_11target_archE4294967295ELNS1_3gpuE0ELNS1_3repE0EEENS1_47radix_sort_onesweep_sort_config_static_selectorELNS0_4arch9wavefront6targetE0EEEvSK_
	.p2align	8
	.type	_ZN7rocprim17ROCPRIM_400000_NS6detail17trampoline_kernelINS0_14default_configENS1_35radix_sort_onesweep_config_selectorIfNS0_10empty_typeEEEZZNS1_29radix_sort_onesweep_iterationIS3_Lb0EN6thrust23THRUST_200600_302600_NS6detail15normal_iteratorINS9_10device_ptrIfEEEESE_PS5_SF_jNS0_19identity_decomposerENS1_16block_id_wrapperIjLb1EEEEE10hipError_tT1_PNSt15iterator_traitsISK_E10value_typeET2_T3_PNSL_ISQ_E10value_typeET4_T5_PSV_SW_PNS1_23onesweep_lookback_stateEbbT6_jjT7_P12ihipStream_tbENKUlT_T0_SK_SP_E_clISE_PfSF_SF_EEDaS13_S14_SK_SP_EUlS13_E_NS1_11comp_targetILNS1_3genE0ELNS1_11target_archE4294967295ELNS1_3gpuE0ELNS1_3repE0EEENS1_47radix_sort_onesweep_sort_config_static_selectorELNS0_4arch9wavefront6targetE0EEEvSK_,@function
_ZN7rocprim17ROCPRIM_400000_NS6detail17trampoline_kernelINS0_14default_configENS1_35radix_sort_onesweep_config_selectorIfNS0_10empty_typeEEEZZNS1_29radix_sort_onesweep_iterationIS3_Lb0EN6thrust23THRUST_200600_302600_NS6detail15normal_iteratorINS9_10device_ptrIfEEEESE_PS5_SF_jNS0_19identity_decomposerENS1_16block_id_wrapperIjLb1EEEEE10hipError_tT1_PNSt15iterator_traitsISK_E10value_typeET2_T3_PNSL_ISQ_E10value_typeET4_T5_PSV_SW_PNS1_23onesweep_lookback_stateEbbT6_jjT7_P12ihipStream_tbENKUlT_T0_SK_SP_E_clISE_PfSF_SF_EEDaS13_S14_SK_SP_EUlS13_E_NS1_11comp_targetILNS1_3genE0ELNS1_11target_archE4294967295ELNS1_3gpuE0ELNS1_3repE0EEENS1_47radix_sort_onesweep_sort_config_static_selectorELNS0_4arch9wavefront6targetE0EEEvSK_: ; @_ZN7rocprim17ROCPRIM_400000_NS6detail17trampoline_kernelINS0_14default_configENS1_35radix_sort_onesweep_config_selectorIfNS0_10empty_typeEEEZZNS1_29radix_sort_onesweep_iterationIS3_Lb0EN6thrust23THRUST_200600_302600_NS6detail15normal_iteratorINS9_10device_ptrIfEEEESE_PS5_SF_jNS0_19identity_decomposerENS1_16block_id_wrapperIjLb1EEEEE10hipError_tT1_PNSt15iterator_traitsISK_E10value_typeET2_T3_PNSL_ISQ_E10value_typeET4_T5_PSV_SW_PNS1_23onesweep_lookback_stateEbbT6_jjT7_P12ihipStream_tbENKUlT_T0_SK_SP_E_clISE_PfSF_SF_EEDaS13_S14_SK_SP_EUlS13_E_NS1_11comp_targetILNS1_3genE0ELNS1_11target_archE4294967295ELNS1_3gpuE0ELNS1_3repE0EEENS1_47radix_sort_onesweep_sort_config_static_selectorELNS0_4arch9wavefront6targetE0EEEvSK_
; %bb.0:
	.section	.rodata,"a",@progbits
	.p2align	6, 0x0
	.amdhsa_kernel _ZN7rocprim17ROCPRIM_400000_NS6detail17trampoline_kernelINS0_14default_configENS1_35radix_sort_onesweep_config_selectorIfNS0_10empty_typeEEEZZNS1_29radix_sort_onesweep_iterationIS3_Lb0EN6thrust23THRUST_200600_302600_NS6detail15normal_iteratorINS9_10device_ptrIfEEEESE_PS5_SF_jNS0_19identity_decomposerENS1_16block_id_wrapperIjLb1EEEEE10hipError_tT1_PNSt15iterator_traitsISK_E10value_typeET2_T3_PNSL_ISQ_E10value_typeET4_T5_PSV_SW_PNS1_23onesweep_lookback_stateEbbT6_jjT7_P12ihipStream_tbENKUlT_T0_SK_SP_E_clISE_PfSF_SF_EEDaS13_S14_SK_SP_EUlS13_E_NS1_11comp_targetILNS1_3genE0ELNS1_11target_archE4294967295ELNS1_3gpuE0ELNS1_3repE0EEENS1_47radix_sort_onesweep_sort_config_static_selectorELNS0_4arch9wavefront6targetE0EEEvSK_
		.amdhsa_group_segment_fixed_size 0
		.amdhsa_private_segment_fixed_size 0
		.amdhsa_kernarg_size 88
		.amdhsa_user_sgpr_count 6
		.amdhsa_user_sgpr_private_segment_buffer 1
		.amdhsa_user_sgpr_dispatch_ptr 0
		.amdhsa_user_sgpr_queue_ptr 0
		.amdhsa_user_sgpr_kernarg_segment_ptr 1
		.amdhsa_user_sgpr_dispatch_id 0
		.amdhsa_user_sgpr_flat_scratch_init 0
		.amdhsa_user_sgpr_private_segment_size 0
		.amdhsa_wavefront_size32 1
		.amdhsa_uses_dynamic_stack 0
		.amdhsa_system_sgpr_private_segment_wavefront_offset 0
		.amdhsa_system_sgpr_workgroup_id_x 1
		.amdhsa_system_sgpr_workgroup_id_y 0
		.amdhsa_system_sgpr_workgroup_id_z 0
		.amdhsa_system_sgpr_workgroup_info 0
		.amdhsa_system_vgpr_workitem_id 0
		.amdhsa_next_free_vgpr 1
		.amdhsa_next_free_sgpr 1
		.amdhsa_reserve_vcc 0
		.amdhsa_reserve_flat_scratch 0
		.amdhsa_float_round_mode_32 0
		.amdhsa_float_round_mode_16_64 0
		.amdhsa_float_denorm_mode_32 3
		.amdhsa_float_denorm_mode_16_64 3
		.amdhsa_dx10_clamp 1
		.amdhsa_ieee_mode 1
		.amdhsa_fp16_overflow 0
		.amdhsa_workgroup_processor_mode 1
		.amdhsa_memory_ordered 1
		.amdhsa_forward_progress 1
		.amdhsa_shared_vgpr_count 0
		.amdhsa_exception_fp_ieee_invalid_op 0
		.amdhsa_exception_fp_denorm_src 0
		.amdhsa_exception_fp_ieee_div_zero 0
		.amdhsa_exception_fp_ieee_overflow 0
		.amdhsa_exception_fp_ieee_underflow 0
		.amdhsa_exception_fp_ieee_inexact 0
		.amdhsa_exception_int_div_zero 0
	.end_amdhsa_kernel
	.section	.text._ZN7rocprim17ROCPRIM_400000_NS6detail17trampoline_kernelINS0_14default_configENS1_35radix_sort_onesweep_config_selectorIfNS0_10empty_typeEEEZZNS1_29radix_sort_onesweep_iterationIS3_Lb0EN6thrust23THRUST_200600_302600_NS6detail15normal_iteratorINS9_10device_ptrIfEEEESE_PS5_SF_jNS0_19identity_decomposerENS1_16block_id_wrapperIjLb1EEEEE10hipError_tT1_PNSt15iterator_traitsISK_E10value_typeET2_T3_PNSL_ISQ_E10value_typeET4_T5_PSV_SW_PNS1_23onesweep_lookback_stateEbbT6_jjT7_P12ihipStream_tbENKUlT_T0_SK_SP_E_clISE_PfSF_SF_EEDaS13_S14_SK_SP_EUlS13_E_NS1_11comp_targetILNS1_3genE0ELNS1_11target_archE4294967295ELNS1_3gpuE0ELNS1_3repE0EEENS1_47radix_sort_onesweep_sort_config_static_selectorELNS0_4arch9wavefront6targetE0EEEvSK_,"axG",@progbits,_ZN7rocprim17ROCPRIM_400000_NS6detail17trampoline_kernelINS0_14default_configENS1_35radix_sort_onesweep_config_selectorIfNS0_10empty_typeEEEZZNS1_29radix_sort_onesweep_iterationIS3_Lb0EN6thrust23THRUST_200600_302600_NS6detail15normal_iteratorINS9_10device_ptrIfEEEESE_PS5_SF_jNS0_19identity_decomposerENS1_16block_id_wrapperIjLb1EEEEE10hipError_tT1_PNSt15iterator_traitsISK_E10value_typeET2_T3_PNSL_ISQ_E10value_typeET4_T5_PSV_SW_PNS1_23onesweep_lookback_stateEbbT6_jjT7_P12ihipStream_tbENKUlT_T0_SK_SP_E_clISE_PfSF_SF_EEDaS13_S14_SK_SP_EUlS13_E_NS1_11comp_targetILNS1_3genE0ELNS1_11target_archE4294967295ELNS1_3gpuE0ELNS1_3repE0EEENS1_47radix_sort_onesweep_sort_config_static_selectorELNS0_4arch9wavefront6targetE0EEEvSK_,comdat
.Lfunc_end568:
	.size	_ZN7rocprim17ROCPRIM_400000_NS6detail17trampoline_kernelINS0_14default_configENS1_35radix_sort_onesweep_config_selectorIfNS0_10empty_typeEEEZZNS1_29radix_sort_onesweep_iterationIS3_Lb0EN6thrust23THRUST_200600_302600_NS6detail15normal_iteratorINS9_10device_ptrIfEEEESE_PS5_SF_jNS0_19identity_decomposerENS1_16block_id_wrapperIjLb1EEEEE10hipError_tT1_PNSt15iterator_traitsISK_E10value_typeET2_T3_PNSL_ISQ_E10value_typeET4_T5_PSV_SW_PNS1_23onesweep_lookback_stateEbbT6_jjT7_P12ihipStream_tbENKUlT_T0_SK_SP_E_clISE_PfSF_SF_EEDaS13_S14_SK_SP_EUlS13_E_NS1_11comp_targetILNS1_3genE0ELNS1_11target_archE4294967295ELNS1_3gpuE0ELNS1_3repE0EEENS1_47radix_sort_onesweep_sort_config_static_selectorELNS0_4arch9wavefront6targetE0EEEvSK_, .Lfunc_end568-_ZN7rocprim17ROCPRIM_400000_NS6detail17trampoline_kernelINS0_14default_configENS1_35radix_sort_onesweep_config_selectorIfNS0_10empty_typeEEEZZNS1_29radix_sort_onesweep_iterationIS3_Lb0EN6thrust23THRUST_200600_302600_NS6detail15normal_iteratorINS9_10device_ptrIfEEEESE_PS5_SF_jNS0_19identity_decomposerENS1_16block_id_wrapperIjLb1EEEEE10hipError_tT1_PNSt15iterator_traitsISK_E10value_typeET2_T3_PNSL_ISQ_E10value_typeET4_T5_PSV_SW_PNS1_23onesweep_lookback_stateEbbT6_jjT7_P12ihipStream_tbENKUlT_T0_SK_SP_E_clISE_PfSF_SF_EEDaS13_S14_SK_SP_EUlS13_E_NS1_11comp_targetILNS1_3genE0ELNS1_11target_archE4294967295ELNS1_3gpuE0ELNS1_3repE0EEENS1_47radix_sort_onesweep_sort_config_static_selectorELNS0_4arch9wavefront6targetE0EEEvSK_
                                        ; -- End function
	.set _ZN7rocprim17ROCPRIM_400000_NS6detail17trampoline_kernelINS0_14default_configENS1_35radix_sort_onesweep_config_selectorIfNS0_10empty_typeEEEZZNS1_29radix_sort_onesweep_iterationIS3_Lb0EN6thrust23THRUST_200600_302600_NS6detail15normal_iteratorINS9_10device_ptrIfEEEESE_PS5_SF_jNS0_19identity_decomposerENS1_16block_id_wrapperIjLb1EEEEE10hipError_tT1_PNSt15iterator_traitsISK_E10value_typeET2_T3_PNSL_ISQ_E10value_typeET4_T5_PSV_SW_PNS1_23onesweep_lookback_stateEbbT6_jjT7_P12ihipStream_tbENKUlT_T0_SK_SP_E_clISE_PfSF_SF_EEDaS13_S14_SK_SP_EUlS13_E_NS1_11comp_targetILNS1_3genE0ELNS1_11target_archE4294967295ELNS1_3gpuE0ELNS1_3repE0EEENS1_47radix_sort_onesweep_sort_config_static_selectorELNS0_4arch9wavefront6targetE0EEEvSK_.num_vgpr, 0
	.set _ZN7rocprim17ROCPRIM_400000_NS6detail17trampoline_kernelINS0_14default_configENS1_35radix_sort_onesweep_config_selectorIfNS0_10empty_typeEEEZZNS1_29radix_sort_onesweep_iterationIS3_Lb0EN6thrust23THRUST_200600_302600_NS6detail15normal_iteratorINS9_10device_ptrIfEEEESE_PS5_SF_jNS0_19identity_decomposerENS1_16block_id_wrapperIjLb1EEEEE10hipError_tT1_PNSt15iterator_traitsISK_E10value_typeET2_T3_PNSL_ISQ_E10value_typeET4_T5_PSV_SW_PNS1_23onesweep_lookback_stateEbbT6_jjT7_P12ihipStream_tbENKUlT_T0_SK_SP_E_clISE_PfSF_SF_EEDaS13_S14_SK_SP_EUlS13_E_NS1_11comp_targetILNS1_3genE0ELNS1_11target_archE4294967295ELNS1_3gpuE0ELNS1_3repE0EEENS1_47radix_sort_onesweep_sort_config_static_selectorELNS0_4arch9wavefront6targetE0EEEvSK_.num_agpr, 0
	.set _ZN7rocprim17ROCPRIM_400000_NS6detail17trampoline_kernelINS0_14default_configENS1_35radix_sort_onesweep_config_selectorIfNS0_10empty_typeEEEZZNS1_29radix_sort_onesweep_iterationIS3_Lb0EN6thrust23THRUST_200600_302600_NS6detail15normal_iteratorINS9_10device_ptrIfEEEESE_PS5_SF_jNS0_19identity_decomposerENS1_16block_id_wrapperIjLb1EEEEE10hipError_tT1_PNSt15iterator_traitsISK_E10value_typeET2_T3_PNSL_ISQ_E10value_typeET4_T5_PSV_SW_PNS1_23onesweep_lookback_stateEbbT6_jjT7_P12ihipStream_tbENKUlT_T0_SK_SP_E_clISE_PfSF_SF_EEDaS13_S14_SK_SP_EUlS13_E_NS1_11comp_targetILNS1_3genE0ELNS1_11target_archE4294967295ELNS1_3gpuE0ELNS1_3repE0EEENS1_47radix_sort_onesweep_sort_config_static_selectorELNS0_4arch9wavefront6targetE0EEEvSK_.numbered_sgpr, 0
	.set _ZN7rocprim17ROCPRIM_400000_NS6detail17trampoline_kernelINS0_14default_configENS1_35radix_sort_onesweep_config_selectorIfNS0_10empty_typeEEEZZNS1_29radix_sort_onesweep_iterationIS3_Lb0EN6thrust23THRUST_200600_302600_NS6detail15normal_iteratorINS9_10device_ptrIfEEEESE_PS5_SF_jNS0_19identity_decomposerENS1_16block_id_wrapperIjLb1EEEEE10hipError_tT1_PNSt15iterator_traitsISK_E10value_typeET2_T3_PNSL_ISQ_E10value_typeET4_T5_PSV_SW_PNS1_23onesweep_lookback_stateEbbT6_jjT7_P12ihipStream_tbENKUlT_T0_SK_SP_E_clISE_PfSF_SF_EEDaS13_S14_SK_SP_EUlS13_E_NS1_11comp_targetILNS1_3genE0ELNS1_11target_archE4294967295ELNS1_3gpuE0ELNS1_3repE0EEENS1_47radix_sort_onesweep_sort_config_static_selectorELNS0_4arch9wavefront6targetE0EEEvSK_.num_named_barrier, 0
	.set _ZN7rocprim17ROCPRIM_400000_NS6detail17trampoline_kernelINS0_14default_configENS1_35radix_sort_onesweep_config_selectorIfNS0_10empty_typeEEEZZNS1_29radix_sort_onesweep_iterationIS3_Lb0EN6thrust23THRUST_200600_302600_NS6detail15normal_iteratorINS9_10device_ptrIfEEEESE_PS5_SF_jNS0_19identity_decomposerENS1_16block_id_wrapperIjLb1EEEEE10hipError_tT1_PNSt15iterator_traitsISK_E10value_typeET2_T3_PNSL_ISQ_E10value_typeET4_T5_PSV_SW_PNS1_23onesweep_lookback_stateEbbT6_jjT7_P12ihipStream_tbENKUlT_T0_SK_SP_E_clISE_PfSF_SF_EEDaS13_S14_SK_SP_EUlS13_E_NS1_11comp_targetILNS1_3genE0ELNS1_11target_archE4294967295ELNS1_3gpuE0ELNS1_3repE0EEENS1_47radix_sort_onesweep_sort_config_static_selectorELNS0_4arch9wavefront6targetE0EEEvSK_.private_seg_size, 0
	.set _ZN7rocprim17ROCPRIM_400000_NS6detail17trampoline_kernelINS0_14default_configENS1_35radix_sort_onesweep_config_selectorIfNS0_10empty_typeEEEZZNS1_29radix_sort_onesweep_iterationIS3_Lb0EN6thrust23THRUST_200600_302600_NS6detail15normal_iteratorINS9_10device_ptrIfEEEESE_PS5_SF_jNS0_19identity_decomposerENS1_16block_id_wrapperIjLb1EEEEE10hipError_tT1_PNSt15iterator_traitsISK_E10value_typeET2_T3_PNSL_ISQ_E10value_typeET4_T5_PSV_SW_PNS1_23onesweep_lookback_stateEbbT6_jjT7_P12ihipStream_tbENKUlT_T0_SK_SP_E_clISE_PfSF_SF_EEDaS13_S14_SK_SP_EUlS13_E_NS1_11comp_targetILNS1_3genE0ELNS1_11target_archE4294967295ELNS1_3gpuE0ELNS1_3repE0EEENS1_47radix_sort_onesweep_sort_config_static_selectorELNS0_4arch9wavefront6targetE0EEEvSK_.uses_vcc, 0
	.set _ZN7rocprim17ROCPRIM_400000_NS6detail17trampoline_kernelINS0_14default_configENS1_35radix_sort_onesweep_config_selectorIfNS0_10empty_typeEEEZZNS1_29radix_sort_onesweep_iterationIS3_Lb0EN6thrust23THRUST_200600_302600_NS6detail15normal_iteratorINS9_10device_ptrIfEEEESE_PS5_SF_jNS0_19identity_decomposerENS1_16block_id_wrapperIjLb1EEEEE10hipError_tT1_PNSt15iterator_traitsISK_E10value_typeET2_T3_PNSL_ISQ_E10value_typeET4_T5_PSV_SW_PNS1_23onesweep_lookback_stateEbbT6_jjT7_P12ihipStream_tbENKUlT_T0_SK_SP_E_clISE_PfSF_SF_EEDaS13_S14_SK_SP_EUlS13_E_NS1_11comp_targetILNS1_3genE0ELNS1_11target_archE4294967295ELNS1_3gpuE0ELNS1_3repE0EEENS1_47radix_sort_onesweep_sort_config_static_selectorELNS0_4arch9wavefront6targetE0EEEvSK_.uses_flat_scratch, 0
	.set _ZN7rocprim17ROCPRIM_400000_NS6detail17trampoline_kernelINS0_14default_configENS1_35radix_sort_onesweep_config_selectorIfNS0_10empty_typeEEEZZNS1_29radix_sort_onesweep_iterationIS3_Lb0EN6thrust23THRUST_200600_302600_NS6detail15normal_iteratorINS9_10device_ptrIfEEEESE_PS5_SF_jNS0_19identity_decomposerENS1_16block_id_wrapperIjLb1EEEEE10hipError_tT1_PNSt15iterator_traitsISK_E10value_typeET2_T3_PNSL_ISQ_E10value_typeET4_T5_PSV_SW_PNS1_23onesweep_lookback_stateEbbT6_jjT7_P12ihipStream_tbENKUlT_T0_SK_SP_E_clISE_PfSF_SF_EEDaS13_S14_SK_SP_EUlS13_E_NS1_11comp_targetILNS1_3genE0ELNS1_11target_archE4294967295ELNS1_3gpuE0ELNS1_3repE0EEENS1_47radix_sort_onesweep_sort_config_static_selectorELNS0_4arch9wavefront6targetE0EEEvSK_.has_dyn_sized_stack, 0
	.set _ZN7rocprim17ROCPRIM_400000_NS6detail17trampoline_kernelINS0_14default_configENS1_35radix_sort_onesweep_config_selectorIfNS0_10empty_typeEEEZZNS1_29radix_sort_onesweep_iterationIS3_Lb0EN6thrust23THRUST_200600_302600_NS6detail15normal_iteratorINS9_10device_ptrIfEEEESE_PS5_SF_jNS0_19identity_decomposerENS1_16block_id_wrapperIjLb1EEEEE10hipError_tT1_PNSt15iterator_traitsISK_E10value_typeET2_T3_PNSL_ISQ_E10value_typeET4_T5_PSV_SW_PNS1_23onesweep_lookback_stateEbbT6_jjT7_P12ihipStream_tbENKUlT_T0_SK_SP_E_clISE_PfSF_SF_EEDaS13_S14_SK_SP_EUlS13_E_NS1_11comp_targetILNS1_3genE0ELNS1_11target_archE4294967295ELNS1_3gpuE0ELNS1_3repE0EEENS1_47radix_sort_onesweep_sort_config_static_selectorELNS0_4arch9wavefront6targetE0EEEvSK_.has_recursion, 0
	.set _ZN7rocprim17ROCPRIM_400000_NS6detail17trampoline_kernelINS0_14default_configENS1_35radix_sort_onesweep_config_selectorIfNS0_10empty_typeEEEZZNS1_29radix_sort_onesweep_iterationIS3_Lb0EN6thrust23THRUST_200600_302600_NS6detail15normal_iteratorINS9_10device_ptrIfEEEESE_PS5_SF_jNS0_19identity_decomposerENS1_16block_id_wrapperIjLb1EEEEE10hipError_tT1_PNSt15iterator_traitsISK_E10value_typeET2_T3_PNSL_ISQ_E10value_typeET4_T5_PSV_SW_PNS1_23onesweep_lookback_stateEbbT6_jjT7_P12ihipStream_tbENKUlT_T0_SK_SP_E_clISE_PfSF_SF_EEDaS13_S14_SK_SP_EUlS13_E_NS1_11comp_targetILNS1_3genE0ELNS1_11target_archE4294967295ELNS1_3gpuE0ELNS1_3repE0EEENS1_47radix_sort_onesweep_sort_config_static_selectorELNS0_4arch9wavefront6targetE0EEEvSK_.has_indirect_call, 0
	.section	.AMDGPU.csdata,"",@progbits
; Kernel info:
; codeLenInByte = 0
; TotalNumSgprs: 0
; NumVgprs: 0
; ScratchSize: 0
; MemoryBound: 0
; FloatMode: 240
; IeeeMode: 1
; LDSByteSize: 0 bytes/workgroup (compile time only)
; SGPRBlocks: 0
; VGPRBlocks: 0
; NumSGPRsForWavesPerEU: 1
; NumVGPRsForWavesPerEU: 1
; Occupancy: 16
; WaveLimiterHint : 0
; COMPUTE_PGM_RSRC2:SCRATCH_EN: 0
; COMPUTE_PGM_RSRC2:USER_SGPR: 6
; COMPUTE_PGM_RSRC2:TRAP_HANDLER: 0
; COMPUTE_PGM_RSRC2:TGID_X_EN: 1
; COMPUTE_PGM_RSRC2:TGID_Y_EN: 0
; COMPUTE_PGM_RSRC2:TGID_Z_EN: 0
; COMPUTE_PGM_RSRC2:TIDIG_COMP_CNT: 0
	.section	.text._ZN7rocprim17ROCPRIM_400000_NS6detail17trampoline_kernelINS0_14default_configENS1_35radix_sort_onesweep_config_selectorIfNS0_10empty_typeEEEZZNS1_29radix_sort_onesweep_iterationIS3_Lb0EN6thrust23THRUST_200600_302600_NS6detail15normal_iteratorINS9_10device_ptrIfEEEESE_PS5_SF_jNS0_19identity_decomposerENS1_16block_id_wrapperIjLb1EEEEE10hipError_tT1_PNSt15iterator_traitsISK_E10value_typeET2_T3_PNSL_ISQ_E10value_typeET4_T5_PSV_SW_PNS1_23onesweep_lookback_stateEbbT6_jjT7_P12ihipStream_tbENKUlT_T0_SK_SP_E_clISE_PfSF_SF_EEDaS13_S14_SK_SP_EUlS13_E_NS1_11comp_targetILNS1_3genE6ELNS1_11target_archE950ELNS1_3gpuE13ELNS1_3repE0EEENS1_47radix_sort_onesweep_sort_config_static_selectorELNS0_4arch9wavefront6targetE0EEEvSK_,"axG",@progbits,_ZN7rocprim17ROCPRIM_400000_NS6detail17trampoline_kernelINS0_14default_configENS1_35radix_sort_onesweep_config_selectorIfNS0_10empty_typeEEEZZNS1_29radix_sort_onesweep_iterationIS3_Lb0EN6thrust23THRUST_200600_302600_NS6detail15normal_iteratorINS9_10device_ptrIfEEEESE_PS5_SF_jNS0_19identity_decomposerENS1_16block_id_wrapperIjLb1EEEEE10hipError_tT1_PNSt15iterator_traitsISK_E10value_typeET2_T3_PNSL_ISQ_E10value_typeET4_T5_PSV_SW_PNS1_23onesweep_lookback_stateEbbT6_jjT7_P12ihipStream_tbENKUlT_T0_SK_SP_E_clISE_PfSF_SF_EEDaS13_S14_SK_SP_EUlS13_E_NS1_11comp_targetILNS1_3genE6ELNS1_11target_archE950ELNS1_3gpuE13ELNS1_3repE0EEENS1_47radix_sort_onesweep_sort_config_static_selectorELNS0_4arch9wavefront6targetE0EEEvSK_,comdat
	.protected	_ZN7rocprim17ROCPRIM_400000_NS6detail17trampoline_kernelINS0_14default_configENS1_35radix_sort_onesweep_config_selectorIfNS0_10empty_typeEEEZZNS1_29radix_sort_onesweep_iterationIS3_Lb0EN6thrust23THRUST_200600_302600_NS6detail15normal_iteratorINS9_10device_ptrIfEEEESE_PS5_SF_jNS0_19identity_decomposerENS1_16block_id_wrapperIjLb1EEEEE10hipError_tT1_PNSt15iterator_traitsISK_E10value_typeET2_T3_PNSL_ISQ_E10value_typeET4_T5_PSV_SW_PNS1_23onesweep_lookback_stateEbbT6_jjT7_P12ihipStream_tbENKUlT_T0_SK_SP_E_clISE_PfSF_SF_EEDaS13_S14_SK_SP_EUlS13_E_NS1_11comp_targetILNS1_3genE6ELNS1_11target_archE950ELNS1_3gpuE13ELNS1_3repE0EEENS1_47radix_sort_onesweep_sort_config_static_selectorELNS0_4arch9wavefront6targetE0EEEvSK_ ; -- Begin function _ZN7rocprim17ROCPRIM_400000_NS6detail17trampoline_kernelINS0_14default_configENS1_35radix_sort_onesweep_config_selectorIfNS0_10empty_typeEEEZZNS1_29radix_sort_onesweep_iterationIS3_Lb0EN6thrust23THRUST_200600_302600_NS6detail15normal_iteratorINS9_10device_ptrIfEEEESE_PS5_SF_jNS0_19identity_decomposerENS1_16block_id_wrapperIjLb1EEEEE10hipError_tT1_PNSt15iterator_traitsISK_E10value_typeET2_T3_PNSL_ISQ_E10value_typeET4_T5_PSV_SW_PNS1_23onesweep_lookback_stateEbbT6_jjT7_P12ihipStream_tbENKUlT_T0_SK_SP_E_clISE_PfSF_SF_EEDaS13_S14_SK_SP_EUlS13_E_NS1_11comp_targetILNS1_3genE6ELNS1_11target_archE950ELNS1_3gpuE13ELNS1_3repE0EEENS1_47radix_sort_onesweep_sort_config_static_selectorELNS0_4arch9wavefront6targetE0EEEvSK_
	.globl	_ZN7rocprim17ROCPRIM_400000_NS6detail17trampoline_kernelINS0_14default_configENS1_35radix_sort_onesweep_config_selectorIfNS0_10empty_typeEEEZZNS1_29radix_sort_onesweep_iterationIS3_Lb0EN6thrust23THRUST_200600_302600_NS6detail15normal_iteratorINS9_10device_ptrIfEEEESE_PS5_SF_jNS0_19identity_decomposerENS1_16block_id_wrapperIjLb1EEEEE10hipError_tT1_PNSt15iterator_traitsISK_E10value_typeET2_T3_PNSL_ISQ_E10value_typeET4_T5_PSV_SW_PNS1_23onesweep_lookback_stateEbbT6_jjT7_P12ihipStream_tbENKUlT_T0_SK_SP_E_clISE_PfSF_SF_EEDaS13_S14_SK_SP_EUlS13_E_NS1_11comp_targetILNS1_3genE6ELNS1_11target_archE950ELNS1_3gpuE13ELNS1_3repE0EEENS1_47radix_sort_onesweep_sort_config_static_selectorELNS0_4arch9wavefront6targetE0EEEvSK_
	.p2align	8
	.type	_ZN7rocprim17ROCPRIM_400000_NS6detail17trampoline_kernelINS0_14default_configENS1_35radix_sort_onesweep_config_selectorIfNS0_10empty_typeEEEZZNS1_29radix_sort_onesweep_iterationIS3_Lb0EN6thrust23THRUST_200600_302600_NS6detail15normal_iteratorINS9_10device_ptrIfEEEESE_PS5_SF_jNS0_19identity_decomposerENS1_16block_id_wrapperIjLb1EEEEE10hipError_tT1_PNSt15iterator_traitsISK_E10value_typeET2_T3_PNSL_ISQ_E10value_typeET4_T5_PSV_SW_PNS1_23onesweep_lookback_stateEbbT6_jjT7_P12ihipStream_tbENKUlT_T0_SK_SP_E_clISE_PfSF_SF_EEDaS13_S14_SK_SP_EUlS13_E_NS1_11comp_targetILNS1_3genE6ELNS1_11target_archE950ELNS1_3gpuE13ELNS1_3repE0EEENS1_47radix_sort_onesweep_sort_config_static_selectorELNS0_4arch9wavefront6targetE0EEEvSK_,@function
_ZN7rocprim17ROCPRIM_400000_NS6detail17trampoline_kernelINS0_14default_configENS1_35radix_sort_onesweep_config_selectorIfNS0_10empty_typeEEEZZNS1_29radix_sort_onesweep_iterationIS3_Lb0EN6thrust23THRUST_200600_302600_NS6detail15normal_iteratorINS9_10device_ptrIfEEEESE_PS5_SF_jNS0_19identity_decomposerENS1_16block_id_wrapperIjLb1EEEEE10hipError_tT1_PNSt15iterator_traitsISK_E10value_typeET2_T3_PNSL_ISQ_E10value_typeET4_T5_PSV_SW_PNS1_23onesweep_lookback_stateEbbT6_jjT7_P12ihipStream_tbENKUlT_T0_SK_SP_E_clISE_PfSF_SF_EEDaS13_S14_SK_SP_EUlS13_E_NS1_11comp_targetILNS1_3genE6ELNS1_11target_archE950ELNS1_3gpuE13ELNS1_3repE0EEENS1_47radix_sort_onesweep_sort_config_static_selectorELNS0_4arch9wavefront6targetE0EEEvSK_: ; @_ZN7rocprim17ROCPRIM_400000_NS6detail17trampoline_kernelINS0_14default_configENS1_35radix_sort_onesweep_config_selectorIfNS0_10empty_typeEEEZZNS1_29radix_sort_onesweep_iterationIS3_Lb0EN6thrust23THRUST_200600_302600_NS6detail15normal_iteratorINS9_10device_ptrIfEEEESE_PS5_SF_jNS0_19identity_decomposerENS1_16block_id_wrapperIjLb1EEEEE10hipError_tT1_PNSt15iterator_traitsISK_E10value_typeET2_T3_PNSL_ISQ_E10value_typeET4_T5_PSV_SW_PNS1_23onesweep_lookback_stateEbbT6_jjT7_P12ihipStream_tbENKUlT_T0_SK_SP_E_clISE_PfSF_SF_EEDaS13_S14_SK_SP_EUlS13_E_NS1_11comp_targetILNS1_3genE6ELNS1_11target_archE950ELNS1_3gpuE13ELNS1_3repE0EEENS1_47radix_sort_onesweep_sort_config_static_selectorELNS0_4arch9wavefront6targetE0EEEvSK_
; %bb.0:
	.section	.rodata,"a",@progbits
	.p2align	6, 0x0
	.amdhsa_kernel _ZN7rocprim17ROCPRIM_400000_NS6detail17trampoline_kernelINS0_14default_configENS1_35radix_sort_onesweep_config_selectorIfNS0_10empty_typeEEEZZNS1_29radix_sort_onesweep_iterationIS3_Lb0EN6thrust23THRUST_200600_302600_NS6detail15normal_iteratorINS9_10device_ptrIfEEEESE_PS5_SF_jNS0_19identity_decomposerENS1_16block_id_wrapperIjLb1EEEEE10hipError_tT1_PNSt15iterator_traitsISK_E10value_typeET2_T3_PNSL_ISQ_E10value_typeET4_T5_PSV_SW_PNS1_23onesweep_lookback_stateEbbT6_jjT7_P12ihipStream_tbENKUlT_T0_SK_SP_E_clISE_PfSF_SF_EEDaS13_S14_SK_SP_EUlS13_E_NS1_11comp_targetILNS1_3genE6ELNS1_11target_archE950ELNS1_3gpuE13ELNS1_3repE0EEENS1_47radix_sort_onesweep_sort_config_static_selectorELNS0_4arch9wavefront6targetE0EEEvSK_
		.amdhsa_group_segment_fixed_size 0
		.amdhsa_private_segment_fixed_size 0
		.amdhsa_kernarg_size 88
		.amdhsa_user_sgpr_count 6
		.amdhsa_user_sgpr_private_segment_buffer 1
		.amdhsa_user_sgpr_dispatch_ptr 0
		.amdhsa_user_sgpr_queue_ptr 0
		.amdhsa_user_sgpr_kernarg_segment_ptr 1
		.amdhsa_user_sgpr_dispatch_id 0
		.amdhsa_user_sgpr_flat_scratch_init 0
		.amdhsa_user_sgpr_private_segment_size 0
		.amdhsa_wavefront_size32 1
		.amdhsa_uses_dynamic_stack 0
		.amdhsa_system_sgpr_private_segment_wavefront_offset 0
		.amdhsa_system_sgpr_workgroup_id_x 1
		.amdhsa_system_sgpr_workgroup_id_y 0
		.amdhsa_system_sgpr_workgroup_id_z 0
		.amdhsa_system_sgpr_workgroup_info 0
		.amdhsa_system_vgpr_workitem_id 0
		.amdhsa_next_free_vgpr 1
		.amdhsa_next_free_sgpr 1
		.amdhsa_reserve_vcc 0
		.amdhsa_reserve_flat_scratch 0
		.amdhsa_float_round_mode_32 0
		.amdhsa_float_round_mode_16_64 0
		.amdhsa_float_denorm_mode_32 3
		.amdhsa_float_denorm_mode_16_64 3
		.amdhsa_dx10_clamp 1
		.amdhsa_ieee_mode 1
		.amdhsa_fp16_overflow 0
		.amdhsa_workgroup_processor_mode 1
		.amdhsa_memory_ordered 1
		.amdhsa_forward_progress 1
		.amdhsa_shared_vgpr_count 0
		.amdhsa_exception_fp_ieee_invalid_op 0
		.amdhsa_exception_fp_denorm_src 0
		.amdhsa_exception_fp_ieee_div_zero 0
		.amdhsa_exception_fp_ieee_overflow 0
		.amdhsa_exception_fp_ieee_underflow 0
		.amdhsa_exception_fp_ieee_inexact 0
		.amdhsa_exception_int_div_zero 0
	.end_amdhsa_kernel
	.section	.text._ZN7rocprim17ROCPRIM_400000_NS6detail17trampoline_kernelINS0_14default_configENS1_35radix_sort_onesweep_config_selectorIfNS0_10empty_typeEEEZZNS1_29radix_sort_onesweep_iterationIS3_Lb0EN6thrust23THRUST_200600_302600_NS6detail15normal_iteratorINS9_10device_ptrIfEEEESE_PS5_SF_jNS0_19identity_decomposerENS1_16block_id_wrapperIjLb1EEEEE10hipError_tT1_PNSt15iterator_traitsISK_E10value_typeET2_T3_PNSL_ISQ_E10value_typeET4_T5_PSV_SW_PNS1_23onesweep_lookback_stateEbbT6_jjT7_P12ihipStream_tbENKUlT_T0_SK_SP_E_clISE_PfSF_SF_EEDaS13_S14_SK_SP_EUlS13_E_NS1_11comp_targetILNS1_3genE6ELNS1_11target_archE950ELNS1_3gpuE13ELNS1_3repE0EEENS1_47radix_sort_onesweep_sort_config_static_selectorELNS0_4arch9wavefront6targetE0EEEvSK_,"axG",@progbits,_ZN7rocprim17ROCPRIM_400000_NS6detail17trampoline_kernelINS0_14default_configENS1_35radix_sort_onesweep_config_selectorIfNS0_10empty_typeEEEZZNS1_29radix_sort_onesweep_iterationIS3_Lb0EN6thrust23THRUST_200600_302600_NS6detail15normal_iteratorINS9_10device_ptrIfEEEESE_PS5_SF_jNS0_19identity_decomposerENS1_16block_id_wrapperIjLb1EEEEE10hipError_tT1_PNSt15iterator_traitsISK_E10value_typeET2_T3_PNSL_ISQ_E10value_typeET4_T5_PSV_SW_PNS1_23onesweep_lookback_stateEbbT6_jjT7_P12ihipStream_tbENKUlT_T0_SK_SP_E_clISE_PfSF_SF_EEDaS13_S14_SK_SP_EUlS13_E_NS1_11comp_targetILNS1_3genE6ELNS1_11target_archE950ELNS1_3gpuE13ELNS1_3repE0EEENS1_47radix_sort_onesweep_sort_config_static_selectorELNS0_4arch9wavefront6targetE0EEEvSK_,comdat
.Lfunc_end569:
	.size	_ZN7rocprim17ROCPRIM_400000_NS6detail17trampoline_kernelINS0_14default_configENS1_35radix_sort_onesweep_config_selectorIfNS0_10empty_typeEEEZZNS1_29radix_sort_onesweep_iterationIS3_Lb0EN6thrust23THRUST_200600_302600_NS6detail15normal_iteratorINS9_10device_ptrIfEEEESE_PS5_SF_jNS0_19identity_decomposerENS1_16block_id_wrapperIjLb1EEEEE10hipError_tT1_PNSt15iterator_traitsISK_E10value_typeET2_T3_PNSL_ISQ_E10value_typeET4_T5_PSV_SW_PNS1_23onesweep_lookback_stateEbbT6_jjT7_P12ihipStream_tbENKUlT_T0_SK_SP_E_clISE_PfSF_SF_EEDaS13_S14_SK_SP_EUlS13_E_NS1_11comp_targetILNS1_3genE6ELNS1_11target_archE950ELNS1_3gpuE13ELNS1_3repE0EEENS1_47radix_sort_onesweep_sort_config_static_selectorELNS0_4arch9wavefront6targetE0EEEvSK_, .Lfunc_end569-_ZN7rocprim17ROCPRIM_400000_NS6detail17trampoline_kernelINS0_14default_configENS1_35radix_sort_onesweep_config_selectorIfNS0_10empty_typeEEEZZNS1_29radix_sort_onesweep_iterationIS3_Lb0EN6thrust23THRUST_200600_302600_NS6detail15normal_iteratorINS9_10device_ptrIfEEEESE_PS5_SF_jNS0_19identity_decomposerENS1_16block_id_wrapperIjLb1EEEEE10hipError_tT1_PNSt15iterator_traitsISK_E10value_typeET2_T3_PNSL_ISQ_E10value_typeET4_T5_PSV_SW_PNS1_23onesweep_lookback_stateEbbT6_jjT7_P12ihipStream_tbENKUlT_T0_SK_SP_E_clISE_PfSF_SF_EEDaS13_S14_SK_SP_EUlS13_E_NS1_11comp_targetILNS1_3genE6ELNS1_11target_archE950ELNS1_3gpuE13ELNS1_3repE0EEENS1_47radix_sort_onesweep_sort_config_static_selectorELNS0_4arch9wavefront6targetE0EEEvSK_
                                        ; -- End function
	.set _ZN7rocprim17ROCPRIM_400000_NS6detail17trampoline_kernelINS0_14default_configENS1_35radix_sort_onesweep_config_selectorIfNS0_10empty_typeEEEZZNS1_29radix_sort_onesweep_iterationIS3_Lb0EN6thrust23THRUST_200600_302600_NS6detail15normal_iteratorINS9_10device_ptrIfEEEESE_PS5_SF_jNS0_19identity_decomposerENS1_16block_id_wrapperIjLb1EEEEE10hipError_tT1_PNSt15iterator_traitsISK_E10value_typeET2_T3_PNSL_ISQ_E10value_typeET4_T5_PSV_SW_PNS1_23onesweep_lookback_stateEbbT6_jjT7_P12ihipStream_tbENKUlT_T0_SK_SP_E_clISE_PfSF_SF_EEDaS13_S14_SK_SP_EUlS13_E_NS1_11comp_targetILNS1_3genE6ELNS1_11target_archE950ELNS1_3gpuE13ELNS1_3repE0EEENS1_47radix_sort_onesweep_sort_config_static_selectorELNS0_4arch9wavefront6targetE0EEEvSK_.num_vgpr, 0
	.set _ZN7rocprim17ROCPRIM_400000_NS6detail17trampoline_kernelINS0_14default_configENS1_35radix_sort_onesweep_config_selectorIfNS0_10empty_typeEEEZZNS1_29radix_sort_onesweep_iterationIS3_Lb0EN6thrust23THRUST_200600_302600_NS6detail15normal_iteratorINS9_10device_ptrIfEEEESE_PS5_SF_jNS0_19identity_decomposerENS1_16block_id_wrapperIjLb1EEEEE10hipError_tT1_PNSt15iterator_traitsISK_E10value_typeET2_T3_PNSL_ISQ_E10value_typeET4_T5_PSV_SW_PNS1_23onesweep_lookback_stateEbbT6_jjT7_P12ihipStream_tbENKUlT_T0_SK_SP_E_clISE_PfSF_SF_EEDaS13_S14_SK_SP_EUlS13_E_NS1_11comp_targetILNS1_3genE6ELNS1_11target_archE950ELNS1_3gpuE13ELNS1_3repE0EEENS1_47radix_sort_onesweep_sort_config_static_selectorELNS0_4arch9wavefront6targetE0EEEvSK_.num_agpr, 0
	.set _ZN7rocprim17ROCPRIM_400000_NS6detail17trampoline_kernelINS0_14default_configENS1_35radix_sort_onesweep_config_selectorIfNS0_10empty_typeEEEZZNS1_29radix_sort_onesweep_iterationIS3_Lb0EN6thrust23THRUST_200600_302600_NS6detail15normal_iteratorINS9_10device_ptrIfEEEESE_PS5_SF_jNS0_19identity_decomposerENS1_16block_id_wrapperIjLb1EEEEE10hipError_tT1_PNSt15iterator_traitsISK_E10value_typeET2_T3_PNSL_ISQ_E10value_typeET4_T5_PSV_SW_PNS1_23onesweep_lookback_stateEbbT6_jjT7_P12ihipStream_tbENKUlT_T0_SK_SP_E_clISE_PfSF_SF_EEDaS13_S14_SK_SP_EUlS13_E_NS1_11comp_targetILNS1_3genE6ELNS1_11target_archE950ELNS1_3gpuE13ELNS1_3repE0EEENS1_47radix_sort_onesweep_sort_config_static_selectorELNS0_4arch9wavefront6targetE0EEEvSK_.numbered_sgpr, 0
	.set _ZN7rocprim17ROCPRIM_400000_NS6detail17trampoline_kernelINS0_14default_configENS1_35radix_sort_onesweep_config_selectorIfNS0_10empty_typeEEEZZNS1_29radix_sort_onesweep_iterationIS3_Lb0EN6thrust23THRUST_200600_302600_NS6detail15normal_iteratorINS9_10device_ptrIfEEEESE_PS5_SF_jNS0_19identity_decomposerENS1_16block_id_wrapperIjLb1EEEEE10hipError_tT1_PNSt15iterator_traitsISK_E10value_typeET2_T3_PNSL_ISQ_E10value_typeET4_T5_PSV_SW_PNS1_23onesweep_lookback_stateEbbT6_jjT7_P12ihipStream_tbENKUlT_T0_SK_SP_E_clISE_PfSF_SF_EEDaS13_S14_SK_SP_EUlS13_E_NS1_11comp_targetILNS1_3genE6ELNS1_11target_archE950ELNS1_3gpuE13ELNS1_3repE0EEENS1_47radix_sort_onesweep_sort_config_static_selectorELNS0_4arch9wavefront6targetE0EEEvSK_.num_named_barrier, 0
	.set _ZN7rocprim17ROCPRIM_400000_NS6detail17trampoline_kernelINS0_14default_configENS1_35radix_sort_onesweep_config_selectorIfNS0_10empty_typeEEEZZNS1_29radix_sort_onesweep_iterationIS3_Lb0EN6thrust23THRUST_200600_302600_NS6detail15normal_iteratorINS9_10device_ptrIfEEEESE_PS5_SF_jNS0_19identity_decomposerENS1_16block_id_wrapperIjLb1EEEEE10hipError_tT1_PNSt15iterator_traitsISK_E10value_typeET2_T3_PNSL_ISQ_E10value_typeET4_T5_PSV_SW_PNS1_23onesweep_lookback_stateEbbT6_jjT7_P12ihipStream_tbENKUlT_T0_SK_SP_E_clISE_PfSF_SF_EEDaS13_S14_SK_SP_EUlS13_E_NS1_11comp_targetILNS1_3genE6ELNS1_11target_archE950ELNS1_3gpuE13ELNS1_3repE0EEENS1_47radix_sort_onesweep_sort_config_static_selectorELNS0_4arch9wavefront6targetE0EEEvSK_.private_seg_size, 0
	.set _ZN7rocprim17ROCPRIM_400000_NS6detail17trampoline_kernelINS0_14default_configENS1_35radix_sort_onesweep_config_selectorIfNS0_10empty_typeEEEZZNS1_29radix_sort_onesweep_iterationIS3_Lb0EN6thrust23THRUST_200600_302600_NS6detail15normal_iteratorINS9_10device_ptrIfEEEESE_PS5_SF_jNS0_19identity_decomposerENS1_16block_id_wrapperIjLb1EEEEE10hipError_tT1_PNSt15iterator_traitsISK_E10value_typeET2_T3_PNSL_ISQ_E10value_typeET4_T5_PSV_SW_PNS1_23onesweep_lookback_stateEbbT6_jjT7_P12ihipStream_tbENKUlT_T0_SK_SP_E_clISE_PfSF_SF_EEDaS13_S14_SK_SP_EUlS13_E_NS1_11comp_targetILNS1_3genE6ELNS1_11target_archE950ELNS1_3gpuE13ELNS1_3repE0EEENS1_47radix_sort_onesweep_sort_config_static_selectorELNS0_4arch9wavefront6targetE0EEEvSK_.uses_vcc, 0
	.set _ZN7rocprim17ROCPRIM_400000_NS6detail17trampoline_kernelINS0_14default_configENS1_35radix_sort_onesweep_config_selectorIfNS0_10empty_typeEEEZZNS1_29radix_sort_onesweep_iterationIS3_Lb0EN6thrust23THRUST_200600_302600_NS6detail15normal_iteratorINS9_10device_ptrIfEEEESE_PS5_SF_jNS0_19identity_decomposerENS1_16block_id_wrapperIjLb1EEEEE10hipError_tT1_PNSt15iterator_traitsISK_E10value_typeET2_T3_PNSL_ISQ_E10value_typeET4_T5_PSV_SW_PNS1_23onesweep_lookback_stateEbbT6_jjT7_P12ihipStream_tbENKUlT_T0_SK_SP_E_clISE_PfSF_SF_EEDaS13_S14_SK_SP_EUlS13_E_NS1_11comp_targetILNS1_3genE6ELNS1_11target_archE950ELNS1_3gpuE13ELNS1_3repE0EEENS1_47radix_sort_onesweep_sort_config_static_selectorELNS0_4arch9wavefront6targetE0EEEvSK_.uses_flat_scratch, 0
	.set _ZN7rocprim17ROCPRIM_400000_NS6detail17trampoline_kernelINS0_14default_configENS1_35radix_sort_onesweep_config_selectorIfNS0_10empty_typeEEEZZNS1_29radix_sort_onesweep_iterationIS3_Lb0EN6thrust23THRUST_200600_302600_NS6detail15normal_iteratorINS9_10device_ptrIfEEEESE_PS5_SF_jNS0_19identity_decomposerENS1_16block_id_wrapperIjLb1EEEEE10hipError_tT1_PNSt15iterator_traitsISK_E10value_typeET2_T3_PNSL_ISQ_E10value_typeET4_T5_PSV_SW_PNS1_23onesweep_lookback_stateEbbT6_jjT7_P12ihipStream_tbENKUlT_T0_SK_SP_E_clISE_PfSF_SF_EEDaS13_S14_SK_SP_EUlS13_E_NS1_11comp_targetILNS1_3genE6ELNS1_11target_archE950ELNS1_3gpuE13ELNS1_3repE0EEENS1_47radix_sort_onesweep_sort_config_static_selectorELNS0_4arch9wavefront6targetE0EEEvSK_.has_dyn_sized_stack, 0
	.set _ZN7rocprim17ROCPRIM_400000_NS6detail17trampoline_kernelINS0_14default_configENS1_35radix_sort_onesweep_config_selectorIfNS0_10empty_typeEEEZZNS1_29radix_sort_onesweep_iterationIS3_Lb0EN6thrust23THRUST_200600_302600_NS6detail15normal_iteratorINS9_10device_ptrIfEEEESE_PS5_SF_jNS0_19identity_decomposerENS1_16block_id_wrapperIjLb1EEEEE10hipError_tT1_PNSt15iterator_traitsISK_E10value_typeET2_T3_PNSL_ISQ_E10value_typeET4_T5_PSV_SW_PNS1_23onesweep_lookback_stateEbbT6_jjT7_P12ihipStream_tbENKUlT_T0_SK_SP_E_clISE_PfSF_SF_EEDaS13_S14_SK_SP_EUlS13_E_NS1_11comp_targetILNS1_3genE6ELNS1_11target_archE950ELNS1_3gpuE13ELNS1_3repE0EEENS1_47radix_sort_onesweep_sort_config_static_selectorELNS0_4arch9wavefront6targetE0EEEvSK_.has_recursion, 0
	.set _ZN7rocprim17ROCPRIM_400000_NS6detail17trampoline_kernelINS0_14default_configENS1_35radix_sort_onesweep_config_selectorIfNS0_10empty_typeEEEZZNS1_29radix_sort_onesweep_iterationIS3_Lb0EN6thrust23THRUST_200600_302600_NS6detail15normal_iteratorINS9_10device_ptrIfEEEESE_PS5_SF_jNS0_19identity_decomposerENS1_16block_id_wrapperIjLb1EEEEE10hipError_tT1_PNSt15iterator_traitsISK_E10value_typeET2_T3_PNSL_ISQ_E10value_typeET4_T5_PSV_SW_PNS1_23onesweep_lookback_stateEbbT6_jjT7_P12ihipStream_tbENKUlT_T0_SK_SP_E_clISE_PfSF_SF_EEDaS13_S14_SK_SP_EUlS13_E_NS1_11comp_targetILNS1_3genE6ELNS1_11target_archE950ELNS1_3gpuE13ELNS1_3repE0EEENS1_47radix_sort_onesweep_sort_config_static_selectorELNS0_4arch9wavefront6targetE0EEEvSK_.has_indirect_call, 0
	.section	.AMDGPU.csdata,"",@progbits
; Kernel info:
; codeLenInByte = 0
; TotalNumSgprs: 0
; NumVgprs: 0
; ScratchSize: 0
; MemoryBound: 0
; FloatMode: 240
; IeeeMode: 1
; LDSByteSize: 0 bytes/workgroup (compile time only)
; SGPRBlocks: 0
; VGPRBlocks: 0
; NumSGPRsForWavesPerEU: 1
; NumVGPRsForWavesPerEU: 1
; Occupancy: 16
; WaveLimiterHint : 0
; COMPUTE_PGM_RSRC2:SCRATCH_EN: 0
; COMPUTE_PGM_RSRC2:USER_SGPR: 6
; COMPUTE_PGM_RSRC2:TRAP_HANDLER: 0
; COMPUTE_PGM_RSRC2:TGID_X_EN: 1
; COMPUTE_PGM_RSRC2:TGID_Y_EN: 0
; COMPUTE_PGM_RSRC2:TGID_Z_EN: 0
; COMPUTE_PGM_RSRC2:TIDIG_COMP_CNT: 0
	.section	.text._ZN7rocprim17ROCPRIM_400000_NS6detail17trampoline_kernelINS0_14default_configENS1_35radix_sort_onesweep_config_selectorIfNS0_10empty_typeEEEZZNS1_29radix_sort_onesweep_iterationIS3_Lb0EN6thrust23THRUST_200600_302600_NS6detail15normal_iteratorINS9_10device_ptrIfEEEESE_PS5_SF_jNS0_19identity_decomposerENS1_16block_id_wrapperIjLb1EEEEE10hipError_tT1_PNSt15iterator_traitsISK_E10value_typeET2_T3_PNSL_ISQ_E10value_typeET4_T5_PSV_SW_PNS1_23onesweep_lookback_stateEbbT6_jjT7_P12ihipStream_tbENKUlT_T0_SK_SP_E_clISE_PfSF_SF_EEDaS13_S14_SK_SP_EUlS13_E_NS1_11comp_targetILNS1_3genE5ELNS1_11target_archE942ELNS1_3gpuE9ELNS1_3repE0EEENS1_47radix_sort_onesweep_sort_config_static_selectorELNS0_4arch9wavefront6targetE0EEEvSK_,"axG",@progbits,_ZN7rocprim17ROCPRIM_400000_NS6detail17trampoline_kernelINS0_14default_configENS1_35radix_sort_onesweep_config_selectorIfNS0_10empty_typeEEEZZNS1_29radix_sort_onesweep_iterationIS3_Lb0EN6thrust23THRUST_200600_302600_NS6detail15normal_iteratorINS9_10device_ptrIfEEEESE_PS5_SF_jNS0_19identity_decomposerENS1_16block_id_wrapperIjLb1EEEEE10hipError_tT1_PNSt15iterator_traitsISK_E10value_typeET2_T3_PNSL_ISQ_E10value_typeET4_T5_PSV_SW_PNS1_23onesweep_lookback_stateEbbT6_jjT7_P12ihipStream_tbENKUlT_T0_SK_SP_E_clISE_PfSF_SF_EEDaS13_S14_SK_SP_EUlS13_E_NS1_11comp_targetILNS1_3genE5ELNS1_11target_archE942ELNS1_3gpuE9ELNS1_3repE0EEENS1_47radix_sort_onesweep_sort_config_static_selectorELNS0_4arch9wavefront6targetE0EEEvSK_,comdat
	.protected	_ZN7rocprim17ROCPRIM_400000_NS6detail17trampoline_kernelINS0_14default_configENS1_35radix_sort_onesweep_config_selectorIfNS0_10empty_typeEEEZZNS1_29radix_sort_onesweep_iterationIS3_Lb0EN6thrust23THRUST_200600_302600_NS6detail15normal_iteratorINS9_10device_ptrIfEEEESE_PS5_SF_jNS0_19identity_decomposerENS1_16block_id_wrapperIjLb1EEEEE10hipError_tT1_PNSt15iterator_traitsISK_E10value_typeET2_T3_PNSL_ISQ_E10value_typeET4_T5_PSV_SW_PNS1_23onesweep_lookback_stateEbbT6_jjT7_P12ihipStream_tbENKUlT_T0_SK_SP_E_clISE_PfSF_SF_EEDaS13_S14_SK_SP_EUlS13_E_NS1_11comp_targetILNS1_3genE5ELNS1_11target_archE942ELNS1_3gpuE9ELNS1_3repE0EEENS1_47radix_sort_onesweep_sort_config_static_selectorELNS0_4arch9wavefront6targetE0EEEvSK_ ; -- Begin function _ZN7rocprim17ROCPRIM_400000_NS6detail17trampoline_kernelINS0_14default_configENS1_35radix_sort_onesweep_config_selectorIfNS0_10empty_typeEEEZZNS1_29radix_sort_onesweep_iterationIS3_Lb0EN6thrust23THRUST_200600_302600_NS6detail15normal_iteratorINS9_10device_ptrIfEEEESE_PS5_SF_jNS0_19identity_decomposerENS1_16block_id_wrapperIjLb1EEEEE10hipError_tT1_PNSt15iterator_traitsISK_E10value_typeET2_T3_PNSL_ISQ_E10value_typeET4_T5_PSV_SW_PNS1_23onesweep_lookback_stateEbbT6_jjT7_P12ihipStream_tbENKUlT_T0_SK_SP_E_clISE_PfSF_SF_EEDaS13_S14_SK_SP_EUlS13_E_NS1_11comp_targetILNS1_3genE5ELNS1_11target_archE942ELNS1_3gpuE9ELNS1_3repE0EEENS1_47radix_sort_onesweep_sort_config_static_selectorELNS0_4arch9wavefront6targetE0EEEvSK_
	.globl	_ZN7rocprim17ROCPRIM_400000_NS6detail17trampoline_kernelINS0_14default_configENS1_35radix_sort_onesweep_config_selectorIfNS0_10empty_typeEEEZZNS1_29radix_sort_onesweep_iterationIS3_Lb0EN6thrust23THRUST_200600_302600_NS6detail15normal_iteratorINS9_10device_ptrIfEEEESE_PS5_SF_jNS0_19identity_decomposerENS1_16block_id_wrapperIjLb1EEEEE10hipError_tT1_PNSt15iterator_traitsISK_E10value_typeET2_T3_PNSL_ISQ_E10value_typeET4_T5_PSV_SW_PNS1_23onesweep_lookback_stateEbbT6_jjT7_P12ihipStream_tbENKUlT_T0_SK_SP_E_clISE_PfSF_SF_EEDaS13_S14_SK_SP_EUlS13_E_NS1_11comp_targetILNS1_3genE5ELNS1_11target_archE942ELNS1_3gpuE9ELNS1_3repE0EEENS1_47radix_sort_onesweep_sort_config_static_selectorELNS0_4arch9wavefront6targetE0EEEvSK_
	.p2align	8
	.type	_ZN7rocprim17ROCPRIM_400000_NS6detail17trampoline_kernelINS0_14default_configENS1_35radix_sort_onesweep_config_selectorIfNS0_10empty_typeEEEZZNS1_29radix_sort_onesweep_iterationIS3_Lb0EN6thrust23THRUST_200600_302600_NS6detail15normal_iteratorINS9_10device_ptrIfEEEESE_PS5_SF_jNS0_19identity_decomposerENS1_16block_id_wrapperIjLb1EEEEE10hipError_tT1_PNSt15iterator_traitsISK_E10value_typeET2_T3_PNSL_ISQ_E10value_typeET4_T5_PSV_SW_PNS1_23onesweep_lookback_stateEbbT6_jjT7_P12ihipStream_tbENKUlT_T0_SK_SP_E_clISE_PfSF_SF_EEDaS13_S14_SK_SP_EUlS13_E_NS1_11comp_targetILNS1_3genE5ELNS1_11target_archE942ELNS1_3gpuE9ELNS1_3repE0EEENS1_47radix_sort_onesweep_sort_config_static_selectorELNS0_4arch9wavefront6targetE0EEEvSK_,@function
_ZN7rocprim17ROCPRIM_400000_NS6detail17trampoline_kernelINS0_14default_configENS1_35radix_sort_onesweep_config_selectorIfNS0_10empty_typeEEEZZNS1_29radix_sort_onesweep_iterationIS3_Lb0EN6thrust23THRUST_200600_302600_NS6detail15normal_iteratorINS9_10device_ptrIfEEEESE_PS5_SF_jNS0_19identity_decomposerENS1_16block_id_wrapperIjLb1EEEEE10hipError_tT1_PNSt15iterator_traitsISK_E10value_typeET2_T3_PNSL_ISQ_E10value_typeET4_T5_PSV_SW_PNS1_23onesweep_lookback_stateEbbT6_jjT7_P12ihipStream_tbENKUlT_T0_SK_SP_E_clISE_PfSF_SF_EEDaS13_S14_SK_SP_EUlS13_E_NS1_11comp_targetILNS1_3genE5ELNS1_11target_archE942ELNS1_3gpuE9ELNS1_3repE0EEENS1_47radix_sort_onesweep_sort_config_static_selectorELNS0_4arch9wavefront6targetE0EEEvSK_: ; @_ZN7rocprim17ROCPRIM_400000_NS6detail17trampoline_kernelINS0_14default_configENS1_35radix_sort_onesweep_config_selectorIfNS0_10empty_typeEEEZZNS1_29radix_sort_onesweep_iterationIS3_Lb0EN6thrust23THRUST_200600_302600_NS6detail15normal_iteratorINS9_10device_ptrIfEEEESE_PS5_SF_jNS0_19identity_decomposerENS1_16block_id_wrapperIjLb1EEEEE10hipError_tT1_PNSt15iterator_traitsISK_E10value_typeET2_T3_PNSL_ISQ_E10value_typeET4_T5_PSV_SW_PNS1_23onesweep_lookback_stateEbbT6_jjT7_P12ihipStream_tbENKUlT_T0_SK_SP_E_clISE_PfSF_SF_EEDaS13_S14_SK_SP_EUlS13_E_NS1_11comp_targetILNS1_3genE5ELNS1_11target_archE942ELNS1_3gpuE9ELNS1_3repE0EEENS1_47radix_sort_onesweep_sort_config_static_selectorELNS0_4arch9wavefront6targetE0EEEvSK_
; %bb.0:
	.section	.rodata,"a",@progbits
	.p2align	6, 0x0
	.amdhsa_kernel _ZN7rocprim17ROCPRIM_400000_NS6detail17trampoline_kernelINS0_14default_configENS1_35radix_sort_onesweep_config_selectorIfNS0_10empty_typeEEEZZNS1_29radix_sort_onesweep_iterationIS3_Lb0EN6thrust23THRUST_200600_302600_NS6detail15normal_iteratorINS9_10device_ptrIfEEEESE_PS5_SF_jNS0_19identity_decomposerENS1_16block_id_wrapperIjLb1EEEEE10hipError_tT1_PNSt15iterator_traitsISK_E10value_typeET2_T3_PNSL_ISQ_E10value_typeET4_T5_PSV_SW_PNS1_23onesweep_lookback_stateEbbT6_jjT7_P12ihipStream_tbENKUlT_T0_SK_SP_E_clISE_PfSF_SF_EEDaS13_S14_SK_SP_EUlS13_E_NS1_11comp_targetILNS1_3genE5ELNS1_11target_archE942ELNS1_3gpuE9ELNS1_3repE0EEENS1_47radix_sort_onesweep_sort_config_static_selectorELNS0_4arch9wavefront6targetE0EEEvSK_
		.amdhsa_group_segment_fixed_size 0
		.amdhsa_private_segment_fixed_size 0
		.amdhsa_kernarg_size 88
		.amdhsa_user_sgpr_count 6
		.amdhsa_user_sgpr_private_segment_buffer 1
		.amdhsa_user_sgpr_dispatch_ptr 0
		.amdhsa_user_sgpr_queue_ptr 0
		.amdhsa_user_sgpr_kernarg_segment_ptr 1
		.amdhsa_user_sgpr_dispatch_id 0
		.amdhsa_user_sgpr_flat_scratch_init 0
		.amdhsa_user_sgpr_private_segment_size 0
		.amdhsa_wavefront_size32 1
		.amdhsa_uses_dynamic_stack 0
		.amdhsa_system_sgpr_private_segment_wavefront_offset 0
		.amdhsa_system_sgpr_workgroup_id_x 1
		.amdhsa_system_sgpr_workgroup_id_y 0
		.amdhsa_system_sgpr_workgroup_id_z 0
		.amdhsa_system_sgpr_workgroup_info 0
		.amdhsa_system_vgpr_workitem_id 0
		.amdhsa_next_free_vgpr 1
		.amdhsa_next_free_sgpr 1
		.amdhsa_reserve_vcc 0
		.amdhsa_reserve_flat_scratch 0
		.amdhsa_float_round_mode_32 0
		.amdhsa_float_round_mode_16_64 0
		.amdhsa_float_denorm_mode_32 3
		.amdhsa_float_denorm_mode_16_64 3
		.amdhsa_dx10_clamp 1
		.amdhsa_ieee_mode 1
		.amdhsa_fp16_overflow 0
		.amdhsa_workgroup_processor_mode 1
		.amdhsa_memory_ordered 1
		.amdhsa_forward_progress 1
		.amdhsa_shared_vgpr_count 0
		.amdhsa_exception_fp_ieee_invalid_op 0
		.amdhsa_exception_fp_denorm_src 0
		.amdhsa_exception_fp_ieee_div_zero 0
		.amdhsa_exception_fp_ieee_overflow 0
		.amdhsa_exception_fp_ieee_underflow 0
		.amdhsa_exception_fp_ieee_inexact 0
		.amdhsa_exception_int_div_zero 0
	.end_amdhsa_kernel
	.section	.text._ZN7rocprim17ROCPRIM_400000_NS6detail17trampoline_kernelINS0_14default_configENS1_35radix_sort_onesweep_config_selectorIfNS0_10empty_typeEEEZZNS1_29radix_sort_onesweep_iterationIS3_Lb0EN6thrust23THRUST_200600_302600_NS6detail15normal_iteratorINS9_10device_ptrIfEEEESE_PS5_SF_jNS0_19identity_decomposerENS1_16block_id_wrapperIjLb1EEEEE10hipError_tT1_PNSt15iterator_traitsISK_E10value_typeET2_T3_PNSL_ISQ_E10value_typeET4_T5_PSV_SW_PNS1_23onesweep_lookback_stateEbbT6_jjT7_P12ihipStream_tbENKUlT_T0_SK_SP_E_clISE_PfSF_SF_EEDaS13_S14_SK_SP_EUlS13_E_NS1_11comp_targetILNS1_3genE5ELNS1_11target_archE942ELNS1_3gpuE9ELNS1_3repE0EEENS1_47radix_sort_onesweep_sort_config_static_selectorELNS0_4arch9wavefront6targetE0EEEvSK_,"axG",@progbits,_ZN7rocprim17ROCPRIM_400000_NS6detail17trampoline_kernelINS0_14default_configENS1_35radix_sort_onesweep_config_selectorIfNS0_10empty_typeEEEZZNS1_29radix_sort_onesweep_iterationIS3_Lb0EN6thrust23THRUST_200600_302600_NS6detail15normal_iteratorINS9_10device_ptrIfEEEESE_PS5_SF_jNS0_19identity_decomposerENS1_16block_id_wrapperIjLb1EEEEE10hipError_tT1_PNSt15iterator_traitsISK_E10value_typeET2_T3_PNSL_ISQ_E10value_typeET4_T5_PSV_SW_PNS1_23onesweep_lookback_stateEbbT6_jjT7_P12ihipStream_tbENKUlT_T0_SK_SP_E_clISE_PfSF_SF_EEDaS13_S14_SK_SP_EUlS13_E_NS1_11comp_targetILNS1_3genE5ELNS1_11target_archE942ELNS1_3gpuE9ELNS1_3repE0EEENS1_47radix_sort_onesweep_sort_config_static_selectorELNS0_4arch9wavefront6targetE0EEEvSK_,comdat
.Lfunc_end570:
	.size	_ZN7rocprim17ROCPRIM_400000_NS6detail17trampoline_kernelINS0_14default_configENS1_35radix_sort_onesweep_config_selectorIfNS0_10empty_typeEEEZZNS1_29radix_sort_onesweep_iterationIS3_Lb0EN6thrust23THRUST_200600_302600_NS6detail15normal_iteratorINS9_10device_ptrIfEEEESE_PS5_SF_jNS0_19identity_decomposerENS1_16block_id_wrapperIjLb1EEEEE10hipError_tT1_PNSt15iterator_traitsISK_E10value_typeET2_T3_PNSL_ISQ_E10value_typeET4_T5_PSV_SW_PNS1_23onesweep_lookback_stateEbbT6_jjT7_P12ihipStream_tbENKUlT_T0_SK_SP_E_clISE_PfSF_SF_EEDaS13_S14_SK_SP_EUlS13_E_NS1_11comp_targetILNS1_3genE5ELNS1_11target_archE942ELNS1_3gpuE9ELNS1_3repE0EEENS1_47radix_sort_onesweep_sort_config_static_selectorELNS0_4arch9wavefront6targetE0EEEvSK_, .Lfunc_end570-_ZN7rocprim17ROCPRIM_400000_NS6detail17trampoline_kernelINS0_14default_configENS1_35radix_sort_onesweep_config_selectorIfNS0_10empty_typeEEEZZNS1_29radix_sort_onesweep_iterationIS3_Lb0EN6thrust23THRUST_200600_302600_NS6detail15normal_iteratorINS9_10device_ptrIfEEEESE_PS5_SF_jNS0_19identity_decomposerENS1_16block_id_wrapperIjLb1EEEEE10hipError_tT1_PNSt15iterator_traitsISK_E10value_typeET2_T3_PNSL_ISQ_E10value_typeET4_T5_PSV_SW_PNS1_23onesweep_lookback_stateEbbT6_jjT7_P12ihipStream_tbENKUlT_T0_SK_SP_E_clISE_PfSF_SF_EEDaS13_S14_SK_SP_EUlS13_E_NS1_11comp_targetILNS1_3genE5ELNS1_11target_archE942ELNS1_3gpuE9ELNS1_3repE0EEENS1_47radix_sort_onesweep_sort_config_static_selectorELNS0_4arch9wavefront6targetE0EEEvSK_
                                        ; -- End function
	.set _ZN7rocprim17ROCPRIM_400000_NS6detail17trampoline_kernelINS0_14default_configENS1_35radix_sort_onesweep_config_selectorIfNS0_10empty_typeEEEZZNS1_29radix_sort_onesweep_iterationIS3_Lb0EN6thrust23THRUST_200600_302600_NS6detail15normal_iteratorINS9_10device_ptrIfEEEESE_PS5_SF_jNS0_19identity_decomposerENS1_16block_id_wrapperIjLb1EEEEE10hipError_tT1_PNSt15iterator_traitsISK_E10value_typeET2_T3_PNSL_ISQ_E10value_typeET4_T5_PSV_SW_PNS1_23onesweep_lookback_stateEbbT6_jjT7_P12ihipStream_tbENKUlT_T0_SK_SP_E_clISE_PfSF_SF_EEDaS13_S14_SK_SP_EUlS13_E_NS1_11comp_targetILNS1_3genE5ELNS1_11target_archE942ELNS1_3gpuE9ELNS1_3repE0EEENS1_47radix_sort_onesweep_sort_config_static_selectorELNS0_4arch9wavefront6targetE0EEEvSK_.num_vgpr, 0
	.set _ZN7rocprim17ROCPRIM_400000_NS6detail17trampoline_kernelINS0_14default_configENS1_35radix_sort_onesweep_config_selectorIfNS0_10empty_typeEEEZZNS1_29radix_sort_onesweep_iterationIS3_Lb0EN6thrust23THRUST_200600_302600_NS6detail15normal_iteratorINS9_10device_ptrIfEEEESE_PS5_SF_jNS0_19identity_decomposerENS1_16block_id_wrapperIjLb1EEEEE10hipError_tT1_PNSt15iterator_traitsISK_E10value_typeET2_T3_PNSL_ISQ_E10value_typeET4_T5_PSV_SW_PNS1_23onesweep_lookback_stateEbbT6_jjT7_P12ihipStream_tbENKUlT_T0_SK_SP_E_clISE_PfSF_SF_EEDaS13_S14_SK_SP_EUlS13_E_NS1_11comp_targetILNS1_3genE5ELNS1_11target_archE942ELNS1_3gpuE9ELNS1_3repE0EEENS1_47radix_sort_onesweep_sort_config_static_selectorELNS0_4arch9wavefront6targetE0EEEvSK_.num_agpr, 0
	.set _ZN7rocprim17ROCPRIM_400000_NS6detail17trampoline_kernelINS0_14default_configENS1_35radix_sort_onesweep_config_selectorIfNS0_10empty_typeEEEZZNS1_29radix_sort_onesweep_iterationIS3_Lb0EN6thrust23THRUST_200600_302600_NS6detail15normal_iteratorINS9_10device_ptrIfEEEESE_PS5_SF_jNS0_19identity_decomposerENS1_16block_id_wrapperIjLb1EEEEE10hipError_tT1_PNSt15iterator_traitsISK_E10value_typeET2_T3_PNSL_ISQ_E10value_typeET4_T5_PSV_SW_PNS1_23onesweep_lookback_stateEbbT6_jjT7_P12ihipStream_tbENKUlT_T0_SK_SP_E_clISE_PfSF_SF_EEDaS13_S14_SK_SP_EUlS13_E_NS1_11comp_targetILNS1_3genE5ELNS1_11target_archE942ELNS1_3gpuE9ELNS1_3repE0EEENS1_47radix_sort_onesweep_sort_config_static_selectorELNS0_4arch9wavefront6targetE0EEEvSK_.numbered_sgpr, 0
	.set _ZN7rocprim17ROCPRIM_400000_NS6detail17trampoline_kernelINS0_14default_configENS1_35radix_sort_onesweep_config_selectorIfNS0_10empty_typeEEEZZNS1_29radix_sort_onesweep_iterationIS3_Lb0EN6thrust23THRUST_200600_302600_NS6detail15normal_iteratorINS9_10device_ptrIfEEEESE_PS5_SF_jNS0_19identity_decomposerENS1_16block_id_wrapperIjLb1EEEEE10hipError_tT1_PNSt15iterator_traitsISK_E10value_typeET2_T3_PNSL_ISQ_E10value_typeET4_T5_PSV_SW_PNS1_23onesweep_lookback_stateEbbT6_jjT7_P12ihipStream_tbENKUlT_T0_SK_SP_E_clISE_PfSF_SF_EEDaS13_S14_SK_SP_EUlS13_E_NS1_11comp_targetILNS1_3genE5ELNS1_11target_archE942ELNS1_3gpuE9ELNS1_3repE0EEENS1_47radix_sort_onesweep_sort_config_static_selectorELNS0_4arch9wavefront6targetE0EEEvSK_.num_named_barrier, 0
	.set _ZN7rocprim17ROCPRIM_400000_NS6detail17trampoline_kernelINS0_14default_configENS1_35radix_sort_onesweep_config_selectorIfNS0_10empty_typeEEEZZNS1_29radix_sort_onesweep_iterationIS3_Lb0EN6thrust23THRUST_200600_302600_NS6detail15normal_iteratorINS9_10device_ptrIfEEEESE_PS5_SF_jNS0_19identity_decomposerENS1_16block_id_wrapperIjLb1EEEEE10hipError_tT1_PNSt15iterator_traitsISK_E10value_typeET2_T3_PNSL_ISQ_E10value_typeET4_T5_PSV_SW_PNS1_23onesweep_lookback_stateEbbT6_jjT7_P12ihipStream_tbENKUlT_T0_SK_SP_E_clISE_PfSF_SF_EEDaS13_S14_SK_SP_EUlS13_E_NS1_11comp_targetILNS1_3genE5ELNS1_11target_archE942ELNS1_3gpuE9ELNS1_3repE0EEENS1_47radix_sort_onesweep_sort_config_static_selectorELNS0_4arch9wavefront6targetE0EEEvSK_.private_seg_size, 0
	.set _ZN7rocprim17ROCPRIM_400000_NS6detail17trampoline_kernelINS0_14default_configENS1_35radix_sort_onesweep_config_selectorIfNS0_10empty_typeEEEZZNS1_29radix_sort_onesweep_iterationIS3_Lb0EN6thrust23THRUST_200600_302600_NS6detail15normal_iteratorINS9_10device_ptrIfEEEESE_PS5_SF_jNS0_19identity_decomposerENS1_16block_id_wrapperIjLb1EEEEE10hipError_tT1_PNSt15iterator_traitsISK_E10value_typeET2_T3_PNSL_ISQ_E10value_typeET4_T5_PSV_SW_PNS1_23onesweep_lookback_stateEbbT6_jjT7_P12ihipStream_tbENKUlT_T0_SK_SP_E_clISE_PfSF_SF_EEDaS13_S14_SK_SP_EUlS13_E_NS1_11comp_targetILNS1_3genE5ELNS1_11target_archE942ELNS1_3gpuE9ELNS1_3repE0EEENS1_47radix_sort_onesweep_sort_config_static_selectorELNS0_4arch9wavefront6targetE0EEEvSK_.uses_vcc, 0
	.set _ZN7rocprim17ROCPRIM_400000_NS6detail17trampoline_kernelINS0_14default_configENS1_35radix_sort_onesweep_config_selectorIfNS0_10empty_typeEEEZZNS1_29radix_sort_onesweep_iterationIS3_Lb0EN6thrust23THRUST_200600_302600_NS6detail15normal_iteratorINS9_10device_ptrIfEEEESE_PS5_SF_jNS0_19identity_decomposerENS1_16block_id_wrapperIjLb1EEEEE10hipError_tT1_PNSt15iterator_traitsISK_E10value_typeET2_T3_PNSL_ISQ_E10value_typeET4_T5_PSV_SW_PNS1_23onesweep_lookback_stateEbbT6_jjT7_P12ihipStream_tbENKUlT_T0_SK_SP_E_clISE_PfSF_SF_EEDaS13_S14_SK_SP_EUlS13_E_NS1_11comp_targetILNS1_3genE5ELNS1_11target_archE942ELNS1_3gpuE9ELNS1_3repE0EEENS1_47radix_sort_onesweep_sort_config_static_selectorELNS0_4arch9wavefront6targetE0EEEvSK_.uses_flat_scratch, 0
	.set _ZN7rocprim17ROCPRIM_400000_NS6detail17trampoline_kernelINS0_14default_configENS1_35radix_sort_onesweep_config_selectorIfNS0_10empty_typeEEEZZNS1_29radix_sort_onesweep_iterationIS3_Lb0EN6thrust23THRUST_200600_302600_NS6detail15normal_iteratorINS9_10device_ptrIfEEEESE_PS5_SF_jNS0_19identity_decomposerENS1_16block_id_wrapperIjLb1EEEEE10hipError_tT1_PNSt15iterator_traitsISK_E10value_typeET2_T3_PNSL_ISQ_E10value_typeET4_T5_PSV_SW_PNS1_23onesweep_lookback_stateEbbT6_jjT7_P12ihipStream_tbENKUlT_T0_SK_SP_E_clISE_PfSF_SF_EEDaS13_S14_SK_SP_EUlS13_E_NS1_11comp_targetILNS1_3genE5ELNS1_11target_archE942ELNS1_3gpuE9ELNS1_3repE0EEENS1_47radix_sort_onesweep_sort_config_static_selectorELNS0_4arch9wavefront6targetE0EEEvSK_.has_dyn_sized_stack, 0
	.set _ZN7rocprim17ROCPRIM_400000_NS6detail17trampoline_kernelINS0_14default_configENS1_35radix_sort_onesweep_config_selectorIfNS0_10empty_typeEEEZZNS1_29radix_sort_onesweep_iterationIS3_Lb0EN6thrust23THRUST_200600_302600_NS6detail15normal_iteratorINS9_10device_ptrIfEEEESE_PS5_SF_jNS0_19identity_decomposerENS1_16block_id_wrapperIjLb1EEEEE10hipError_tT1_PNSt15iterator_traitsISK_E10value_typeET2_T3_PNSL_ISQ_E10value_typeET4_T5_PSV_SW_PNS1_23onesweep_lookback_stateEbbT6_jjT7_P12ihipStream_tbENKUlT_T0_SK_SP_E_clISE_PfSF_SF_EEDaS13_S14_SK_SP_EUlS13_E_NS1_11comp_targetILNS1_3genE5ELNS1_11target_archE942ELNS1_3gpuE9ELNS1_3repE0EEENS1_47radix_sort_onesweep_sort_config_static_selectorELNS0_4arch9wavefront6targetE0EEEvSK_.has_recursion, 0
	.set _ZN7rocprim17ROCPRIM_400000_NS6detail17trampoline_kernelINS0_14default_configENS1_35radix_sort_onesweep_config_selectorIfNS0_10empty_typeEEEZZNS1_29radix_sort_onesweep_iterationIS3_Lb0EN6thrust23THRUST_200600_302600_NS6detail15normal_iteratorINS9_10device_ptrIfEEEESE_PS5_SF_jNS0_19identity_decomposerENS1_16block_id_wrapperIjLb1EEEEE10hipError_tT1_PNSt15iterator_traitsISK_E10value_typeET2_T3_PNSL_ISQ_E10value_typeET4_T5_PSV_SW_PNS1_23onesweep_lookback_stateEbbT6_jjT7_P12ihipStream_tbENKUlT_T0_SK_SP_E_clISE_PfSF_SF_EEDaS13_S14_SK_SP_EUlS13_E_NS1_11comp_targetILNS1_3genE5ELNS1_11target_archE942ELNS1_3gpuE9ELNS1_3repE0EEENS1_47radix_sort_onesweep_sort_config_static_selectorELNS0_4arch9wavefront6targetE0EEEvSK_.has_indirect_call, 0
	.section	.AMDGPU.csdata,"",@progbits
; Kernel info:
; codeLenInByte = 0
; TotalNumSgprs: 0
; NumVgprs: 0
; ScratchSize: 0
; MemoryBound: 0
; FloatMode: 240
; IeeeMode: 1
; LDSByteSize: 0 bytes/workgroup (compile time only)
; SGPRBlocks: 0
; VGPRBlocks: 0
; NumSGPRsForWavesPerEU: 1
; NumVGPRsForWavesPerEU: 1
; Occupancy: 16
; WaveLimiterHint : 0
; COMPUTE_PGM_RSRC2:SCRATCH_EN: 0
; COMPUTE_PGM_RSRC2:USER_SGPR: 6
; COMPUTE_PGM_RSRC2:TRAP_HANDLER: 0
; COMPUTE_PGM_RSRC2:TGID_X_EN: 1
; COMPUTE_PGM_RSRC2:TGID_Y_EN: 0
; COMPUTE_PGM_RSRC2:TGID_Z_EN: 0
; COMPUTE_PGM_RSRC2:TIDIG_COMP_CNT: 0
	.section	.text._ZN7rocprim17ROCPRIM_400000_NS6detail17trampoline_kernelINS0_14default_configENS1_35radix_sort_onesweep_config_selectorIfNS0_10empty_typeEEEZZNS1_29radix_sort_onesweep_iterationIS3_Lb0EN6thrust23THRUST_200600_302600_NS6detail15normal_iteratorINS9_10device_ptrIfEEEESE_PS5_SF_jNS0_19identity_decomposerENS1_16block_id_wrapperIjLb1EEEEE10hipError_tT1_PNSt15iterator_traitsISK_E10value_typeET2_T3_PNSL_ISQ_E10value_typeET4_T5_PSV_SW_PNS1_23onesweep_lookback_stateEbbT6_jjT7_P12ihipStream_tbENKUlT_T0_SK_SP_E_clISE_PfSF_SF_EEDaS13_S14_SK_SP_EUlS13_E_NS1_11comp_targetILNS1_3genE2ELNS1_11target_archE906ELNS1_3gpuE6ELNS1_3repE0EEENS1_47radix_sort_onesweep_sort_config_static_selectorELNS0_4arch9wavefront6targetE0EEEvSK_,"axG",@progbits,_ZN7rocprim17ROCPRIM_400000_NS6detail17trampoline_kernelINS0_14default_configENS1_35radix_sort_onesweep_config_selectorIfNS0_10empty_typeEEEZZNS1_29radix_sort_onesweep_iterationIS3_Lb0EN6thrust23THRUST_200600_302600_NS6detail15normal_iteratorINS9_10device_ptrIfEEEESE_PS5_SF_jNS0_19identity_decomposerENS1_16block_id_wrapperIjLb1EEEEE10hipError_tT1_PNSt15iterator_traitsISK_E10value_typeET2_T3_PNSL_ISQ_E10value_typeET4_T5_PSV_SW_PNS1_23onesweep_lookback_stateEbbT6_jjT7_P12ihipStream_tbENKUlT_T0_SK_SP_E_clISE_PfSF_SF_EEDaS13_S14_SK_SP_EUlS13_E_NS1_11comp_targetILNS1_3genE2ELNS1_11target_archE906ELNS1_3gpuE6ELNS1_3repE0EEENS1_47radix_sort_onesweep_sort_config_static_selectorELNS0_4arch9wavefront6targetE0EEEvSK_,comdat
	.protected	_ZN7rocprim17ROCPRIM_400000_NS6detail17trampoline_kernelINS0_14default_configENS1_35radix_sort_onesweep_config_selectorIfNS0_10empty_typeEEEZZNS1_29radix_sort_onesweep_iterationIS3_Lb0EN6thrust23THRUST_200600_302600_NS6detail15normal_iteratorINS9_10device_ptrIfEEEESE_PS5_SF_jNS0_19identity_decomposerENS1_16block_id_wrapperIjLb1EEEEE10hipError_tT1_PNSt15iterator_traitsISK_E10value_typeET2_T3_PNSL_ISQ_E10value_typeET4_T5_PSV_SW_PNS1_23onesweep_lookback_stateEbbT6_jjT7_P12ihipStream_tbENKUlT_T0_SK_SP_E_clISE_PfSF_SF_EEDaS13_S14_SK_SP_EUlS13_E_NS1_11comp_targetILNS1_3genE2ELNS1_11target_archE906ELNS1_3gpuE6ELNS1_3repE0EEENS1_47radix_sort_onesweep_sort_config_static_selectorELNS0_4arch9wavefront6targetE0EEEvSK_ ; -- Begin function _ZN7rocprim17ROCPRIM_400000_NS6detail17trampoline_kernelINS0_14default_configENS1_35radix_sort_onesweep_config_selectorIfNS0_10empty_typeEEEZZNS1_29radix_sort_onesweep_iterationIS3_Lb0EN6thrust23THRUST_200600_302600_NS6detail15normal_iteratorINS9_10device_ptrIfEEEESE_PS5_SF_jNS0_19identity_decomposerENS1_16block_id_wrapperIjLb1EEEEE10hipError_tT1_PNSt15iterator_traitsISK_E10value_typeET2_T3_PNSL_ISQ_E10value_typeET4_T5_PSV_SW_PNS1_23onesweep_lookback_stateEbbT6_jjT7_P12ihipStream_tbENKUlT_T0_SK_SP_E_clISE_PfSF_SF_EEDaS13_S14_SK_SP_EUlS13_E_NS1_11comp_targetILNS1_3genE2ELNS1_11target_archE906ELNS1_3gpuE6ELNS1_3repE0EEENS1_47radix_sort_onesweep_sort_config_static_selectorELNS0_4arch9wavefront6targetE0EEEvSK_
	.globl	_ZN7rocprim17ROCPRIM_400000_NS6detail17trampoline_kernelINS0_14default_configENS1_35radix_sort_onesweep_config_selectorIfNS0_10empty_typeEEEZZNS1_29radix_sort_onesweep_iterationIS3_Lb0EN6thrust23THRUST_200600_302600_NS6detail15normal_iteratorINS9_10device_ptrIfEEEESE_PS5_SF_jNS0_19identity_decomposerENS1_16block_id_wrapperIjLb1EEEEE10hipError_tT1_PNSt15iterator_traitsISK_E10value_typeET2_T3_PNSL_ISQ_E10value_typeET4_T5_PSV_SW_PNS1_23onesweep_lookback_stateEbbT6_jjT7_P12ihipStream_tbENKUlT_T0_SK_SP_E_clISE_PfSF_SF_EEDaS13_S14_SK_SP_EUlS13_E_NS1_11comp_targetILNS1_3genE2ELNS1_11target_archE906ELNS1_3gpuE6ELNS1_3repE0EEENS1_47radix_sort_onesweep_sort_config_static_selectorELNS0_4arch9wavefront6targetE0EEEvSK_
	.p2align	8
	.type	_ZN7rocprim17ROCPRIM_400000_NS6detail17trampoline_kernelINS0_14default_configENS1_35radix_sort_onesweep_config_selectorIfNS0_10empty_typeEEEZZNS1_29radix_sort_onesweep_iterationIS3_Lb0EN6thrust23THRUST_200600_302600_NS6detail15normal_iteratorINS9_10device_ptrIfEEEESE_PS5_SF_jNS0_19identity_decomposerENS1_16block_id_wrapperIjLb1EEEEE10hipError_tT1_PNSt15iterator_traitsISK_E10value_typeET2_T3_PNSL_ISQ_E10value_typeET4_T5_PSV_SW_PNS1_23onesweep_lookback_stateEbbT6_jjT7_P12ihipStream_tbENKUlT_T0_SK_SP_E_clISE_PfSF_SF_EEDaS13_S14_SK_SP_EUlS13_E_NS1_11comp_targetILNS1_3genE2ELNS1_11target_archE906ELNS1_3gpuE6ELNS1_3repE0EEENS1_47radix_sort_onesweep_sort_config_static_selectorELNS0_4arch9wavefront6targetE0EEEvSK_,@function
_ZN7rocprim17ROCPRIM_400000_NS6detail17trampoline_kernelINS0_14default_configENS1_35radix_sort_onesweep_config_selectorIfNS0_10empty_typeEEEZZNS1_29radix_sort_onesweep_iterationIS3_Lb0EN6thrust23THRUST_200600_302600_NS6detail15normal_iteratorINS9_10device_ptrIfEEEESE_PS5_SF_jNS0_19identity_decomposerENS1_16block_id_wrapperIjLb1EEEEE10hipError_tT1_PNSt15iterator_traitsISK_E10value_typeET2_T3_PNSL_ISQ_E10value_typeET4_T5_PSV_SW_PNS1_23onesweep_lookback_stateEbbT6_jjT7_P12ihipStream_tbENKUlT_T0_SK_SP_E_clISE_PfSF_SF_EEDaS13_S14_SK_SP_EUlS13_E_NS1_11comp_targetILNS1_3genE2ELNS1_11target_archE906ELNS1_3gpuE6ELNS1_3repE0EEENS1_47radix_sort_onesweep_sort_config_static_selectorELNS0_4arch9wavefront6targetE0EEEvSK_: ; @_ZN7rocprim17ROCPRIM_400000_NS6detail17trampoline_kernelINS0_14default_configENS1_35radix_sort_onesweep_config_selectorIfNS0_10empty_typeEEEZZNS1_29radix_sort_onesweep_iterationIS3_Lb0EN6thrust23THRUST_200600_302600_NS6detail15normal_iteratorINS9_10device_ptrIfEEEESE_PS5_SF_jNS0_19identity_decomposerENS1_16block_id_wrapperIjLb1EEEEE10hipError_tT1_PNSt15iterator_traitsISK_E10value_typeET2_T3_PNSL_ISQ_E10value_typeET4_T5_PSV_SW_PNS1_23onesweep_lookback_stateEbbT6_jjT7_P12ihipStream_tbENKUlT_T0_SK_SP_E_clISE_PfSF_SF_EEDaS13_S14_SK_SP_EUlS13_E_NS1_11comp_targetILNS1_3genE2ELNS1_11target_archE906ELNS1_3gpuE6ELNS1_3repE0EEENS1_47radix_sort_onesweep_sort_config_static_selectorELNS0_4arch9wavefront6targetE0EEEvSK_
; %bb.0:
	.section	.rodata,"a",@progbits
	.p2align	6, 0x0
	.amdhsa_kernel _ZN7rocprim17ROCPRIM_400000_NS6detail17trampoline_kernelINS0_14default_configENS1_35radix_sort_onesweep_config_selectorIfNS0_10empty_typeEEEZZNS1_29radix_sort_onesweep_iterationIS3_Lb0EN6thrust23THRUST_200600_302600_NS6detail15normal_iteratorINS9_10device_ptrIfEEEESE_PS5_SF_jNS0_19identity_decomposerENS1_16block_id_wrapperIjLb1EEEEE10hipError_tT1_PNSt15iterator_traitsISK_E10value_typeET2_T3_PNSL_ISQ_E10value_typeET4_T5_PSV_SW_PNS1_23onesweep_lookback_stateEbbT6_jjT7_P12ihipStream_tbENKUlT_T0_SK_SP_E_clISE_PfSF_SF_EEDaS13_S14_SK_SP_EUlS13_E_NS1_11comp_targetILNS1_3genE2ELNS1_11target_archE906ELNS1_3gpuE6ELNS1_3repE0EEENS1_47radix_sort_onesweep_sort_config_static_selectorELNS0_4arch9wavefront6targetE0EEEvSK_
		.amdhsa_group_segment_fixed_size 0
		.amdhsa_private_segment_fixed_size 0
		.amdhsa_kernarg_size 88
		.amdhsa_user_sgpr_count 6
		.amdhsa_user_sgpr_private_segment_buffer 1
		.amdhsa_user_sgpr_dispatch_ptr 0
		.amdhsa_user_sgpr_queue_ptr 0
		.amdhsa_user_sgpr_kernarg_segment_ptr 1
		.amdhsa_user_sgpr_dispatch_id 0
		.amdhsa_user_sgpr_flat_scratch_init 0
		.amdhsa_user_sgpr_private_segment_size 0
		.amdhsa_wavefront_size32 1
		.amdhsa_uses_dynamic_stack 0
		.amdhsa_system_sgpr_private_segment_wavefront_offset 0
		.amdhsa_system_sgpr_workgroup_id_x 1
		.amdhsa_system_sgpr_workgroup_id_y 0
		.amdhsa_system_sgpr_workgroup_id_z 0
		.amdhsa_system_sgpr_workgroup_info 0
		.amdhsa_system_vgpr_workitem_id 0
		.amdhsa_next_free_vgpr 1
		.amdhsa_next_free_sgpr 1
		.amdhsa_reserve_vcc 0
		.amdhsa_reserve_flat_scratch 0
		.amdhsa_float_round_mode_32 0
		.amdhsa_float_round_mode_16_64 0
		.amdhsa_float_denorm_mode_32 3
		.amdhsa_float_denorm_mode_16_64 3
		.amdhsa_dx10_clamp 1
		.amdhsa_ieee_mode 1
		.amdhsa_fp16_overflow 0
		.amdhsa_workgroup_processor_mode 1
		.amdhsa_memory_ordered 1
		.amdhsa_forward_progress 1
		.amdhsa_shared_vgpr_count 0
		.amdhsa_exception_fp_ieee_invalid_op 0
		.amdhsa_exception_fp_denorm_src 0
		.amdhsa_exception_fp_ieee_div_zero 0
		.amdhsa_exception_fp_ieee_overflow 0
		.amdhsa_exception_fp_ieee_underflow 0
		.amdhsa_exception_fp_ieee_inexact 0
		.amdhsa_exception_int_div_zero 0
	.end_amdhsa_kernel
	.section	.text._ZN7rocprim17ROCPRIM_400000_NS6detail17trampoline_kernelINS0_14default_configENS1_35radix_sort_onesweep_config_selectorIfNS0_10empty_typeEEEZZNS1_29radix_sort_onesweep_iterationIS3_Lb0EN6thrust23THRUST_200600_302600_NS6detail15normal_iteratorINS9_10device_ptrIfEEEESE_PS5_SF_jNS0_19identity_decomposerENS1_16block_id_wrapperIjLb1EEEEE10hipError_tT1_PNSt15iterator_traitsISK_E10value_typeET2_T3_PNSL_ISQ_E10value_typeET4_T5_PSV_SW_PNS1_23onesweep_lookback_stateEbbT6_jjT7_P12ihipStream_tbENKUlT_T0_SK_SP_E_clISE_PfSF_SF_EEDaS13_S14_SK_SP_EUlS13_E_NS1_11comp_targetILNS1_3genE2ELNS1_11target_archE906ELNS1_3gpuE6ELNS1_3repE0EEENS1_47radix_sort_onesweep_sort_config_static_selectorELNS0_4arch9wavefront6targetE0EEEvSK_,"axG",@progbits,_ZN7rocprim17ROCPRIM_400000_NS6detail17trampoline_kernelINS0_14default_configENS1_35radix_sort_onesweep_config_selectorIfNS0_10empty_typeEEEZZNS1_29radix_sort_onesweep_iterationIS3_Lb0EN6thrust23THRUST_200600_302600_NS6detail15normal_iteratorINS9_10device_ptrIfEEEESE_PS5_SF_jNS0_19identity_decomposerENS1_16block_id_wrapperIjLb1EEEEE10hipError_tT1_PNSt15iterator_traitsISK_E10value_typeET2_T3_PNSL_ISQ_E10value_typeET4_T5_PSV_SW_PNS1_23onesweep_lookback_stateEbbT6_jjT7_P12ihipStream_tbENKUlT_T0_SK_SP_E_clISE_PfSF_SF_EEDaS13_S14_SK_SP_EUlS13_E_NS1_11comp_targetILNS1_3genE2ELNS1_11target_archE906ELNS1_3gpuE6ELNS1_3repE0EEENS1_47radix_sort_onesweep_sort_config_static_selectorELNS0_4arch9wavefront6targetE0EEEvSK_,comdat
.Lfunc_end571:
	.size	_ZN7rocprim17ROCPRIM_400000_NS6detail17trampoline_kernelINS0_14default_configENS1_35radix_sort_onesweep_config_selectorIfNS0_10empty_typeEEEZZNS1_29radix_sort_onesweep_iterationIS3_Lb0EN6thrust23THRUST_200600_302600_NS6detail15normal_iteratorINS9_10device_ptrIfEEEESE_PS5_SF_jNS0_19identity_decomposerENS1_16block_id_wrapperIjLb1EEEEE10hipError_tT1_PNSt15iterator_traitsISK_E10value_typeET2_T3_PNSL_ISQ_E10value_typeET4_T5_PSV_SW_PNS1_23onesweep_lookback_stateEbbT6_jjT7_P12ihipStream_tbENKUlT_T0_SK_SP_E_clISE_PfSF_SF_EEDaS13_S14_SK_SP_EUlS13_E_NS1_11comp_targetILNS1_3genE2ELNS1_11target_archE906ELNS1_3gpuE6ELNS1_3repE0EEENS1_47radix_sort_onesweep_sort_config_static_selectorELNS0_4arch9wavefront6targetE0EEEvSK_, .Lfunc_end571-_ZN7rocprim17ROCPRIM_400000_NS6detail17trampoline_kernelINS0_14default_configENS1_35radix_sort_onesweep_config_selectorIfNS0_10empty_typeEEEZZNS1_29radix_sort_onesweep_iterationIS3_Lb0EN6thrust23THRUST_200600_302600_NS6detail15normal_iteratorINS9_10device_ptrIfEEEESE_PS5_SF_jNS0_19identity_decomposerENS1_16block_id_wrapperIjLb1EEEEE10hipError_tT1_PNSt15iterator_traitsISK_E10value_typeET2_T3_PNSL_ISQ_E10value_typeET4_T5_PSV_SW_PNS1_23onesweep_lookback_stateEbbT6_jjT7_P12ihipStream_tbENKUlT_T0_SK_SP_E_clISE_PfSF_SF_EEDaS13_S14_SK_SP_EUlS13_E_NS1_11comp_targetILNS1_3genE2ELNS1_11target_archE906ELNS1_3gpuE6ELNS1_3repE0EEENS1_47radix_sort_onesweep_sort_config_static_selectorELNS0_4arch9wavefront6targetE0EEEvSK_
                                        ; -- End function
	.set _ZN7rocprim17ROCPRIM_400000_NS6detail17trampoline_kernelINS0_14default_configENS1_35radix_sort_onesweep_config_selectorIfNS0_10empty_typeEEEZZNS1_29radix_sort_onesweep_iterationIS3_Lb0EN6thrust23THRUST_200600_302600_NS6detail15normal_iteratorINS9_10device_ptrIfEEEESE_PS5_SF_jNS0_19identity_decomposerENS1_16block_id_wrapperIjLb1EEEEE10hipError_tT1_PNSt15iterator_traitsISK_E10value_typeET2_T3_PNSL_ISQ_E10value_typeET4_T5_PSV_SW_PNS1_23onesweep_lookback_stateEbbT6_jjT7_P12ihipStream_tbENKUlT_T0_SK_SP_E_clISE_PfSF_SF_EEDaS13_S14_SK_SP_EUlS13_E_NS1_11comp_targetILNS1_3genE2ELNS1_11target_archE906ELNS1_3gpuE6ELNS1_3repE0EEENS1_47radix_sort_onesweep_sort_config_static_selectorELNS0_4arch9wavefront6targetE0EEEvSK_.num_vgpr, 0
	.set _ZN7rocprim17ROCPRIM_400000_NS6detail17trampoline_kernelINS0_14default_configENS1_35radix_sort_onesweep_config_selectorIfNS0_10empty_typeEEEZZNS1_29radix_sort_onesweep_iterationIS3_Lb0EN6thrust23THRUST_200600_302600_NS6detail15normal_iteratorINS9_10device_ptrIfEEEESE_PS5_SF_jNS0_19identity_decomposerENS1_16block_id_wrapperIjLb1EEEEE10hipError_tT1_PNSt15iterator_traitsISK_E10value_typeET2_T3_PNSL_ISQ_E10value_typeET4_T5_PSV_SW_PNS1_23onesweep_lookback_stateEbbT6_jjT7_P12ihipStream_tbENKUlT_T0_SK_SP_E_clISE_PfSF_SF_EEDaS13_S14_SK_SP_EUlS13_E_NS1_11comp_targetILNS1_3genE2ELNS1_11target_archE906ELNS1_3gpuE6ELNS1_3repE0EEENS1_47radix_sort_onesweep_sort_config_static_selectorELNS0_4arch9wavefront6targetE0EEEvSK_.num_agpr, 0
	.set _ZN7rocprim17ROCPRIM_400000_NS6detail17trampoline_kernelINS0_14default_configENS1_35radix_sort_onesweep_config_selectorIfNS0_10empty_typeEEEZZNS1_29radix_sort_onesweep_iterationIS3_Lb0EN6thrust23THRUST_200600_302600_NS6detail15normal_iteratorINS9_10device_ptrIfEEEESE_PS5_SF_jNS0_19identity_decomposerENS1_16block_id_wrapperIjLb1EEEEE10hipError_tT1_PNSt15iterator_traitsISK_E10value_typeET2_T3_PNSL_ISQ_E10value_typeET4_T5_PSV_SW_PNS1_23onesweep_lookback_stateEbbT6_jjT7_P12ihipStream_tbENKUlT_T0_SK_SP_E_clISE_PfSF_SF_EEDaS13_S14_SK_SP_EUlS13_E_NS1_11comp_targetILNS1_3genE2ELNS1_11target_archE906ELNS1_3gpuE6ELNS1_3repE0EEENS1_47radix_sort_onesweep_sort_config_static_selectorELNS0_4arch9wavefront6targetE0EEEvSK_.numbered_sgpr, 0
	.set _ZN7rocprim17ROCPRIM_400000_NS6detail17trampoline_kernelINS0_14default_configENS1_35radix_sort_onesweep_config_selectorIfNS0_10empty_typeEEEZZNS1_29radix_sort_onesweep_iterationIS3_Lb0EN6thrust23THRUST_200600_302600_NS6detail15normal_iteratorINS9_10device_ptrIfEEEESE_PS5_SF_jNS0_19identity_decomposerENS1_16block_id_wrapperIjLb1EEEEE10hipError_tT1_PNSt15iterator_traitsISK_E10value_typeET2_T3_PNSL_ISQ_E10value_typeET4_T5_PSV_SW_PNS1_23onesweep_lookback_stateEbbT6_jjT7_P12ihipStream_tbENKUlT_T0_SK_SP_E_clISE_PfSF_SF_EEDaS13_S14_SK_SP_EUlS13_E_NS1_11comp_targetILNS1_3genE2ELNS1_11target_archE906ELNS1_3gpuE6ELNS1_3repE0EEENS1_47radix_sort_onesweep_sort_config_static_selectorELNS0_4arch9wavefront6targetE0EEEvSK_.num_named_barrier, 0
	.set _ZN7rocprim17ROCPRIM_400000_NS6detail17trampoline_kernelINS0_14default_configENS1_35radix_sort_onesweep_config_selectorIfNS0_10empty_typeEEEZZNS1_29radix_sort_onesweep_iterationIS3_Lb0EN6thrust23THRUST_200600_302600_NS6detail15normal_iteratorINS9_10device_ptrIfEEEESE_PS5_SF_jNS0_19identity_decomposerENS1_16block_id_wrapperIjLb1EEEEE10hipError_tT1_PNSt15iterator_traitsISK_E10value_typeET2_T3_PNSL_ISQ_E10value_typeET4_T5_PSV_SW_PNS1_23onesweep_lookback_stateEbbT6_jjT7_P12ihipStream_tbENKUlT_T0_SK_SP_E_clISE_PfSF_SF_EEDaS13_S14_SK_SP_EUlS13_E_NS1_11comp_targetILNS1_3genE2ELNS1_11target_archE906ELNS1_3gpuE6ELNS1_3repE0EEENS1_47radix_sort_onesweep_sort_config_static_selectorELNS0_4arch9wavefront6targetE0EEEvSK_.private_seg_size, 0
	.set _ZN7rocprim17ROCPRIM_400000_NS6detail17trampoline_kernelINS0_14default_configENS1_35radix_sort_onesweep_config_selectorIfNS0_10empty_typeEEEZZNS1_29radix_sort_onesweep_iterationIS3_Lb0EN6thrust23THRUST_200600_302600_NS6detail15normal_iteratorINS9_10device_ptrIfEEEESE_PS5_SF_jNS0_19identity_decomposerENS1_16block_id_wrapperIjLb1EEEEE10hipError_tT1_PNSt15iterator_traitsISK_E10value_typeET2_T3_PNSL_ISQ_E10value_typeET4_T5_PSV_SW_PNS1_23onesweep_lookback_stateEbbT6_jjT7_P12ihipStream_tbENKUlT_T0_SK_SP_E_clISE_PfSF_SF_EEDaS13_S14_SK_SP_EUlS13_E_NS1_11comp_targetILNS1_3genE2ELNS1_11target_archE906ELNS1_3gpuE6ELNS1_3repE0EEENS1_47radix_sort_onesweep_sort_config_static_selectorELNS0_4arch9wavefront6targetE0EEEvSK_.uses_vcc, 0
	.set _ZN7rocprim17ROCPRIM_400000_NS6detail17trampoline_kernelINS0_14default_configENS1_35radix_sort_onesweep_config_selectorIfNS0_10empty_typeEEEZZNS1_29radix_sort_onesweep_iterationIS3_Lb0EN6thrust23THRUST_200600_302600_NS6detail15normal_iteratorINS9_10device_ptrIfEEEESE_PS5_SF_jNS0_19identity_decomposerENS1_16block_id_wrapperIjLb1EEEEE10hipError_tT1_PNSt15iterator_traitsISK_E10value_typeET2_T3_PNSL_ISQ_E10value_typeET4_T5_PSV_SW_PNS1_23onesweep_lookback_stateEbbT6_jjT7_P12ihipStream_tbENKUlT_T0_SK_SP_E_clISE_PfSF_SF_EEDaS13_S14_SK_SP_EUlS13_E_NS1_11comp_targetILNS1_3genE2ELNS1_11target_archE906ELNS1_3gpuE6ELNS1_3repE0EEENS1_47radix_sort_onesweep_sort_config_static_selectorELNS0_4arch9wavefront6targetE0EEEvSK_.uses_flat_scratch, 0
	.set _ZN7rocprim17ROCPRIM_400000_NS6detail17trampoline_kernelINS0_14default_configENS1_35radix_sort_onesweep_config_selectorIfNS0_10empty_typeEEEZZNS1_29radix_sort_onesweep_iterationIS3_Lb0EN6thrust23THRUST_200600_302600_NS6detail15normal_iteratorINS9_10device_ptrIfEEEESE_PS5_SF_jNS0_19identity_decomposerENS1_16block_id_wrapperIjLb1EEEEE10hipError_tT1_PNSt15iterator_traitsISK_E10value_typeET2_T3_PNSL_ISQ_E10value_typeET4_T5_PSV_SW_PNS1_23onesweep_lookback_stateEbbT6_jjT7_P12ihipStream_tbENKUlT_T0_SK_SP_E_clISE_PfSF_SF_EEDaS13_S14_SK_SP_EUlS13_E_NS1_11comp_targetILNS1_3genE2ELNS1_11target_archE906ELNS1_3gpuE6ELNS1_3repE0EEENS1_47radix_sort_onesweep_sort_config_static_selectorELNS0_4arch9wavefront6targetE0EEEvSK_.has_dyn_sized_stack, 0
	.set _ZN7rocprim17ROCPRIM_400000_NS6detail17trampoline_kernelINS0_14default_configENS1_35radix_sort_onesweep_config_selectorIfNS0_10empty_typeEEEZZNS1_29radix_sort_onesweep_iterationIS3_Lb0EN6thrust23THRUST_200600_302600_NS6detail15normal_iteratorINS9_10device_ptrIfEEEESE_PS5_SF_jNS0_19identity_decomposerENS1_16block_id_wrapperIjLb1EEEEE10hipError_tT1_PNSt15iterator_traitsISK_E10value_typeET2_T3_PNSL_ISQ_E10value_typeET4_T5_PSV_SW_PNS1_23onesweep_lookback_stateEbbT6_jjT7_P12ihipStream_tbENKUlT_T0_SK_SP_E_clISE_PfSF_SF_EEDaS13_S14_SK_SP_EUlS13_E_NS1_11comp_targetILNS1_3genE2ELNS1_11target_archE906ELNS1_3gpuE6ELNS1_3repE0EEENS1_47radix_sort_onesweep_sort_config_static_selectorELNS0_4arch9wavefront6targetE0EEEvSK_.has_recursion, 0
	.set _ZN7rocprim17ROCPRIM_400000_NS6detail17trampoline_kernelINS0_14default_configENS1_35radix_sort_onesweep_config_selectorIfNS0_10empty_typeEEEZZNS1_29radix_sort_onesweep_iterationIS3_Lb0EN6thrust23THRUST_200600_302600_NS6detail15normal_iteratorINS9_10device_ptrIfEEEESE_PS5_SF_jNS0_19identity_decomposerENS1_16block_id_wrapperIjLb1EEEEE10hipError_tT1_PNSt15iterator_traitsISK_E10value_typeET2_T3_PNSL_ISQ_E10value_typeET4_T5_PSV_SW_PNS1_23onesweep_lookback_stateEbbT6_jjT7_P12ihipStream_tbENKUlT_T0_SK_SP_E_clISE_PfSF_SF_EEDaS13_S14_SK_SP_EUlS13_E_NS1_11comp_targetILNS1_3genE2ELNS1_11target_archE906ELNS1_3gpuE6ELNS1_3repE0EEENS1_47radix_sort_onesweep_sort_config_static_selectorELNS0_4arch9wavefront6targetE0EEEvSK_.has_indirect_call, 0
	.section	.AMDGPU.csdata,"",@progbits
; Kernel info:
; codeLenInByte = 0
; TotalNumSgprs: 0
; NumVgprs: 0
; ScratchSize: 0
; MemoryBound: 0
; FloatMode: 240
; IeeeMode: 1
; LDSByteSize: 0 bytes/workgroup (compile time only)
; SGPRBlocks: 0
; VGPRBlocks: 0
; NumSGPRsForWavesPerEU: 1
; NumVGPRsForWavesPerEU: 1
; Occupancy: 16
; WaveLimiterHint : 0
; COMPUTE_PGM_RSRC2:SCRATCH_EN: 0
; COMPUTE_PGM_RSRC2:USER_SGPR: 6
; COMPUTE_PGM_RSRC2:TRAP_HANDLER: 0
; COMPUTE_PGM_RSRC2:TGID_X_EN: 1
; COMPUTE_PGM_RSRC2:TGID_Y_EN: 0
; COMPUTE_PGM_RSRC2:TGID_Z_EN: 0
; COMPUTE_PGM_RSRC2:TIDIG_COMP_CNT: 0
	.section	.text._ZN7rocprim17ROCPRIM_400000_NS6detail17trampoline_kernelINS0_14default_configENS1_35radix_sort_onesweep_config_selectorIfNS0_10empty_typeEEEZZNS1_29radix_sort_onesweep_iterationIS3_Lb0EN6thrust23THRUST_200600_302600_NS6detail15normal_iteratorINS9_10device_ptrIfEEEESE_PS5_SF_jNS0_19identity_decomposerENS1_16block_id_wrapperIjLb1EEEEE10hipError_tT1_PNSt15iterator_traitsISK_E10value_typeET2_T3_PNSL_ISQ_E10value_typeET4_T5_PSV_SW_PNS1_23onesweep_lookback_stateEbbT6_jjT7_P12ihipStream_tbENKUlT_T0_SK_SP_E_clISE_PfSF_SF_EEDaS13_S14_SK_SP_EUlS13_E_NS1_11comp_targetILNS1_3genE4ELNS1_11target_archE910ELNS1_3gpuE8ELNS1_3repE0EEENS1_47radix_sort_onesweep_sort_config_static_selectorELNS0_4arch9wavefront6targetE0EEEvSK_,"axG",@progbits,_ZN7rocprim17ROCPRIM_400000_NS6detail17trampoline_kernelINS0_14default_configENS1_35radix_sort_onesweep_config_selectorIfNS0_10empty_typeEEEZZNS1_29radix_sort_onesweep_iterationIS3_Lb0EN6thrust23THRUST_200600_302600_NS6detail15normal_iteratorINS9_10device_ptrIfEEEESE_PS5_SF_jNS0_19identity_decomposerENS1_16block_id_wrapperIjLb1EEEEE10hipError_tT1_PNSt15iterator_traitsISK_E10value_typeET2_T3_PNSL_ISQ_E10value_typeET4_T5_PSV_SW_PNS1_23onesweep_lookback_stateEbbT6_jjT7_P12ihipStream_tbENKUlT_T0_SK_SP_E_clISE_PfSF_SF_EEDaS13_S14_SK_SP_EUlS13_E_NS1_11comp_targetILNS1_3genE4ELNS1_11target_archE910ELNS1_3gpuE8ELNS1_3repE0EEENS1_47radix_sort_onesweep_sort_config_static_selectorELNS0_4arch9wavefront6targetE0EEEvSK_,comdat
	.protected	_ZN7rocprim17ROCPRIM_400000_NS6detail17trampoline_kernelINS0_14default_configENS1_35radix_sort_onesweep_config_selectorIfNS0_10empty_typeEEEZZNS1_29radix_sort_onesweep_iterationIS3_Lb0EN6thrust23THRUST_200600_302600_NS6detail15normal_iteratorINS9_10device_ptrIfEEEESE_PS5_SF_jNS0_19identity_decomposerENS1_16block_id_wrapperIjLb1EEEEE10hipError_tT1_PNSt15iterator_traitsISK_E10value_typeET2_T3_PNSL_ISQ_E10value_typeET4_T5_PSV_SW_PNS1_23onesweep_lookback_stateEbbT6_jjT7_P12ihipStream_tbENKUlT_T0_SK_SP_E_clISE_PfSF_SF_EEDaS13_S14_SK_SP_EUlS13_E_NS1_11comp_targetILNS1_3genE4ELNS1_11target_archE910ELNS1_3gpuE8ELNS1_3repE0EEENS1_47radix_sort_onesweep_sort_config_static_selectorELNS0_4arch9wavefront6targetE0EEEvSK_ ; -- Begin function _ZN7rocprim17ROCPRIM_400000_NS6detail17trampoline_kernelINS0_14default_configENS1_35radix_sort_onesweep_config_selectorIfNS0_10empty_typeEEEZZNS1_29radix_sort_onesweep_iterationIS3_Lb0EN6thrust23THRUST_200600_302600_NS6detail15normal_iteratorINS9_10device_ptrIfEEEESE_PS5_SF_jNS0_19identity_decomposerENS1_16block_id_wrapperIjLb1EEEEE10hipError_tT1_PNSt15iterator_traitsISK_E10value_typeET2_T3_PNSL_ISQ_E10value_typeET4_T5_PSV_SW_PNS1_23onesweep_lookback_stateEbbT6_jjT7_P12ihipStream_tbENKUlT_T0_SK_SP_E_clISE_PfSF_SF_EEDaS13_S14_SK_SP_EUlS13_E_NS1_11comp_targetILNS1_3genE4ELNS1_11target_archE910ELNS1_3gpuE8ELNS1_3repE0EEENS1_47radix_sort_onesweep_sort_config_static_selectorELNS0_4arch9wavefront6targetE0EEEvSK_
	.globl	_ZN7rocprim17ROCPRIM_400000_NS6detail17trampoline_kernelINS0_14default_configENS1_35radix_sort_onesweep_config_selectorIfNS0_10empty_typeEEEZZNS1_29radix_sort_onesweep_iterationIS3_Lb0EN6thrust23THRUST_200600_302600_NS6detail15normal_iteratorINS9_10device_ptrIfEEEESE_PS5_SF_jNS0_19identity_decomposerENS1_16block_id_wrapperIjLb1EEEEE10hipError_tT1_PNSt15iterator_traitsISK_E10value_typeET2_T3_PNSL_ISQ_E10value_typeET4_T5_PSV_SW_PNS1_23onesweep_lookback_stateEbbT6_jjT7_P12ihipStream_tbENKUlT_T0_SK_SP_E_clISE_PfSF_SF_EEDaS13_S14_SK_SP_EUlS13_E_NS1_11comp_targetILNS1_3genE4ELNS1_11target_archE910ELNS1_3gpuE8ELNS1_3repE0EEENS1_47radix_sort_onesweep_sort_config_static_selectorELNS0_4arch9wavefront6targetE0EEEvSK_
	.p2align	8
	.type	_ZN7rocprim17ROCPRIM_400000_NS6detail17trampoline_kernelINS0_14default_configENS1_35radix_sort_onesweep_config_selectorIfNS0_10empty_typeEEEZZNS1_29radix_sort_onesweep_iterationIS3_Lb0EN6thrust23THRUST_200600_302600_NS6detail15normal_iteratorINS9_10device_ptrIfEEEESE_PS5_SF_jNS0_19identity_decomposerENS1_16block_id_wrapperIjLb1EEEEE10hipError_tT1_PNSt15iterator_traitsISK_E10value_typeET2_T3_PNSL_ISQ_E10value_typeET4_T5_PSV_SW_PNS1_23onesweep_lookback_stateEbbT6_jjT7_P12ihipStream_tbENKUlT_T0_SK_SP_E_clISE_PfSF_SF_EEDaS13_S14_SK_SP_EUlS13_E_NS1_11comp_targetILNS1_3genE4ELNS1_11target_archE910ELNS1_3gpuE8ELNS1_3repE0EEENS1_47radix_sort_onesweep_sort_config_static_selectorELNS0_4arch9wavefront6targetE0EEEvSK_,@function
_ZN7rocprim17ROCPRIM_400000_NS6detail17trampoline_kernelINS0_14default_configENS1_35radix_sort_onesweep_config_selectorIfNS0_10empty_typeEEEZZNS1_29radix_sort_onesweep_iterationIS3_Lb0EN6thrust23THRUST_200600_302600_NS6detail15normal_iteratorINS9_10device_ptrIfEEEESE_PS5_SF_jNS0_19identity_decomposerENS1_16block_id_wrapperIjLb1EEEEE10hipError_tT1_PNSt15iterator_traitsISK_E10value_typeET2_T3_PNSL_ISQ_E10value_typeET4_T5_PSV_SW_PNS1_23onesweep_lookback_stateEbbT6_jjT7_P12ihipStream_tbENKUlT_T0_SK_SP_E_clISE_PfSF_SF_EEDaS13_S14_SK_SP_EUlS13_E_NS1_11comp_targetILNS1_3genE4ELNS1_11target_archE910ELNS1_3gpuE8ELNS1_3repE0EEENS1_47radix_sort_onesweep_sort_config_static_selectorELNS0_4arch9wavefront6targetE0EEEvSK_: ; @_ZN7rocprim17ROCPRIM_400000_NS6detail17trampoline_kernelINS0_14default_configENS1_35radix_sort_onesweep_config_selectorIfNS0_10empty_typeEEEZZNS1_29radix_sort_onesweep_iterationIS3_Lb0EN6thrust23THRUST_200600_302600_NS6detail15normal_iteratorINS9_10device_ptrIfEEEESE_PS5_SF_jNS0_19identity_decomposerENS1_16block_id_wrapperIjLb1EEEEE10hipError_tT1_PNSt15iterator_traitsISK_E10value_typeET2_T3_PNSL_ISQ_E10value_typeET4_T5_PSV_SW_PNS1_23onesweep_lookback_stateEbbT6_jjT7_P12ihipStream_tbENKUlT_T0_SK_SP_E_clISE_PfSF_SF_EEDaS13_S14_SK_SP_EUlS13_E_NS1_11comp_targetILNS1_3genE4ELNS1_11target_archE910ELNS1_3gpuE8ELNS1_3repE0EEENS1_47radix_sort_onesweep_sort_config_static_selectorELNS0_4arch9wavefront6targetE0EEEvSK_
; %bb.0:
	.section	.rodata,"a",@progbits
	.p2align	6, 0x0
	.amdhsa_kernel _ZN7rocprim17ROCPRIM_400000_NS6detail17trampoline_kernelINS0_14default_configENS1_35radix_sort_onesweep_config_selectorIfNS0_10empty_typeEEEZZNS1_29radix_sort_onesweep_iterationIS3_Lb0EN6thrust23THRUST_200600_302600_NS6detail15normal_iteratorINS9_10device_ptrIfEEEESE_PS5_SF_jNS0_19identity_decomposerENS1_16block_id_wrapperIjLb1EEEEE10hipError_tT1_PNSt15iterator_traitsISK_E10value_typeET2_T3_PNSL_ISQ_E10value_typeET4_T5_PSV_SW_PNS1_23onesweep_lookback_stateEbbT6_jjT7_P12ihipStream_tbENKUlT_T0_SK_SP_E_clISE_PfSF_SF_EEDaS13_S14_SK_SP_EUlS13_E_NS1_11comp_targetILNS1_3genE4ELNS1_11target_archE910ELNS1_3gpuE8ELNS1_3repE0EEENS1_47radix_sort_onesweep_sort_config_static_selectorELNS0_4arch9wavefront6targetE0EEEvSK_
		.amdhsa_group_segment_fixed_size 0
		.amdhsa_private_segment_fixed_size 0
		.amdhsa_kernarg_size 88
		.amdhsa_user_sgpr_count 6
		.amdhsa_user_sgpr_private_segment_buffer 1
		.amdhsa_user_sgpr_dispatch_ptr 0
		.amdhsa_user_sgpr_queue_ptr 0
		.amdhsa_user_sgpr_kernarg_segment_ptr 1
		.amdhsa_user_sgpr_dispatch_id 0
		.amdhsa_user_sgpr_flat_scratch_init 0
		.amdhsa_user_sgpr_private_segment_size 0
		.amdhsa_wavefront_size32 1
		.amdhsa_uses_dynamic_stack 0
		.amdhsa_system_sgpr_private_segment_wavefront_offset 0
		.amdhsa_system_sgpr_workgroup_id_x 1
		.amdhsa_system_sgpr_workgroup_id_y 0
		.amdhsa_system_sgpr_workgroup_id_z 0
		.amdhsa_system_sgpr_workgroup_info 0
		.amdhsa_system_vgpr_workitem_id 0
		.amdhsa_next_free_vgpr 1
		.amdhsa_next_free_sgpr 1
		.amdhsa_reserve_vcc 0
		.amdhsa_reserve_flat_scratch 0
		.amdhsa_float_round_mode_32 0
		.amdhsa_float_round_mode_16_64 0
		.amdhsa_float_denorm_mode_32 3
		.amdhsa_float_denorm_mode_16_64 3
		.amdhsa_dx10_clamp 1
		.amdhsa_ieee_mode 1
		.amdhsa_fp16_overflow 0
		.amdhsa_workgroup_processor_mode 1
		.amdhsa_memory_ordered 1
		.amdhsa_forward_progress 1
		.amdhsa_shared_vgpr_count 0
		.amdhsa_exception_fp_ieee_invalid_op 0
		.amdhsa_exception_fp_denorm_src 0
		.amdhsa_exception_fp_ieee_div_zero 0
		.amdhsa_exception_fp_ieee_overflow 0
		.amdhsa_exception_fp_ieee_underflow 0
		.amdhsa_exception_fp_ieee_inexact 0
		.amdhsa_exception_int_div_zero 0
	.end_amdhsa_kernel
	.section	.text._ZN7rocprim17ROCPRIM_400000_NS6detail17trampoline_kernelINS0_14default_configENS1_35radix_sort_onesweep_config_selectorIfNS0_10empty_typeEEEZZNS1_29radix_sort_onesweep_iterationIS3_Lb0EN6thrust23THRUST_200600_302600_NS6detail15normal_iteratorINS9_10device_ptrIfEEEESE_PS5_SF_jNS0_19identity_decomposerENS1_16block_id_wrapperIjLb1EEEEE10hipError_tT1_PNSt15iterator_traitsISK_E10value_typeET2_T3_PNSL_ISQ_E10value_typeET4_T5_PSV_SW_PNS1_23onesweep_lookback_stateEbbT6_jjT7_P12ihipStream_tbENKUlT_T0_SK_SP_E_clISE_PfSF_SF_EEDaS13_S14_SK_SP_EUlS13_E_NS1_11comp_targetILNS1_3genE4ELNS1_11target_archE910ELNS1_3gpuE8ELNS1_3repE0EEENS1_47radix_sort_onesweep_sort_config_static_selectorELNS0_4arch9wavefront6targetE0EEEvSK_,"axG",@progbits,_ZN7rocprim17ROCPRIM_400000_NS6detail17trampoline_kernelINS0_14default_configENS1_35radix_sort_onesweep_config_selectorIfNS0_10empty_typeEEEZZNS1_29radix_sort_onesweep_iterationIS3_Lb0EN6thrust23THRUST_200600_302600_NS6detail15normal_iteratorINS9_10device_ptrIfEEEESE_PS5_SF_jNS0_19identity_decomposerENS1_16block_id_wrapperIjLb1EEEEE10hipError_tT1_PNSt15iterator_traitsISK_E10value_typeET2_T3_PNSL_ISQ_E10value_typeET4_T5_PSV_SW_PNS1_23onesweep_lookback_stateEbbT6_jjT7_P12ihipStream_tbENKUlT_T0_SK_SP_E_clISE_PfSF_SF_EEDaS13_S14_SK_SP_EUlS13_E_NS1_11comp_targetILNS1_3genE4ELNS1_11target_archE910ELNS1_3gpuE8ELNS1_3repE0EEENS1_47radix_sort_onesweep_sort_config_static_selectorELNS0_4arch9wavefront6targetE0EEEvSK_,comdat
.Lfunc_end572:
	.size	_ZN7rocprim17ROCPRIM_400000_NS6detail17trampoline_kernelINS0_14default_configENS1_35radix_sort_onesweep_config_selectorIfNS0_10empty_typeEEEZZNS1_29radix_sort_onesweep_iterationIS3_Lb0EN6thrust23THRUST_200600_302600_NS6detail15normal_iteratorINS9_10device_ptrIfEEEESE_PS5_SF_jNS0_19identity_decomposerENS1_16block_id_wrapperIjLb1EEEEE10hipError_tT1_PNSt15iterator_traitsISK_E10value_typeET2_T3_PNSL_ISQ_E10value_typeET4_T5_PSV_SW_PNS1_23onesweep_lookback_stateEbbT6_jjT7_P12ihipStream_tbENKUlT_T0_SK_SP_E_clISE_PfSF_SF_EEDaS13_S14_SK_SP_EUlS13_E_NS1_11comp_targetILNS1_3genE4ELNS1_11target_archE910ELNS1_3gpuE8ELNS1_3repE0EEENS1_47radix_sort_onesweep_sort_config_static_selectorELNS0_4arch9wavefront6targetE0EEEvSK_, .Lfunc_end572-_ZN7rocprim17ROCPRIM_400000_NS6detail17trampoline_kernelINS0_14default_configENS1_35radix_sort_onesweep_config_selectorIfNS0_10empty_typeEEEZZNS1_29radix_sort_onesweep_iterationIS3_Lb0EN6thrust23THRUST_200600_302600_NS6detail15normal_iteratorINS9_10device_ptrIfEEEESE_PS5_SF_jNS0_19identity_decomposerENS1_16block_id_wrapperIjLb1EEEEE10hipError_tT1_PNSt15iterator_traitsISK_E10value_typeET2_T3_PNSL_ISQ_E10value_typeET4_T5_PSV_SW_PNS1_23onesweep_lookback_stateEbbT6_jjT7_P12ihipStream_tbENKUlT_T0_SK_SP_E_clISE_PfSF_SF_EEDaS13_S14_SK_SP_EUlS13_E_NS1_11comp_targetILNS1_3genE4ELNS1_11target_archE910ELNS1_3gpuE8ELNS1_3repE0EEENS1_47radix_sort_onesweep_sort_config_static_selectorELNS0_4arch9wavefront6targetE0EEEvSK_
                                        ; -- End function
	.set _ZN7rocprim17ROCPRIM_400000_NS6detail17trampoline_kernelINS0_14default_configENS1_35radix_sort_onesweep_config_selectorIfNS0_10empty_typeEEEZZNS1_29radix_sort_onesweep_iterationIS3_Lb0EN6thrust23THRUST_200600_302600_NS6detail15normal_iteratorINS9_10device_ptrIfEEEESE_PS5_SF_jNS0_19identity_decomposerENS1_16block_id_wrapperIjLb1EEEEE10hipError_tT1_PNSt15iterator_traitsISK_E10value_typeET2_T3_PNSL_ISQ_E10value_typeET4_T5_PSV_SW_PNS1_23onesweep_lookback_stateEbbT6_jjT7_P12ihipStream_tbENKUlT_T0_SK_SP_E_clISE_PfSF_SF_EEDaS13_S14_SK_SP_EUlS13_E_NS1_11comp_targetILNS1_3genE4ELNS1_11target_archE910ELNS1_3gpuE8ELNS1_3repE0EEENS1_47radix_sort_onesweep_sort_config_static_selectorELNS0_4arch9wavefront6targetE0EEEvSK_.num_vgpr, 0
	.set _ZN7rocprim17ROCPRIM_400000_NS6detail17trampoline_kernelINS0_14default_configENS1_35radix_sort_onesweep_config_selectorIfNS0_10empty_typeEEEZZNS1_29radix_sort_onesweep_iterationIS3_Lb0EN6thrust23THRUST_200600_302600_NS6detail15normal_iteratorINS9_10device_ptrIfEEEESE_PS5_SF_jNS0_19identity_decomposerENS1_16block_id_wrapperIjLb1EEEEE10hipError_tT1_PNSt15iterator_traitsISK_E10value_typeET2_T3_PNSL_ISQ_E10value_typeET4_T5_PSV_SW_PNS1_23onesweep_lookback_stateEbbT6_jjT7_P12ihipStream_tbENKUlT_T0_SK_SP_E_clISE_PfSF_SF_EEDaS13_S14_SK_SP_EUlS13_E_NS1_11comp_targetILNS1_3genE4ELNS1_11target_archE910ELNS1_3gpuE8ELNS1_3repE0EEENS1_47radix_sort_onesweep_sort_config_static_selectorELNS0_4arch9wavefront6targetE0EEEvSK_.num_agpr, 0
	.set _ZN7rocprim17ROCPRIM_400000_NS6detail17trampoline_kernelINS0_14default_configENS1_35radix_sort_onesweep_config_selectorIfNS0_10empty_typeEEEZZNS1_29radix_sort_onesweep_iterationIS3_Lb0EN6thrust23THRUST_200600_302600_NS6detail15normal_iteratorINS9_10device_ptrIfEEEESE_PS5_SF_jNS0_19identity_decomposerENS1_16block_id_wrapperIjLb1EEEEE10hipError_tT1_PNSt15iterator_traitsISK_E10value_typeET2_T3_PNSL_ISQ_E10value_typeET4_T5_PSV_SW_PNS1_23onesweep_lookback_stateEbbT6_jjT7_P12ihipStream_tbENKUlT_T0_SK_SP_E_clISE_PfSF_SF_EEDaS13_S14_SK_SP_EUlS13_E_NS1_11comp_targetILNS1_3genE4ELNS1_11target_archE910ELNS1_3gpuE8ELNS1_3repE0EEENS1_47radix_sort_onesweep_sort_config_static_selectorELNS0_4arch9wavefront6targetE0EEEvSK_.numbered_sgpr, 0
	.set _ZN7rocprim17ROCPRIM_400000_NS6detail17trampoline_kernelINS0_14default_configENS1_35radix_sort_onesweep_config_selectorIfNS0_10empty_typeEEEZZNS1_29radix_sort_onesweep_iterationIS3_Lb0EN6thrust23THRUST_200600_302600_NS6detail15normal_iteratorINS9_10device_ptrIfEEEESE_PS5_SF_jNS0_19identity_decomposerENS1_16block_id_wrapperIjLb1EEEEE10hipError_tT1_PNSt15iterator_traitsISK_E10value_typeET2_T3_PNSL_ISQ_E10value_typeET4_T5_PSV_SW_PNS1_23onesweep_lookback_stateEbbT6_jjT7_P12ihipStream_tbENKUlT_T0_SK_SP_E_clISE_PfSF_SF_EEDaS13_S14_SK_SP_EUlS13_E_NS1_11comp_targetILNS1_3genE4ELNS1_11target_archE910ELNS1_3gpuE8ELNS1_3repE0EEENS1_47radix_sort_onesweep_sort_config_static_selectorELNS0_4arch9wavefront6targetE0EEEvSK_.num_named_barrier, 0
	.set _ZN7rocprim17ROCPRIM_400000_NS6detail17trampoline_kernelINS0_14default_configENS1_35radix_sort_onesweep_config_selectorIfNS0_10empty_typeEEEZZNS1_29radix_sort_onesweep_iterationIS3_Lb0EN6thrust23THRUST_200600_302600_NS6detail15normal_iteratorINS9_10device_ptrIfEEEESE_PS5_SF_jNS0_19identity_decomposerENS1_16block_id_wrapperIjLb1EEEEE10hipError_tT1_PNSt15iterator_traitsISK_E10value_typeET2_T3_PNSL_ISQ_E10value_typeET4_T5_PSV_SW_PNS1_23onesweep_lookback_stateEbbT6_jjT7_P12ihipStream_tbENKUlT_T0_SK_SP_E_clISE_PfSF_SF_EEDaS13_S14_SK_SP_EUlS13_E_NS1_11comp_targetILNS1_3genE4ELNS1_11target_archE910ELNS1_3gpuE8ELNS1_3repE0EEENS1_47radix_sort_onesweep_sort_config_static_selectorELNS0_4arch9wavefront6targetE0EEEvSK_.private_seg_size, 0
	.set _ZN7rocprim17ROCPRIM_400000_NS6detail17trampoline_kernelINS0_14default_configENS1_35radix_sort_onesweep_config_selectorIfNS0_10empty_typeEEEZZNS1_29radix_sort_onesweep_iterationIS3_Lb0EN6thrust23THRUST_200600_302600_NS6detail15normal_iteratorINS9_10device_ptrIfEEEESE_PS5_SF_jNS0_19identity_decomposerENS1_16block_id_wrapperIjLb1EEEEE10hipError_tT1_PNSt15iterator_traitsISK_E10value_typeET2_T3_PNSL_ISQ_E10value_typeET4_T5_PSV_SW_PNS1_23onesweep_lookback_stateEbbT6_jjT7_P12ihipStream_tbENKUlT_T0_SK_SP_E_clISE_PfSF_SF_EEDaS13_S14_SK_SP_EUlS13_E_NS1_11comp_targetILNS1_3genE4ELNS1_11target_archE910ELNS1_3gpuE8ELNS1_3repE0EEENS1_47radix_sort_onesweep_sort_config_static_selectorELNS0_4arch9wavefront6targetE0EEEvSK_.uses_vcc, 0
	.set _ZN7rocprim17ROCPRIM_400000_NS6detail17trampoline_kernelINS0_14default_configENS1_35radix_sort_onesweep_config_selectorIfNS0_10empty_typeEEEZZNS1_29radix_sort_onesweep_iterationIS3_Lb0EN6thrust23THRUST_200600_302600_NS6detail15normal_iteratorINS9_10device_ptrIfEEEESE_PS5_SF_jNS0_19identity_decomposerENS1_16block_id_wrapperIjLb1EEEEE10hipError_tT1_PNSt15iterator_traitsISK_E10value_typeET2_T3_PNSL_ISQ_E10value_typeET4_T5_PSV_SW_PNS1_23onesweep_lookback_stateEbbT6_jjT7_P12ihipStream_tbENKUlT_T0_SK_SP_E_clISE_PfSF_SF_EEDaS13_S14_SK_SP_EUlS13_E_NS1_11comp_targetILNS1_3genE4ELNS1_11target_archE910ELNS1_3gpuE8ELNS1_3repE0EEENS1_47radix_sort_onesweep_sort_config_static_selectorELNS0_4arch9wavefront6targetE0EEEvSK_.uses_flat_scratch, 0
	.set _ZN7rocprim17ROCPRIM_400000_NS6detail17trampoline_kernelINS0_14default_configENS1_35radix_sort_onesweep_config_selectorIfNS0_10empty_typeEEEZZNS1_29radix_sort_onesweep_iterationIS3_Lb0EN6thrust23THRUST_200600_302600_NS6detail15normal_iteratorINS9_10device_ptrIfEEEESE_PS5_SF_jNS0_19identity_decomposerENS1_16block_id_wrapperIjLb1EEEEE10hipError_tT1_PNSt15iterator_traitsISK_E10value_typeET2_T3_PNSL_ISQ_E10value_typeET4_T5_PSV_SW_PNS1_23onesweep_lookback_stateEbbT6_jjT7_P12ihipStream_tbENKUlT_T0_SK_SP_E_clISE_PfSF_SF_EEDaS13_S14_SK_SP_EUlS13_E_NS1_11comp_targetILNS1_3genE4ELNS1_11target_archE910ELNS1_3gpuE8ELNS1_3repE0EEENS1_47radix_sort_onesweep_sort_config_static_selectorELNS0_4arch9wavefront6targetE0EEEvSK_.has_dyn_sized_stack, 0
	.set _ZN7rocprim17ROCPRIM_400000_NS6detail17trampoline_kernelINS0_14default_configENS1_35radix_sort_onesweep_config_selectorIfNS0_10empty_typeEEEZZNS1_29radix_sort_onesweep_iterationIS3_Lb0EN6thrust23THRUST_200600_302600_NS6detail15normal_iteratorINS9_10device_ptrIfEEEESE_PS5_SF_jNS0_19identity_decomposerENS1_16block_id_wrapperIjLb1EEEEE10hipError_tT1_PNSt15iterator_traitsISK_E10value_typeET2_T3_PNSL_ISQ_E10value_typeET4_T5_PSV_SW_PNS1_23onesweep_lookback_stateEbbT6_jjT7_P12ihipStream_tbENKUlT_T0_SK_SP_E_clISE_PfSF_SF_EEDaS13_S14_SK_SP_EUlS13_E_NS1_11comp_targetILNS1_3genE4ELNS1_11target_archE910ELNS1_3gpuE8ELNS1_3repE0EEENS1_47radix_sort_onesweep_sort_config_static_selectorELNS0_4arch9wavefront6targetE0EEEvSK_.has_recursion, 0
	.set _ZN7rocprim17ROCPRIM_400000_NS6detail17trampoline_kernelINS0_14default_configENS1_35radix_sort_onesweep_config_selectorIfNS0_10empty_typeEEEZZNS1_29radix_sort_onesweep_iterationIS3_Lb0EN6thrust23THRUST_200600_302600_NS6detail15normal_iteratorINS9_10device_ptrIfEEEESE_PS5_SF_jNS0_19identity_decomposerENS1_16block_id_wrapperIjLb1EEEEE10hipError_tT1_PNSt15iterator_traitsISK_E10value_typeET2_T3_PNSL_ISQ_E10value_typeET4_T5_PSV_SW_PNS1_23onesweep_lookback_stateEbbT6_jjT7_P12ihipStream_tbENKUlT_T0_SK_SP_E_clISE_PfSF_SF_EEDaS13_S14_SK_SP_EUlS13_E_NS1_11comp_targetILNS1_3genE4ELNS1_11target_archE910ELNS1_3gpuE8ELNS1_3repE0EEENS1_47radix_sort_onesweep_sort_config_static_selectorELNS0_4arch9wavefront6targetE0EEEvSK_.has_indirect_call, 0
	.section	.AMDGPU.csdata,"",@progbits
; Kernel info:
; codeLenInByte = 0
; TotalNumSgprs: 0
; NumVgprs: 0
; ScratchSize: 0
; MemoryBound: 0
; FloatMode: 240
; IeeeMode: 1
; LDSByteSize: 0 bytes/workgroup (compile time only)
; SGPRBlocks: 0
; VGPRBlocks: 0
; NumSGPRsForWavesPerEU: 1
; NumVGPRsForWavesPerEU: 1
; Occupancy: 16
; WaveLimiterHint : 0
; COMPUTE_PGM_RSRC2:SCRATCH_EN: 0
; COMPUTE_PGM_RSRC2:USER_SGPR: 6
; COMPUTE_PGM_RSRC2:TRAP_HANDLER: 0
; COMPUTE_PGM_RSRC2:TGID_X_EN: 1
; COMPUTE_PGM_RSRC2:TGID_Y_EN: 0
; COMPUTE_PGM_RSRC2:TGID_Z_EN: 0
; COMPUTE_PGM_RSRC2:TIDIG_COMP_CNT: 0
	.section	.text._ZN7rocprim17ROCPRIM_400000_NS6detail17trampoline_kernelINS0_14default_configENS1_35radix_sort_onesweep_config_selectorIfNS0_10empty_typeEEEZZNS1_29radix_sort_onesweep_iterationIS3_Lb0EN6thrust23THRUST_200600_302600_NS6detail15normal_iteratorINS9_10device_ptrIfEEEESE_PS5_SF_jNS0_19identity_decomposerENS1_16block_id_wrapperIjLb1EEEEE10hipError_tT1_PNSt15iterator_traitsISK_E10value_typeET2_T3_PNSL_ISQ_E10value_typeET4_T5_PSV_SW_PNS1_23onesweep_lookback_stateEbbT6_jjT7_P12ihipStream_tbENKUlT_T0_SK_SP_E_clISE_PfSF_SF_EEDaS13_S14_SK_SP_EUlS13_E_NS1_11comp_targetILNS1_3genE3ELNS1_11target_archE908ELNS1_3gpuE7ELNS1_3repE0EEENS1_47radix_sort_onesweep_sort_config_static_selectorELNS0_4arch9wavefront6targetE0EEEvSK_,"axG",@progbits,_ZN7rocprim17ROCPRIM_400000_NS6detail17trampoline_kernelINS0_14default_configENS1_35radix_sort_onesweep_config_selectorIfNS0_10empty_typeEEEZZNS1_29radix_sort_onesweep_iterationIS3_Lb0EN6thrust23THRUST_200600_302600_NS6detail15normal_iteratorINS9_10device_ptrIfEEEESE_PS5_SF_jNS0_19identity_decomposerENS1_16block_id_wrapperIjLb1EEEEE10hipError_tT1_PNSt15iterator_traitsISK_E10value_typeET2_T3_PNSL_ISQ_E10value_typeET4_T5_PSV_SW_PNS1_23onesweep_lookback_stateEbbT6_jjT7_P12ihipStream_tbENKUlT_T0_SK_SP_E_clISE_PfSF_SF_EEDaS13_S14_SK_SP_EUlS13_E_NS1_11comp_targetILNS1_3genE3ELNS1_11target_archE908ELNS1_3gpuE7ELNS1_3repE0EEENS1_47radix_sort_onesweep_sort_config_static_selectorELNS0_4arch9wavefront6targetE0EEEvSK_,comdat
	.protected	_ZN7rocprim17ROCPRIM_400000_NS6detail17trampoline_kernelINS0_14default_configENS1_35radix_sort_onesweep_config_selectorIfNS0_10empty_typeEEEZZNS1_29radix_sort_onesweep_iterationIS3_Lb0EN6thrust23THRUST_200600_302600_NS6detail15normal_iteratorINS9_10device_ptrIfEEEESE_PS5_SF_jNS0_19identity_decomposerENS1_16block_id_wrapperIjLb1EEEEE10hipError_tT1_PNSt15iterator_traitsISK_E10value_typeET2_T3_PNSL_ISQ_E10value_typeET4_T5_PSV_SW_PNS1_23onesweep_lookback_stateEbbT6_jjT7_P12ihipStream_tbENKUlT_T0_SK_SP_E_clISE_PfSF_SF_EEDaS13_S14_SK_SP_EUlS13_E_NS1_11comp_targetILNS1_3genE3ELNS1_11target_archE908ELNS1_3gpuE7ELNS1_3repE0EEENS1_47radix_sort_onesweep_sort_config_static_selectorELNS0_4arch9wavefront6targetE0EEEvSK_ ; -- Begin function _ZN7rocprim17ROCPRIM_400000_NS6detail17trampoline_kernelINS0_14default_configENS1_35radix_sort_onesweep_config_selectorIfNS0_10empty_typeEEEZZNS1_29radix_sort_onesweep_iterationIS3_Lb0EN6thrust23THRUST_200600_302600_NS6detail15normal_iteratorINS9_10device_ptrIfEEEESE_PS5_SF_jNS0_19identity_decomposerENS1_16block_id_wrapperIjLb1EEEEE10hipError_tT1_PNSt15iterator_traitsISK_E10value_typeET2_T3_PNSL_ISQ_E10value_typeET4_T5_PSV_SW_PNS1_23onesweep_lookback_stateEbbT6_jjT7_P12ihipStream_tbENKUlT_T0_SK_SP_E_clISE_PfSF_SF_EEDaS13_S14_SK_SP_EUlS13_E_NS1_11comp_targetILNS1_3genE3ELNS1_11target_archE908ELNS1_3gpuE7ELNS1_3repE0EEENS1_47radix_sort_onesweep_sort_config_static_selectorELNS0_4arch9wavefront6targetE0EEEvSK_
	.globl	_ZN7rocprim17ROCPRIM_400000_NS6detail17trampoline_kernelINS0_14default_configENS1_35radix_sort_onesweep_config_selectorIfNS0_10empty_typeEEEZZNS1_29radix_sort_onesweep_iterationIS3_Lb0EN6thrust23THRUST_200600_302600_NS6detail15normal_iteratorINS9_10device_ptrIfEEEESE_PS5_SF_jNS0_19identity_decomposerENS1_16block_id_wrapperIjLb1EEEEE10hipError_tT1_PNSt15iterator_traitsISK_E10value_typeET2_T3_PNSL_ISQ_E10value_typeET4_T5_PSV_SW_PNS1_23onesweep_lookback_stateEbbT6_jjT7_P12ihipStream_tbENKUlT_T0_SK_SP_E_clISE_PfSF_SF_EEDaS13_S14_SK_SP_EUlS13_E_NS1_11comp_targetILNS1_3genE3ELNS1_11target_archE908ELNS1_3gpuE7ELNS1_3repE0EEENS1_47radix_sort_onesweep_sort_config_static_selectorELNS0_4arch9wavefront6targetE0EEEvSK_
	.p2align	8
	.type	_ZN7rocprim17ROCPRIM_400000_NS6detail17trampoline_kernelINS0_14default_configENS1_35radix_sort_onesweep_config_selectorIfNS0_10empty_typeEEEZZNS1_29radix_sort_onesweep_iterationIS3_Lb0EN6thrust23THRUST_200600_302600_NS6detail15normal_iteratorINS9_10device_ptrIfEEEESE_PS5_SF_jNS0_19identity_decomposerENS1_16block_id_wrapperIjLb1EEEEE10hipError_tT1_PNSt15iterator_traitsISK_E10value_typeET2_T3_PNSL_ISQ_E10value_typeET4_T5_PSV_SW_PNS1_23onesweep_lookback_stateEbbT6_jjT7_P12ihipStream_tbENKUlT_T0_SK_SP_E_clISE_PfSF_SF_EEDaS13_S14_SK_SP_EUlS13_E_NS1_11comp_targetILNS1_3genE3ELNS1_11target_archE908ELNS1_3gpuE7ELNS1_3repE0EEENS1_47radix_sort_onesweep_sort_config_static_selectorELNS0_4arch9wavefront6targetE0EEEvSK_,@function
_ZN7rocprim17ROCPRIM_400000_NS6detail17trampoline_kernelINS0_14default_configENS1_35radix_sort_onesweep_config_selectorIfNS0_10empty_typeEEEZZNS1_29radix_sort_onesweep_iterationIS3_Lb0EN6thrust23THRUST_200600_302600_NS6detail15normal_iteratorINS9_10device_ptrIfEEEESE_PS5_SF_jNS0_19identity_decomposerENS1_16block_id_wrapperIjLb1EEEEE10hipError_tT1_PNSt15iterator_traitsISK_E10value_typeET2_T3_PNSL_ISQ_E10value_typeET4_T5_PSV_SW_PNS1_23onesweep_lookback_stateEbbT6_jjT7_P12ihipStream_tbENKUlT_T0_SK_SP_E_clISE_PfSF_SF_EEDaS13_S14_SK_SP_EUlS13_E_NS1_11comp_targetILNS1_3genE3ELNS1_11target_archE908ELNS1_3gpuE7ELNS1_3repE0EEENS1_47radix_sort_onesweep_sort_config_static_selectorELNS0_4arch9wavefront6targetE0EEEvSK_: ; @_ZN7rocprim17ROCPRIM_400000_NS6detail17trampoline_kernelINS0_14default_configENS1_35radix_sort_onesweep_config_selectorIfNS0_10empty_typeEEEZZNS1_29radix_sort_onesweep_iterationIS3_Lb0EN6thrust23THRUST_200600_302600_NS6detail15normal_iteratorINS9_10device_ptrIfEEEESE_PS5_SF_jNS0_19identity_decomposerENS1_16block_id_wrapperIjLb1EEEEE10hipError_tT1_PNSt15iterator_traitsISK_E10value_typeET2_T3_PNSL_ISQ_E10value_typeET4_T5_PSV_SW_PNS1_23onesweep_lookback_stateEbbT6_jjT7_P12ihipStream_tbENKUlT_T0_SK_SP_E_clISE_PfSF_SF_EEDaS13_S14_SK_SP_EUlS13_E_NS1_11comp_targetILNS1_3genE3ELNS1_11target_archE908ELNS1_3gpuE7ELNS1_3repE0EEENS1_47radix_sort_onesweep_sort_config_static_selectorELNS0_4arch9wavefront6targetE0EEEvSK_
; %bb.0:
	.section	.rodata,"a",@progbits
	.p2align	6, 0x0
	.amdhsa_kernel _ZN7rocprim17ROCPRIM_400000_NS6detail17trampoline_kernelINS0_14default_configENS1_35radix_sort_onesweep_config_selectorIfNS0_10empty_typeEEEZZNS1_29radix_sort_onesweep_iterationIS3_Lb0EN6thrust23THRUST_200600_302600_NS6detail15normal_iteratorINS9_10device_ptrIfEEEESE_PS5_SF_jNS0_19identity_decomposerENS1_16block_id_wrapperIjLb1EEEEE10hipError_tT1_PNSt15iterator_traitsISK_E10value_typeET2_T3_PNSL_ISQ_E10value_typeET4_T5_PSV_SW_PNS1_23onesweep_lookback_stateEbbT6_jjT7_P12ihipStream_tbENKUlT_T0_SK_SP_E_clISE_PfSF_SF_EEDaS13_S14_SK_SP_EUlS13_E_NS1_11comp_targetILNS1_3genE3ELNS1_11target_archE908ELNS1_3gpuE7ELNS1_3repE0EEENS1_47radix_sort_onesweep_sort_config_static_selectorELNS0_4arch9wavefront6targetE0EEEvSK_
		.amdhsa_group_segment_fixed_size 0
		.amdhsa_private_segment_fixed_size 0
		.amdhsa_kernarg_size 88
		.amdhsa_user_sgpr_count 6
		.amdhsa_user_sgpr_private_segment_buffer 1
		.amdhsa_user_sgpr_dispatch_ptr 0
		.amdhsa_user_sgpr_queue_ptr 0
		.amdhsa_user_sgpr_kernarg_segment_ptr 1
		.amdhsa_user_sgpr_dispatch_id 0
		.amdhsa_user_sgpr_flat_scratch_init 0
		.amdhsa_user_sgpr_private_segment_size 0
		.amdhsa_wavefront_size32 1
		.amdhsa_uses_dynamic_stack 0
		.amdhsa_system_sgpr_private_segment_wavefront_offset 0
		.amdhsa_system_sgpr_workgroup_id_x 1
		.amdhsa_system_sgpr_workgroup_id_y 0
		.amdhsa_system_sgpr_workgroup_id_z 0
		.amdhsa_system_sgpr_workgroup_info 0
		.amdhsa_system_vgpr_workitem_id 0
		.amdhsa_next_free_vgpr 1
		.amdhsa_next_free_sgpr 1
		.amdhsa_reserve_vcc 0
		.amdhsa_reserve_flat_scratch 0
		.amdhsa_float_round_mode_32 0
		.amdhsa_float_round_mode_16_64 0
		.amdhsa_float_denorm_mode_32 3
		.amdhsa_float_denorm_mode_16_64 3
		.amdhsa_dx10_clamp 1
		.amdhsa_ieee_mode 1
		.amdhsa_fp16_overflow 0
		.amdhsa_workgroup_processor_mode 1
		.amdhsa_memory_ordered 1
		.amdhsa_forward_progress 1
		.amdhsa_shared_vgpr_count 0
		.amdhsa_exception_fp_ieee_invalid_op 0
		.amdhsa_exception_fp_denorm_src 0
		.amdhsa_exception_fp_ieee_div_zero 0
		.amdhsa_exception_fp_ieee_overflow 0
		.amdhsa_exception_fp_ieee_underflow 0
		.amdhsa_exception_fp_ieee_inexact 0
		.amdhsa_exception_int_div_zero 0
	.end_amdhsa_kernel
	.section	.text._ZN7rocprim17ROCPRIM_400000_NS6detail17trampoline_kernelINS0_14default_configENS1_35radix_sort_onesweep_config_selectorIfNS0_10empty_typeEEEZZNS1_29radix_sort_onesweep_iterationIS3_Lb0EN6thrust23THRUST_200600_302600_NS6detail15normal_iteratorINS9_10device_ptrIfEEEESE_PS5_SF_jNS0_19identity_decomposerENS1_16block_id_wrapperIjLb1EEEEE10hipError_tT1_PNSt15iterator_traitsISK_E10value_typeET2_T3_PNSL_ISQ_E10value_typeET4_T5_PSV_SW_PNS1_23onesweep_lookback_stateEbbT6_jjT7_P12ihipStream_tbENKUlT_T0_SK_SP_E_clISE_PfSF_SF_EEDaS13_S14_SK_SP_EUlS13_E_NS1_11comp_targetILNS1_3genE3ELNS1_11target_archE908ELNS1_3gpuE7ELNS1_3repE0EEENS1_47radix_sort_onesweep_sort_config_static_selectorELNS0_4arch9wavefront6targetE0EEEvSK_,"axG",@progbits,_ZN7rocprim17ROCPRIM_400000_NS6detail17trampoline_kernelINS0_14default_configENS1_35radix_sort_onesweep_config_selectorIfNS0_10empty_typeEEEZZNS1_29radix_sort_onesweep_iterationIS3_Lb0EN6thrust23THRUST_200600_302600_NS6detail15normal_iteratorINS9_10device_ptrIfEEEESE_PS5_SF_jNS0_19identity_decomposerENS1_16block_id_wrapperIjLb1EEEEE10hipError_tT1_PNSt15iterator_traitsISK_E10value_typeET2_T3_PNSL_ISQ_E10value_typeET4_T5_PSV_SW_PNS1_23onesweep_lookback_stateEbbT6_jjT7_P12ihipStream_tbENKUlT_T0_SK_SP_E_clISE_PfSF_SF_EEDaS13_S14_SK_SP_EUlS13_E_NS1_11comp_targetILNS1_3genE3ELNS1_11target_archE908ELNS1_3gpuE7ELNS1_3repE0EEENS1_47radix_sort_onesweep_sort_config_static_selectorELNS0_4arch9wavefront6targetE0EEEvSK_,comdat
.Lfunc_end573:
	.size	_ZN7rocprim17ROCPRIM_400000_NS6detail17trampoline_kernelINS0_14default_configENS1_35radix_sort_onesweep_config_selectorIfNS0_10empty_typeEEEZZNS1_29radix_sort_onesweep_iterationIS3_Lb0EN6thrust23THRUST_200600_302600_NS6detail15normal_iteratorINS9_10device_ptrIfEEEESE_PS5_SF_jNS0_19identity_decomposerENS1_16block_id_wrapperIjLb1EEEEE10hipError_tT1_PNSt15iterator_traitsISK_E10value_typeET2_T3_PNSL_ISQ_E10value_typeET4_T5_PSV_SW_PNS1_23onesweep_lookback_stateEbbT6_jjT7_P12ihipStream_tbENKUlT_T0_SK_SP_E_clISE_PfSF_SF_EEDaS13_S14_SK_SP_EUlS13_E_NS1_11comp_targetILNS1_3genE3ELNS1_11target_archE908ELNS1_3gpuE7ELNS1_3repE0EEENS1_47radix_sort_onesweep_sort_config_static_selectorELNS0_4arch9wavefront6targetE0EEEvSK_, .Lfunc_end573-_ZN7rocprim17ROCPRIM_400000_NS6detail17trampoline_kernelINS0_14default_configENS1_35radix_sort_onesweep_config_selectorIfNS0_10empty_typeEEEZZNS1_29radix_sort_onesweep_iterationIS3_Lb0EN6thrust23THRUST_200600_302600_NS6detail15normal_iteratorINS9_10device_ptrIfEEEESE_PS5_SF_jNS0_19identity_decomposerENS1_16block_id_wrapperIjLb1EEEEE10hipError_tT1_PNSt15iterator_traitsISK_E10value_typeET2_T3_PNSL_ISQ_E10value_typeET4_T5_PSV_SW_PNS1_23onesweep_lookback_stateEbbT6_jjT7_P12ihipStream_tbENKUlT_T0_SK_SP_E_clISE_PfSF_SF_EEDaS13_S14_SK_SP_EUlS13_E_NS1_11comp_targetILNS1_3genE3ELNS1_11target_archE908ELNS1_3gpuE7ELNS1_3repE0EEENS1_47radix_sort_onesweep_sort_config_static_selectorELNS0_4arch9wavefront6targetE0EEEvSK_
                                        ; -- End function
	.set _ZN7rocprim17ROCPRIM_400000_NS6detail17trampoline_kernelINS0_14default_configENS1_35radix_sort_onesweep_config_selectorIfNS0_10empty_typeEEEZZNS1_29radix_sort_onesweep_iterationIS3_Lb0EN6thrust23THRUST_200600_302600_NS6detail15normal_iteratorINS9_10device_ptrIfEEEESE_PS5_SF_jNS0_19identity_decomposerENS1_16block_id_wrapperIjLb1EEEEE10hipError_tT1_PNSt15iterator_traitsISK_E10value_typeET2_T3_PNSL_ISQ_E10value_typeET4_T5_PSV_SW_PNS1_23onesweep_lookback_stateEbbT6_jjT7_P12ihipStream_tbENKUlT_T0_SK_SP_E_clISE_PfSF_SF_EEDaS13_S14_SK_SP_EUlS13_E_NS1_11comp_targetILNS1_3genE3ELNS1_11target_archE908ELNS1_3gpuE7ELNS1_3repE0EEENS1_47radix_sort_onesweep_sort_config_static_selectorELNS0_4arch9wavefront6targetE0EEEvSK_.num_vgpr, 0
	.set _ZN7rocprim17ROCPRIM_400000_NS6detail17trampoline_kernelINS0_14default_configENS1_35radix_sort_onesweep_config_selectorIfNS0_10empty_typeEEEZZNS1_29radix_sort_onesweep_iterationIS3_Lb0EN6thrust23THRUST_200600_302600_NS6detail15normal_iteratorINS9_10device_ptrIfEEEESE_PS5_SF_jNS0_19identity_decomposerENS1_16block_id_wrapperIjLb1EEEEE10hipError_tT1_PNSt15iterator_traitsISK_E10value_typeET2_T3_PNSL_ISQ_E10value_typeET4_T5_PSV_SW_PNS1_23onesweep_lookback_stateEbbT6_jjT7_P12ihipStream_tbENKUlT_T0_SK_SP_E_clISE_PfSF_SF_EEDaS13_S14_SK_SP_EUlS13_E_NS1_11comp_targetILNS1_3genE3ELNS1_11target_archE908ELNS1_3gpuE7ELNS1_3repE0EEENS1_47radix_sort_onesweep_sort_config_static_selectorELNS0_4arch9wavefront6targetE0EEEvSK_.num_agpr, 0
	.set _ZN7rocprim17ROCPRIM_400000_NS6detail17trampoline_kernelINS0_14default_configENS1_35radix_sort_onesweep_config_selectorIfNS0_10empty_typeEEEZZNS1_29radix_sort_onesweep_iterationIS3_Lb0EN6thrust23THRUST_200600_302600_NS6detail15normal_iteratorINS9_10device_ptrIfEEEESE_PS5_SF_jNS0_19identity_decomposerENS1_16block_id_wrapperIjLb1EEEEE10hipError_tT1_PNSt15iterator_traitsISK_E10value_typeET2_T3_PNSL_ISQ_E10value_typeET4_T5_PSV_SW_PNS1_23onesweep_lookback_stateEbbT6_jjT7_P12ihipStream_tbENKUlT_T0_SK_SP_E_clISE_PfSF_SF_EEDaS13_S14_SK_SP_EUlS13_E_NS1_11comp_targetILNS1_3genE3ELNS1_11target_archE908ELNS1_3gpuE7ELNS1_3repE0EEENS1_47radix_sort_onesweep_sort_config_static_selectorELNS0_4arch9wavefront6targetE0EEEvSK_.numbered_sgpr, 0
	.set _ZN7rocprim17ROCPRIM_400000_NS6detail17trampoline_kernelINS0_14default_configENS1_35radix_sort_onesweep_config_selectorIfNS0_10empty_typeEEEZZNS1_29radix_sort_onesweep_iterationIS3_Lb0EN6thrust23THRUST_200600_302600_NS6detail15normal_iteratorINS9_10device_ptrIfEEEESE_PS5_SF_jNS0_19identity_decomposerENS1_16block_id_wrapperIjLb1EEEEE10hipError_tT1_PNSt15iterator_traitsISK_E10value_typeET2_T3_PNSL_ISQ_E10value_typeET4_T5_PSV_SW_PNS1_23onesweep_lookback_stateEbbT6_jjT7_P12ihipStream_tbENKUlT_T0_SK_SP_E_clISE_PfSF_SF_EEDaS13_S14_SK_SP_EUlS13_E_NS1_11comp_targetILNS1_3genE3ELNS1_11target_archE908ELNS1_3gpuE7ELNS1_3repE0EEENS1_47radix_sort_onesweep_sort_config_static_selectorELNS0_4arch9wavefront6targetE0EEEvSK_.num_named_barrier, 0
	.set _ZN7rocprim17ROCPRIM_400000_NS6detail17trampoline_kernelINS0_14default_configENS1_35radix_sort_onesweep_config_selectorIfNS0_10empty_typeEEEZZNS1_29radix_sort_onesweep_iterationIS3_Lb0EN6thrust23THRUST_200600_302600_NS6detail15normal_iteratorINS9_10device_ptrIfEEEESE_PS5_SF_jNS0_19identity_decomposerENS1_16block_id_wrapperIjLb1EEEEE10hipError_tT1_PNSt15iterator_traitsISK_E10value_typeET2_T3_PNSL_ISQ_E10value_typeET4_T5_PSV_SW_PNS1_23onesweep_lookback_stateEbbT6_jjT7_P12ihipStream_tbENKUlT_T0_SK_SP_E_clISE_PfSF_SF_EEDaS13_S14_SK_SP_EUlS13_E_NS1_11comp_targetILNS1_3genE3ELNS1_11target_archE908ELNS1_3gpuE7ELNS1_3repE0EEENS1_47radix_sort_onesweep_sort_config_static_selectorELNS0_4arch9wavefront6targetE0EEEvSK_.private_seg_size, 0
	.set _ZN7rocprim17ROCPRIM_400000_NS6detail17trampoline_kernelINS0_14default_configENS1_35radix_sort_onesweep_config_selectorIfNS0_10empty_typeEEEZZNS1_29radix_sort_onesweep_iterationIS3_Lb0EN6thrust23THRUST_200600_302600_NS6detail15normal_iteratorINS9_10device_ptrIfEEEESE_PS5_SF_jNS0_19identity_decomposerENS1_16block_id_wrapperIjLb1EEEEE10hipError_tT1_PNSt15iterator_traitsISK_E10value_typeET2_T3_PNSL_ISQ_E10value_typeET4_T5_PSV_SW_PNS1_23onesweep_lookback_stateEbbT6_jjT7_P12ihipStream_tbENKUlT_T0_SK_SP_E_clISE_PfSF_SF_EEDaS13_S14_SK_SP_EUlS13_E_NS1_11comp_targetILNS1_3genE3ELNS1_11target_archE908ELNS1_3gpuE7ELNS1_3repE0EEENS1_47radix_sort_onesweep_sort_config_static_selectorELNS0_4arch9wavefront6targetE0EEEvSK_.uses_vcc, 0
	.set _ZN7rocprim17ROCPRIM_400000_NS6detail17trampoline_kernelINS0_14default_configENS1_35radix_sort_onesweep_config_selectorIfNS0_10empty_typeEEEZZNS1_29radix_sort_onesweep_iterationIS3_Lb0EN6thrust23THRUST_200600_302600_NS6detail15normal_iteratorINS9_10device_ptrIfEEEESE_PS5_SF_jNS0_19identity_decomposerENS1_16block_id_wrapperIjLb1EEEEE10hipError_tT1_PNSt15iterator_traitsISK_E10value_typeET2_T3_PNSL_ISQ_E10value_typeET4_T5_PSV_SW_PNS1_23onesweep_lookback_stateEbbT6_jjT7_P12ihipStream_tbENKUlT_T0_SK_SP_E_clISE_PfSF_SF_EEDaS13_S14_SK_SP_EUlS13_E_NS1_11comp_targetILNS1_3genE3ELNS1_11target_archE908ELNS1_3gpuE7ELNS1_3repE0EEENS1_47radix_sort_onesweep_sort_config_static_selectorELNS0_4arch9wavefront6targetE0EEEvSK_.uses_flat_scratch, 0
	.set _ZN7rocprim17ROCPRIM_400000_NS6detail17trampoline_kernelINS0_14default_configENS1_35radix_sort_onesweep_config_selectorIfNS0_10empty_typeEEEZZNS1_29radix_sort_onesweep_iterationIS3_Lb0EN6thrust23THRUST_200600_302600_NS6detail15normal_iteratorINS9_10device_ptrIfEEEESE_PS5_SF_jNS0_19identity_decomposerENS1_16block_id_wrapperIjLb1EEEEE10hipError_tT1_PNSt15iterator_traitsISK_E10value_typeET2_T3_PNSL_ISQ_E10value_typeET4_T5_PSV_SW_PNS1_23onesweep_lookback_stateEbbT6_jjT7_P12ihipStream_tbENKUlT_T0_SK_SP_E_clISE_PfSF_SF_EEDaS13_S14_SK_SP_EUlS13_E_NS1_11comp_targetILNS1_3genE3ELNS1_11target_archE908ELNS1_3gpuE7ELNS1_3repE0EEENS1_47radix_sort_onesweep_sort_config_static_selectorELNS0_4arch9wavefront6targetE0EEEvSK_.has_dyn_sized_stack, 0
	.set _ZN7rocprim17ROCPRIM_400000_NS6detail17trampoline_kernelINS0_14default_configENS1_35radix_sort_onesweep_config_selectorIfNS0_10empty_typeEEEZZNS1_29radix_sort_onesweep_iterationIS3_Lb0EN6thrust23THRUST_200600_302600_NS6detail15normal_iteratorINS9_10device_ptrIfEEEESE_PS5_SF_jNS0_19identity_decomposerENS1_16block_id_wrapperIjLb1EEEEE10hipError_tT1_PNSt15iterator_traitsISK_E10value_typeET2_T3_PNSL_ISQ_E10value_typeET4_T5_PSV_SW_PNS1_23onesweep_lookback_stateEbbT6_jjT7_P12ihipStream_tbENKUlT_T0_SK_SP_E_clISE_PfSF_SF_EEDaS13_S14_SK_SP_EUlS13_E_NS1_11comp_targetILNS1_3genE3ELNS1_11target_archE908ELNS1_3gpuE7ELNS1_3repE0EEENS1_47radix_sort_onesweep_sort_config_static_selectorELNS0_4arch9wavefront6targetE0EEEvSK_.has_recursion, 0
	.set _ZN7rocprim17ROCPRIM_400000_NS6detail17trampoline_kernelINS0_14default_configENS1_35radix_sort_onesweep_config_selectorIfNS0_10empty_typeEEEZZNS1_29radix_sort_onesweep_iterationIS3_Lb0EN6thrust23THRUST_200600_302600_NS6detail15normal_iteratorINS9_10device_ptrIfEEEESE_PS5_SF_jNS0_19identity_decomposerENS1_16block_id_wrapperIjLb1EEEEE10hipError_tT1_PNSt15iterator_traitsISK_E10value_typeET2_T3_PNSL_ISQ_E10value_typeET4_T5_PSV_SW_PNS1_23onesweep_lookback_stateEbbT6_jjT7_P12ihipStream_tbENKUlT_T0_SK_SP_E_clISE_PfSF_SF_EEDaS13_S14_SK_SP_EUlS13_E_NS1_11comp_targetILNS1_3genE3ELNS1_11target_archE908ELNS1_3gpuE7ELNS1_3repE0EEENS1_47radix_sort_onesweep_sort_config_static_selectorELNS0_4arch9wavefront6targetE0EEEvSK_.has_indirect_call, 0
	.section	.AMDGPU.csdata,"",@progbits
; Kernel info:
; codeLenInByte = 0
; TotalNumSgprs: 0
; NumVgprs: 0
; ScratchSize: 0
; MemoryBound: 0
; FloatMode: 240
; IeeeMode: 1
; LDSByteSize: 0 bytes/workgroup (compile time only)
; SGPRBlocks: 0
; VGPRBlocks: 0
; NumSGPRsForWavesPerEU: 1
; NumVGPRsForWavesPerEU: 1
; Occupancy: 16
; WaveLimiterHint : 0
; COMPUTE_PGM_RSRC2:SCRATCH_EN: 0
; COMPUTE_PGM_RSRC2:USER_SGPR: 6
; COMPUTE_PGM_RSRC2:TRAP_HANDLER: 0
; COMPUTE_PGM_RSRC2:TGID_X_EN: 1
; COMPUTE_PGM_RSRC2:TGID_Y_EN: 0
; COMPUTE_PGM_RSRC2:TGID_Z_EN: 0
; COMPUTE_PGM_RSRC2:TIDIG_COMP_CNT: 0
	.section	.text._ZN7rocprim17ROCPRIM_400000_NS6detail17trampoline_kernelINS0_14default_configENS1_35radix_sort_onesweep_config_selectorIfNS0_10empty_typeEEEZZNS1_29radix_sort_onesweep_iterationIS3_Lb0EN6thrust23THRUST_200600_302600_NS6detail15normal_iteratorINS9_10device_ptrIfEEEESE_PS5_SF_jNS0_19identity_decomposerENS1_16block_id_wrapperIjLb1EEEEE10hipError_tT1_PNSt15iterator_traitsISK_E10value_typeET2_T3_PNSL_ISQ_E10value_typeET4_T5_PSV_SW_PNS1_23onesweep_lookback_stateEbbT6_jjT7_P12ihipStream_tbENKUlT_T0_SK_SP_E_clISE_PfSF_SF_EEDaS13_S14_SK_SP_EUlS13_E_NS1_11comp_targetILNS1_3genE10ELNS1_11target_archE1201ELNS1_3gpuE5ELNS1_3repE0EEENS1_47radix_sort_onesweep_sort_config_static_selectorELNS0_4arch9wavefront6targetE0EEEvSK_,"axG",@progbits,_ZN7rocprim17ROCPRIM_400000_NS6detail17trampoline_kernelINS0_14default_configENS1_35radix_sort_onesweep_config_selectorIfNS0_10empty_typeEEEZZNS1_29radix_sort_onesweep_iterationIS3_Lb0EN6thrust23THRUST_200600_302600_NS6detail15normal_iteratorINS9_10device_ptrIfEEEESE_PS5_SF_jNS0_19identity_decomposerENS1_16block_id_wrapperIjLb1EEEEE10hipError_tT1_PNSt15iterator_traitsISK_E10value_typeET2_T3_PNSL_ISQ_E10value_typeET4_T5_PSV_SW_PNS1_23onesweep_lookback_stateEbbT6_jjT7_P12ihipStream_tbENKUlT_T0_SK_SP_E_clISE_PfSF_SF_EEDaS13_S14_SK_SP_EUlS13_E_NS1_11comp_targetILNS1_3genE10ELNS1_11target_archE1201ELNS1_3gpuE5ELNS1_3repE0EEENS1_47radix_sort_onesweep_sort_config_static_selectorELNS0_4arch9wavefront6targetE0EEEvSK_,comdat
	.protected	_ZN7rocprim17ROCPRIM_400000_NS6detail17trampoline_kernelINS0_14default_configENS1_35radix_sort_onesweep_config_selectorIfNS0_10empty_typeEEEZZNS1_29radix_sort_onesweep_iterationIS3_Lb0EN6thrust23THRUST_200600_302600_NS6detail15normal_iteratorINS9_10device_ptrIfEEEESE_PS5_SF_jNS0_19identity_decomposerENS1_16block_id_wrapperIjLb1EEEEE10hipError_tT1_PNSt15iterator_traitsISK_E10value_typeET2_T3_PNSL_ISQ_E10value_typeET4_T5_PSV_SW_PNS1_23onesweep_lookback_stateEbbT6_jjT7_P12ihipStream_tbENKUlT_T0_SK_SP_E_clISE_PfSF_SF_EEDaS13_S14_SK_SP_EUlS13_E_NS1_11comp_targetILNS1_3genE10ELNS1_11target_archE1201ELNS1_3gpuE5ELNS1_3repE0EEENS1_47radix_sort_onesweep_sort_config_static_selectorELNS0_4arch9wavefront6targetE0EEEvSK_ ; -- Begin function _ZN7rocprim17ROCPRIM_400000_NS6detail17trampoline_kernelINS0_14default_configENS1_35radix_sort_onesweep_config_selectorIfNS0_10empty_typeEEEZZNS1_29radix_sort_onesweep_iterationIS3_Lb0EN6thrust23THRUST_200600_302600_NS6detail15normal_iteratorINS9_10device_ptrIfEEEESE_PS5_SF_jNS0_19identity_decomposerENS1_16block_id_wrapperIjLb1EEEEE10hipError_tT1_PNSt15iterator_traitsISK_E10value_typeET2_T3_PNSL_ISQ_E10value_typeET4_T5_PSV_SW_PNS1_23onesweep_lookback_stateEbbT6_jjT7_P12ihipStream_tbENKUlT_T0_SK_SP_E_clISE_PfSF_SF_EEDaS13_S14_SK_SP_EUlS13_E_NS1_11comp_targetILNS1_3genE10ELNS1_11target_archE1201ELNS1_3gpuE5ELNS1_3repE0EEENS1_47radix_sort_onesweep_sort_config_static_selectorELNS0_4arch9wavefront6targetE0EEEvSK_
	.globl	_ZN7rocprim17ROCPRIM_400000_NS6detail17trampoline_kernelINS0_14default_configENS1_35radix_sort_onesweep_config_selectorIfNS0_10empty_typeEEEZZNS1_29radix_sort_onesweep_iterationIS3_Lb0EN6thrust23THRUST_200600_302600_NS6detail15normal_iteratorINS9_10device_ptrIfEEEESE_PS5_SF_jNS0_19identity_decomposerENS1_16block_id_wrapperIjLb1EEEEE10hipError_tT1_PNSt15iterator_traitsISK_E10value_typeET2_T3_PNSL_ISQ_E10value_typeET4_T5_PSV_SW_PNS1_23onesweep_lookback_stateEbbT6_jjT7_P12ihipStream_tbENKUlT_T0_SK_SP_E_clISE_PfSF_SF_EEDaS13_S14_SK_SP_EUlS13_E_NS1_11comp_targetILNS1_3genE10ELNS1_11target_archE1201ELNS1_3gpuE5ELNS1_3repE0EEENS1_47radix_sort_onesweep_sort_config_static_selectorELNS0_4arch9wavefront6targetE0EEEvSK_
	.p2align	8
	.type	_ZN7rocprim17ROCPRIM_400000_NS6detail17trampoline_kernelINS0_14default_configENS1_35radix_sort_onesweep_config_selectorIfNS0_10empty_typeEEEZZNS1_29radix_sort_onesweep_iterationIS3_Lb0EN6thrust23THRUST_200600_302600_NS6detail15normal_iteratorINS9_10device_ptrIfEEEESE_PS5_SF_jNS0_19identity_decomposerENS1_16block_id_wrapperIjLb1EEEEE10hipError_tT1_PNSt15iterator_traitsISK_E10value_typeET2_T3_PNSL_ISQ_E10value_typeET4_T5_PSV_SW_PNS1_23onesweep_lookback_stateEbbT6_jjT7_P12ihipStream_tbENKUlT_T0_SK_SP_E_clISE_PfSF_SF_EEDaS13_S14_SK_SP_EUlS13_E_NS1_11comp_targetILNS1_3genE10ELNS1_11target_archE1201ELNS1_3gpuE5ELNS1_3repE0EEENS1_47radix_sort_onesweep_sort_config_static_selectorELNS0_4arch9wavefront6targetE0EEEvSK_,@function
_ZN7rocprim17ROCPRIM_400000_NS6detail17trampoline_kernelINS0_14default_configENS1_35radix_sort_onesweep_config_selectorIfNS0_10empty_typeEEEZZNS1_29radix_sort_onesweep_iterationIS3_Lb0EN6thrust23THRUST_200600_302600_NS6detail15normal_iteratorINS9_10device_ptrIfEEEESE_PS5_SF_jNS0_19identity_decomposerENS1_16block_id_wrapperIjLb1EEEEE10hipError_tT1_PNSt15iterator_traitsISK_E10value_typeET2_T3_PNSL_ISQ_E10value_typeET4_T5_PSV_SW_PNS1_23onesweep_lookback_stateEbbT6_jjT7_P12ihipStream_tbENKUlT_T0_SK_SP_E_clISE_PfSF_SF_EEDaS13_S14_SK_SP_EUlS13_E_NS1_11comp_targetILNS1_3genE10ELNS1_11target_archE1201ELNS1_3gpuE5ELNS1_3repE0EEENS1_47radix_sort_onesweep_sort_config_static_selectorELNS0_4arch9wavefront6targetE0EEEvSK_: ; @_ZN7rocprim17ROCPRIM_400000_NS6detail17trampoline_kernelINS0_14default_configENS1_35radix_sort_onesweep_config_selectorIfNS0_10empty_typeEEEZZNS1_29radix_sort_onesweep_iterationIS3_Lb0EN6thrust23THRUST_200600_302600_NS6detail15normal_iteratorINS9_10device_ptrIfEEEESE_PS5_SF_jNS0_19identity_decomposerENS1_16block_id_wrapperIjLb1EEEEE10hipError_tT1_PNSt15iterator_traitsISK_E10value_typeET2_T3_PNSL_ISQ_E10value_typeET4_T5_PSV_SW_PNS1_23onesweep_lookback_stateEbbT6_jjT7_P12ihipStream_tbENKUlT_T0_SK_SP_E_clISE_PfSF_SF_EEDaS13_S14_SK_SP_EUlS13_E_NS1_11comp_targetILNS1_3genE10ELNS1_11target_archE1201ELNS1_3gpuE5ELNS1_3repE0EEENS1_47radix_sort_onesweep_sort_config_static_selectorELNS0_4arch9wavefront6targetE0EEEvSK_
; %bb.0:
	.section	.rodata,"a",@progbits
	.p2align	6, 0x0
	.amdhsa_kernel _ZN7rocprim17ROCPRIM_400000_NS6detail17trampoline_kernelINS0_14default_configENS1_35radix_sort_onesweep_config_selectorIfNS0_10empty_typeEEEZZNS1_29radix_sort_onesweep_iterationIS3_Lb0EN6thrust23THRUST_200600_302600_NS6detail15normal_iteratorINS9_10device_ptrIfEEEESE_PS5_SF_jNS0_19identity_decomposerENS1_16block_id_wrapperIjLb1EEEEE10hipError_tT1_PNSt15iterator_traitsISK_E10value_typeET2_T3_PNSL_ISQ_E10value_typeET4_T5_PSV_SW_PNS1_23onesweep_lookback_stateEbbT6_jjT7_P12ihipStream_tbENKUlT_T0_SK_SP_E_clISE_PfSF_SF_EEDaS13_S14_SK_SP_EUlS13_E_NS1_11comp_targetILNS1_3genE10ELNS1_11target_archE1201ELNS1_3gpuE5ELNS1_3repE0EEENS1_47radix_sort_onesweep_sort_config_static_selectorELNS0_4arch9wavefront6targetE0EEEvSK_
		.amdhsa_group_segment_fixed_size 0
		.amdhsa_private_segment_fixed_size 0
		.amdhsa_kernarg_size 88
		.amdhsa_user_sgpr_count 6
		.amdhsa_user_sgpr_private_segment_buffer 1
		.amdhsa_user_sgpr_dispatch_ptr 0
		.amdhsa_user_sgpr_queue_ptr 0
		.amdhsa_user_sgpr_kernarg_segment_ptr 1
		.amdhsa_user_sgpr_dispatch_id 0
		.amdhsa_user_sgpr_flat_scratch_init 0
		.amdhsa_user_sgpr_private_segment_size 0
		.amdhsa_wavefront_size32 1
		.amdhsa_uses_dynamic_stack 0
		.amdhsa_system_sgpr_private_segment_wavefront_offset 0
		.amdhsa_system_sgpr_workgroup_id_x 1
		.amdhsa_system_sgpr_workgroup_id_y 0
		.amdhsa_system_sgpr_workgroup_id_z 0
		.amdhsa_system_sgpr_workgroup_info 0
		.amdhsa_system_vgpr_workitem_id 0
		.amdhsa_next_free_vgpr 1
		.amdhsa_next_free_sgpr 1
		.amdhsa_reserve_vcc 0
		.amdhsa_reserve_flat_scratch 0
		.amdhsa_float_round_mode_32 0
		.amdhsa_float_round_mode_16_64 0
		.amdhsa_float_denorm_mode_32 3
		.amdhsa_float_denorm_mode_16_64 3
		.amdhsa_dx10_clamp 1
		.amdhsa_ieee_mode 1
		.amdhsa_fp16_overflow 0
		.amdhsa_workgroup_processor_mode 1
		.amdhsa_memory_ordered 1
		.amdhsa_forward_progress 1
		.amdhsa_shared_vgpr_count 0
		.amdhsa_exception_fp_ieee_invalid_op 0
		.amdhsa_exception_fp_denorm_src 0
		.amdhsa_exception_fp_ieee_div_zero 0
		.amdhsa_exception_fp_ieee_overflow 0
		.amdhsa_exception_fp_ieee_underflow 0
		.amdhsa_exception_fp_ieee_inexact 0
		.amdhsa_exception_int_div_zero 0
	.end_amdhsa_kernel
	.section	.text._ZN7rocprim17ROCPRIM_400000_NS6detail17trampoline_kernelINS0_14default_configENS1_35radix_sort_onesweep_config_selectorIfNS0_10empty_typeEEEZZNS1_29radix_sort_onesweep_iterationIS3_Lb0EN6thrust23THRUST_200600_302600_NS6detail15normal_iteratorINS9_10device_ptrIfEEEESE_PS5_SF_jNS0_19identity_decomposerENS1_16block_id_wrapperIjLb1EEEEE10hipError_tT1_PNSt15iterator_traitsISK_E10value_typeET2_T3_PNSL_ISQ_E10value_typeET4_T5_PSV_SW_PNS1_23onesweep_lookback_stateEbbT6_jjT7_P12ihipStream_tbENKUlT_T0_SK_SP_E_clISE_PfSF_SF_EEDaS13_S14_SK_SP_EUlS13_E_NS1_11comp_targetILNS1_3genE10ELNS1_11target_archE1201ELNS1_3gpuE5ELNS1_3repE0EEENS1_47radix_sort_onesweep_sort_config_static_selectorELNS0_4arch9wavefront6targetE0EEEvSK_,"axG",@progbits,_ZN7rocprim17ROCPRIM_400000_NS6detail17trampoline_kernelINS0_14default_configENS1_35radix_sort_onesweep_config_selectorIfNS0_10empty_typeEEEZZNS1_29radix_sort_onesweep_iterationIS3_Lb0EN6thrust23THRUST_200600_302600_NS6detail15normal_iteratorINS9_10device_ptrIfEEEESE_PS5_SF_jNS0_19identity_decomposerENS1_16block_id_wrapperIjLb1EEEEE10hipError_tT1_PNSt15iterator_traitsISK_E10value_typeET2_T3_PNSL_ISQ_E10value_typeET4_T5_PSV_SW_PNS1_23onesweep_lookback_stateEbbT6_jjT7_P12ihipStream_tbENKUlT_T0_SK_SP_E_clISE_PfSF_SF_EEDaS13_S14_SK_SP_EUlS13_E_NS1_11comp_targetILNS1_3genE10ELNS1_11target_archE1201ELNS1_3gpuE5ELNS1_3repE0EEENS1_47radix_sort_onesweep_sort_config_static_selectorELNS0_4arch9wavefront6targetE0EEEvSK_,comdat
.Lfunc_end574:
	.size	_ZN7rocprim17ROCPRIM_400000_NS6detail17trampoline_kernelINS0_14default_configENS1_35radix_sort_onesweep_config_selectorIfNS0_10empty_typeEEEZZNS1_29radix_sort_onesweep_iterationIS3_Lb0EN6thrust23THRUST_200600_302600_NS6detail15normal_iteratorINS9_10device_ptrIfEEEESE_PS5_SF_jNS0_19identity_decomposerENS1_16block_id_wrapperIjLb1EEEEE10hipError_tT1_PNSt15iterator_traitsISK_E10value_typeET2_T3_PNSL_ISQ_E10value_typeET4_T5_PSV_SW_PNS1_23onesweep_lookback_stateEbbT6_jjT7_P12ihipStream_tbENKUlT_T0_SK_SP_E_clISE_PfSF_SF_EEDaS13_S14_SK_SP_EUlS13_E_NS1_11comp_targetILNS1_3genE10ELNS1_11target_archE1201ELNS1_3gpuE5ELNS1_3repE0EEENS1_47radix_sort_onesweep_sort_config_static_selectorELNS0_4arch9wavefront6targetE0EEEvSK_, .Lfunc_end574-_ZN7rocprim17ROCPRIM_400000_NS6detail17trampoline_kernelINS0_14default_configENS1_35radix_sort_onesweep_config_selectorIfNS0_10empty_typeEEEZZNS1_29radix_sort_onesweep_iterationIS3_Lb0EN6thrust23THRUST_200600_302600_NS6detail15normal_iteratorINS9_10device_ptrIfEEEESE_PS5_SF_jNS0_19identity_decomposerENS1_16block_id_wrapperIjLb1EEEEE10hipError_tT1_PNSt15iterator_traitsISK_E10value_typeET2_T3_PNSL_ISQ_E10value_typeET4_T5_PSV_SW_PNS1_23onesweep_lookback_stateEbbT6_jjT7_P12ihipStream_tbENKUlT_T0_SK_SP_E_clISE_PfSF_SF_EEDaS13_S14_SK_SP_EUlS13_E_NS1_11comp_targetILNS1_3genE10ELNS1_11target_archE1201ELNS1_3gpuE5ELNS1_3repE0EEENS1_47radix_sort_onesweep_sort_config_static_selectorELNS0_4arch9wavefront6targetE0EEEvSK_
                                        ; -- End function
	.set _ZN7rocprim17ROCPRIM_400000_NS6detail17trampoline_kernelINS0_14default_configENS1_35radix_sort_onesweep_config_selectorIfNS0_10empty_typeEEEZZNS1_29radix_sort_onesweep_iterationIS3_Lb0EN6thrust23THRUST_200600_302600_NS6detail15normal_iteratorINS9_10device_ptrIfEEEESE_PS5_SF_jNS0_19identity_decomposerENS1_16block_id_wrapperIjLb1EEEEE10hipError_tT1_PNSt15iterator_traitsISK_E10value_typeET2_T3_PNSL_ISQ_E10value_typeET4_T5_PSV_SW_PNS1_23onesweep_lookback_stateEbbT6_jjT7_P12ihipStream_tbENKUlT_T0_SK_SP_E_clISE_PfSF_SF_EEDaS13_S14_SK_SP_EUlS13_E_NS1_11comp_targetILNS1_3genE10ELNS1_11target_archE1201ELNS1_3gpuE5ELNS1_3repE0EEENS1_47radix_sort_onesweep_sort_config_static_selectorELNS0_4arch9wavefront6targetE0EEEvSK_.num_vgpr, 0
	.set _ZN7rocprim17ROCPRIM_400000_NS6detail17trampoline_kernelINS0_14default_configENS1_35radix_sort_onesweep_config_selectorIfNS0_10empty_typeEEEZZNS1_29radix_sort_onesweep_iterationIS3_Lb0EN6thrust23THRUST_200600_302600_NS6detail15normal_iteratorINS9_10device_ptrIfEEEESE_PS5_SF_jNS0_19identity_decomposerENS1_16block_id_wrapperIjLb1EEEEE10hipError_tT1_PNSt15iterator_traitsISK_E10value_typeET2_T3_PNSL_ISQ_E10value_typeET4_T5_PSV_SW_PNS1_23onesweep_lookback_stateEbbT6_jjT7_P12ihipStream_tbENKUlT_T0_SK_SP_E_clISE_PfSF_SF_EEDaS13_S14_SK_SP_EUlS13_E_NS1_11comp_targetILNS1_3genE10ELNS1_11target_archE1201ELNS1_3gpuE5ELNS1_3repE0EEENS1_47radix_sort_onesweep_sort_config_static_selectorELNS0_4arch9wavefront6targetE0EEEvSK_.num_agpr, 0
	.set _ZN7rocprim17ROCPRIM_400000_NS6detail17trampoline_kernelINS0_14default_configENS1_35radix_sort_onesweep_config_selectorIfNS0_10empty_typeEEEZZNS1_29radix_sort_onesweep_iterationIS3_Lb0EN6thrust23THRUST_200600_302600_NS6detail15normal_iteratorINS9_10device_ptrIfEEEESE_PS5_SF_jNS0_19identity_decomposerENS1_16block_id_wrapperIjLb1EEEEE10hipError_tT1_PNSt15iterator_traitsISK_E10value_typeET2_T3_PNSL_ISQ_E10value_typeET4_T5_PSV_SW_PNS1_23onesweep_lookback_stateEbbT6_jjT7_P12ihipStream_tbENKUlT_T0_SK_SP_E_clISE_PfSF_SF_EEDaS13_S14_SK_SP_EUlS13_E_NS1_11comp_targetILNS1_3genE10ELNS1_11target_archE1201ELNS1_3gpuE5ELNS1_3repE0EEENS1_47radix_sort_onesweep_sort_config_static_selectorELNS0_4arch9wavefront6targetE0EEEvSK_.numbered_sgpr, 0
	.set _ZN7rocprim17ROCPRIM_400000_NS6detail17trampoline_kernelINS0_14default_configENS1_35radix_sort_onesweep_config_selectorIfNS0_10empty_typeEEEZZNS1_29radix_sort_onesweep_iterationIS3_Lb0EN6thrust23THRUST_200600_302600_NS6detail15normal_iteratorINS9_10device_ptrIfEEEESE_PS5_SF_jNS0_19identity_decomposerENS1_16block_id_wrapperIjLb1EEEEE10hipError_tT1_PNSt15iterator_traitsISK_E10value_typeET2_T3_PNSL_ISQ_E10value_typeET4_T5_PSV_SW_PNS1_23onesweep_lookback_stateEbbT6_jjT7_P12ihipStream_tbENKUlT_T0_SK_SP_E_clISE_PfSF_SF_EEDaS13_S14_SK_SP_EUlS13_E_NS1_11comp_targetILNS1_3genE10ELNS1_11target_archE1201ELNS1_3gpuE5ELNS1_3repE0EEENS1_47radix_sort_onesweep_sort_config_static_selectorELNS0_4arch9wavefront6targetE0EEEvSK_.num_named_barrier, 0
	.set _ZN7rocprim17ROCPRIM_400000_NS6detail17trampoline_kernelINS0_14default_configENS1_35radix_sort_onesweep_config_selectorIfNS0_10empty_typeEEEZZNS1_29radix_sort_onesweep_iterationIS3_Lb0EN6thrust23THRUST_200600_302600_NS6detail15normal_iteratorINS9_10device_ptrIfEEEESE_PS5_SF_jNS0_19identity_decomposerENS1_16block_id_wrapperIjLb1EEEEE10hipError_tT1_PNSt15iterator_traitsISK_E10value_typeET2_T3_PNSL_ISQ_E10value_typeET4_T5_PSV_SW_PNS1_23onesweep_lookback_stateEbbT6_jjT7_P12ihipStream_tbENKUlT_T0_SK_SP_E_clISE_PfSF_SF_EEDaS13_S14_SK_SP_EUlS13_E_NS1_11comp_targetILNS1_3genE10ELNS1_11target_archE1201ELNS1_3gpuE5ELNS1_3repE0EEENS1_47radix_sort_onesweep_sort_config_static_selectorELNS0_4arch9wavefront6targetE0EEEvSK_.private_seg_size, 0
	.set _ZN7rocprim17ROCPRIM_400000_NS6detail17trampoline_kernelINS0_14default_configENS1_35radix_sort_onesweep_config_selectorIfNS0_10empty_typeEEEZZNS1_29radix_sort_onesweep_iterationIS3_Lb0EN6thrust23THRUST_200600_302600_NS6detail15normal_iteratorINS9_10device_ptrIfEEEESE_PS5_SF_jNS0_19identity_decomposerENS1_16block_id_wrapperIjLb1EEEEE10hipError_tT1_PNSt15iterator_traitsISK_E10value_typeET2_T3_PNSL_ISQ_E10value_typeET4_T5_PSV_SW_PNS1_23onesweep_lookback_stateEbbT6_jjT7_P12ihipStream_tbENKUlT_T0_SK_SP_E_clISE_PfSF_SF_EEDaS13_S14_SK_SP_EUlS13_E_NS1_11comp_targetILNS1_3genE10ELNS1_11target_archE1201ELNS1_3gpuE5ELNS1_3repE0EEENS1_47radix_sort_onesweep_sort_config_static_selectorELNS0_4arch9wavefront6targetE0EEEvSK_.uses_vcc, 0
	.set _ZN7rocprim17ROCPRIM_400000_NS6detail17trampoline_kernelINS0_14default_configENS1_35radix_sort_onesweep_config_selectorIfNS0_10empty_typeEEEZZNS1_29radix_sort_onesweep_iterationIS3_Lb0EN6thrust23THRUST_200600_302600_NS6detail15normal_iteratorINS9_10device_ptrIfEEEESE_PS5_SF_jNS0_19identity_decomposerENS1_16block_id_wrapperIjLb1EEEEE10hipError_tT1_PNSt15iterator_traitsISK_E10value_typeET2_T3_PNSL_ISQ_E10value_typeET4_T5_PSV_SW_PNS1_23onesweep_lookback_stateEbbT6_jjT7_P12ihipStream_tbENKUlT_T0_SK_SP_E_clISE_PfSF_SF_EEDaS13_S14_SK_SP_EUlS13_E_NS1_11comp_targetILNS1_3genE10ELNS1_11target_archE1201ELNS1_3gpuE5ELNS1_3repE0EEENS1_47radix_sort_onesweep_sort_config_static_selectorELNS0_4arch9wavefront6targetE0EEEvSK_.uses_flat_scratch, 0
	.set _ZN7rocprim17ROCPRIM_400000_NS6detail17trampoline_kernelINS0_14default_configENS1_35radix_sort_onesweep_config_selectorIfNS0_10empty_typeEEEZZNS1_29radix_sort_onesweep_iterationIS3_Lb0EN6thrust23THRUST_200600_302600_NS6detail15normal_iteratorINS9_10device_ptrIfEEEESE_PS5_SF_jNS0_19identity_decomposerENS1_16block_id_wrapperIjLb1EEEEE10hipError_tT1_PNSt15iterator_traitsISK_E10value_typeET2_T3_PNSL_ISQ_E10value_typeET4_T5_PSV_SW_PNS1_23onesweep_lookback_stateEbbT6_jjT7_P12ihipStream_tbENKUlT_T0_SK_SP_E_clISE_PfSF_SF_EEDaS13_S14_SK_SP_EUlS13_E_NS1_11comp_targetILNS1_3genE10ELNS1_11target_archE1201ELNS1_3gpuE5ELNS1_3repE0EEENS1_47radix_sort_onesweep_sort_config_static_selectorELNS0_4arch9wavefront6targetE0EEEvSK_.has_dyn_sized_stack, 0
	.set _ZN7rocprim17ROCPRIM_400000_NS6detail17trampoline_kernelINS0_14default_configENS1_35radix_sort_onesweep_config_selectorIfNS0_10empty_typeEEEZZNS1_29radix_sort_onesweep_iterationIS3_Lb0EN6thrust23THRUST_200600_302600_NS6detail15normal_iteratorINS9_10device_ptrIfEEEESE_PS5_SF_jNS0_19identity_decomposerENS1_16block_id_wrapperIjLb1EEEEE10hipError_tT1_PNSt15iterator_traitsISK_E10value_typeET2_T3_PNSL_ISQ_E10value_typeET4_T5_PSV_SW_PNS1_23onesweep_lookback_stateEbbT6_jjT7_P12ihipStream_tbENKUlT_T0_SK_SP_E_clISE_PfSF_SF_EEDaS13_S14_SK_SP_EUlS13_E_NS1_11comp_targetILNS1_3genE10ELNS1_11target_archE1201ELNS1_3gpuE5ELNS1_3repE0EEENS1_47radix_sort_onesweep_sort_config_static_selectorELNS0_4arch9wavefront6targetE0EEEvSK_.has_recursion, 0
	.set _ZN7rocprim17ROCPRIM_400000_NS6detail17trampoline_kernelINS0_14default_configENS1_35radix_sort_onesweep_config_selectorIfNS0_10empty_typeEEEZZNS1_29radix_sort_onesweep_iterationIS3_Lb0EN6thrust23THRUST_200600_302600_NS6detail15normal_iteratorINS9_10device_ptrIfEEEESE_PS5_SF_jNS0_19identity_decomposerENS1_16block_id_wrapperIjLb1EEEEE10hipError_tT1_PNSt15iterator_traitsISK_E10value_typeET2_T3_PNSL_ISQ_E10value_typeET4_T5_PSV_SW_PNS1_23onesweep_lookback_stateEbbT6_jjT7_P12ihipStream_tbENKUlT_T0_SK_SP_E_clISE_PfSF_SF_EEDaS13_S14_SK_SP_EUlS13_E_NS1_11comp_targetILNS1_3genE10ELNS1_11target_archE1201ELNS1_3gpuE5ELNS1_3repE0EEENS1_47radix_sort_onesweep_sort_config_static_selectorELNS0_4arch9wavefront6targetE0EEEvSK_.has_indirect_call, 0
	.section	.AMDGPU.csdata,"",@progbits
; Kernel info:
; codeLenInByte = 0
; TotalNumSgprs: 0
; NumVgprs: 0
; ScratchSize: 0
; MemoryBound: 0
; FloatMode: 240
; IeeeMode: 1
; LDSByteSize: 0 bytes/workgroup (compile time only)
; SGPRBlocks: 0
; VGPRBlocks: 0
; NumSGPRsForWavesPerEU: 1
; NumVGPRsForWavesPerEU: 1
; Occupancy: 16
; WaveLimiterHint : 0
; COMPUTE_PGM_RSRC2:SCRATCH_EN: 0
; COMPUTE_PGM_RSRC2:USER_SGPR: 6
; COMPUTE_PGM_RSRC2:TRAP_HANDLER: 0
; COMPUTE_PGM_RSRC2:TGID_X_EN: 1
; COMPUTE_PGM_RSRC2:TGID_Y_EN: 0
; COMPUTE_PGM_RSRC2:TGID_Z_EN: 0
; COMPUTE_PGM_RSRC2:TIDIG_COMP_CNT: 0
	.section	.text._ZN7rocprim17ROCPRIM_400000_NS6detail17trampoline_kernelINS0_14default_configENS1_35radix_sort_onesweep_config_selectorIfNS0_10empty_typeEEEZZNS1_29radix_sort_onesweep_iterationIS3_Lb0EN6thrust23THRUST_200600_302600_NS6detail15normal_iteratorINS9_10device_ptrIfEEEESE_PS5_SF_jNS0_19identity_decomposerENS1_16block_id_wrapperIjLb1EEEEE10hipError_tT1_PNSt15iterator_traitsISK_E10value_typeET2_T3_PNSL_ISQ_E10value_typeET4_T5_PSV_SW_PNS1_23onesweep_lookback_stateEbbT6_jjT7_P12ihipStream_tbENKUlT_T0_SK_SP_E_clISE_PfSF_SF_EEDaS13_S14_SK_SP_EUlS13_E_NS1_11comp_targetILNS1_3genE9ELNS1_11target_archE1100ELNS1_3gpuE3ELNS1_3repE0EEENS1_47radix_sort_onesweep_sort_config_static_selectorELNS0_4arch9wavefront6targetE0EEEvSK_,"axG",@progbits,_ZN7rocprim17ROCPRIM_400000_NS6detail17trampoline_kernelINS0_14default_configENS1_35radix_sort_onesweep_config_selectorIfNS0_10empty_typeEEEZZNS1_29radix_sort_onesweep_iterationIS3_Lb0EN6thrust23THRUST_200600_302600_NS6detail15normal_iteratorINS9_10device_ptrIfEEEESE_PS5_SF_jNS0_19identity_decomposerENS1_16block_id_wrapperIjLb1EEEEE10hipError_tT1_PNSt15iterator_traitsISK_E10value_typeET2_T3_PNSL_ISQ_E10value_typeET4_T5_PSV_SW_PNS1_23onesweep_lookback_stateEbbT6_jjT7_P12ihipStream_tbENKUlT_T0_SK_SP_E_clISE_PfSF_SF_EEDaS13_S14_SK_SP_EUlS13_E_NS1_11comp_targetILNS1_3genE9ELNS1_11target_archE1100ELNS1_3gpuE3ELNS1_3repE0EEENS1_47radix_sort_onesweep_sort_config_static_selectorELNS0_4arch9wavefront6targetE0EEEvSK_,comdat
	.protected	_ZN7rocprim17ROCPRIM_400000_NS6detail17trampoline_kernelINS0_14default_configENS1_35radix_sort_onesweep_config_selectorIfNS0_10empty_typeEEEZZNS1_29radix_sort_onesweep_iterationIS3_Lb0EN6thrust23THRUST_200600_302600_NS6detail15normal_iteratorINS9_10device_ptrIfEEEESE_PS5_SF_jNS0_19identity_decomposerENS1_16block_id_wrapperIjLb1EEEEE10hipError_tT1_PNSt15iterator_traitsISK_E10value_typeET2_T3_PNSL_ISQ_E10value_typeET4_T5_PSV_SW_PNS1_23onesweep_lookback_stateEbbT6_jjT7_P12ihipStream_tbENKUlT_T0_SK_SP_E_clISE_PfSF_SF_EEDaS13_S14_SK_SP_EUlS13_E_NS1_11comp_targetILNS1_3genE9ELNS1_11target_archE1100ELNS1_3gpuE3ELNS1_3repE0EEENS1_47radix_sort_onesweep_sort_config_static_selectorELNS0_4arch9wavefront6targetE0EEEvSK_ ; -- Begin function _ZN7rocprim17ROCPRIM_400000_NS6detail17trampoline_kernelINS0_14default_configENS1_35radix_sort_onesweep_config_selectorIfNS0_10empty_typeEEEZZNS1_29radix_sort_onesweep_iterationIS3_Lb0EN6thrust23THRUST_200600_302600_NS6detail15normal_iteratorINS9_10device_ptrIfEEEESE_PS5_SF_jNS0_19identity_decomposerENS1_16block_id_wrapperIjLb1EEEEE10hipError_tT1_PNSt15iterator_traitsISK_E10value_typeET2_T3_PNSL_ISQ_E10value_typeET4_T5_PSV_SW_PNS1_23onesweep_lookback_stateEbbT6_jjT7_P12ihipStream_tbENKUlT_T0_SK_SP_E_clISE_PfSF_SF_EEDaS13_S14_SK_SP_EUlS13_E_NS1_11comp_targetILNS1_3genE9ELNS1_11target_archE1100ELNS1_3gpuE3ELNS1_3repE0EEENS1_47radix_sort_onesweep_sort_config_static_selectorELNS0_4arch9wavefront6targetE0EEEvSK_
	.globl	_ZN7rocprim17ROCPRIM_400000_NS6detail17trampoline_kernelINS0_14default_configENS1_35radix_sort_onesweep_config_selectorIfNS0_10empty_typeEEEZZNS1_29radix_sort_onesweep_iterationIS3_Lb0EN6thrust23THRUST_200600_302600_NS6detail15normal_iteratorINS9_10device_ptrIfEEEESE_PS5_SF_jNS0_19identity_decomposerENS1_16block_id_wrapperIjLb1EEEEE10hipError_tT1_PNSt15iterator_traitsISK_E10value_typeET2_T3_PNSL_ISQ_E10value_typeET4_T5_PSV_SW_PNS1_23onesweep_lookback_stateEbbT6_jjT7_P12ihipStream_tbENKUlT_T0_SK_SP_E_clISE_PfSF_SF_EEDaS13_S14_SK_SP_EUlS13_E_NS1_11comp_targetILNS1_3genE9ELNS1_11target_archE1100ELNS1_3gpuE3ELNS1_3repE0EEENS1_47radix_sort_onesweep_sort_config_static_selectorELNS0_4arch9wavefront6targetE0EEEvSK_
	.p2align	8
	.type	_ZN7rocprim17ROCPRIM_400000_NS6detail17trampoline_kernelINS0_14default_configENS1_35radix_sort_onesweep_config_selectorIfNS0_10empty_typeEEEZZNS1_29radix_sort_onesweep_iterationIS3_Lb0EN6thrust23THRUST_200600_302600_NS6detail15normal_iteratorINS9_10device_ptrIfEEEESE_PS5_SF_jNS0_19identity_decomposerENS1_16block_id_wrapperIjLb1EEEEE10hipError_tT1_PNSt15iterator_traitsISK_E10value_typeET2_T3_PNSL_ISQ_E10value_typeET4_T5_PSV_SW_PNS1_23onesweep_lookback_stateEbbT6_jjT7_P12ihipStream_tbENKUlT_T0_SK_SP_E_clISE_PfSF_SF_EEDaS13_S14_SK_SP_EUlS13_E_NS1_11comp_targetILNS1_3genE9ELNS1_11target_archE1100ELNS1_3gpuE3ELNS1_3repE0EEENS1_47radix_sort_onesweep_sort_config_static_selectorELNS0_4arch9wavefront6targetE0EEEvSK_,@function
_ZN7rocprim17ROCPRIM_400000_NS6detail17trampoline_kernelINS0_14default_configENS1_35radix_sort_onesweep_config_selectorIfNS0_10empty_typeEEEZZNS1_29radix_sort_onesweep_iterationIS3_Lb0EN6thrust23THRUST_200600_302600_NS6detail15normal_iteratorINS9_10device_ptrIfEEEESE_PS5_SF_jNS0_19identity_decomposerENS1_16block_id_wrapperIjLb1EEEEE10hipError_tT1_PNSt15iterator_traitsISK_E10value_typeET2_T3_PNSL_ISQ_E10value_typeET4_T5_PSV_SW_PNS1_23onesweep_lookback_stateEbbT6_jjT7_P12ihipStream_tbENKUlT_T0_SK_SP_E_clISE_PfSF_SF_EEDaS13_S14_SK_SP_EUlS13_E_NS1_11comp_targetILNS1_3genE9ELNS1_11target_archE1100ELNS1_3gpuE3ELNS1_3repE0EEENS1_47radix_sort_onesweep_sort_config_static_selectorELNS0_4arch9wavefront6targetE0EEEvSK_: ; @_ZN7rocprim17ROCPRIM_400000_NS6detail17trampoline_kernelINS0_14default_configENS1_35radix_sort_onesweep_config_selectorIfNS0_10empty_typeEEEZZNS1_29radix_sort_onesweep_iterationIS3_Lb0EN6thrust23THRUST_200600_302600_NS6detail15normal_iteratorINS9_10device_ptrIfEEEESE_PS5_SF_jNS0_19identity_decomposerENS1_16block_id_wrapperIjLb1EEEEE10hipError_tT1_PNSt15iterator_traitsISK_E10value_typeET2_T3_PNSL_ISQ_E10value_typeET4_T5_PSV_SW_PNS1_23onesweep_lookback_stateEbbT6_jjT7_P12ihipStream_tbENKUlT_T0_SK_SP_E_clISE_PfSF_SF_EEDaS13_S14_SK_SP_EUlS13_E_NS1_11comp_targetILNS1_3genE9ELNS1_11target_archE1100ELNS1_3gpuE3ELNS1_3repE0EEENS1_47radix_sort_onesweep_sort_config_static_selectorELNS0_4arch9wavefront6targetE0EEEvSK_
; %bb.0:
	.section	.rodata,"a",@progbits
	.p2align	6, 0x0
	.amdhsa_kernel _ZN7rocprim17ROCPRIM_400000_NS6detail17trampoline_kernelINS0_14default_configENS1_35radix_sort_onesweep_config_selectorIfNS0_10empty_typeEEEZZNS1_29radix_sort_onesweep_iterationIS3_Lb0EN6thrust23THRUST_200600_302600_NS6detail15normal_iteratorINS9_10device_ptrIfEEEESE_PS5_SF_jNS0_19identity_decomposerENS1_16block_id_wrapperIjLb1EEEEE10hipError_tT1_PNSt15iterator_traitsISK_E10value_typeET2_T3_PNSL_ISQ_E10value_typeET4_T5_PSV_SW_PNS1_23onesweep_lookback_stateEbbT6_jjT7_P12ihipStream_tbENKUlT_T0_SK_SP_E_clISE_PfSF_SF_EEDaS13_S14_SK_SP_EUlS13_E_NS1_11comp_targetILNS1_3genE9ELNS1_11target_archE1100ELNS1_3gpuE3ELNS1_3repE0EEENS1_47radix_sort_onesweep_sort_config_static_selectorELNS0_4arch9wavefront6targetE0EEEvSK_
		.amdhsa_group_segment_fixed_size 0
		.amdhsa_private_segment_fixed_size 0
		.amdhsa_kernarg_size 88
		.amdhsa_user_sgpr_count 6
		.amdhsa_user_sgpr_private_segment_buffer 1
		.amdhsa_user_sgpr_dispatch_ptr 0
		.amdhsa_user_sgpr_queue_ptr 0
		.amdhsa_user_sgpr_kernarg_segment_ptr 1
		.amdhsa_user_sgpr_dispatch_id 0
		.amdhsa_user_sgpr_flat_scratch_init 0
		.amdhsa_user_sgpr_private_segment_size 0
		.amdhsa_wavefront_size32 1
		.amdhsa_uses_dynamic_stack 0
		.amdhsa_system_sgpr_private_segment_wavefront_offset 0
		.amdhsa_system_sgpr_workgroup_id_x 1
		.amdhsa_system_sgpr_workgroup_id_y 0
		.amdhsa_system_sgpr_workgroup_id_z 0
		.amdhsa_system_sgpr_workgroup_info 0
		.amdhsa_system_vgpr_workitem_id 0
		.amdhsa_next_free_vgpr 1
		.amdhsa_next_free_sgpr 1
		.amdhsa_reserve_vcc 0
		.amdhsa_reserve_flat_scratch 0
		.amdhsa_float_round_mode_32 0
		.amdhsa_float_round_mode_16_64 0
		.amdhsa_float_denorm_mode_32 3
		.amdhsa_float_denorm_mode_16_64 3
		.amdhsa_dx10_clamp 1
		.amdhsa_ieee_mode 1
		.amdhsa_fp16_overflow 0
		.amdhsa_workgroup_processor_mode 1
		.amdhsa_memory_ordered 1
		.amdhsa_forward_progress 1
		.amdhsa_shared_vgpr_count 0
		.amdhsa_exception_fp_ieee_invalid_op 0
		.amdhsa_exception_fp_denorm_src 0
		.amdhsa_exception_fp_ieee_div_zero 0
		.amdhsa_exception_fp_ieee_overflow 0
		.amdhsa_exception_fp_ieee_underflow 0
		.amdhsa_exception_fp_ieee_inexact 0
		.amdhsa_exception_int_div_zero 0
	.end_amdhsa_kernel
	.section	.text._ZN7rocprim17ROCPRIM_400000_NS6detail17trampoline_kernelINS0_14default_configENS1_35radix_sort_onesweep_config_selectorIfNS0_10empty_typeEEEZZNS1_29radix_sort_onesweep_iterationIS3_Lb0EN6thrust23THRUST_200600_302600_NS6detail15normal_iteratorINS9_10device_ptrIfEEEESE_PS5_SF_jNS0_19identity_decomposerENS1_16block_id_wrapperIjLb1EEEEE10hipError_tT1_PNSt15iterator_traitsISK_E10value_typeET2_T3_PNSL_ISQ_E10value_typeET4_T5_PSV_SW_PNS1_23onesweep_lookback_stateEbbT6_jjT7_P12ihipStream_tbENKUlT_T0_SK_SP_E_clISE_PfSF_SF_EEDaS13_S14_SK_SP_EUlS13_E_NS1_11comp_targetILNS1_3genE9ELNS1_11target_archE1100ELNS1_3gpuE3ELNS1_3repE0EEENS1_47radix_sort_onesweep_sort_config_static_selectorELNS0_4arch9wavefront6targetE0EEEvSK_,"axG",@progbits,_ZN7rocprim17ROCPRIM_400000_NS6detail17trampoline_kernelINS0_14default_configENS1_35radix_sort_onesweep_config_selectorIfNS0_10empty_typeEEEZZNS1_29radix_sort_onesweep_iterationIS3_Lb0EN6thrust23THRUST_200600_302600_NS6detail15normal_iteratorINS9_10device_ptrIfEEEESE_PS5_SF_jNS0_19identity_decomposerENS1_16block_id_wrapperIjLb1EEEEE10hipError_tT1_PNSt15iterator_traitsISK_E10value_typeET2_T3_PNSL_ISQ_E10value_typeET4_T5_PSV_SW_PNS1_23onesweep_lookback_stateEbbT6_jjT7_P12ihipStream_tbENKUlT_T0_SK_SP_E_clISE_PfSF_SF_EEDaS13_S14_SK_SP_EUlS13_E_NS1_11comp_targetILNS1_3genE9ELNS1_11target_archE1100ELNS1_3gpuE3ELNS1_3repE0EEENS1_47radix_sort_onesweep_sort_config_static_selectorELNS0_4arch9wavefront6targetE0EEEvSK_,comdat
.Lfunc_end575:
	.size	_ZN7rocprim17ROCPRIM_400000_NS6detail17trampoline_kernelINS0_14default_configENS1_35radix_sort_onesweep_config_selectorIfNS0_10empty_typeEEEZZNS1_29radix_sort_onesweep_iterationIS3_Lb0EN6thrust23THRUST_200600_302600_NS6detail15normal_iteratorINS9_10device_ptrIfEEEESE_PS5_SF_jNS0_19identity_decomposerENS1_16block_id_wrapperIjLb1EEEEE10hipError_tT1_PNSt15iterator_traitsISK_E10value_typeET2_T3_PNSL_ISQ_E10value_typeET4_T5_PSV_SW_PNS1_23onesweep_lookback_stateEbbT6_jjT7_P12ihipStream_tbENKUlT_T0_SK_SP_E_clISE_PfSF_SF_EEDaS13_S14_SK_SP_EUlS13_E_NS1_11comp_targetILNS1_3genE9ELNS1_11target_archE1100ELNS1_3gpuE3ELNS1_3repE0EEENS1_47radix_sort_onesweep_sort_config_static_selectorELNS0_4arch9wavefront6targetE0EEEvSK_, .Lfunc_end575-_ZN7rocprim17ROCPRIM_400000_NS6detail17trampoline_kernelINS0_14default_configENS1_35radix_sort_onesweep_config_selectorIfNS0_10empty_typeEEEZZNS1_29radix_sort_onesweep_iterationIS3_Lb0EN6thrust23THRUST_200600_302600_NS6detail15normal_iteratorINS9_10device_ptrIfEEEESE_PS5_SF_jNS0_19identity_decomposerENS1_16block_id_wrapperIjLb1EEEEE10hipError_tT1_PNSt15iterator_traitsISK_E10value_typeET2_T3_PNSL_ISQ_E10value_typeET4_T5_PSV_SW_PNS1_23onesweep_lookback_stateEbbT6_jjT7_P12ihipStream_tbENKUlT_T0_SK_SP_E_clISE_PfSF_SF_EEDaS13_S14_SK_SP_EUlS13_E_NS1_11comp_targetILNS1_3genE9ELNS1_11target_archE1100ELNS1_3gpuE3ELNS1_3repE0EEENS1_47radix_sort_onesweep_sort_config_static_selectorELNS0_4arch9wavefront6targetE0EEEvSK_
                                        ; -- End function
	.set _ZN7rocprim17ROCPRIM_400000_NS6detail17trampoline_kernelINS0_14default_configENS1_35radix_sort_onesweep_config_selectorIfNS0_10empty_typeEEEZZNS1_29radix_sort_onesweep_iterationIS3_Lb0EN6thrust23THRUST_200600_302600_NS6detail15normal_iteratorINS9_10device_ptrIfEEEESE_PS5_SF_jNS0_19identity_decomposerENS1_16block_id_wrapperIjLb1EEEEE10hipError_tT1_PNSt15iterator_traitsISK_E10value_typeET2_T3_PNSL_ISQ_E10value_typeET4_T5_PSV_SW_PNS1_23onesweep_lookback_stateEbbT6_jjT7_P12ihipStream_tbENKUlT_T0_SK_SP_E_clISE_PfSF_SF_EEDaS13_S14_SK_SP_EUlS13_E_NS1_11comp_targetILNS1_3genE9ELNS1_11target_archE1100ELNS1_3gpuE3ELNS1_3repE0EEENS1_47radix_sort_onesweep_sort_config_static_selectorELNS0_4arch9wavefront6targetE0EEEvSK_.num_vgpr, 0
	.set _ZN7rocprim17ROCPRIM_400000_NS6detail17trampoline_kernelINS0_14default_configENS1_35radix_sort_onesweep_config_selectorIfNS0_10empty_typeEEEZZNS1_29radix_sort_onesweep_iterationIS3_Lb0EN6thrust23THRUST_200600_302600_NS6detail15normal_iteratorINS9_10device_ptrIfEEEESE_PS5_SF_jNS0_19identity_decomposerENS1_16block_id_wrapperIjLb1EEEEE10hipError_tT1_PNSt15iterator_traitsISK_E10value_typeET2_T3_PNSL_ISQ_E10value_typeET4_T5_PSV_SW_PNS1_23onesweep_lookback_stateEbbT6_jjT7_P12ihipStream_tbENKUlT_T0_SK_SP_E_clISE_PfSF_SF_EEDaS13_S14_SK_SP_EUlS13_E_NS1_11comp_targetILNS1_3genE9ELNS1_11target_archE1100ELNS1_3gpuE3ELNS1_3repE0EEENS1_47radix_sort_onesweep_sort_config_static_selectorELNS0_4arch9wavefront6targetE0EEEvSK_.num_agpr, 0
	.set _ZN7rocprim17ROCPRIM_400000_NS6detail17trampoline_kernelINS0_14default_configENS1_35radix_sort_onesweep_config_selectorIfNS0_10empty_typeEEEZZNS1_29radix_sort_onesweep_iterationIS3_Lb0EN6thrust23THRUST_200600_302600_NS6detail15normal_iteratorINS9_10device_ptrIfEEEESE_PS5_SF_jNS0_19identity_decomposerENS1_16block_id_wrapperIjLb1EEEEE10hipError_tT1_PNSt15iterator_traitsISK_E10value_typeET2_T3_PNSL_ISQ_E10value_typeET4_T5_PSV_SW_PNS1_23onesweep_lookback_stateEbbT6_jjT7_P12ihipStream_tbENKUlT_T0_SK_SP_E_clISE_PfSF_SF_EEDaS13_S14_SK_SP_EUlS13_E_NS1_11comp_targetILNS1_3genE9ELNS1_11target_archE1100ELNS1_3gpuE3ELNS1_3repE0EEENS1_47radix_sort_onesweep_sort_config_static_selectorELNS0_4arch9wavefront6targetE0EEEvSK_.numbered_sgpr, 0
	.set _ZN7rocprim17ROCPRIM_400000_NS6detail17trampoline_kernelINS0_14default_configENS1_35radix_sort_onesweep_config_selectorIfNS0_10empty_typeEEEZZNS1_29radix_sort_onesweep_iterationIS3_Lb0EN6thrust23THRUST_200600_302600_NS6detail15normal_iteratorINS9_10device_ptrIfEEEESE_PS5_SF_jNS0_19identity_decomposerENS1_16block_id_wrapperIjLb1EEEEE10hipError_tT1_PNSt15iterator_traitsISK_E10value_typeET2_T3_PNSL_ISQ_E10value_typeET4_T5_PSV_SW_PNS1_23onesweep_lookback_stateEbbT6_jjT7_P12ihipStream_tbENKUlT_T0_SK_SP_E_clISE_PfSF_SF_EEDaS13_S14_SK_SP_EUlS13_E_NS1_11comp_targetILNS1_3genE9ELNS1_11target_archE1100ELNS1_3gpuE3ELNS1_3repE0EEENS1_47radix_sort_onesweep_sort_config_static_selectorELNS0_4arch9wavefront6targetE0EEEvSK_.num_named_barrier, 0
	.set _ZN7rocprim17ROCPRIM_400000_NS6detail17trampoline_kernelINS0_14default_configENS1_35radix_sort_onesweep_config_selectorIfNS0_10empty_typeEEEZZNS1_29radix_sort_onesweep_iterationIS3_Lb0EN6thrust23THRUST_200600_302600_NS6detail15normal_iteratorINS9_10device_ptrIfEEEESE_PS5_SF_jNS0_19identity_decomposerENS1_16block_id_wrapperIjLb1EEEEE10hipError_tT1_PNSt15iterator_traitsISK_E10value_typeET2_T3_PNSL_ISQ_E10value_typeET4_T5_PSV_SW_PNS1_23onesweep_lookback_stateEbbT6_jjT7_P12ihipStream_tbENKUlT_T0_SK_SP_E_clISE_PfSF_SF_EEDaS13_S14_SK_SP_EUlS13_E_NS1_11comp_targetILNS1_3genE9ELNS1_11target_archE1100ELNS1_3gpuE3ELNS1_3repE0EEENS1_47radix_sort_onesweep_sort_config_static_selectorELNS0_4arch9wavefront6targetE0EEEvSK_.private_seg_size, 0
	.set _ZN7rocprim17ROCPRIM_400000_NS6detail17trampoline_kernelINS0_14default_configENS1_35radix_sort_onesweep_config_selectorIfNS0_10empty_typeEEEZZNS1_29radix_sort_onesweep_iterationIS3_Lb0EN6thrust23THRUST_200600_302600_NS6detail15normal_iteratorINS9_10device_ptrIfEEEESE_PS5_SF_jNS0_19identity_decomposerENS1_16block_id_wrapperIjLb1EEEEE10hipError_tT1_PNSt15iterator_traitsISK_E10value_typeET2_T3_PNSL_ISQ_E10value_typeET4_T5_PSV_SW_PNS1_23onesweep_lookback_stateEbbT6_jjT7_P12ihipStream_tbENKUlT_T0_SK_SP_E_clISE_PfSF_SF_EEDaS13_S14_SK_SP_EUlS13_E_NS1_11comp_targetILNS1_3genE9ELNS1_11target_archE1100ELNS1_3gpuE3ELNS1_3repE0EEENS1_47radix_sort_onesweep_sort_config_static_selectorELNS0_4arch9wavefront6targetE0EEEvSK_.uses_vcc, 0
	.set _ZN7rocprim17ROCPRIM_400000_NS6detail17trampoline_kernelINS0_14default_configENS1_35radix_sort_onesweep_config_selectorIfNS0_10empty_typeEEEZZNS1_29radix_sort_onesweep_iterationIS3_Lb0EN6thrust23THRUST_200600_302600_NS6detail15normal_iteratorINS9_10device_ptrIfEEEESE_PS5_SF_jNS0_19identity_decomposerENS1_16block_id_wrapperIjLb1EEEEE10hipError_tT1_PNSt15iterator_traitsISK_E10value_typeET2_T3_PNSL_ISQ_E10value_typeET4_T5_PSV_SW_PNS1_23onesweep_lookback_stateEbbT6_jjT7_P12ihipStream_tbENKUlT_T0_SK_SP_E_clISE_PfSF_SF_EEDaS13_S14_SK_SP_EUlS13_E_NS1_11comp_targetILNS1_3genE9ELNS1_11target_archE1100ELNS1_3gpuE3ELNS1_3repE0EEENS1_47radix_sort_onesweep_sort_config_static_selectorELNS0_4arch9wavefront6targetE0EEEvSK_.uses_flat_scratch, 0
	.set _ZN7rocprim17ROCPRIM_400000_NS6detail17trampoline_kernelINS0_14default_configENS1_35radix_sort_onesweep_config_selectorIfNS0_10empty_typeEEEZZNS1_29radix_sort_onesweep_iterationIS3_Lb0EN6thrust23THRUST_200600_302600_NS6detail15normal_iteratorINS9_10device_ptrIfEEEESE_PS5_SF_jNS0_19identity_decomposerENS1_16block_id_wrapperIjLb1EEEEE10hipError_tT1_PNSt15iterator_traitsISK_E10value_typeET2_T3_PNSL_ISQ_E10value_typeET4_T5_PSV_SW_PNS1_23onesweep_lookback_stateEbbT6_jjT7_P12ihipStream_tbENKUlT_T0_SK_SP_E_clISE_PfSF_SF_EEDaS13_S14_SK_SP_EUlS13_E_NS1_11comp_targetILNS1_3genE9ELNS1_11target_archE1100ELNS1_3gpuE3ELNS1_3repE0EEENS1_47radix_sort_onesweep_sort_config_static_selectorELNS0_4arch9wavefront6targetE0EEEvSK_.has_dyn_sized_stack, 0
	.set _ZN7rocprim17ROCPRIM_400000_NS6detail17trampoline_kernelINS0_14default_configENS1_35radix_sort_onesweep_config_selectorIfNS0_10empty_typeEEEZZNS1_29radix_sort_onesweep_iterationIS3_Lb0EN6thrust23THRUST_200600_302600_NS6detail15normal_iteratorINS9_10device_ptrIfEEEESE_PS5_SF_jNS0_19identity_decomposerENS1_16block_id_wrapperIjLb1EEEEE10hipError_tT1_PNSt15iterator_traitsISK_E10value_typeET2_T3_PNSL_ISQ_E10value_typeET4_T5_PSV_SW_PNS1_23onesweep_lookback_stateEbbT6_jjT7_P12ihipStream_tbENKUlT_T0_SK_SP_E_clISE_PfSF_SF_EEDaS13_S14_SK_SP_EUlS13_E_NS1_11comp_targetILNS1_3genE9ELNS1_11target_archE1100ELNS1_3gpuE3ELNS1_3repE0EEENS1_47radix_sort_onesweep_sort_config_static_selectorELNS0_4arch9wavefront6targetE0EEEvSK_.has_recursion, 0
	.set _ZN7rocprim17ROCPRIM_400000_NS6detail17trampoline_kernelINS0_14default_configENS1_35radix_sort_onesweep_config_selectorIfNS0_10empty_typeEEEZZNS1_29radix_sort_onesweep_iterationIS3_Lb0EN6thrust23THRUST_200600_302600_NS6detail15normal_iteratorINS9_10device_ptrIfEEEESE_PS5_SF_jNS0_19identity_decomposerENS1_16block_id_wrapperIjLb1EEEEE10hipError_tT1_PNSt15iterator_traitsISK_E10value_typeET2_T3_PNSL_ISQ_E10value_typeET4_T5_PSV_SW_PNS1_23onesweep_lookback_stateEbbT6_jjT7_P12ihipStream_tbENKUlT_T0_SK_SP_E_clISE_PfSF_SF_EEDaS13_S14_SK_SP_EUlS13_E_NS1_11comp_targetILNS1_3genE9ELNS1_11target_archE1100ELNS1_3gpuE3ELNS1_3repE0EEENS1_47radix_sort_onesweep_sort_config_static_selectorELNS0_4arch9wavefront6targetE0EEEvSK_.has_indirect_call, 0
	.section	.AMDGPU.csdata,"",@progbits
; Kernel info:
; codeLenInByte = 0
; TotalNumSgprs: 0
; NumVgprs: 0
; ScratchSize: 0
; MemoryBound: 0
; FloatMode: 240
; IeeeMode: 1
; LDSByteSize: 0 bytes/workgroup (compile time only)
; SGPRBlocks: 0
; VGPRBlocks: 0
; NumSGPRsForWavesPerEU: 1
; NumVGPRsForWavesPerEU: 1
; Occupancy: 16
; WaveLimiterHint : 0
; COMPUTE_PGM_RSRC2:SCRATCH_EN: 0
; COMPUTE_PGM_RSRC2:USER_SGPR: 6
; COMPUTE_PGM_RSRC2:TRAP_HANDLER: 0
; COMPUTE_PGM_RSRC2:TGID_X_EN: 1
; COMPUTE_PGM_RSRC2:TGID_Y_EN: 0
; COMPUTE_PGM_RSRC2:TGID_Z_EN: 0
; COMPUTE_PGM_RSRC2:TIDIG_COMP_CNT: 0
	.section	.text._ZN7rocprim17ROCPRIM_400000_NS6detail17trampoline_kernelINS0_14default_configENS1_35radix_sort_onesweep_config_selectorIfNS0_10empty_typeEEEZZNS1_29radix_sort_onesweep_iterationIS3_Lb0EN6thrust23THRUST_200600_302600_NS6detail15normal_iteratorINS9_10device_ptrIfEEEESE_PS5_SF_jNS0_19identity_decomposerENS1_16block_id_wrapperIjLb1EEEEE10hipError_tT1_PNSt15iterator_traitsISK_E10value_typeET2_T3_PNSL_ISQ_E10value_typeET4_T5_PSV_SW_PNS1_23onesweep_lookback_stateEbbT6_jjT7_P12ihipStream_tbENKUlT_T0_SK_SP_E_clISE_PfSF_SF_EEDaS13_S14_SK_SP_EUlS13_E_NS1_11comp_targetILNS1_3genE8ELNS1_11target_archE1030ELNS1_3gpuE2ELNS1_3repE0EEENS1_47radix_sort_onesweep_sort_config_static_selectorELNS0_4arch9wavefront6targetE0EEEvSK_,"axG",@progbits,_ZN7rocprim17ROCPRIM_400000_NS6detail17trampoline_kernelINS0_14default_configENS1_35radix_sort_onesweep_config_selectorIfNS0_10empty_typeEEEZZNS1_29radix_sort_onesweep_iterationIS3_Lb0EN6thrust23THRUST_200600_302600_NS6detail15normal_iteratorINS9_10device_ptrIfEEEESE_PS5_SF_jNS0_19identity_decomposerENS1_16block_id_wrapperIjLb1EEEEE10hipError_tT1_PNSt15iterator_traitsISK_E10value_typeET2_T3_PNSL_ISQ_E10value_typeET4_T5_PSV_SW_PNS1_23onesweep_lookback_stateEbbT6_jjT7_P12ihipStream_tbENKUlT_T0_SK_SP_E_clISE_PfSF_SF_EEDaS13_S14_SK_SP_EUlS13_E_NS1_11comp_targetILNS1_3genE8ELNS1_11target_archE1030ELNS1_3gpuE2ELNS1_3repE0EEENS1_47radix_sort_onesweep_sort_config_static_selectorELNS0_4arch9wavefront6targetE0EEEvSK_,comdat
	.protected	_ZN7rocprim17ROCPRIM_400000_NS6detail17trampoline_kernelINS0_14default_configENS1_35radix_sort_onesweep_config_selectorIfNS0_10empty_typeEEEZZNS1_29radix_sort_onesweep_iterationIS3_Lb0EN6thrust23THRUST_200600_302600_NS6detail15normal_iteratorINS9_10device_ptrIfEEEESE_PS5_SF_jNS0_19identity_decomposerENS1_16block_id_wrapperIjLb1EEEEE10hipError_tT1_PNSt15iterator_traitsISK_E10value_typeET2_T3_PNSL_ISQ_E10value_typeET4_T5_PSV_SW_PNS1_23onesweep_lookback_stateEbbT6_jjT7_P12ihipStream_tbENKUlT_T0_SK_SP_E_clISE_PfSF_SF_EEDaS13_S14_SK_SP_EUlS13_E_NS1_11comp_targetILNS1_3genE8ELNS1_11target_archE1030ELNS1_3gpuE2ELNS1_3repE0EEENS1_47radix_sort_onesweep_sort_config_static_selectorELNS0_4arch9wavefront6targetE0EEEvSK_ ; -- Begin function _ZN7rocprim17ROCPRIM_400000_NS6detail17trampoline_kernelINS0_14default_configENS1_35radix_sort_onesweep_config_selectorIfNS0_10empty_typeEEEZZNS1_29radix_sort_onesweep_iterationIS3_Lb0EN6thrust23THRUST_200600_302600_NS6detail15normal_iteratorINS9_10device_ptrIfEEEESE_PS5_SF_jNS0_19identity_decomposerENS1_16block_id_wrapperIjLb1EEEEE10hipError_tT1_PNSt15iterator_traitsISK_E10value_typeET2_T3_PNSL_ISQ_E10value_typeET4_T5_PSV_SW_PNS1_23onesweep_lookback_stateEbbT6_jjT7_P12ihipStream_tbENKUlT_T0_SK_SP_E_clISE_PfSF_SF_EEDaS13_S14_SK_SP_EUlS13_E_NS1_11comp_targetILNS1_3genE8ELNS1_11target_archE1030ELNS1_3gpuE2ELNS1_3repE0EEENS1_47radix_sort_onesweep_sort_config_static_selectorELNS0_4arch9wavefront6targetE0EEEvSK_
	.globl	_ZN7rocprim17ROCPRIM_400000_NS6detail17trampoline_kernelINS0_14default_configENS1_35radix_sort_onesweep_config_selectorIfNS0_10empty_typeEEEZZNS1_29radix_sort_onesweep_iterationIS3_Lb0EN6thrust23THRUST_200600_302600_NS6detail15normal_iteratorINS9_10device_ptrIfEEEESE_PS5_SF_jNS0_19identity_decomposerENS1_16block_id_wrapperIjLb1EEEEE10hipError_tT1_PNSt15iterator_traitsISK_E10value_typeET2_T3_PNSL_ISQ_E10value_typeET4_T5_PSV_SW_PNS1_23onesweep_lookback_stateEbbT6_jjT7_P12ihipStream_tbENKUlT_T0_SK_SP_E_clISE_PfSF_SF_EEDaS13_S14_SK_SP_EUlS13_E_NS1_11comp_targetILNS1_3genE8ELNS1_11target_archE1030ELNS1_3gpuE2ELNS1_3repE0EEENS1_47radix_sort_onesweep_sort_config_static_selectorELNS0_4arch9wavefront6targetE0EEEvSK_
	.p2align	8
	.type	_ZN7rocprim17ROCPRIM_400000_NS6detail17trampoline_kernelINS0_14default_configENS1_35radix_sort_onesweep_config_selectorIfNS0_10empty_typeEEEZZNS1_29radix_sort_onesweep_iterationIS3_Lb0EN6thrust23THRUST_200600_302600_NS6detail15normal_iteratorINS9_10device_ptrIfEEEESE_PS5_SF_jNS0_19identity_decomposerENS1_16block_id_wrapperIjLb1EEEEE10hipError_tT1_PNSt15iterator_traitsISK_E10value_typeET2_T3_PNSL_ISQ_E10value_typeET4_T5_PSV_SW_PNS1_23onesweep_lookback_stateEbbT6_jjT7_P12ihipStream_tbENKUlT_T0_SK_SP_E_clISE_PfSF_SF_EEDaS13_S14_SK_SP_EUlS13_E_NS1_11comp_targetILNS1_3genE8ELNS1_11target_archE1030ELNS1_3gpuE2ELNS1_3repE0EEENS1_47radix_sort_onesweep_sort_config_static_selectorELNS0_4arch9wavefront6targetE0EEEvSK_,@function
_ZN7rocprim17ROCPRIM_400000_NS6detail17trampoline_kernelINS0_14default_configENS1_35radix_sort_onesweep_config_selectorIfNS0_10empty_typeEEEZZNS1_29radix_sort_onesweep_iterationIS3_Lb0EN6thrust23THRUST_200600_302600_NS6detail15normal_iteratorINS9_10device_ptrIfEEEESE_PS5_SF_jNS0_19identity_decomposerENS1_16block_id_wrapperIjLb1EEEEE10hipError_tT1_PNSt15iterator_traitsISK_E10value_typeET2_T3_PNSL_ISQ_E10value_typeET4_T5_PSV_SW_PNS1_23onesweep_lookback_stateEbbT6_jjT7_P12ihipStream_tbENKUlT_T0_SK_SP_E_clISE_PfSF_SF_EEDaS13_S14_SK_SP_EUlS13_E_NS1_11comp_targetILNS1_3genE8ELNS1_11target_archE1030ELNS1_3gpuE2ELNS1_3repE0EEENS1_47radix_sort_onesweep_sort_config_static_selectorELNS0_4arch9wavefront6targetE0EEEvSK_: ; @_ZN7rocprim17ROCPRIM_400000_NS6detail17trampoline_kernelINS0_14default_configENS1_35radix_sort_onesweep_config_selectorIfNS0_10empty_typeEEEZZNS1_29radix_sort_onesweep_iterationIS3_Lb0EN6thrust23THRUST_200600_302600_NS6detail15normal_iteratorINS9_10device_ptrIfEEEESE_PS5_SF_jNS0_19identity_decomposerENS1_16block_id_wrapperIjLb1EEEEE10hipError_tT1_PNSt15iterator_traitsISK_E10value_typeET2_T3_PNSL_ISQ_E10value_typeET4_T5_PSV_SW_PNS1_23onesweep_lookback_stateEbbT6_jjT7_P12ihipStream_tbENKUlT_T0_SK_SP_E_clISE_PfSF_SF_EEDaS13_S14_SK_SP_EUlS13_E_NS1_11comp_targetILNS1_3genE8ELNS1_11target_archE1030ELNS1_3gpuE2ELNS1_3repE0EEENS1_47radix_sort_onesweep_sort_config_static_selectorELNS0_4arch9wavefront6targetE0EEEvSK_
; %bb.0:
	s_clause 0x2
	s_load_dwordx4 s[12:15], s[4:5], 0x28
	s_load_dwordx2 s[10:11], s[4:5], 0x38
	s_load_dwordx4 s[20:23], s[4:5], 0x44
	v_cmp_eq_u32_e64 s0, 0, v0
	s_and_saveexec_b32 s1, s0
	s_cbranch_execz .LBB576_4
; %bb.1:
	s_mov_b32 s3, exec_lo
	s_mov_b32 s2, exec_lo
	v_mbcnt_lo_u32_b32 v3, s3, 0
                                        ; implicit-def: $vgpr4
	v_cmpx_eq_u32_e32 0, v3
	s_cbranch_execz .LBB576_3
; %bb.2:
	s_load_dwordx2 s[8:9], s[4:5], 0x50
	s_bcnt1_i32_b32 s3, s3
	v_mov_b32_e32 v4, 0
	v_mov_b32_e32 v5, s3
	s_waitcnt lgkmcnt(0)
	global_atomic_add v4, v4, v5, s[8:9] glc
.LBB576_3:
	s_or_b32 exec_lo, exec_lo, s2
	s_waitcnt vmcnt(0)
	v_readfirstlane_b32 s2, v4
	v_mov_b32_e32 v4, 0
	v_add_nc_u32_e32 v3, s2, v3
	ds_write_b32 v4, v3 offset:36992
.LBB576_4:
	s_or_b32 exec_lo, exec_lo, s1
	v_mov_b32_e32 v3, 0
	s_clause 0x1
	s_load_dwordx4 s[16:19], s[4:5], 0x0
	s_load_dword s1, s[4:5], 0x20
	s_waitcnt lgkmcnt(0)
	s_barrier
	buffer_gl0_inv
	ds_read_b32 v3, v3 offset:36992
	v_mbcnt_lo_u32_b32 v11, -1, 0
	v_and_b32_e32 v12, 0x3e0, v0
	s_mov_b32 s2, -1
	s_waitcnt lgkmcnt(0)
	s_barrier
	buffer_gl0_inv
	v_readfirstlane_b32 s23, v3
	v_cmp_le_u32_e32 vcc_lo, s22, v3
	s_mul_i32 s24, s23, 0x1800
	s_cbranch_vccz .LBB576_64
; %bb.5:
	s_mov_b32 s25, 0
	s_mulk_i32 s22, 0xe800
	v_mul_u32_u24_e32 v3, 6, v12
	v_lshlrev_b32_e32 v4, 2, v11
	s_lshl_b64 s[2:3], s[24:25], 2
	s_add_i32 s22, s22, s1
	s_add_u32 s1, s16, s2
	s_addc_u32 s2, s17, s3
	v_lshlrev_b32_e32 v5, 2, v3
	v_add_co_u32 v4, s1, s1, v4
	v_add_co_ci_u32_e64 v6, null, s2, 0, s1
	v_or_b32_e32 v13, v11, v3
	v_bfrev_b32_e32 v3, -2
	v_add_co_u32 v9, vcc_lo, v4, v5
	v_add_co_ci_u32_e64 v10, null, 0, v6, vcc_lo
	v_mov_b32_e32 v4, v3
	v_mov_b32_e32 v5, v3
	;; [unrolled: 1-line block ×5, first 2 shown]
	s_mov_b32 s1, exec_lo
	v_cmpx_gt_u32_e64 s22, v13
	s_cbranch_execz .LBB576_7
; %bb.6:
	global_load_dword v14, v[9:10], off
	v_mov_b32_e32 v15, v3
	v_mov_b32_e32 v16, v3
	;; [unrolled: 1-line block ×5, first 2 shown]
	s_waitcnt vmcnt(0)
	v_mov_b32_e32 v3, v14
	v_mov_b32_e32 v4, v15
	;; [unrolled: 1-line block ×6, first 2 shown]
.LBB576_7:
	s_or_b32 exec_lo, exec_lo, s1
	v_or_b32_e32 v14, 32, v13
	s_mov_b32 s1, exec_lo
	v_cmpx_gt_u32_e64 s22, v14
	s_cbranch_execz .LBB576_9
; %bb.8:
	global_load_dword v4, v[9:10], off offset:128
.LBB576_9:
	s_or_b32 exec_lo, exec_lo, s1
	v_add_nc_u32_e32 v14, 64, v13
	s_mov_b32 s1, exec_lo
	v_cmpx_gt_u32_e64 s22, v14
	s_cbranch_execz .LBB576_11
; %bb.10:
	global_load_dword v5, v[9:10], off offset:256
.LBB576_11:
	s_or_b32 exec_lo, exec_lo, s1
	v_add_nc_u32_e32 v14, 0x60, v13
	;; [unrolled: 8-line block ×4, first 2 shown]
	s_mov_b32 s1, exec_lo
	v_cmpx_gt_u32_e64 s22, v13
	s_cbranch_execz .LBB576_17
; %bb.16:
	global_load_dword v8, v[9:10], off offset:640
.LBB576_17:
	s_or_b32 exec_lo, exec_lo, s1
	s_clause 0x1
	s_load_dword s1, s[4:5], 0x64
	s_load_dword s25, s[4:5], 0x58
	s_add_u32 s2, s4, 0x58
	s_addc_u32 s3, s5, 0
	v_mov_b32_e32 v10, 0
	v_cmp_lt_i32_e32 vcc_lo, -1, v3
	v_cndmask_b32_e64 v13, -1, 0x80000000, vcc_lo
	v_xor_b32_e32 v13, v13, v3
	v_cmp_ne_u32_e32 vcc_lo, 0x7fffffff, v13
	s_waitcnt lgkmcnt(0)
	s_lshr_b32 s7, s1, 16
	s_cmp_lt_u32 s6, s25
	s_cselect_b32 s1, 12, 18
	v_cndmask_b32_e32 v3, 0x80000000, v13, vcc_lo
	s_add_u32 s2, s2, s1
	s_addc_u32 s3, s3, 0
	s_lshl_b32 s1, -1, s21
	global_load_ushort v9, v10, s[2:3]
	v_lshrrev_b32_e32 v3, s20, v3
	s_not_b32 s26, s1
	v_and_b32_e32 v3, s26, v3
	v_and_b32_e32 v14, 1, v3
	v_lshlrev_b32_e32 v15, 30, v3
	v_lshlrev_b32_e32 v16, 29, v3
	;; [unrolled: 1-line block ×4, first 2 shown]
	v_add_co_u32 v14, s1, v14, -1
	v_cndmask_b32_e64 v17, 0, 1, s1
	v_not_b32_e32 v21, v15
	v_cmp_gt_i32_e64 s1, 0, v15
	v_not_b32_e32 v15, v16
	v_lshlrev_b32_e32 v20, 26, v3
	v_cmp_ne_u32_e32 vcc_lo, 0, v17
	v_ashrrev_i32_e32 v21, 31, v21
	v_lshlrev_b32_e32 v17, 25, v3
	v_ashrrev_i32_e32 v15, 31, v15
	v_xor_b32_e32 v14, vcc_lo, v14
	v_cmp_gt_i32_e32 vcc_lo, 0, v16
	v_not_b32_e32 v16, v18
	v_xor_b32_e32 v21, s1, v21
	v_cmp_gt_i32_e64 s1, 0, v18
	v_and_b32_e32 v14, exec_lo, v14
	v_not_b32_e32 v18, v19
	v_ashrrev_i32_e32 v16, 31, v16
	v_xor_b32_e32 v15, vcc_lo, v15
	v_cmp_gt_i32_e32 vcc_lo, 0, v19
	v_and_b32_e32 v14, v14, v21
	v_not_b32_e32 v19, v20
	v_ashrrev_i32_e32 v18, 31, v18
	v_xor_b32_e32 v16, s1, v16
	v_cmp_gt_i32_e64 s1, 0, v20
	v_and_b32_e32 v14, v14, v15
	v_not_b32_e32 v15, v17
	v_ashrrev_i32_e32 v19, 31, v19
	v_xor_b32_e32 v18, vcc_lo, v18
	v_cmp_gt_i32_e32 vcc_lo, 0, v17
	v_and_b32_e32 v14, v14, v16
	v_lshlrev_b32_e32 v16, 24, v3
	v_ashrrev_i32_e32 v15, 31, v15
	v_xor_b32_e32 v17, s1, v19
	v_and_b32_e32 v14, v14, v18
	v_not_b32_e32 v18, v16
	v_xor_b32_e32 v15, vcc_lo, v15
	v_cmp_gt_i32_e32 vcc_lo, 0, v16
	v_mul_u32_u24_e32 v16, 36, v0
	v_and_b32_e32 v14, v14, v17
	v_mad_u32_u24 v17, v2, s7, v1
	v_ashrrev_i32_e32 v18, 31, v18
	ds_write2_b32 v16, v10, v10 offset0:32 offset1:33
	v_and_b32_e32 v19, v14, v15
	ds_write2_b32 v16, v10, v10 offset0:34 offset1:35
	ds_write2_b32 v16, v10, v10 offset0:36 offset1:37
	;; [unrolled: 1-line block ×3, first 2 shown]
	ds_write_b32 v16, v10 offset:160
	s_waitcnt vmcnt(0) lgkmcnt(0)
	s_barrier
	buffer_gl0_inv
	; wave barrier
	v_mad_u64_u32 v[14:15], null, v17, v9, v[0:1]
	v_xor_b32_e32 v9, vcc_lo, v18
	v_mul_lo_u32 v17, 0x84, v3
	v_and_b32_e32 v9, v19, v9
	v_lshrrev_b32_e32 v14, 3, v14
	v_mbcnt_lo_u32_b32 v15, v9, 0
	v_and_b32_e32 v3, 0x1ffffffc, v14
	v_cmp_ne_u32_e64 s1, 0, v9
	v_cmp_eq_u32_e32 vcc_lo, 0, v15
	v_add_nc_u32_e32 v17, v3, v17
	s_and_b32 s2, s1, vcc_lo
	s_and_saveexec_b32 s1, s2
; %bb.18:
	v_bcnt_u32_b32 v9, v9, 0
	ds_write_b32 v17, v9 offset:128
; %bb.19:
	s_or_b32 exec_lo, exec_lo, s1
	v_cmp_lt_i32_e32 vcc_lo, -1, v4
	; wave barrier
	v_cndmask_b32_e64 v9, -1, 0x80000000, vcc_lo
	v_xor_b32_e32 v14, v9, v4
	v_cmp_ne_u32_e32 vcc_lo, 0x7fffffff, v14
	v_cndmask_b32_e32 v4, 0x80000000, v14, vcc_lo
	v_lshrrev_b32_e32 v4, s20, v4
	v_and_b32_e32 v4, s26, v4
	v_and_b32_e32 v10, 1, v4
	v_lshlrev_b32_e32 v18, 30, v4
	v_lshlrev_b32_e32 v19, 29, v4
	;; [unrolled: 1-line block ×4, first 2 shown]
	v_add_co_u32 v10, s1, v10, -1
	v_cndmask_b32_e64 v21, 0, 1, s1
	v_not_b32_e32 v25, v18
	v_cmp_gt_i32_e64 s1, 0, v18
	v_not_b32_e32 v18, v19
	v_lshlrev_b32_e32 v23, 26, v4
	v_cmp_ne_u32_e32 vcc_lo, 0, v21
	v_ashrrev_i32_e32 v21, 31, v25
	v_lshlrev_b32_e32 v24, 25, v4
	v_ashrrev_i32_e32 v18, 31, v18
	v_mul_lo_u32 v9, 0x84, v4
	v_xor_b32_e32 v10, vcc_lo, v10
	v_cmp_gt_i32_e32 vcc_lo, 0, v19
	v_not_b32_e32 v19, v20
	v_xor_b32_e32 v21, s1, v21
	v_cmp_gt_i32_e64 s1, 0, v20
	v_and_b32_e32 v10, exec_lo, v10
	v_not_b32_e32 v20, v22
	v_ashrrev_i32_e32 v19, 31, v19
	v_xor_b32_e32 v18, vcc_lo, v18
	v_cmp_gt_i32_e32 vcc_lo, 0, v22
	v_and_b32_e32 v10, v10, v21
	v_not_b32_e32 v21, v23
	v_ashrrev_i32_e32 v20, 31, v20
	v_xor_b32_e32 v19, s1, v19
	v_lshlrev_b32_e32 v4, 24, v4
	v_and_b32_e32 v10, v10, v18
	v_cmp_gt_i32_e64 s1, 0, v23
	v_not_b32_e32 v18, v24
	v_ashrrev_i32_e32 v21, 31, v21
	v_xor_b32_e32 v20, vcc_lo, v20
	v_and_b32_e32 v10, v10, v19
	v_cmp_gt_i32_e32 vcc_lo, 0, v24
	v_not_b32_e32 v19, v4
	v_ashrrev_i32_e32 v18, 31, v18
	v_xor_b32_e32 v21, s1, v21
	v_and_b32_e32 v10, v10, v20
	v_cmp_gt_i32_e64 s1, 0, v4
	v_ashrrev_i32_e32 v4, 31, v19
	v_xor_b32_e32 v18, vcc_lo, v18
	v_and_b32_e32 v10, v10, v21
	v_add_nc_u32_e32 v21, v3, v9
	v_xor_b32_e32 v4, s1, v4
	v_and_b32_e32 v9, v10, v18
	ds_read_b32 v19, v21 offset:128
	; wave barrier
	v_and_b32_e32 v4, v9, v4
	v_mbcnt_lo_u32_b32 v20, v4, 0
	v_cmp_ne_u32_e64 s1, 0, v4
	v_cmp_eq_u32_e32 vcc_lo, 0, v20
	s_and_b32 s2, s1, vcc_lo
	s_and_saveexec_b32 s1, s2
	s_cbranch_execz .LBB576_21
; %bb.20:
	s_waitcnt lgkmcnt(0)
	v_bcnt_u32_b32 v4, v4, v19
	ds_write_b32 v21, v4 offset:128
.LBB576_21:
	s_or_b32 exec_lo, exec_lo, s1
	v_cmp_lt_i32_e32 vcc_lo, -1, v5
	; wave barrier
	v_cndmask_b32_e64 v4, -1, 0x80000000, vcc_lo
	v_xor_b32_e32 v18, v4, v5
	v_cmp_ne_u32_e32 vcc_lo, 0x7fffffff, v18
	v_cndmask_b32_e32 v4, 0x80000000, v18, vcc_lo
	v_lshrrev_b32_e32 v4, s20, v4
	v_and_b32_e32 v4, s26, v4
	v_and_b32_e32 v9, 1, v4
	v_lshlrev_b32_e32 v10, 30, v4
	v_lshlrev_b32_e32 v22, 29, v4
	;; [unrolled: 1-line block ×4, first 2 shown]
	v_add_co_u32 v9, s1, v9, -1
	v_cndmask_b32_e64 v24, 0, 1, s1
	v_not_b32_e32 v28, v10
	v_cmp_gt_i32_e64 s1, 0, v10
	v_not_b32_e32 v10, v22
	v_lshlrev_b32_e32 v26, 26, v4
	v_cmp_ne_u32_e32 vcc_lo, 0, v24
	v_ashrrev_i32_e32 v24, 31, v28
	v_lshlrev_b32_e32 v27, 25, v4
	v_ashrrev_i32_e32 v10, 31, v10
	v_mul_lo_u32 v5, 0x84, v4
	v_xor_b32_e32 v9, vcc_lo, v9
	v_cmp_gt_i32_e32 vcc_lo, 0, v22
	v_not_b32_e32 v22, v23
	v_xor_b32_e32 v24, s1, v24
	v_cmp_gt_i32_e64 s1, 0, v23
	v_and_b32_e32 v9, exec_lo, v9
	v_not_b32_e32 v23, v25
	v_ashrrev_i32_e32 v22, 31, v22
	v_xor_b32_e32 v10, vcc_lo, v10
	v_cmp_gt_i32_e32 vcc_lo, 0, v25
	v_and_b32_e32 v9, v9, v24
	v_not_b32_e32 v24, v26
	v_ashrrev_i32_e32 v23, 31, v23
	v_xor_b32_e32 v22, s1, v22
	v_lshlrev_b32_e32 v4, 24, v4
	v_and_b32_e32 v9, v9, v10
	v_cmp_gt_i32_e64 s1, 0, v26
	v_not_b32_e32 v10, v27
	v_ashrrev_i32_e32 v24, 31, v24
	v_xor_b32_e32 v23, vcc_lo, v23
	v_and_b32_e32 v9, v9, v22
	v_cmp_gt_i32_e32 vcc_lo, 0, v27
	v_not_b32_e32 v22, v4
	v_ashrrev_i32_e32 v10, 31, v10
	v_xor_b32_e32 v24, s1, v24
	v_and_b32_e32 v9, v9, v23
	v_cmp_gt_i32_e64 s1, 0, v4
	v_ashrrev_i32_e32 v4, 31, v22
	v_xor_b32_e32 v10, vcc_lo, v10
	v_add_nc_u32_e32 v25, v3, v5
	v_and_b32_e32 v9, v9, v24
	v_xor_b32_e32 v4, s1, v4
	ds_read_b32 v23, v25 offset:128
	v_and_b32_e32 v5, v9, v10
	; wave barrier
	v_and_b32_e32 v4, v5, v4
	v_mbcnt_lo_u32_b32 v24, v4, 0
	v_cmp_ne_u32_e64 s1, 0, v4
	v_cmp_eq_u32_e32 vcc_lo, 0, v24
	s_and_b32 s2, s1, vcc_lo
	s_and_saveexec_b32 s1, s2
	s_cbranch_execz .LBB576_23
; %bb.22:
	s_waitcnt lgkmcnt(0)
	v_bcnt_u32_b32 v4, v4, v23
	ds_write_b32 v25, v4 offset:128
.LBB576_23:
	s_or_b32 exec_lo, exec_lo, s1
	v_cmp_lt_i32_e32 vcc_lo, -1, v6
	; wave barrier
	v_cndmask_b32_e64 v4, -1, 0x80000000, vcc_lo
	v_xor_b32_e32 v22, v4, v6
	v_cmp_ne_u32_e32 vcc_lo, 0x7fffffff, v22
	v_cndmask_b32_e32 v4, 0x80000000, v22, vcc_lo
	v_lshrrev_b32_e32 v4, s20, v4
	v_and_b32_e32 v4, s26, v4
	v_and_b32_e32 v6, 1, v4
	v_lshlrev_b32_e32 v9, 30, v4
	v_lshlrev_b32_e32 v10, 29, v4
	;; [unrolled: 1-line block ×4, first 2 shown]
	v_add_co_u32 v6, s1, v6, -1
	v_cndmask_b32_e64 v27, 0, 1, s1
	v_not_b32_e32 v31, v9
	v_cmp_gt_i32_e64 s1, 0, v9
	v_not_b32_e32 v9, v10
	v_lshlrev_b32_e32 v29, 26, v4
	v_cmp_ne_u32_e32 vcc_lo, 0, v27
	v_ashrrev_i32_e32 v27, 31, v31
	v_lshlrev_b32_e32 v30, 25, v4
	v_ashrrev_i32_e32 v9, 31, v9
	v_mul_lo_u32 v5, 0x84, v4
	v_xor_b32_e32 v6, vcc_lo, v6
	v_cmp_gt_i32_e32 vcc_lo, 0, v10
	v_not_b32_e32 v10, v26
	v_xor_b32_e32 v27, s1, v27
	v_cmp_gt_i32_e64 s1, 0, v26
	v_and_b32_e32 v6, exec_lo, v6
	v_not_b32_e32 v26, v28
	v_ashrrev_i32_e32 v10, 31, v10
	v_xor_b32_e32 v9, vcc_lo, v9
	v_cmp_gt_i32_e32 vcc_lo, 0, v28
	v_and_b32_e32 v6, v6, v27
	v_not_b32_e32 v27, v29
	v_ashrrev_i32_e32 v26, 31, v26
	v_xor_b32_e32 v10, s1, v10
	v_lshlrev_b32_e32 v4, 24, v4
	v_and_b32_e32 v6, v6, v9
	v_cmp_gt_i32_e64 s1, 0, v29
	v_not_b32_e32 v9, v30
	v_ashrrev_i32_e32 v27, 31, v27
	v_xor_b32_e32 v26, vcc_lo, v26
	v_and_b32_e32 v6, v6, v10
	v_cmp_gt_i32_e32 vcc_lo, 0, v30
	v_not_b32_e32 v10, v4
	v_ashrrev_i32_e32 v9, 31, v9
	v_xor_b32_e32 v27, s1, v27
	v_and_b32_e32 v6, v6, v26
	v_cmp_gt_i32_e64 s1, 0, v4
	v_ashrrev_i32_e32 v4, 31, v10
	v_xor_b32_e32 v9, vcc_lo, v9
	v_add_nc_u32_e32 v29, v3, v5
	v_and_b32_e32 v6, v6, v27
	v_xor_b32_e32 v4, s1, v4
	ds_read_b32 v26, v29 offset:128
	v_and_b32_e32 v5, v6, v9
	; wave barrier
	v_and_b32_e32 v4, v5, v4
	v_mbcnt_lo_u32_b32 v28, v4, 0
	v_cmp_ne_u32_e64 s1, 0, v4
	v_cmp_eq_u32_e32 vcc_lo, 0, v28
	s_and_b32 s2, s1, vcc_lo
	s_and_saveexec_b32 s1, s2
	s_cbranch_execz .LBB576_25
; %bb.24:
	s_waitcnt lgkmcnt(0)
	v_bcnt_u32_b32 v4, v4, v26
	ds_write_b32 v29, v4 offset:128
.LBB576_25:
	s_or_b32 exec_lo, exec_lo, s1
	v_cmp_lt_i32_e32 vcc_lo, -1, v7
	; wave barrier
	v_cndmask_b32_e64 v4, -1, 0x80000000, vcc_lo
	v_xor_b32_e32 v27, v4, v7
	v_cmp_ne_u32_e32 vcc_lo, 0x7fffffff, v27
	v_cndmask_b32_e32 v4, 0x80000000, v27, vcc_lo
	v_lshrrev_b32_e32 v4, s20, v4
	v_and_b32_e32 v4, s26, v4
	v_and_b32_e32 v6, 1, v4
	v_lshlrev_b32_e32 v7, 30, v4
	v_lshlrev_b32_e32 v9, 29, v4
	;; [unrolled: 1-line block ×4, first 2 shown]
	v_add_co_u32 v6, s1, v6, -1
	v_cndmask_b32_e64 v30, 0, 1, s1
	v_not_b32_e32 v34, v7
	v_cmp_gt_i32_e64 s1, 0, v7
	v_not_b32_e32 v7, v9
	v_lshlrev_b32_e32 v32, 26, v4
	v_cmp_ne_u32_e32 vcc_lo, 0, v30
	v_ashrrev_i32_e32 v30, 31, v34
	v_lshlrev_b32_e32 v33, 25, v4
	v_ashrrev_i32_e32 v7, 31, v7
	v_mul_lo_u32 v5, 0x84, v4
	v_xor_b32_e32 v6, vcc_lo, v6
	v_cmp_gt_i32_e32 vcc_lo, 0, v9
	v_not_b32_e32 v9, v10
	v_xor_b32_e32 v30, s1, v30
	v_cmp_gt_i32_e64 s1, 0, v10
	v_and_b32_e32 v6, exec_lo, v6
	v_not_b32_e32 v10, v31
	v_ashrrev_i32_e32 v9, 31, v9
	v_xor_b32_e32 v7, vcc_lo, v7
	v_cmp_gt_i32_e32 vcc_lo, 0, v31
	v_and_b32_e32 v6, v6, v30
	v_not_b32_e32 v30, v32
	v_ashrrev_i32_e32 v10, 31, v10
	v_xor_b32_e32 v9, s1, v9
	v_lshlrev_b32_e32 v4, 24, v4
	v_and_b32_e32 v6, v6, v7
	v_cmp_gt_i32_e64 s1, 0, v32
	v_not_b32_e32 v7, v33
	v_ashrrev_i32_e32 v30, 31, v30
	v_xor_b32_e32 v10, vcc_lo, v10
	v_and_b32_e32 v6, v6, v9
	v_cmp_gt_i32_e32 vcc_lo, 0, v33
	v_not_b32_e32 v9, v4
	v_ashrrev_i32_e32 v7, 31, v7
	v_xor_b32_e32 v30, s1, v30
	v_and_b32_e32 v6, v6, v10
	v_cmp_gt_i32_e64 s1, 0, v4
	v_ashrrev_i32_e32 v4, 31, v9
	v_xor_b32_e32 v7, vcc_lo, v7
	v_add_nc_u32_e32 v33, v3, v5
	v_and_b32_e32 v6, v6, v30
	v_xor_b32_e32 v4, s1, v4
	ds_read_b32 v30, v33 offset:128
	v_and_b32_e32 v5, v6, v7
	; wave barrier
	v_and_b32_e32 v4, v5, v4
	v_mbcnt_lo_u32_b32 v31, v4, 0
	v_cmp_ne_u32_e64 s1, 0, v4
	v_cmp_eq_u32_e32 vcc_lo, 0, v31
	s_and_b32 s2, s1, vcc_lo
	s_and_saveexec_b32 s1, s2
	s_cbranch_execz .LBB576_27
; %bb.26:
	s_waitcnt lgkmcnt(0)
	v_bcnt_u32_b32 v4, v4, v30
	ds_write_b32 v33, v4 offset:128
.LBB576_27:
	s_or_b32 exec_lo, exec_lo, s1
	v_cmp_lt_i32_e32 vcc_lo, -1, v8
	; wave barrier
	v_cndmask_b32_e64 v4, -1, 0x80000000, vcc_lo
	v_xor_b32_e32 v32, v4, v8
	v_cmp_ne_u32_e32 vcc_lo, 0x7fffffff, v32
	v_cndmask_b32_e32 v4, 0x80000000, v32, vcc_lo
	v_lshrrev_b32_e32 v4, s20, v4
	v_and_b32_e32 v4, s26, v4
	v_and_b32_e32 v6, 1, v4
	v_lshlrev_b32_e32 v7, 30, v4
	v_lshlrev_b32_e32 v8, 29, v4
	v_lshlrev_b32_e32 v9, 28, v4
	v_lshlrev_b32_e32 v34, 27, v4
	v_add_co_u32 v6, s1, v6, -1
	v_cndmask_b32_e64 v10, 0, 1, s1
	v_not_b32_e32 v37, v7
	v_cmp_gt_i32_e64 s1, 0, v7
	v_not_b32_e32 v7, v8
	v_lshlrev_b32_e32 v35, 26, v4
	v_cmp_ne_u32_e32 vcc_lo, 0, v10
	v_ashrrev_i32_e32 v10, 31, v37
	v_lshlrev_b32_e32 v36, 25, v4
	v_ashrrev_i32_e32 v7, 31, v7
	v_mul_lo_u32 v5, 0x84, v4
	v_xor_b32_e32 v6, vcc_lo, v6
	v_cmp_gt_i32_e32 vcc_lo, 0, v8
	v_not_b32_e32 v8, v9
	v_xor_b32_e32 v10, s1, v10
	v_cmp_gt_i32_e64 s1, 0, v9
	v_and_b32_e32 v6, exec_lo, v6
	v_not_b32_e32 v9, v34
	v_ashrrev_i32_e32 v8, 31, v8
	v_xor_b32_e32 v7, vcc_lo, v7
	v_cmp_gt_i32_e32 vcc_lo, 0, v34
	v_and_b32_e32 v6, v6, v10
	v_not_b32_e32 v10, v35
	v_ashrrev_i32_e32 v9, 31, v9
	v_xor_b32_e32 v8, s1, v8
	v_lshlrev_b32_e32 v4, 24, v4
	v_and_b32_e32 v6, v6, v7
	v_cmp_gt_i32_e64 s1, 0, v35
	v_not_b32_e32 v7, v36
	v_ashrrev_i32_e32 v10, 31, v10
	v_xor_b32_e32 v9, vcc_lo, v9
	v_and_b32_e32 v6, v6, v8
	v_cmp_gt_i32_e32 vcc_lo, 0, v36
	v_not_b32_e32 v8, v4
	v_ashrrev_i32_e32 v7, 31, v7
	v_xor_b32_e32 v10, s1, v10
	v_and_b32_e32 v6, v6, v9
	v_cmp_gt_i32_e64 s1, 0, v4
	v_ashrrev_i32_e32 v4, 31, v8
	v_xor_b32_e32 v7, vcc_lo, v7
	v_add_nc_u32_e32 v36, v3, v5
	v_and_b32_e32 v6, v6, v10
	v_xor_b32_e32 v3, s1, v4
	ds_read_b32 v34, v36 offset:128
	v_and_b32_e32 v4, v6, v7
	; wave barrier
	v_and_b32_e32 v3, v4, v3
	v_mbcnt_lo_u32_b32 v35, v3, 0
	v_cmp_ne_u32_e64 s1, 0, v3
	v_cmp_eq_u32_e32 vcc_lo, 0, v35
	s_and_b32 s2, s1, vcc_lo
	s_and_saveexec_b32 s1, s2
	s_cbranch_execz .LBB576_29
; %bb.28:
	s_waitcnt lgkmcnt(0)
	v_bcnt_u32_b32 v3, v3, v34
	ds_write_b32 v36, v3 offset:128
.LBB576_29:
	s_or_b32 exec_lo, exec_lo, s1
	; wave barrier
	s_waitcnt lgkmcnt(0)
	s_barrier
	buffer_gl0_inv
	ds_read2_b32 v[9:10], v16 offset0:32 offset1:33
	ds_read2_b32 v[7:8], v16 offset0:34 offset1:35
	;; [unrolled: 1-line block ×4, first 2 shown]
	ds_read_b32 v37, v16 offset:160
	v_and_b32_e32 v40, 16, v11
	v_and_b32_e32 v41, 31, v0
	s_mov_b32 s9, exec_lo
	v_cmp_eq_u32_e64 s7, 0, v40
	s_waitcnt lgkmcnt(3)
	v_add3_u32 v38, v10, v9, v7
	s_waitcnt lgkmcnt(2)
	v_add3_u32 v38, v38, v8, v5
	;; [unrolled: 2-line block ×4, first 2 shown]
	v_and_b32_e32 v38, 15, v11
	v_mov_b32_dpp v39, v37 row_shr:1 row_mask:0xf bank_mask:0xf
	v_cmp_eq_u32_e32 vcc_lo, 0, v38
	v_cmp_lt_u32_e64 s1, 1, v38
	v_cmp_lt_u32_e64 s2, 3, v38
	;; [unrolled: 1-line block ×3, first 2 shown]
	v_cndmask_b32_e64 v39, v39, 0, vcc_lo
	v_add_nc_u32_e32 v37, v39, v37
	v_mov_b32_dpp v39, v37 row_shr:2 row_mask:0xf bank_mask:0xf
	v_cndmask_b32_e64 v39, 0, v39, s1
	v_add_nc_u32_e32 v37, v37, v39
	v_mov_b32_dpp v39, v37 row_shr:4 row_mask:0xf bank_mask:0xf
	v_cndmask_b32_e64 v39, 0, v39, s2
	;; [unrolled: 3-line block ×3, first 2 shown]
	v_bfe_i32 v39, v11, 4, 1
	v_add_nc_u32_e32 v37, v37, v38
	ds_swizzle_b32 v38, v37 offset:swizzle(BROADCAST,32,15)
	s_waitcnt lgkmcnt(0)
	v_and_b32_e32 v39, v39, v38
	v_lshrrev_b32_e32 v38, 5, v0
	v_add_nc_u32_e32 v37, v37, v39
	v_cmpx_eq_u32_e32 31, v41
; %bb.30:
	v_lshlrev_b32_e32 v39, 2, v38
	ds_write_b32 v39, v37
; %bb.31:
	s_or_b32 exec_lo, exec_lo, s9
	v_cmp_lt_u32_e64 s8, 31, v0
	s_mov_b32 s27, exec_lo
	s_waitcnt lgkmcnt(0)
	s_barrier
	buffer_gl0_inv
	v_cmpx_gt_u32_e32 32, v0
	s_cbranch_execz .LBB576_33
; %bb.32:
	v_lshlrev_b32_e32 v39, 2, v0
	ds_read_b32 v40, v39
	s_waitcnt lgkmcnt(0)
	v_mov_b32_dpp v41, v40 row_shr:1 row_mask:0xf bank_mask:0xf
	v_cndmask_b32_e64 v41, v41, 0, vcc_lo
	v_add_nc_u32_e32 v40, v41, v40
	v_mov_b32_dpp v41, v40 row_shr:2 row_mask:0xf bank_mask:0xf
	v_cndmask_b32_e64 v41, 0, v41, s1
	v_add_nc_u32_e32 v40, v40, v41
	v_mov_b32_dpp v41, v40 row_shr:4 row_mask:0xf bank_mask:0xf
	v_cndmask_b32_e64 v41, 0, v41, s2
	;; [unrolled: 3-line block ×3, first 2 shown]
	v_add_nc_u32_e32 v40, v40, v41
	ds_swizzle_b32 v41, v40 offset:swizzle(BROADCAST,32,15)
	s_waitcnt lgkmcnt(0)
	v_cndmask_b32_e64 v41, v41, 0, s7
	v_add_nc_u32_e32 v40, v40, v41
	ds_write_b32 v39, v40
.LBB576_33:
	s_or_b32 exec_lo, exec_lo, s27
	v_mov_b32_e32 v39, 0
	s_waitcnt lgkmcnt(0)
	s_barrier
	buffer_gl0_inv
	s_and_saveexec_b32 s1, s8
; %bb.34:
	v_lshl_add_u32 v38, v38, 2, -4
	ds_read_b32 v39, v38
; %bb.35:
	s_or_b32 exec_lo, exec_lo, s1
	v_sub_co_u32 v38, vcc_lo, v11, 1
	s_waitcnt lgkmcnt(0)
	v_add_nc_u32_e32 v37, v39, v37
	v_cmp_gt_i32_e64 s1, 0, v38
	v_cndmask_b32_e64 v38, v38, v11, s1
	v_cmp_gt_u32_e64 s1, 0x100, v0
	v_lshlrev_b32_e32 v38, 2, v38
	ds_bpermute_b32 v37, v38, v37
	s_waitcnt lgkmcnt(0)
	v_cndmask_b32_e32 v37, v37, v39, vcc_lo
	v_cmp_lt_u32_e32 vcc_lo, 0xff, v0
	v_cndmask_b32_e64 v37, v37, 0, s0
	v_add_nc_u32_e32 v9, v37, v9
	v_add_nc_u32_e32 v10, v9, v10
	;; [unrolled: 1-line block ×8, first 2 shown]
	ds_write2_b32 v16, v37, v9 offset0:32 offset1:33
	ds_write2_b32 v16, v10, v7 offset0:34 offset1:35
	;; [unrolled: 1-line block ×4, first 2 shown]
	ds_write_b32 v16, v4 offset:160
	s_waitcnt lgkmcnt(0)
	s_barrier
	buffer_gl0_inv
	ds_read_b32 v7, v17 offset:128
	ds_read_b32 v8, v21 offset:128
	;; [unrolled: 1-line block ×6, first 2 shown]
                                        ; implicit-def: $vgpr9
                                        ; implicit-def: $vgpr10
	s_and_saveexec_b32 s3, s1
	s_cbranch_execz .LBB576_39
; %bb.36:
	v_mul_u32_u24_e32 v9, 0x84, v0
	v_add_nc_u32_e32 v16, 1, v0
	v_mov_b32_e32 v10, 0x1800
	s_mov_b32 s7, exec_lo
	ds_read_b32 v9, v9 offset:128
	v_cmpx_ne_u32_e32 0x100, v16
; %bb.37:
	v_mul_u32_u24_e32 v10, 0x84, v16
	ds_read_b32 v10, v10 offset:128
; %bb.38:
	s_or_b32 exec_lo, exec_lo, s7
	s_waitcnt lgkmcnt(0)
	v_sub_nc_u32_e32 v10, v10, v9
.LBB576_39:
	s_or_b32 exec_lo, exec_lo, s3
	v_lshlrev_b32_e32 v15, 2, v15
	s_waitcnt lgkmcnt(4)
	v_lshlrev_b32_e32 v8, 2, v8
	v_lshlrev_b32_e32 v16, 2, v20
	;; [unrolled: 1-line block ×3, first 2 shown]
	s_waitcnt lgkmcnt(0)
	v_lshl_add_u32 v7, v7, 2, v15
	s_barrier
	buffer_gl0_inv
	v_lshlrev_b32_e32 v6, 2, v6
	v_add3_u32 v8, v8, v16, v17
	ds_write_b32 v7, v13 offset:1024
	v_lshlrev_b32_e32 v7, 2, v24
	v_lshlrev_b32_e32 v13, 2, v23
	;; [unrolled: 1-line block ×11, first 2 shown]
	v_add3_u32 v6, v6, v7, v13
	v_add3_u32 v7, v4, v17, v19
	v_mov_b32_e32 v4, 0
	v_lshlrev_b32_e32 v13, 2, v0
	v_add3_u32 v5, v5, v15, v16
	v_add3_u32 v3, v3, v20, v21
	ds_write_b32 v8, v14 offset:1024
	ds_write_b32 v6, v18 offset:1024
	;; [unrolled: 1-line block ×5, first 2 shown]
	s_and_saveexec_b32 s2, s1
	s_cbranch_execz .LBB576_49
; %bb.40:
	v_lshl_add_u32 v3, s23, 8, v0
	v_mov_b32_e32 v14, 0
	s_mov_b32 s3, 0
	s_mov_b32 s7, s23
	v_lshlrev_b64 v[5:6], 2, v[3:4]
	v_or_b32_e32 v3, 2.0, v10
	v_add_co_u32 v5, s1, s10, v5
	v_add_co_ci_u32_e64 v6, null, s11, v6, s1
                                        ; implicit-def: $sgpr1
	global_store_dword v[5:6], v3, off
	s_branch .LBB576_43
	.p2align	6
.LBB576_41:                             ;   in Loop: Header=BB576_43 Depth=1
	s_or_b32 exec_lo, exec_lo, s9
.LBB576_42:                             ;   in Loop: Header=BB576_43 Depth=1
	s_or_b32 exec_lo, exec_lo, s8
	v_and_b32_e32 v7, 0x3fffffff, v3
	v_cmp_gt_i32_e64 s1, -2.0, v3
	v_add_nc_u32_e32 v14, v7, v14
	s_and_b32 s8, exec_lo, s1
	s_or_b32 s3, s8, s3
	s_andn2_b32 exec_lo, exec_lo, s3
	s_cbranch_execz .LBB576_48
.LBB576_43:                             ; =>This Loop Header: Depth=1
                                        ;     Child Loop BB576_46 Depth 2
	s_or_b32 s1, s1, exec_lo
	s_cmp_eq_u32 s7, 0
	s_cbranch_scc1 .LBB576_47
; %bb.44:                               ;   in Loop: Header=BB576_43 Depth=1
	s_add_i32 s7, s7, -1
	s_mov_b32 s8, exec_lo
	v_lshl_or_b32 v3, s7, 8, v0
	v_lshlrev_b64 v[7:8], 2, v[3:4]
	v_add_co_u32 v7, s1, s10, v7
	v_add_co_ci_u32_e64 v8, null, s11, v8, s1
	global_load_dword v3, v[7:8], off glc dlc
	s_waitcnt vmcnt(0)
	v_cmpx_gt_u32_e32 2.0, v3
	s_cbranch_execz .LBB576_42
; %bb.45:                               ;   in Loop: Header=BB576_43 Depth=1
	s_mov_b32 s9, 0
.LBB576_46:                             ;   Parent Loop BB576_43 Depth=1
                                        ; =>  This Inner Loop Header: Depth=2
	global_load_dword v3, v[7:8], off glc dlc
	s_waitcnt vmcnt(0)
	v_cmp_lt_u32_e64 s1, 0x3fffffff, v3
	s_or_b32 s9, s1, s9
	s_andn2_b32 exec_lo, exec_lo, s9
	s_cbranch_execnz .LBB576_46
	s_branch .LBB576_41
.LBB576_47:                             ;   in Loop: Header=BB576_43 Depth=1
                                        ; implicit-def: $sgpr7
	s_and_b32 s8, exec_lo, s1
	s_or_b32 s3, s8, s3
	s_andn2_b32 exec_lo, exec_lo, s3
	s_cbranch_execnz .LBB576_43
.LBB576_48:
	s_or_b32 exec_lo, exec_lo, s3
	v_add_nc_u32_e32 v3, v14, v10
	v_sub_nc_u32_e32 v4, v14, v9
	v_or_b32_e32 v3, 0x80000000, v3
	global_store_dword v[5:6], v3, off
	global_load_dword v3, v13, s[12:13]
	s_waitcnt vmcnt(0)
	v_add_nc_u32_e32 v3, v4, v3
	ds_write_b32 v13, v3
.LBB576_49:
	s_or_b32 exec_lo, exec_lo, s2
	s_mov_b32 s2, exec_lo
	s_waitcnt lgkmcnt(0)
	s_waitcnt_vscnt null, 0x0
	s_barrier
	buffer_gl0_inv
	v_cmpx_gt_u32_e64 s22, v0
	s_cbranch_execz .LBB576_51
; %bb.50:
	ds_read_b32 v5, v13 offset:1024
	v_mov_b32_e32 v4, 0
	s_waitcnt lgkmcnt(0)
	v_cmp_ne_u32_e64 s1, 0x7fffffff, v5
	v_cndmask_b32_e64 v3, 0x80000000, v5, s1
	v_cmp_lt_i32_e64 s1, -1, v5
	v_lshrrev_b32_e32 v3, s20, v3
	v_cndmask_b32_e64 v6, 0x80000000, -1, s1
	v_and_b32_e32 v3, s26, v3
	v_xor_b32_e32 v5, v6, v5
	v_lshlrev_b32_e32 v3, 2, v3
	ds_read_b32 v3, v3
	s_waitcnt lgkmcnt(0)
	v_add_nc_u32_e32 v3, v3, v0
	v_lshlrev_b64 v[3:4], 2, v[3:4]
	v_add_co_u32 v3, s1, s18, v3
	v_add_co_ci_u32_e64 v4, null, s19, v4, s1
	global_store_dword v[3:4], v5, off
.LBB576_51:
	s_or_b32 exec_lo, exec_lo, s2
	v_or_b32_e32 v3, 0x400, v0
	s_mov_b32 s2, exec_lo
	v_cmpx_gt_u32_e64 s22, v3
	s_cbranch_execz .LBB576_53
; %bb.52:
	ds_read_b32 v5, v13 offset:5120
	s_waitcnt lgkmcnt(0)
	v_cmp_ne_u32_e64 s1, 0x7fffffff, v5
	v_cndmask_b32_e64 v4, 0x80000000, v5, s1
	v_cmp_lt_i32_e64 s1, -1, v5
	v_lshrrev_b32_e32 v4, s20, v4
	v_and_b32_e32 v4, s26, v4
	v_lshlrev_b32_e32 v4, 2, v4
	ds_read_b32 v6, v4
	v_mov_b32_e32 v4, 0
	s_waitcnt lgkmcnt(0)
	v_add_nc_u32_e32 v3, v6, v3
	v_cndmask_b32_e64 v6, 0x80000000, -1, s1
	v_lshlrev_b64 v[3:4], 2, v[3:4]
	v_xor_b32_e32 v5, v6, v5
	v_add_co_u32 v3, s1, s18, v3
	v_add_co_ci_u32_e64 v4, null, s19, v4, s1
	global_store_dword v[3:4], v5, off
.LBB576_53:
	s_or_b32 exec_lo, exec_lo, s2
	v_or_b32_e32 v3, 0x800, v0
	s_mov_b32 s2, exec_lo
	v_cmpx_gt_u32_e64 s22, v3
	s_cbranch_execz .LBB576_55
; %bb.54:
	ds_read_b32 v5, v13 offset:9216
	s_waitcnt lgkmcnt(0)
	v_cmp_ne_u32_e64 s1, 0x7fffffff, v5
	v_cndmask_b32_e64 v4, 0x80000000, v5, s1
	v_cmp_lt_i32_e64 s1, -1, v5
	v_lshrrev_b32_e32 v4, s20, v4
	v_and_b32_e32 v4, s26, v4
	v_lshlrev_b32_e32 v4, 2, v4
	ds_read_b32 v6, v4
	v_mov_b32_e32 v4, 0
	s_waitcnt lgkmcnt(0)
	v_add_nc_u32_e32 v3, v6, v3
	v_cndmask_b32_e64 v6, 0x80000000, -1, s1
	v_lshlrev_b64 v[3:4], 2, v[3:4]
	v_xor_b32_e32 v5, v6, v5
	v_add_co_u32 v3, s1, s18, v3
	v_add_co_ci_u32_e64 v4, null, s19, v4, s1
	global_store_dword v[3:4], v5, off
.LBB576_55:
	;; [unrolled: 25-line block ×5, first 2 shown]
	s_or_b32 exec_lo, exec_lo, s2
	s_add_i32 s25, s25, -1
	s_cmp_eq_u32 s23, s25
	s_cselect_b32 s1, -1, 0
	s_xor_b32 s2, vcc_lo, -1
	s_and_b32 s2, s2, s1
	s_and_saveexec_b32 s1, s2
	s_cbranch_execz .LBB576_63
; %bb.62:
	ds_read_b32 v3, v13
	s_waitcnt lgkmcnt(0)
	v_add3_u32 v3, v9, v10, v3
	global_store_dword v13, v3, s[14:15]
.LBB576_63:
	s_or_b32 exec_lo, exec_lo, s1
	s_mov_b32 s2, 0
.LBB576_64:
	s_and_b32 vcc_lo, exec_lo, s2
	s_cbranch_vccz .LBB576_99
; %bb.65:
	s_mov_b32 s25, 0
	v_mul_u32_u24_e32 v3, 6, v12
	v_lshlrev_b32_e32 v4, 2, v11
	s_lshl_b64 s[2:3], s[24:25], 2
	v_mov_b32_e32 v14, 0
	s_add_u32 s1, s16, s2
	s_addc_u32 s2, s17, s3
	v_lshlrev_b32_e32 v3, 2, v3
	v_add_co_u32 v4, s1, s1, v4
	v_add_co_ci_u32_e64 v5, null, s2, 0, s1
	s_add_u32 s2, s4, 0x58
	v_add_co_u32 v8, vcc_lo, v4, v3
	v_add_co_ci_u32_e64 v9, null, 0, v5, vcc_lo
	s_addc_u32 s3, s5, 0
	global_load_dword v10, v[8:9], off
	s_clause 0x1
	s_load_dword s1, s[4:5], 0x64
	s_load_dword s7, s[4:5], 0x58
	s_waitcnt lgkmcnt(0)
	s_lshr_b32 s4, s1, 16
	s_cmp_lt_u32 s6, s7
	v_mad_u32_u24 v1, v2, s4, v1
	s_cselect_b32 s1, 12, 18
	s_add_u32 s2, s2, s1
	s_addc_u32 s3, s3, 0
	global_load_ushort v12, v14, s[2:3]
	s_clause 0x4
	global_load_dword v7, v[8:9], off offset:128
	global_load_dword v6, v[8:9], off offset:256
	;; [unrolled: 1-line block ×5, first 2 shown]
	s_lshl_b32 s1, -1, s21
	s_not_b32 s8, s1
	s_waitcnt vmcnt(6)
	v_cmp_lt_i32_e32 vcc_lo, -1, v10
	v_cndmask_b32_e64 v8, -1, 0x80000000, vcc_lo
	v_xor_b32_e32 v9, v8, v10
	v_cmp_ne_u32_e32 vcc_lo, 0x7fffffff, v9
	v_cndmask_b32_e32 v8, 0x80000000, v9, vcc_lo
	s_waitcnt vmcnt(5)
	v_mad_u64_u32 v[1:2], null, v1, v12, v[0:1]
	v_lshrrev_b32_e32 v8, s20, v8
	v_and_b32_e32 v8, s8, v8
	v_lshrrev_b32_e32 v1, 3, v1
	v_and_b32_e32 v10, 1, v8
	v_lshlrev_b32_e32 v13, 30, v8
	v_lshlrev_b32_e32 v15, 29, v8
	;; [unrolled: 1-line block ×4, first 2 shown]
	v_add_co_u32 v10, s1, v10, -1
	v_cndmask_b32_e64 v17, 0, 1, s1
	v_not_b32_e32 v21, v13
	v_cmp_gt_i32_e64 s1, 0, v13
	v_not_b32_e32 v13, v15
	v_lshlrev_b32_e32 v19, 26, v8
	v_cmp_ne_u32_e32 vcc_lo, 0, v17
	v_ashrrev_i32_e32 v21, 31, v21
	v_lshlrev_b32_e32 v20, 25, v8
	v_ashrrev_i32_e32 v13, 31, v13
	v_lshlrev_b32_e32 v17, 24, v8
	v_xor_b32_e32 v10, vcc_lo, v10
	v_cmp_gt_i32_e32 vcc_lo, 0, v15
	v_not_b32_e32 v15, v16
	v_xor_b32_e32 v21, s1, v21
	v_cmp_gt_i32_e64 s1, 0, v16
	v_and_b32_e32 v10, exec_lo, v10
	v_not_b32_e32 v16, v18
	v_ashrrev_i32_e32 v15, 31, v15
	v_xor_b32_e32 v13, vcc_lo, v13
	v_cmp_gt_i32_e32 vcc_lo, 0, v18
	v_and_b32_e32 v10, v10, v21
	v_not_b32_e32 v18, v19
	v_ashrrev_i32_e32 v16, 31, v16
	v_xor_b32_e32 v15, s1, v15
	v_cmp_gt_i32_e64 s1, 0, v19
	v_and_b32_e32 v10, v10, v13
	v_not_b32_e32 v13, v20
	v_ashrrev_i32_e32 v18, 31, v18
	v_xor_b32_e32 v16, vcc_lo, v16
	v_cmp_gt_i32_e32 vcc_lo, 0, v20
	v_and_b32_e32 v10, v10, v15
	v_not_b32_e32 v15, v17
	v_ashrrev_i32_e32 v13, 31, v13
	v_xor_b32_e32 v18, s1, v18
	v_cmp_gt_i32_e64 s1, 0, v17
	v_and_b32_e32 v10, v10, v16
	v_ashrrev_i32_e32 v15, 31, v15
	v_xor_b32_e32 v16, vcc_lo, v13
	v_mul_lo_u32 v8, 0x84, v8
	v_mul_u32_u24_e32 v13, 36, v0
	v_and_b32_e32 v10, v10, v18
	v_xor_b32_e32 v2, s1, v15
	v_and_b32_e32 v1, 0x1ffffffc, v1
	ds_write2_b32 v13, v14, v14 offset0:32 offset1:33
	v_and_b32_e32 v10, v10, v16
	ds_write2_b32 v13, v14, v14 offset0:34 offset1:35
	ds_write2_b32 v13, v14, v14 offset0:36 offset1:37
	;; [unrolled: 1-line block ×3, first 2 shown]
	ds_write_b32 v13, v14 offset:160
	v_add_nc_u32_e32 v14, v1, v8
	s_waitcnt vmcnt(0) lgkmcnt(0)
	s_waitcnt_vscnt null, 0x0
	v_and_b32_e32 v2, v10, v2
	s_barrier
	buffer_gl0_inv
	; wave barrier
	v_mbcnt_lo_u32_b32 v12, v2, 0
	v_cmp_ne_u32_e64 s1, 0, v2
	v_cmp_eq_u32_e32 vcc_lo, 0, v12
	s_and_b32 s2, s1, vcc_lo
	s_and_saveexec_b32 s1, s2
; %bb.66:
	v_bcnt_u32_b32 v2, v2, 0
	ds_write_b32 v14, v2 offset:128
; %bb.67:
	s_or_b32 exec_lo, exec_lo, s1
	v_cmp_lt_i32_e32 vcc_lo, -1, v7
	; wave barrier
	v_cndmask_b32_e64 v2, -1, 0x80000000, vcc_lo
	v_xor_b32_e32 v10, v2, v7
	v_cmp_ne_u32_e32 vcc_lo, 0x7fffffff, v10
	v_cndmask_b32_e32 v2, 0x80000000, v10, vcc_lo
	v_lshrrev_b32_e32 v2, s20, v2
	v_and_b32_e32 v2, s8, v2
	v_and_b32_e32 v8, 1, v2
	v_lshlrev_b32_e32 v15, 30, v2
	v_lshlrev_b32_e32 v16, 29, v2
	;; [unrolled: 1-line block ×4, first 2 shown]
	v_add_co_u32 v8, s1, v8, -1
	v_cndmask_b32_e64 v18, 0, 1, s1
	v_not_b32_e32 v22, v15
	v_cmp_gt_i32_e64 s1, 0, v15
	v_not_b32_e32 v15, v16
	v_lshlrev_b32_e32 v20, 26, v2
	v_cmp_ne_u32_e32 vcc_lo, 0, v18
	v_ashrrev_i32_e32 v18, 31, v22
	v_lshlrev_b32_e32 v21, 25, v2
	v_ashrrev_i32_e32 v15, 31, v15
	v_mul_lo_u32 v7, 0x84, v2
	v_xor_b32_e32 v8, vcc_lo, v8
	v_cmp_gt_i32_e32 vcc_lo, 0, v16
	v_not_b32_e32 v16, v17
	v_xor_b32_e32 v18, s1, v18
	v_cmp_gt_i32_e64 s1, 0, v17
	v_and_b32_e32 v8, exec_lo, v8
	v_not_b32_e32 v17, v19
	v_ashrrev_i32_e32 v16, 31, v16
	v_xor_b32_e32 v15, vcc_lo, v15
	v_cmp_gt_i32_e32 vcc_lo, 0, v19
	v_and_b32_e32 v8, v8, v18
	v_not_b32_e32 v18, v20
	v_ashrrev_i32_e32 v17, 31, v17
	v_xor_b32_e32 v16, s1, v16
	v_lshlrev_b32_e32 v2, 24, v2
	v_and_b32_e32 v8, v8, v15
	v_cmp_gt_i32_e64 s1, 0, v20
	v_not_b32_e32 v15, v21
	v_ashrrev_i32_e32 v18, 31, v18
	v_xor_b32_e32 v17, vcc_lo, v17
	v_and_b32_e32 v8, v8, v16
	v_cmp_gt_i32_e32 vcc_lo, 0, v21
	v_not_b32_e32 v16, v2
	v_ashrrev_i32_e32 v15, 31, v15
	v_xor_b32_e32 v18, s1, v18
	v_and_b32_e32 v8, v8, v17
	v_cmp_gt_i32_e64 s1, 0, v2
	v_ashrrev_i32_e32 v2, 31, v16
	v_xor_b32_e32 v15, vcc_lo, v15
	v_and_b32_e32 v8, v8, v18
	v_add_nc_u32_e32 v18, v1, v7
	v_xor_b32_e32 v2, s1, v2
	v_and_b32_e32 v7, v8, v15
	ds_read_b32 v16, v18 offset:128
	; wave barrier
	v_and_b32_e32 v2, v7, v2
	v_mbcnt_lo_u32_b32 v17, v2, 0
	v_cmp_ne_u32_e64 s1, 0, v2
	v_cmp_eq_u32_e32 vcc_lo, 0, v17
	s_and_b32 s2, s1, vcc_lo
	s_and_saveexec_b32 s1, s2
	s_cbranch_execz .LBB576_69
; %bb.68:
	s_waitcnt lgkmcnt(0)
	v_bcnt_u32_b32 v2, v2, v16
	ds_write_b32 v18, v2 offset:128
.LBB576_69:
	s_or_b32 exec_lo, exec_lo, s1
	v_cmp_lt_i32_e32 vcc_lo, -1, v6
	; wave barrier
	v_cndmask_b32_e64 v2, -1, 0x80000000, vcc_lo
	v_xor_b32_e32 v15, v2, v6
	v_cmp_ne_u32_e32 vcc_lo, 0x7fffffff, v15
	v_cndmask_b32_e32 v2, 0x80000000, v15, vcc_lo
	v_lshrrev_b32_e32 v2, s20, v2
	v_and_b32_e32 v2, s8, v2
	v_and_b32_e32 v7, 1, v2
	v_lshlrev_b32_e32 v8, 30, v2
	v_lshlrev_b32_e32 v19, 29, v2
	;; [unrolled: 1-line block ×4, first 2 shown]
	v_add_co_u32 v7, s1, v7, -1
	v_cndmask_b32_e64 v21, 0, 1, s1
	v_not_b32_e32 v25, v8
	v_cmp_gt_i32_e64 s1, 0, v8
	v_not_b32_e32 v8, v19
	v_lshlrev_b32_e32 v23, 26, v2
	v_cmp_ne_u32_e32 vcc_lo, 0, v21
	v_ashrrev_i32_e32 v21, 31, v25
	v_lshlrev_b32_e32 v24, 25, v2
	v_ashrrev_i32_e32 v8, 31, v8
	v_mul_lo_u32 v6, 0x84, v2
	v_xor_b32_e32 v7, vcc_lo, v7
	v_cmp_gt_i32_e32 vcc_lo, 0, v19
	v_not_b32_e32 v19, v20
	v_xor_b32_e32 v21, s1, v21
	v_cmp_gt_i32_e64 s1, 0, v20
	v_and_b32_e32 v7, exec_lo, v7
	v_not_b32_e32 v20, v22
	v_ashrrev_i32_e32 v19, 31, v19
	v_xor_b32_e32 v8, vcc_lo, v8
	v_cmp_gt_i32_e32 vcc_lo, 0, v22
	v_and_b32_e32 v7, v7, v21
	v_not_b32_e32 v21, v23
	v_ashrrev_i32_e32 v20, 31, v20
	v_xor_b32_e32 v19, s1, v19
	v_lshlrev_b32_e32 v2, 24, v2
	v_and_b32_e32 v7, v7, v8
	v_cmp_gt_i32_e64 s1, 0, v23
	v_not_b32_e32 v8, v24
	v_ashrrev_i32_e32 v21, 31, v21
	v_xor_b32_e32 v20, vcc_lo, v20
	v_and_b32_e32 v7, v7, v19
	v_cmp_gt_i32_e32 vcc_lo, 0, v24
	v_not_b32_e32 v19, v2
	v_ashrrev_i32_e32 v8, 31, v8
	v_xor_b32_e32 v21, s1, v21
	v_and_b32_e32 v7, v7, v20
	v_cmp_gt_i32_e64 s1, 0, v2
	v_ashrrev_i32_e32 v2, 31, v19
	v_xor_b32_e32 v8, vcc_lo, v8
	v_add_nc_u32_e32 v22, v1, v6
	v_and_b32_e32 v7, v7, v21
	v_xor_b32_e32 v2, s1, v2
	ds_read_b32 v19, v22 offset:128
	v_and_b32_e32 v6, v7, v8
	; wave barrier
	v_and_b32_e32 v2, v6, v2
	v_mbcnt_lo_u32_b32 v21, v2, 0
	v_cmp_ne_u32_e64 s1, 0, v2
	v_cmp_eq_u32_e32 vcc_lo, 0, v21
	s_and_b32 s2, s1, vcc_lo
	s_and_saveexec_b32 s1, s2
	s_cbranch_execz .LBB576_71
; %bb.70:
	s_waitcnt lgkmcnt(0)
	v_bcnt_u32_b32 v2, v2, v19
	ds_write_b32 v22, v2 offset:128
.LBB576_71:
	s_or_b32 exec_lo, exec_lo, s1
	v_cmp_lt_i32_e32 vcc_lo, -1, v5
	; wave barrier
	v_cndmask_b32_e64 v2, -1, 0x80000000, vcc_lo
	v_xor_b32_e32 v20, v2, v5
	v_cmp_ne_u32_e32 vcc_lo, 0x7fffffff, v20
	v_cndmask_b32_e32 v2, 0x80000000, v20, vcc_lo
	v_lshrrev_b32_e32 v2, s20, v2
	v_and_b32_e32 v2, s8, v2
	v_and_b32_e32 v6, 1, v2
	v_lshlrev_b32_e32 v7, 30, v2
	v_lshlrev_b32_e32 v8, 29, v2
	;; [unrolled: 1-line block ×4, first 2 shown]
	v_add_co_u32 v6, s1, v6, -1
	v_cndmask_b32_e64 v24, 0, 1, s1
	v_not_b32_e32 v28, v7
	v_cmp_gt_i32_e64 s1, 0, v7
	v_not_b32_e32 v7, v8
	v_lshlrev_b32_e32 v26, 26, v2
	v_cmp_ne_u32_e32 vcc_lo, 0, v24
	v_ashrrev_i32_e32 v24, 31, v28
	v_lshlrev_b32_e32 v27, 25, v2
	v_ashrrev_i32_e32 v7, 31, v7
	v_mul_lo_u32 v5, 0x84, v2
	v_xor_b32_e32 v6, vcc_lo, v6
	v_cmp_gt_i32_e32 vcc_lo, 0, v8
	v_not_b32_e32 v8, v23
	v_xor_b32_e32 v24, s1, v24
	v_cmp_gt_i32_e64 s1, 0, v23
	v_and_b32_e32 v6, exec_lo, v6
	v_not_b32_e32 v23, v25
	v_ashrrev_i32_e32 v8, 31, v8
	v_xor_b32_e32 v7, vcc_lo, v7
	v_cmp_gt_i32_e32 vcc_lo, 0, v25
	v_and_b32_e32 v6, v6, v24
	v_not_b32_e32 v24, v26
	v_ashrrev_i32_e32 v23, 31, v23
	v_xor_b32_e32 v8, s1, v8
	v_lshlrev_b32_e32 v2, 24, v2
	v_and_b32_e32 v6, v6, v7
	v_cmp_gt_i32_e64 s1, 0, v26
	v_not_b32_e32 v7, v27
	v_ashrrev_i32_e32 v24, 31, v24
	v_xor_b32_e32 v23, vcc_lo, v23
	v_and_b32_e32 v6, v6, v8
	v_cmp_gt_i32_e32 vcc_lo, 0, v27
	v_not_b32_e32 v8, v2
	v_ashrrev_i32_e32 v7, 31, v7
	v_xor_b32_e32 v24, s1, v24
	v_and_b32_e32 v6, v6, v23
	v_cmp_gt_i32_e64 s1, 0, v2
	v_ashrrev_i32_e32 v2, 31, v8
	v_xor_b32_e32 v7, vcc_lo, v7
	v_add_nc_u32_e32 v27, v1, v5
	v_and_b32_e32 v6, v6, v24
	v_xor_b32_e32 v2, s1, v2
	ds_read_b32 v24, v27 offset:128
	v_and_b32_e32 v5, v6, v7
	; wave barrier
	v_and_b32_e32 v2, v5, v2
	v_mbcnt_lo_u32_b32 v26, v2, 0
	v_cmp_ne_u32_e64 s1, 0, v2
	v_cmp_eq_u32_e32 vcc_lo, 0, v26
	s_and_b32 s2, s1, vcc_lo
	s_and_saveexec_b32 s1, s2
	s_cbranch_execz .LBB576_73
; %bb.72:
	s_waitcnt lgkmcnt(0)
	v_bcnt_u32_b32 v2, v2, v24
	ds_write_b32 v27, v2 offset:128
.LBB576_73:
	s_or_b32 exec_lo, exec_lo, s1
	v_cmp_lt_i32_e32 vcc_lo, -1, v4
	; wave barrier
	v_cndmask_b32_e64 v2, -1, 0x80000000, vcc_lo
	v_xor_b32_e32 v25, v2, v4
	v_cmp_ne_u32_e32 vcc_lo, 0x7fffffff, v25
	v_cndmask_b32_e32 v2, 0x80000000, v25, vcc_lo
	v_lshrrev_b32_e32 v2, s20, v2
	v_and_b32_e32 v2, s8, v2
	v_and_b32_e32 v5, 1, v2
	v_lshlrev_b32_e32 v6, 30, v2
	v_lshlrev_b32_e32 v7, 29, v2
	;; [unrolled: 1-line block ×4, first 2 shown]
	v_add_co_u32 v5, s1, v5, -1
	v_cndmask_b32_e64 v23, 0, 1, s1
	v_not_b32_e32 v31, v6
	v_cmp_gt_i32_e64 s1, 0, v6
	v_not_b32_e32 v6, v7
	v_lshlrev_b32_e32 v29, 26, v2
	v_cmp_ne_u32_e32 vcc_lo, 0, v23
	v_ashrrev_i32_e32 v23, 31, v31
	v_lshlrev_b32_e32 v30, 25, v2
	v_ashrrev_i32_e32 v6, 31, v6
	v_mul_lo_u32 v4, 0x84, v2
	v_xor_b32_e32 v5, vcc_lo, v5
	v_cmp_gt_i32_e32 vcc_lo, 0, v7
	v_not_b32_e32 v7, v8
	v_xor_b32_e32 v23, s1, v23
	v_cmp_gt_i32_e64 s1, 0, v8
	v_and_b32_e32 v5, exec_lo, v5
	v_not_b32_e32 v8, v28
	v_ashrrev_i32_e32 v7, 31, v7
	v_xor_b32_e32 v6, vcc_lo, v6
	v_cmp_gt_i32_e32 vcc_lo, 0, v28
	v_and_b32_e32 v5, v5, v23
	v_not_b32_e32 v23, v29
	v_ashrrev_i32_e32 v8, 31, v8
	v_xor_b32_e32 v7, s1, v7
	v_lshlrev_b32_e32 v2, 24, v2
	v_and_b32_e32 v5, v5, v6
	v_cmp_gt_i32_e64 s1, 0, v29
	v_not_b32_e32 v6, v30
	v_ashrrev_i32_e32 v23, 31, v23
	v_xor_b32_e32 v8, vcc_lo, v8
	v_and_b32_e32 v5, v5, v7
	v_cmp_gt_i32_e32 vcc_lo, 0, v30
	v_not_b32_e32 v7, v2
	v_ashrrev_i32_e32 v6, 31, v6
	v_xor_b32_e32 v23, s1, v23
	v_and_b32_e32 v5, v5, v8
	v_cmp_gt_i32_e64 s1, 0, v2
	v_ashrrev_i32_e32 v2, 31, v7
	v_xor_b32_e32 v6, vcc_lo, v6
	v_add_nc_u32_e32 v31, v1, v4
	v_and_b32_e32 v5, v5, v23
	v_xor_b32_e32 v2, s1, v2
	ds_read_b32 v28, v31 offset:128
	v_and_b32_e32 v4, v5, v6
	; wave barrier
	v_and_b32_e32 v2, v4, v2
	v_mbcnt_lo_u32_b32 v29, v2, 0
	v_cmp_ne_u32_e64 s1, 0, v2
	v_cmp_eq_u32_e32 vcc_lo, 0, v29
	s_and_b32 s2, s1, vcc_lo
	s_and_saveexec_b32 s1, s2
	s_cbranch_execz .LBB576_75
; %bb.74:
	s_waitcnt lgkmcnt(0)
	v_bcnt_u32_b32 v2, v2, v28
	ds_write_b32 v31, v2 offset:128
.LBB576_75:
	s_or_b32 exec_lo, exec_lo, s1
	v_cmp_lt_i32_e32 vcc_lo, -1, v3
	; wave barrier
	v_cndmask_b32_e64 v2, -1, 0x80000000, vcc_lo
	v_xor_b32_e32 v30, v2, v3
	v_cmp_ne_u32_e32 vcc_lo, 0x7fffffff, v30
	v_cndmask_b32_e32 v2, 0x80000000, v30, vcc_lo
	v_lshrrev_b32_e32 v2, s20, v2
	v_and_b32_e32 v2, s8, v2
	v_and_b32_e32 v4, 1, v2
	v_lshlrev_b32_e32 v5, 30, v2
	v_lshlrev_b32_e32 v6, 29, v2
	;; [unrolled: 1-line block ×4, first 2 shown]
	v_add_co_u32 v4, s1, v4, -1
	v_cndmask_b32_e64 v8, 0, 1, s1
	v_not_b32_e32 v34, v5
	v_cmp_gt_i32_e64 s1, 0, v5
	v_not_b32_e32 v5, v6
	v_lshlrev_b32_e32 v32, 26, v2
	v_cmp_ne_u32_e32 vcc_lo, 0, v8
	v_ashrrev_i32_e32 v8, 31, v34
	v_lshlrev_b32_e32 v33, 25, v2
	v_ashrrev_i32_e32 v5, 31, v5
	v_mul_lo_u32 v3, 0x84, v2
	v_xor_b32_e32 v4, vcc_lo, v4
	v_cmp_gt_i32_e32 vcc_lo, 0, v6
	v_not_b32_e32 v6, v7
	v_xor_b32_e32 v8, s1, v8
	v_cmp_gt_i32_e64 s1, 0, v7
	v_and_b32_e32 v4, exec_lo, v4
	v_not_b32_e32 v7, v23
	v_ashrrev_i32_e32 v6, 31, v6
	v_xor_b32_e32 v5, vcc_lo, v5
	v_cmp_gt_i32_e32 vcc_lo, 0, v23
	v_and_b32_e32 v4, v4, v8
	v_not_b32_e32 v8, v32
	v_ashrrev_i32_e32 v7, 31, v7
	v_xor_b32_e32 v6, s1, v6
	v_lshlrev_b32_e32 v2, 24, v2
	v_and_b32_e32 v4, v4, v5
	v_cmp_gt_i32_e64 s1, 0, v32
	v_not_b32_e32 v5, v33
	v_ashrrev_i32_e32 v8, 31, v8
	v_xor_b32_e32 v7, vcc_lo, v7
	v_and_b32_e32 v4, v4, v6
	v_cmp_gt_i32_e32 vcc_lo, 0, v33
	v_not_b32_e32 v6, v2
	v_ashrrev_i32_e32 v5, 31, v5
	v_xor_b32_e32 v8, s1, v8
	v_and_b32_e32 v4, v4, v7
	v_cmp_gt_i32_e64 s1, 0, v2
	v_ashrrev_i32_e32 v2, 31, v6
	v_xor_b32_e32 v5, vcc_lo, v5
	v_add_nc_u32_e32 v34, v1, v3
	v_and_b32_e32 v4, v4, v8
	v_xor_b32_e32 v1, s1, v2
	ds_read_b32 v32, v34 offset:128
	v_and_b32_e32 v2, v4, v5
	; wave barrier
	v_and_b32_e32 v1, v2, v1
	v_mbcnt_lo_u32_b32 v33, v1, 0
	v_cmp_ne_u32_e64 s1, 0, v1
	v_cmp_eq_u32_e32 vcc_lo, 0, v33
	s_and_b32 s2, s1, vcc_lo
	s_and_saveexec_b32 s1, s2
	s_cbranch_execz .LBB576_77
; %bb.76:
	s_waitcnt lgkmcnt(0)
	v_bcnt_u32_b32 v1, v1, v32
	ds_write_b32 v34, v1 offset:128
.LBB576_77:
	s_or_b32 exec_lo, exec_lo, s1
	; wave barrier
	s_waitcnt lgkmcnt(0)
	s_barrier
	buffer_gl0_inv
	ds_read2_b32 v[7:8], v13 offset0:32 offset1:33
	ds_read2_b32 v[5:6], v13 offset0:34 offset1:35
	;; [unrolled: 1-line block ×4, first 2 shown]
	ds_read_b32 v23, v13 offset:160
	v_and_b32_e32 v37, 16, v11
	v_and_b32_e32 v38, 31, v0
	s_mov_b32 s6, exec_lo
	v_cmp_eq_u32_e64 s4, 0, v37
	s_waitcnt lgkmcnt(3)
	v_add3_u32 v35, v8, v7, v5
	s_waitcnt lgkmcnt(2)
	v_add3_u32 v35, v35, v6, v3
	;; [unrolled: 2-line block ×4, first 2 shown]
	v_and_b32_e32 v35, 15, v11
	v_mov_b32_dpp v36, v23 row_shr:1 row_mask:0xf bank_mask:0xf
	v_cmp_eq_u32_e32 vcc_lo, 0, v35
	v_cmp_lt_u32_e64 s1, 1, v35
	v_cmp_lt_u32_e64 s2, 3, v35
	;; [unrolled: 1-line block ×3, first 2 shown]
	v_cndmask_b32_e64 v36, v36, 0, vcc_lo
	v_add_nc_u32_e32 v23, v36, v23
	v_mov_b32_dpp v36, v23 row_shr:2 row_mask:0xf bank_mask:0xf
	v_cndmask_b32_e64 v36, 0, v36, s1
	v_add_nc_u32_e32 v23, v23, v36
	v_mov_b32_dpp v36, v23 row_shr:4 row_mask:0xf bank_mask:0xf
	v_cndmask_b32_e64 v36, 0, v36, s2
	;; [unrolled: 3-line block ×3, first 2 shown]
	v_bfe_i32 v36, v11, 4, 1
	v_add_nc_u32_e32 v23, v23, v35
	ds_swizzle_b32 v35, v23 offset:swizzle(BROADCAST,32,15)
	s_waitcnt lgkmcnt(0)
	v_and_b32_e32 v35, v36, v35
	v_lshrrev_b32_e32 v36, 5, v0
	v_add_nc_u32_e32 v35, v23, v35
	v_cmpx_eq_u32_e32 31, v38
; %bb.78:
	v_lshlrev_b32_e32 v23, 2, v36
	ds_write_b32 v23, v35
; %bb.79:
	s_or_b32 exec_lo, exec_lo, s6
	v_cmp_lt_u32_e64 s5, 31, v0
	v_lshlrev_b32_e32 v23, 2, v0
	s_mov_b32 s9, exec_lo
	s_waitcnt lgkmcnt(0)
	s_barrier
	buffer_gl0_inv
	v_cmpx_gt_u32_e32 32, v0
	s_cbranch_execz .LBB576_81
; %bb.80:
	ds_read_b32 v37, v23
	s_waitcnt lgkmcnt(0)
	v_mov_b32_dpp v38, v37 row_shr:1 row_mask:0xf bank_mask:0xf
	v_cndmask_b32_e64 v38, v38, 0, vcc_lo
	v_add_nc_u32_e32 v37, v38, v37
	v_mov_b32_dpp v38, v37 row_shr:2 row_mask:0xf bank_mask:0xf
	v_cndmask_b32_e64 v38, 0, v38, s1
	v_add_nc_u32_e32 v37, v37, v38
	v_mov_b32_dpp v38, v37 row_shr:4 row_mask:0xf bank_mask:0xf
	v_cndmask_b32_e64 v38, 0, v38, s2
	;; [unrolled: 3-line block ×3, first 2 shown]
	v_add_nc_u32_e32 v37, v37, v38
	ds_swizzle_b32 v38, v37 offset:swizzle(BROADCAST,32,15)
	s_waitcnt lgkmcnt(0)
	v_cndmask_b32_e64 v38, v38, 0, s4
	v_add_nc_u32_e32 v37, v37, v38
	ds_write_b32 v23, v37
.LBB576_81:
	s_or_b32 exec_lo, exec_lo, s9
	v_mov_b32_e32 v37, 0
	s_waitcnt lgkmcnt(0)
	s_barrier
	buffer_gl0_inv
	s_and_saveexec_b32 s1, s5
; %bb.82:
	v_lshl_add_u32 v36, v36, 2, -4
	ds_read_b32 v37, v36
; %bb.83:
	s_or_b32 exec_lo, exec_lo, s1
	v_sub_co_u32 v36, vcc_lo, v11, 1
	s_waitcnt lgkmcnt(0)
	v_add_nc_u32_e32 v35, v37, v35
	v_cmp_gt_i32_e64 s1, 0, v36
	v_cndmask_b32_e64 v11, v36, v11, s1
	v_lshlrev_b32_e32 v11, 2, v11
	ds_bpermute_b32 v11, v11, v35
	s_waitcnt lgkmcnt(0)
	v_cndmask_b32_e32 v11, v11, v37, vcc_lo
	v_cmp_lt_u32_e32 vcc_lo, 0xff, v0
	v_cndmask_b32_e64 v11, v11, 0, s0
	v_cmp_gt_u32_e64 s0, 0x100, v0
	v_add_nc_u32_e32 v7, v11, v7
	v_add_nc_u32_e32 v8, v7, v8
	;; [unrolled: 1-line block ×8, first 2 shown]
	ds_write2_b32 v13, v11, v7 offset0:32 offset1:33
	ds_write2_b32 v13, v8, v5 offset0:34 offset1:35
	;; [unrolled: 1-line block ×4, first 2 shown]
	ds_write_b32 v13, v2 offset:160
	s_waitcnt lgkmcnt(0)
	s_barrier
	buffer_gl0_inv
	ds_read_b32 v5, v14 offset:128
	ds_read_b32 v6, v18 offset:128
	;; [unrolled: 1-line block ×6, first 2 shown]
                                        ; implicit-def: $vgpr7
                                        ; implicit-def: $vgpr8
	s_and_saveexec_b32 s2, s0
	s_cbranch_execz .LBB576_87
; %bb.84:
	v_mul_u32_u24_e32 v7, 0x84, v0
	v_add_nc_u32_e32 v11, 1, v0
	v_mov_b32_e32 v8, 0x1800
	s_mov_b32 s3, exec_lo
	ds_read_b32 v7, v7 offset:128
	v_cmpx_ne_u32_e32 0x100, v11
; %bb.85:
	v_mul_u32_u24_e32 v8, 0x84, v11
	ds_read_b32 v8, v8 offset:128
; %bb.86:
	s_or_b32 exec_lo, exec_lo, s3
	s_waitcnt lgkmcnt(0)
	v_sub_nc_u32_e32 v8, v8, v7
.LBB576_87:
	s_or_b32 exec_lo, exec_lo, s2
	v_lshlrev_b32_e32 v11, 2, v12
	s_waitcnt lgkmcnt(4)
	v_lshlrev_b32_e32 v6, 2, v6
	v_lshlrev_b32_e32 v12, 2, v17
	;; [unrolled: 1-line block ×3, first 2 shown]
	s_waitcnt lgkmcnt(0)
	v_lshl_add_u32 v5, v5, 2, v11
	s_barrier
	buffer_gl0_inv
	v_lshlrev_b32_e32 v4, 2, v4
	v_add3_u32 v6, v6, v12, v13
	ds_write_b32 v5, v9 offset:1024
	v_lshlrev_b32_e32 v5, 2, v21
	v_lshlrev_b32_e32 v9, 2, v19
	;; [unrolled: 1-line block ×11, first 2 shown]
	v_add3_u32 v4, v4, v5, v9
	v_add3_u32 v5, v2, v13, v14
	v_mov_b32_e32 v2, 0
	v_add3_u32 v3, v3, v11, v12
	v_add3_u32 v1, v1, v16, v17
	ds_write_b32 v6, v10 offset:1024
	ds_write_b32 v4, v15 offset:1024
	;; [unrolled: 1-line block ×5, first 2 shown]
	s_and_saveexec_b32 s1, s0
	s_cbranch_execz .LBB576_97
; %bb.88:
	v_lshl_add_u32 v1, s23, 8, v0
	v_mov_b32_e32 v9, 0
	s_mov_b32 s2, 0
	s_mov_b32 s3, s23
	v_lshlrev_b64 v[3:4], 2, v[1:2]
	v_or_b32_e32 v1, 2.0, v8
	v_add_co_u32 v3, s0, s10, v3
	v_add_co_ci_u32_e64 v4, null, s11, v4, s0
                                        ; implicit-def: $sgpr0
	global_store_dword v[3:4], v1, off
	s_branch .LBB576_91
	.p2align	6
.LBB576_89:                             ;   in Loop: Header=BB576_91 Depth=1
	s_or_b32 exec_lo, exec_lo, s5
.LBB576_90:                             ;   in Loop: Header=BB576_91 Depth=1
	s_or_b32 exec_lo, exec_lo, s4
	v_and_b32_e32 v5, 0x3fffffff, v1
	v_cmp_gt_i32_e64 s0, -2.0, v1
	v_add_nc_u32_e32 v9, v5, v9
	s_and_b32 s4, exec_lo, s0
	s_or_b32 s2, s4, s2
	s_andn2_b32 exec_lo, exec_lo, s2
	s_cbranch_execz .LBB576_96
.LBB576_91:                             ; =>This Loop Header: Depth=1
                                        ;     Child Loop BB576_94 Depth 2
	s_or_b32 s0, s0, exec_lo
	s_cmp_eq_u32 s3, 0
	s_cbranch_scc1 .LBB576_95
; %bb.92:                               ;   in Loop: Header=BB576_91 Depth=1
	s_add_i32 s3, s3, -1
	s_mov_b32 s4, exec_lo
	v_lshl_or_b32 v1, s3, 8, v0
	v_lshlrev_b64 v[5:6], 2, v[1:2]
	v_add_co_u32 v5, s0, s10, v5
	v_add_co_ci_u32_e64 v6, null, s11, v6, s0
	global_load_dword v1, v[5:6], off glc dlc
	s_waitcnt vmcnt(0)
	v_cmpx_gt_u32_e32 2.0, v1
	s_cbranch_execz .LBB576_90
; %bb.93:                               ;   in Loop: Header=BB576_91 Depth=1
	s_mov_b32 s5, 0
.LBB576_94:                             ;   Parent Loop BB576_91 Depth=1
                                        ; =>  This Inner Loop Header: Depth=2
	global_load_dword v1, v[5:6], off glc dlc
	s_waitcnt vmcnt(0)
	v_cmp_lt_u32_e64 s0, 0x3fffffff, v1
	s_or_b32 s5, s0, s5
	s_andn2_b32 exec_lo, exec_lo, s5
	s_cbranch_execnz .LBB576_94
	s_branch .LBB576_89
.LBB576_95:                             ;   in Loop: Header=BB576_91 Depth=1
                                        ; implicit-def: $sgpr3
	s_and_b32 s4, exec_lo, s0
	s_or_b32 s2, s4, s2
	s_andn2_b32 exec_lo, exec_lo, s2
	s_cbranch_execnz .LBB576_91
.LBB576_96:
	s_or_b32 exec_lo, exec_lo, s2
	v_add_nc_u32_e32 v1, v9, v8
	v_sub_nc_u32_e32 v2, v9, v7
	v_or_b32_e32 v1, 0x80000000, v1
	global_store_dword v[3:4], v1, off
	global_load_dword v1, v23, s[12:13]
	s_waitcnt vmcnt(0)
	v_add_nc_u32_e32 v1, v2, v1
	ds_write_b32 v23, v1
.LBB576_97:
	s_or_b32 exec_lo, exec_lo, s1
	s_waitcnt lgkmcnt(0)
	s_waitcnt_vscnt null, 0x0
	s_barrier
	buffer_gl0_inv
	ds_read2st64_b32 v[1:2], v23 offset0:4 offset1:20
	ds_read2st64_b32 v[3:4], v23 offset0:36 offset1:52
	;; [unrolled: 1-line block ×3, first 2 shown]
	v_mov_b32_e32 v10, 0
	s_add_i32 s7, s7, -1
	s_cmp_eq_u32 s23, s7
	s_waitcnt lgkmcnt(2)
	v_cmp_ne_u32_e64 s0, 0x7fffffff, v1
	v_cndmask_b32_e64 v9, 0x80000000, v1, s0
	v_cmp_lt_i32_e64 s0, -1, v1
	v_lshrrev_b32_e32 v9, s20, v9
	v_cndmask_b32_e64 v11, 0x80000000, -1, s0
	v_cmp_ne_u32_e64 s0, 0x7fffffff, v2
	v_and_b32_e32 v9, s8, v9
	v_xor_b32_e32 v24, v11, v1
	v_cndmask_b32_e64 v12, 0x80000000, v2, s0
	v_cmp_lt_i32_e64 s0, -1, v2
	v_lshlrev_b32_e32 v9, 2, v9
	v_lshrrev_b32_e32 v12, s20, v12
	v_cndmask_b32_e64 v13, 0x80000000, -1, s0
	s_waitcnt lgkmcnt(1)
	v_cmp_ne_u32_e64 s0, 0x7fffffff, v3
	ds_read_b32 v9, v9
	v_and_b32_e32 v12, s8, v12
	v_cndmask_b32_e64 v14, 0x80000000, v3, s0
	v_cmp_ne_u32_e64 s0, 0x7fffffff, v4
	v_lshlrev_b32_e32 v12, 2, v12
	v_lshrrev_b32_e32 v14, s20, v14
	v_cndmask_b32_e64 v15, 0x80000000, v4, s0
	s_waitcnt lgkmcnt(1)
	v_cmp_ne_u32_e64 s0, 0x7fffffff, v5
	ds_read_b32 v18, v12
	v_and_b32_e32 v14, s8, v14
	v_lshrrev_b32_e32 v15, s20, v15
	v_cndmask_b32_e64 v16, 0x80000000, v5, s0
	v_cmp_ne_u32_e64 s0, 0x7fffffff, v6
	v_lshlrev_b32_e32 v12, 2, v14
	v_and_b32_e32 v15, s8, v15
	v_lshrrev_b32_e32 v16, s20, v16
	v_cndmask_b32_e64 v17, 0x80000000, v6, s0
	v_cmp_lt_i32_e64 s0, -1, v3
	ds_read_b32 v19, v12
	v_lshlrev_b32_e32 v15, 2, v15
	v_and_b32_e32 v16, s8, v16
	v_lshrrev_b32_e32 v17, s20, v17
	v_cndmask_b32_e64 v14, 0x80000000, -1, s0
	v_cmp_lt_i32_e64 s0, -1, v4
	s_waitcnt lgkmcnt(2)
	v_add_nc_u32_e32 v9, v9, v0
	v_lshlrev_b32_e32 v16, 2, v16
	v_and_b32_e32 v17, s8, v17
	v_xor_b32_e32 v25, v14, v3
	v_lshlrev_b32_e32 v12, 2, v17
	ds_read_b32 v15, v15
	ds_read_b32 v16, v16
	ds_read_b32 v20, v12
	v_cndmask_b32_e64 v17, 0x80000000, -1, s0
	v_cmp_lt_i32_e64 s0, -1, v5
	v_lshlrev_b64 v[11:12], 2, v[9:10]
	s_waitcnt lgkmcnt(4)
	v_add3_u32 v9, v18, v0, 0x400
	v_xor_b32_e32 v18, v13, v2
	v_xor_b32_e32 v17, v17, v4
	v_cndmask_b32_e64 v21, 0x80000000, -1, s0
	v_cmp_lt_i32_e64 s0, -1, v6
	v_lshlrev_b64 v[1:2], 2, v[9:10]
	s_waitcnt lgkmcnt(3)
	v_add3_u32 v9, v19, v0, 0x800
	v_xor_b32_e32 v5, v21, v5
	v_cndmask_b32_e64 v22, 0x80000000, -1, s0
	v_add_co_u32 v3, s0, s18, v11
	v_add_co_ci_u32_e64 v4, null, s19, v12, s0
	v_lshlrev_b64 v[11:12], 2, v[9:10]
	s_waitcnt lgkmcnt(2)
	v_add3_u32 v9, v15, v0, 0xc00
	v_add_co_u32 v1, s0, s18, v1
	v_add_co_ci_u32_e64 v2, null, s19, v2, s0
	v_lshlrev_b64 v[13:14], 2, v[9:10]
	s_waitcnt lgkmcnt(1)
	v_add3_u32 v9, v16, v0, 0x1000
	;; [unrolled: 5-line block ×3, first 2 shown]
	global_store_dword v[3:4], v24, off
	global_store_dword v[1:2], v18, off
	;; [unrolled: 1-line block ×3, first 2 shown]
	v_add_co_u32 v13, s0, s18, v13
	v_add_co_ci_u32_e64 v14, null, s19, v14, s0
	v_lshlrev_b64 v[0:1], 2, v[9:10]
	v_add_co_u32 v2, s0, s18, v15
	v_add_co_ci_u32_e64 v3, null, s19, v16, s0
	v_xor_b32_e32 v4, v22, v6
	v_add_co_u32 v0, s0, s18, v0
	v_add_co_ci_u32_e64 v1, null, s19, v1, s0
	s_cselect_b32 s0, -1, 0
	s_xor_b32 s1, vcc_lo, -1
	global_store_dword v[13:14], v17, off
	s_and_b32 s0, s1, s0
	global_store_dword v[2:3], v5, off
	global_store_dword v[0:1], v4, off
	s_and_saveexec_b32 s1, s0
	s_cbranch_execz .LBB576_99
; %bb.98:
	ds_read_b32 v0, v23
	s_waitcnt lgkmcnt(0)
	v_add3_u32 v0, v7, v8, v0
	global_store_dword v23, v0, s[14:15]
.LBB576_99:
	s_endpgm
	.section	.rodata,"a",@progbits
	.p2align	6, 0x0
	.amdhsa_kernel _ZN7rocprim17ROCPRIM_400000_NS6detail17trampoline_kernelINS0_14default_configENS1_35radix_sort_onesweep_config_selectorIfNS0_10empty_typeEEEZZNS1_29radix_sort_onesweep_iterationIS3_Lb0EN6thrust23THRUST_200600_302600_NS6detail15normal_iteratorINS9_10device_ptrIfEEEESE_PS5_SF_jNS0_19identity_decomposerENS1_16block_id_wrapperIjLb1EEEEE10hipError_tT1_PNSt15iterator_traitsISK_E10value_typeET2_T3_PNSL_ISQ_E10value_typeET4_T5_PSV_SW_PNS1_23onesweep_lookback_stateEbbT6_jjT7_P12ihipStream_tbENKUlT_T0_SK_SP_E_clISE_PfSF_SF_EEDaS13_S14_SK_SP_EUlS13_E_NS1_11comp_targetILNS1_3genE8ELNS1_11target_archE1030ELNS1_3gpuE2ELNS1_3repE0EEENS1_47radix_sort_onesweep_sort_config_static_selectorELNS0_4arch9wavefront6targetE0EEEvSK_
		.amdhsa_group_segment_fixed_size 37000
		.amdhsa_private_segment_fixed_size 0
		.amdhsa_kernarg_size 344
		.amdhsa_user_sgpr_count 6
		.amdhsa_user_sgpr_private_segment_buffer 1
		.amdhsa_user_sgpr_dispatch_ptr 0
		.amdhsa_user_sgpr_queue_ptr 0
		.amdhsa_user_sgpr_kernarg_segment_ptr 1
		.amdhsa_user_sgpr_dispatch_id 0
		.amdhsa_user_sgpr_flat_scratch_init 0
		.amdhsa_user_sgpr_private_segment_size 0
		.amdhsa_wavefront_size32 1
		.amdhsa_uses_dynamic_stack 0
		.amdhsa_system_sgpr_private_segment_wavefront_offset 0
		.amdhsa_system_sgpr_workgroup_id_x 1
		.amdhsa_system_sgpr_workgroup_id_y 0
		.amdhsa_system_sgpr_workgroup_id_z 0
		.amdhsa_system_sgpr_workgroup_info 0
		.amdhsa_system_vgpr_workitem_id 2
		.amdhsa_next_free_vgpr 42
		.amdhsa_next_free_sgpr 28
		.amdhsa_reserve_vcc 1
		.amdhsa_reserve_flat_scratch 0
		.amdhsa_float_round_mode_32 0
		.amdhsa_float_round_mode_16_64 0
		.amdhsa_float_denorm_mode_32 3
		.amdhsa_float_denorm_mode_16_64 3
		.amdhsa_dx10_clamp 1
		.amdhsa_ieee_mode 1
		.amdhsa_fp16_overflow 0
		.amdhsa_workgroup_processor_mode 1
		.amdhsa_memory_ordered 1
		.amdhsa_forward_progress 1
		.amdhsa_shared_vgpr_count 0
		.amdhsa_exception_fp_ieee_invalid_op 0
		.amdhsa_exception_fp_denorm_src 0
		.amdhsa_exception_fp_ieee_div_zero 0
		.amdhsa_exception_fp_ieee_overflow 0
		.amdhsa_exception_fp_ieee_underflow 0
		.amdhsa_exception_fp_ieee_inexact 0
		.amdhsa_exception_int_div_zero 0
	.end_amdhsa_kernel
	.section	.text._ZN7rocprim17ROCPRIM_400000_NS6detail17trampoline_kernelINS0_14default_configENS1_35radix_sort_onesweep_config_selectorIfNS0_10empty_typeEEEZZNS1_29radix_sort_onesweep_iterationIS3_Lb0EN6thrust23THRUST_200600_302600_NS6detail15normal_iteratorINS9_10device_ptrIfEEEESE_PS5_SF_jNS0_19identity_decomposerENS1_16block_id_wrapperIjLb1EEEEE10hipError_tT1_PNSt15iterator_traitsISK_E10value_typeET2_T3_PNSL_ISQ_E10value_typeET4_T5_PSV_SW_PNS1_23onesweep_lookback_stateEbbT6_jjT7_P12ihipStream_tbENKUlT_T0_SK_SP_E_clISE_PfSF_SF_EEDaS13_S14_SK_SP_EUlS13_E_NS1_11comp_targetILNS1_3genE8ELNS1_11target_archE1030ELNS1_3gpuE2ELNS1_3repE0EEENS1_47radix_sort_onesweep_sort_config_static_selectorELNS0_4arch9wavefront6targetE0EEEvSK_,"axG",@progbits,_ZN7rocprim17ROCPRIM_400000_NS6detail17trampoline_kernelINS0_14default_configENS1_35radix_sort_onesweep_config_selectorIfNS0_10empty_typeEEEZZNS1_29radix_sort_onesweep_iterationIS3_Lb0EN6thrust23THRUST_200600_302600_NS6detail15normal_iteratorINS9_10device_ptrIfEEEESE_PS5_SF_jNS0_19identity_decomposerENS1_16block_id_wrapperIjLb1EEEEE10hipError_tT1_PNSt15iterator_traitsISK_E10value_typeET2_T3_PNSL_ISQ_E10value_typeET4_T5_PSV_SW_PNS1_23onesweep_lookback_stateEbbT6_jjT7_P12ihipStream_tbENKUlT_T0_SK_SP_E_clISE_PfSF_SF_EEDaS13_S14_SK_SP_EUlS13_E_NS1_11comp_targetILNS1_3genE8ELNS1_11target_archE1030ELNS1_3gpuE2ELNS1_3repE0EEENS1_47radix_sort_onesweep_sort_config_static_selectorELNS0_4arch9wavefront6targetE0EEEvSK_,comdat
.Lfunc_end576:
	.size	_ZN7rocprim17ROCPRIM_400000_NS6detail17trampoline_kernelINS0_14default_configENS1_35radix_sort_onesweep_config_selectorIfNS0_10empty_typeEEEZZNS1_29radix_sort_onesweep_iterationIS3_Lb0EN6thrust23THRUST_200600_302600_NS6detail15normal_iteratorINS9_10device_ptrIfEEEESE_PS5_SF_jNS0_19identity_decomposerENS1_16block_id_wrapperIjLb1EEEEE10hipError_tT1_PNSt15iterator_traitsISK_E10value_typeET2_T3_PNSL_ISQ_E10value_typeET4_T5_PSV_SW_PNS1_23onesweep_lookback_stateEbbT6_jjT7_P12ihipStream_tbENKUlT_T0_SK_SP_E_clISE_PfSF_SF_EEDaS13_S14_SK_SP_EUlS13_E_NS1_11comp_targetILNS1_3genE8ELNS1_11target_archE1030ELNS1_3gpuE2ELNS1_3repE0EEENS1_47radix_sort_onesweep_sort_config_static_selectorELNS0_4arch9wavefront6targetE0EEEvSK_, .Lfunc_end576-_ZN7rocprim17ROCPRIM_400000_NS6detail17trampoline_kernelINS0_14default_configENS1_35radix_sort_onesweep_config_selectorIfNS0_10empty_typeEEEZZNS1_29radix_sort_onesweep_iterationIS3_Lb0EN6thrust23THRUST_200600_302600_NS6detail15normal_iteratorINS9_10device_ptrIfEEEESE_PS5_SF_jNS0_19identity_decomposerENS1_16block_id_wrapperIjLb1EEEEE10hipError_tT1_PNSt15iterator_traitsISK_E10value_typeET2_T3_PNSL_ISQ_E10value_typeET4_T5_PSV_SW_PNS1_23onesweep_lookback_stateEbbT6_jjT7_P12ihipStream_tbENKUlT_T0_SK_SP_E_clISE_PfSF_SF_EEDaS13_S14_SK_SP_EUlS13_E_NS1_11comp_targetILNS1_3genE8ELNS1_11target_archE1030ELNS1_3gpuE2ELNS1_3repE0EEENS1_47radix_sort_onesweep_sort_config_static_selectorELNS0_4arch9wavefront6targetE0EEEvSK_
                                        ; -- End function
	.set _ZN7rocprim17ROCPRIM_400000_NS6detail17trampoline_kernelINS0_14default_configENS1_35radix_sort_onesweep_config_selectorIfNS0_10empty_typeEEEZZNS1_29radix_sort_onesweep_iterationIS3_Lb0EN6thrust23THRUST_200600_302600_NS6detail15normal_iteratorINS9_10device_ptrIfEEEESE_PS5_SF_jNS0_19identity_decomposerENS1_16block_id_wrapperIjLb1EEEEE10hipError_tT1_PNSt15iterator_traitsISK_E10value_typeET2_T3_PNSL_ISQ_E10value_typeET4_T5_PSV_SW_PNS1_23onesweep_lookback_stateEbbT6_jjT7_P12ihipStream_tbENKUlT_T0_SK_SP_E_clISE_PfSF_SF_EEDaS13_S14_SK_SP_EUlS13_E_NS1_11comp_targetILNS1_3genE8ELNS1_11target_archE1030ELNS1_3gpuE2ELNS1_3repE0EEENS1_47radix_sort_onesweep_sort_config_static_selectorELNS0_4arch9wavefront6targetE0EEEvSK_.num_vgpr, 42
	.set _ZN7rocprim17ROCPRIM_400000_NS6detail17trampoline_kernelINS0_14default_configENS1_35radix_sort_onesweep_config_selectorIfNS0_10empty_typeEEEZZNS1_29radix_sort_onesweep_iterationIS3_Lb0EN6thrust23THRUST_200600_302600_NS6detail15normal_iteratorINS9_10device_ptrIfEEEESE_PS5_SF_jNS0_19identity_decomposerENS1_16block_id_wrapperIjLb1EEEEE10hipError_tT1_PNSt15iterator_traitsISK_E10value_typeET2_T3_PNSL_ISQ_E10value_typeET4_T5_PSV_SW_PNS1_23onesweep_lookback_stateEbbT6_jjT7_P12ihipStream_tbENKUlT_T0_SK_SP_E_clISE_PfSF_SF_EEDaS13_S14_SK_SP_EUlS13_E_NS1_11comp_targetILNS1_3genE8ELNS1_11target_archE1030ELNS1_3gpuE2ELNS1_3repE0EEENS1_47radix_sort_onesweep_sort_config_static_selectorELNS0_4arch9wavefront6targetE0EEEvSK_.num_agpr, 0
	.set _ZN7rocprim17ROCPRIM_400000_NS6detail17trampoline_kernelINS0_14default_configENS1_35radix_sort_onesweep_config_selectorIfNS0_10empty_typeEEEZZNS1_29radix_sort_onesweep_iterationIS3_Lb0EN6thrust23THRUST_200600_302600_NS6detail15normal_iteratorINS9_10device_ptrIfEEEESE_PS5_SF_jNS0_19identity_decomposerENS1_16block_id_wrapperIjLb1EEEEE10hipError_tT1_PNSt15iterator_traitsISK_E10value_typeET2_T3_PNSL_ISQ_E10value_typeET4_T5_PSV_SW_PNS1_23onesweep_lookback_stateEbbT6_jjT7_P12ihipStream_tbENKUlT_T0_SK_SP_E_clISE_PfSF_SF_EEDaS13_S14_SK_SP_EUlS13_E_NS1_11comp_targetILNS1_3genE8ELNS1_11target_archE1030ELNS1_3gpuE2ELNS1_3repE0EEENS1_47radix_sort_onesweep_sort_config_static_selectorELNS0_4arch9wavefront6targetE0EEEvSK_.numbered_sgpr, 28
	.set _ZN7rocprim17ROCPRIM_400000_NS6detail17trampoline_kernelINS0_14default_configENS1_35radix_sort_onesweep_config_selectorIfNS0_10empty_typeEEEZZNS1_29radix_sort_onesweep_iterationIS3_Lb0EN6thrust23THRUST_200600_302600_NS6detail15normal_iteratorINS9_10device_ptrIfEEEESE_PS5_SF_jNS0_19identity_decomposerENS1_16block_id_wrapperIjLb1EEEEE10hipError_tT1_PNSt15iterator_traitsISK_E10value_typeET2_T3_PNSL_ISQ_E10value_typeET4_T5_PSV_SW_PNS1_23onesweep_lookback_stateEbbT6_jjT7_P12ihipStream_tbENKUlT_T0_SK_SP_E_clISE_PfSF_SF_EEDaS13_S14_SK_SP_EUlS13_E_NS1_11comp_targetILNS1_3genE8ELNS1_11target_archE1030ELNS1_3gpuE2ELNS1_3repE0EEENS1_47radix_sort_onesweep_sort_config_static_selectorELNS0_4arch9wavefront6targetE0EEEvSK_.num_named_barrier, 0
	.set _ZN7rocprim17ROCPRIM_400000_NS6detail17trampoline_kernelINS0_14default_configENS1_35radix_sort_onesweep_config_selectorIfNS0_10empty_typeEEEZZNS1_29radix_sort_onesweep_iterationIS3_Lb0EN6thrust23THRUST_200600_302600_NS6detail15normal_iteratorINS9_10device_ptrIfEEEESE_PS5_SF_jNS0_19identity_decomposerENS1_16block_id_wrapperIjLb1EEEEE10hipError_tT1_PNSt15iterator_traitsISK_E10value_typeET2_T3_PNSL_ISQ_E10value_typeET4_T5_PSV_SW_PNS1_23onesweep_lookback_stateEbbT6_jjT7_P12ihipStream_tbENKUlT_T0_SK_SP_E_clISE_PfSF_SF_EEDaS13_S14_SK_SP_EUlS13_E_NS1_11comp_targetILNS1_3genE8ELNS1_11target_archE1030ELNS1_3gpuE2ELNS1_3repE0EEENS1_47radix_sort_onesweep_sort_config_static_selectorELNS0_4arch9wavefront6targetE0EEEvSK_.private_seg_size, 0
	.set _ZN7rocprim17ROCPRIM_400000_NS6detail17trampoline_kernelINS0_14default_configENS1_35radix_sort_onesweep_config_selectorIfNS0_10empty_typeEEEZZNS1_29radix_sort_onesweep_iterationIS3_Lb0EN6thrust23THRUST_200600_302600_NS6detail15normal_iteratorINS9_10device_ptrIfEEEESE_PS5_SF_jNS0_19identity_decomposerENS1_16block_id_wrapperIjLb1EEEEE10hipError_tT1_PNSt15iterator_traitsISK_E10value_typeET2_T3_PNSL_ISQ_E10value_typeET4_T5_PSV_SW_PNS1_23onesweep_lookback_stateEbbT6_jjT7_P12ihipStream_tbENKUlT_T0_SK_SP_E_clISE_PfSF_SF_EEDaS13_S14_SK_SP_EUlS13_E_NS1_11comp_targetILNS1_3genE8ELNS1_11target_archE1030ELNS1_3gpuE2ELNS1_3repE0EEENS1_47radix_sort_onesweep_sort_config_static_selectorELNS0_4arch9wavefront6targetE0EEEvSK_.uses_vcc, 1
	.set _ZN7rocprim17ROCPRIM_400000_NS6detail17trampoline_kernelINS0_14default_configENS1_35radix_sort_onesweep_config_selectorIfNS0_10empty_typeEEEZZNS1_29radix_sort_onesweep_iterationIS3_Lb0EN6thrust23THRUST_200600_302600_NS6detail15normal_iteratorINS9_10device_ptrIfEEEESE_PS5_SF_jNS0_19identity_decomposerENS1_16block_id_wrapperIjLb1EEEEE10hipError_tT1_PNSt15iterator_traitsISK_E10value_typeET2_T3_PNSL_ISQ_E10value_typeET4_T5_PSV_SW_PNS1_23onesweep_lookback_stateEbbT6_jjT7_P12ihipStream_tbENKUlT_T0_SK_SP_E_clISE_PfSF_SF_EEDaS13_S14_SK_SP_EUlS13_E_NS1_11comp_targetILNS1_3genE8ELNS1_11target_archE1030ELNS1_3gpuE2ELNS1_3repE0EEENS1_47radix_sort_onesweep_sort_config_static_selectorELNS0_4arch9wavefront6targetE0EEEvSK_.uses_flat_scratch, 0
	.set _ZN7rocprim17ROCPRIM_400000_NS6detail17trampoline_kernelINS0_14default_configENS1_35radix_sort_onesweep_config_selectorIfNS0_10empty_typeEEEZZNS1_29radix_sort_onesweep_iterationIS3_Lb0EN6thrust23THRUST_200600_302600_NS6detail15normal_iteratorINS9_10device_ptrIfEEEESE_PS5_SF_jNS0_19identity_decomposerENS1_16block_id_wrapperIjLb1EEEEE10hipError_tT1_PNSt15iterator_traitsISK_E10value_typeET2_T3_PNSL_ISQ_E10value_typeET4_T5_PSV_SW_PNS1_23onesweep_lookback_stateEbbT6_jjT7_P12ihipStream_tbENKUlT_T0_SK_SP_E_clISE_PfSF_SF_EEDaS13_S14_SK_SP_EUlS13_E_NS1_11comp_targetILNS1_3genE8ELNS1_11target_archE1030ELNS1_3gpuE2ELNS1_3repE0EEENS1_47radix_sort_onesweep_sort_config_static_selectorELNS0_4arch9wavefront6targetE0EEEvSK_.has_dyn_sized_stack, 0
	.set _ZN7rocprim17ROCPRIM_400000_NS6detail17trampoline_kernelINS0_14default_configENS1_35radix_sort_onesweep_config_selectorIfNS0_10empty_typeEEEZZNS1_29radix_sort_onesweep_iterationIS3_Lb0EN6thrust23THRUST_200600_302600_NS6detail15normal_iteratorINS9_10device_ptrIfEEEESE_PS5_SF_jNS0_19identity_decomposerENS1_16block_id_wrapperIjLb1EEEEE10hipError_tT1_PNSt15iterator_traitsISK_E10value_typeET2_T3_PNSL_ISQ_E10value_typeET4_T5_PSV_SW_PNS1_23onesweep_lookback_stateEbbT6_jjT7_P12ihipStream_tbENKUlT_T0_SK_SP_E_clISE_PfSF_SF_EEDaS13_S14_SK_SP_EUlS13_E_NS1_11comp_targetILNS1_3genE8ELNS1_11target_archE1030ELNS1_3gpuE2ELNS1_3repE0EEENS1_47radix_sort_onesweep_sort_config_static_selectorELNS0_4arch9wavefront6targetE0EEEvSK_.has_recursion, 0
	.set _ZN7rocprim17ROCPRIM_400000_NS6detail17trampoline_kernelINS0_14default_configENS1_35radix_sort_onesweep_config_selectorIfNS0_10empty_typeEEEZZNS1_29radix_sort_onesweep_iterationIS3_Lb0EN6thrust23THRUST_200600_302600_NS6detail15normal_iteratorINS9_10device_ptrIfEEEESE_PS5_SF_jNS0_19identity_decomposerENS1_16block_id_wrapperIjLb1EEEEE10hipError_tT1_PNSt15iterator_traitsISK_E10value_typeET2_T3_PNSL_ISQ_E10value_typeET4_T5_PSV_SW_PNS1_23onesweep_lookback_stateEbbT6_jjT7_P12ihipStream_tbENKUlT_T0_SK_SP_E_clISE_PfSF_SF_EEDaS13_S14_SK_SP_EUlS13_E_NS1_11comp_targetILNS1_3genE8ELNS1_11target_archE1030ELNS1_3gpuE2ELNS1_3repE0EEENS1_47radix_sort_onesweep_sort_config_static_selectorELNS0_4arch9wavefront6targetE0EEEvSK_.has_indirect_call, 0
	.section	.AMDGPU.csdata,"",@progbits
; Kernel info:
; codeLenInByte = 9488
; TotalNumSgprs: 30
; NumVgprs: 42
; ScratchSize: 0
; MemoryBound: 0
; FloatMode: 240
; IeeeMode: 1
; LDSByteSize: 37000 bytes/workgroup (compile time only)
; SGPRBlocks: 0
; VGPRBlocks: 5
; NumSGPRsForWavesPerEU: 30
; NumVGPRsForWavesPerEU: 42
; Occupancy: 16
; WaveLimiterHint : 1
; COMPUTE_PGM_RSRC2:SCRATCH_EN: 0
; COMPUTE_PGM_RSRC2:USER_SGPR: 6
; COMPUTE_PGM_RSRC2:TRAP_HANDLER: 0
; COMPUTE_PGM_RSRC2:TGID_X_EN: 1
; COMPUTE_PGM_RSRC2:TGID_Y_EN: 0
; COMPUTE_PGM_RSRC2:TGID_Z_EN: 0
; COMPUTE_PGM_RSRC2:TIDIG_COMP_CNT: 2
	.section	.text._ZN7rocprim17ROCPRIM_400000_NS6detail17trampoline_kernelINS0_14default_configENS1_35radix_sort_onesweep_config_selectorIfNS0_10empty_typeEEEZZNS1_29radix_sort_onesweep_iterationIS3_Lb0EN6thrust23THRUST_200600_302600_NS6detail15normal_iteratorINS9_10device_ptrIfEEEESE_PS5_SF_jNS0_19identity_decomposerENS1_16block_id_wrapperIjLb1EEEEE10hipError_tT1_PNSt15iterator_traitsISK_E10value_typeET2_T3_PNSL_ISQ_E10value_typeET4_T5_PSV_SW_PNS1_23onesweep_lookback_stateEbbT6_jjT7_P12ihipStream_tbENKUlT_T0_SK_SP_E_clIPfSE_SF_SF_EEDaS13_S14_SK_SP_EUlS13_E_NS1_11comp_targetILNS1_3genE0ELNS1_11target_archE4294967295ELNS1_3gpuE0ELNS1_3repE0EEENS1_47radix_sort_onesweep_sort_config_static_selectorELNS0_4arch9wavefront6targetE0EEEvSK_,"axG",@progbits,_ZN7rocprim17ROCPRIM_400000_NS6detail17trampoline_kernelINS0_14default_configENS1_35radix_sort_onesweep_config_selectorIfNS0_10empty_typeEEEZZNS1_29radix_sort_onesweep_iterationIS3_Lb0EN6thrust23THRUST_200600_302600_NS6detail15normal_iteratorINS9_10device_ptrIfEEEESE_PS5_SF_jNS0_19identity_decomposerENS1_16block_id_wrapperIjLb1EEEEE10hipError_tT1_PNSt15iterator_traitsISK_E10value_typeET2_T3_PNSL_ISQ_E10value_typeET4_T5_PSV_SW_PNS1_23onesweep_lookback_stateEbbT6_jjT7_P12ihipStream_tbENKUlT_T0_SK_SP_E_clIPfSE_SF_SF_EEDaS13_S14_SK_SP_EUlS13_E_NS1_11comp_targetILNS1_3genE0ELNS1_11target_archE4294967295ELNS1_3gpuE0ELNS1_3repE0EEENS1_47radix_sort_onesweep_sort_config_static_selectorELNS0_4arch9wavefront6targetE0EEEvSK_,comdat
	.protected	_ZN7rocprim17ROCPRIM_400000_NS6detail17trampoline_kernelINS0_14default_configENS1_35radix_sort_onesweep_config_selectorIfNS0_10empty_typeEEEZZNS1_29radix_sort_onesweep_iterationIS3_Lb0EN6thrust23THRUST_200600_302600_NS6detail15normal_iteratorINS9_10device_ptrIfEEEESE_PS5_SF_jNS0_19identity_decomposerENS1_16block_id_wrapperIjLb1EEEEE10hipError_tT1_PNSt15iterator_traitsISK_E10value_typeET2_T3_PNSL_ISQ_E10value_typeET4_T5_PSV_SW_PNS1_23onesweep_lookback_stateEbbT6_jjT7_P12ihipStream_tbENKUlT_T0_SK_SP_E_clIPfSE_SF_SF_EEDaS13_S14_SK_SP_EUlS13_E_NS1_11comp_targetILNS1_3genE0ELNS1_11target_archE4294967295ELNS1_3gpuE0ELNS1_3repE0EEENS1_47radix_sort_onesweep_sort_config_static_selectorELNS0_4arch9wavefront6targetE0EEEvSK_ ; -- Begin function _ZN7rocprim17ROCPRIM_400000_NS6detail17trampoline_kernelINS0_14default_configENS1_35radix_sort_onesweep_config_selectorIfNS0_10empty_typeEEEZZNS1_29radix_sort_onesweep_iterationIS3_Lb0EN6thrust23THRUST_200600_302600_NS6detail15normal_iteratorINS9_10device_ptrIfEEEESE_PS5_SF_jNS0_19identity_decomposerENS1_16block_id_wrapperIjLb1EEEEE10hipError_tT1_PNSt15iterator_traitsISK_E10value_typeET2_T3_PNSL_ISQ_E10value_typeET4_T5_PSV_SW_PNS1_23onesweep_lookback_stateEbbT6_jjT7_P12ihipStream_tbENKUlT_T0_SK_SP_E_clIPfSE_SF_SF_EEDaS13_S14_SK_SP_EUlS13_E_NS1_11comp_targetILNS1_3genE0ELNS1_11target_archE4294967295ELNS1_3gpuE0ELNS1_3repE0EEENS1_47radix_sort_onesweep_sort_config_static_selectorELNS0_4arch9wavefront6targetE0EEEvSK_
	.globl	_ZN7rocprim17ROCPRIM_400000_NS6detail17trampoline_kernelINS0_14default_configENS1_35radix_sort_onesweep_config_selectorIfNS0_10empty_typeEEEZZNS1_29radix_sort_onesweep_iterationIS3_Lb0EN6thrust23THRUST_200600_302600_NS6detail15normal_iteratorINS9_10device_ptrIfEEEESE_PS5_SF_jNS0_19identity_decomposerENS1_16block_id_wrapperIjLb1EEEEE10hipError_tT1_PNSt15iterator_traitsISK_E10value_typeET2_T3_PNSL_ISQ_E10value_typeET4_T5_PSV_SW_PNS1_23onesweep_lookback_stateEbbT6_jjT7_P12ihipStream_tbENKUlT_T0_SK_SP_E_clIPfSE_SF_SF_EEDaS13_S14_SK_SP_EUlS13_E_NS1_11comp_targetILNS1_3genE0ELNS1_11target_archE4294967295ELNS1_3gpuE0ELNS1_3repE0EEENS1_47radix_sort_onesweep_sort_config_static_selectorELNS0_4arch9wavefront6targetE0EEEvSK_
	.p2align	8
	.type	_ZN7rocprim17ROCPRIM_400000_NS6detail17trampoline_kernelINS0_14default_configENS1_35radix_sort_onesweep_config_selectorIfNS0_10empty_typeEEEZZNS1_29radix_sort_onesweep_iterationIS3_Lb0EN6thrust23THRUST_200600_302600_NS6detail15normal_iteratorINS9_10device_ptrIfEEEESE_PS5_SF_jNS0_19identity_decomposerENS1_16block_id_wrapperIjLb1EEEEE10hipError_tT1_PNSt15iterator_traitsISK_E10value_typeET2_T3_PNSL_ISQ_E10value_typeET4_T5_PSV_SW_PNS1_23onesweep_lookback_stateEbbT6_jjT7_P12ihipStream_tbENKUlT_T0_SK_SP_E_clIPfSE_SF_SF_EEDaS13_S14_SK_SP_EUlS13_E_NS1_11comp_targetILNS1_3genE0ELNS1_11target_archE4294967295ELNS1_3gpuE0ELNS1_3repE0EEENS1_47radix_sort_onesweep_sort_config_static_selectorELNS0_4arch9wavefront6targetE0EEEvSK_,@function
_ZN7rocprim17ROCPRIM_400000_NS6detail17trampoline_kernelINS0_14default_configENS1_35radix_sort_onesweep_config_selectorIfNS0_10empty_typeEEEZZNS1_29radix_sort_onesweep_iterationIS3_Lb0EN6thrust23THRUST_200600_302600_NS6detail15normal_iteratorINS9_10device_ptrIfEEEESE_PS5_SF_jNS0_19identity_decomposerENS1_16block_id_wrapperIjLb1EEEEE10hipError_tT1_PNSt15iterator_traitsISK_E10value_typeET2_T3_PNSL_ISQ_E10value_typeET4_T5_PSV_SW_PNS1_23onesweep_lookback_stateEbbT6_jjT7_P12ihipStream_tbENKUlT_T0_SK_SP_E_clIPfSE_SF_SF_EEDaS13_S14_SK_SP_EUlS13_E_NS1_11comp_targetILNS1_3genE0ELNS1_11target_archE4294967295ELNS1_3gpuE0ELNS1_3repE0EEENS1_47radix_sort_onesweep_sort_config_static_selectorELNS0_4arch9wavefront6targetE0EEEvSK_: ; @_ZN7rocprim17ROCPRIM_400000_NS6detail17trampoline_kernelINS0_14default_configENS1_35radix_sort_onesweep_config_selectorIfNS0_10empty_typeEEEZZNS1_29radix_sort_onesweep_iterationIS3_Lb0EN6thrust23THRUST_200600_302600_NS6detail15normal_iteratorINS9_10device_ptrIfEEEESE_PS5_SF_jNS0_19identity_decomposerENS1_16block_id_wrapperIjLb1EEEEE10hipError_tT1_PNSt15iterator_traitsISK_E10value_typeET2_T3_PNSL_ISQ_E10value_typeET4_T5_PSV_SW_PNS1_23onesweep_lookback_stateEbbT6_jjT7_P12ihipStream_tbENKUlT_T0_SK_SP_E_clIPfSE_SF_SF_EEDaS13_S14_SK_SP_EUlS13_E_NS1_11comp_targetILNS1_3genE0ELNS1_11target_archE4294967295ELNS1_3gpuE0ELNS1_3repE0EEENS1_47radix_sort_onesweep_sort_config_static_selectorELNS0_4arch9wavefront6targetE0EEEvSK_
; %bb.0:
	.section	.rodata,"a",@progbits
	.p2align	6, 0x0
	.amdhsa_kernel _ZN7rocprim17ROCPRIM_400000_NS6detail17trampoline_kernelINS0_14default_configENS1_35radix_sort_onesweep_config_selectorIfNS0_10empty_typeEEEZZNS1_29radix_sort_onesweep_iterationIS3_Lb0EN6thrust23THRUST_200600_302600_NS6detail15normal_iteratorINS9_10device_ptrIfEEEESE_PS5_SF_jNS0_19identity_decomposerENS1_16block_id_wrapperIjLb1EEEEE10hipError_tT1_PNSt15iterator_traitsISK_E10value_typeET2_T3_PNSL_ISQ_E10value_typeET4_T5_PSV_SW_PNS1_23onesweep_lookback_stateEbbT6_jjT7_P12ihipStream_tbENKUlT_T0_SK_SP_E_clIPfSE_SF_SF_EEDaS13_S14_SK_SP_EUlS13_E_NS1_11comp_targetILNS1_3genE0ELNS1_11target_archE4294967295ELNS1_3gpuE0ELNS1_3repE0EEENS1_47radix_sort_onesweep_sort_config_static_selectorELNS0_4arch9wavefront6targetE0EEEvSK_
		.amdhsa_group_segment_fixed_size 0
		.amdhsa_private_segment_fixed_size 0
		.amdhsa_kernarg_size 88
		.amdhsa_user_sgpr_count 6
		.amdhsa_user_sgpr_private_segment_buffer 1
		.amdhsa_user_sgpr_dispatch_ptr 0
		.amdhsa_user_sgpr_queue_ptr 0
		.amdhsa_user_sgpr_kernarg_segment_ptr 1
		.amdhsa_user_sgpr_dispatch_id 0
		.amdhsa_user_sgpr_flat_scratch_init 0
		.amdhsa_user_sgpr_private_segment_size 0
		.amdhsa_wavefront_size32 1
		.amdhsa_uses_dynamic_stack 0
		.amdhsa_system_sgpr_private_segment_wavefront_offset 0
		.amdhsa_system_sgpr_workgroup_id_x 1
		.amdhsa_system_sgpr_workgroup_id_y 0
		.amdhsa_system_sgpr_workgroup_id_z 0
		.amdhsa_system_sgpr_workgroup_info 0
		.amdhsa_system_vgpr_workitem_id 0
		.amdhsa_next_free_vgpr 1
		.amdhsa_next_free_sgpr 1
		.amdhsa_reserve_vcc 0
		.amdhsa_reserve_flat_scratch 0
		.amdhsa_float_round_mode_32 0
		.amdhsa_float_round_mode_16_64 0
		.amdhsa_float_denorm_mode_32 3
		.amdhsa_float_denorm_mode_16_64 3
		.amdhsa_dx10_clamp 1
		.amdhsa_ieee_mode 1
		.amdhsa_fp16_overflow 0
		.amdhsa_workgroup_processor_mode 1
		.amdhsa_memory_ordered 1
		.amdhsa_forward_progress 1
		.amdhsa_shared_vgpr_count 0
		.amdhsa_exception_fp_ieee_invalid_op 0
		.amdhsa_exception_fp_denorm_src 0
		.amdhsa_exception_fp_ieee_div_zero 0
		.amdhsa_exception_fp_ieee_overflow 0
		.amdhsa_exception_fp_ieee_underflow 0
		.amdhsa_exception_fp_ieee_inexact 0
		.amdhsa_exception_int_div_zero 0
	.end_amdhsa_kernel
	.section	.text._ZN7rocprim17ROCPRIM_400000_NS6detail17trampoline_kernelINS0_14default_configENS1_35radix_sort_onesweep_config_selectorIfNS0_10empty_typeEEEZZNS1_29radix_sort_onesweep_iterationIS3_Lb0EN6thrust23THRUST_200600_302600_NS6detail15normal_iteratorINS9_10device_ptrIfEEEESE_PS5_SF_jNS0_19identity_decomposerENS1_16block_id_wrapperIjLb1EEEEE10hipError_tT1_PNSt15iterator_traitsISK_E10value_typeET2_T3_PNSL_ISQ_E10value_typeET4_T5_PSV_SW_PNS1_23onesweep_lookback_stateEbbT6_jjT7_P12ihipStream_tbENKUlT_T0_SK_SP_E_clIPfSE_SF_SF_EEDaS13_S14_SK_SP_EUlS13_E_NS1_11comp_targetILNS1_3genE0ELNS1_11target_archE4294967295ELNS1_3gpuE0ELNS1_3repE0EEENS1_47radix_sort_onesweep_sort_config_static_selectorELNS0_4arch9wavefront6targetE0EEEvSK_,"axG",@progbits,_ZN7rocprim17ROCPRIM_400000_NS6detail17trampoline_kernelINS0_14default_configENS1_35radix_sort_onesweep_config_selectorIfNS0_10empty_typeEEEZZNS1_29radix_sort_onesweep_iterationIS3_Lb0EN6thrust23THRUST_200600_302600_NS6detail15normal_iteratorINS9_10device_ptrIfEEEESE_PS5_SF_jNS0_19identity_decomposerENS1_16block_id_wrapperIjLb1EEEEE10hipError_tT1_PNSt15iterator_traitsISK_E10value_typeET2_T3_PNSL_ISQ_E10value_typeET4_T5_PSV_SW_PNS1_23onesweep_lookback_stateEbbT6_jjT7_P12ihipStream_tbENKUlT_T0_SK_SP_E_clIPfSE_SF_SF_EEDaS13_S14_SK_SP_EUlS13_E_NS1_11comp_targetILNS1_3genE0ELNS1_11target_archE4294967295ELNS1_3gpuE0ELNS1_3repE0EEENS1_47radix_sort_onesweep_sort_config_static_selectorELNS0_4arch9wavefront6targetE0EEEvSK_,comdat
.Lfunc_end577:
	.size	_ZN7rocprim17ROCPRIM_400000_NS6detail17trampoline_kernelINS0_14default_configENS1_35radix_sort_onesweep_config_selectorIfNS0_10empty_typeEEEZZNS1_29radix_sort_onesweep_iterationIS3_Lb0EN6thrust23THRUST_200600_302600_NS6detail15normal_iteratorINS9_10device_ptrIfEEEESE_PS5_SF_jNS0_19identity_decomposerENS1_16block_id_wrapperIjLb1EEEEE10hipError_tT1_PNSt15iterator_traitsISK_E10value_typeET2_T3_PNSL_ISQ_E10value_typeET4_T5_PSV_SW_PNS1_23onesweep_lookback_stateEbbT6_jjT7_P12ihipStream_tbENKUlT_T0_SK_SP_E_clIPfSE_SF_SF_EEDaS13_S14_SK_SP_EUlS13_E_NS1_11comp_targetILNS1_3genE0ELNS1_11target_archE4294967295ELNS1_3gpuE0ELNS1_3repE0EEENS1_47radix_sort_onesweep_sort_config_static_selectorELNS0_4arch9wavefront6targetE0EEEvSK_, .Lfunc_end577-_ZN7rocprim17ROCPRIM_400000_NS6detail17trampoline_kernelINS0_14default_configENS1_35radix_sort_onesweep_config_selectorIfNS0_10empty_typeEEEZZNS1_29radix_sort_onesweep_iterationIS3_Lb0EN6thrust23THRUST_200600_302600_NS6detail15normal_iteratorINS9_10device_ptrIfEEEESE_PS5_SF_jNS0_19identity_decomposerENS1_16block_id_wrapperIjLb1EEEEE10hipError_tT1_PNSt15iterator_traitsISK_E10value_typeET2_T3_PNSL_ISQ_E10value_typeET4_T5_PSV_SW_PNS1_23onesweep_lookback_stateEbbT6_jjT7_P12ihipStream_tbENKUlT_T0_SK_SP_E_clIPfSE_SF_SF_EEDaS13_S14_SK_SP_EUlS13_E_NS1_11comp_targetILNS1_3genE0ELNS1_11target_archE4294967295ELNS1_3gpuE0ELNS1_3repE0EEENS1_47radix_sort_onesweep_sort_config_static_selectorELNS0_4arch9wavefront6targetE0EEEvSK_
                                        ; -- End function
	.set _ZN7rocprim17ROCPRIM_400000_NS6detail17trampoline_kernelINS0_14default_configENS1_35radix_sort_onesweep_config_selectorIfNS0_10empty_typeEEEZZNS1_29radix_sort_onesweep_iterationIS3_Lb0EN6thrust23THRUST_200600_302600_NS6detail15normal_iteratorINS9_10device_ptrIfEEEESE_PS5_SF_jNS0_19identity_decomposerENS1_16block_id_wrapperIjLb1EEEEE10hipError_tT1_PNSt15iterator_traitsISK_E10value_typeET2_T3_PNSL_ISQ_E10value_typeET4_T5_PSV_SW_PNS1_23onesweep_lookback_stateEbbT6_jjT7_P12ihipStream_tbENKUlT_T0_SK_SP_E_clIPfSE_SF_SF_EEDaS13_S14_SK_SP_EUlS13_E_NS1_11comp_targetILNS1_3genE0ELNS1_11target_archE4294967295ELNS1_3gpuE0ELNS1_3repE0EEENS1_47radix_sort_onesweep_sort_config_static_selectorELNS0_4arch9wavefront6targetE0EEEvSK_.num_vgpr, 0
	.set _ZN7rocprim17ROCPRIM_400000_NS6detail17trampoline_kernelINS0_14default_configENS1_35radix_sort_onesweep_config_selectorIfNS0_10empty_typeEEEZZNS1_29radix_sort_onesweep_iterationIS3_Lb0EN6thrust23THRUST_200600_302600_NS6detail15normal_iteratorINS9_10device_ptrIfEEEESE_PS5_SF_jNS0_19identity_decomposerENS1_16block_id_wrapperIjLb1EEEEE10hipError_tT1_PNSt15iterator_traitsISK_E10value_typeET2_T3_PNSL_ISQ_E10value_typeET4_T5_PSV_SW_PNS1_23onesweep_lookback_stateEbbT6_jjT7_P12ihipStream_tbENKUlT_T0_SK_SP_E_clIPfSE_SF_SF_EEDaS13_S14_SK_SP_EUlS13_E_NS1_11comp_targetILNS1_3genE0ELNS1_11target_archE4294967295ELNS1_3gpuE0ELNS1_3repE0EEENS1_47radix_sort_onesweep_sort_config_static_selectorELNS0_4arch9wavefront6targetE0EEEvSK_.num_agpr, 0
	.set _ZN7rocprim17ROCPRIM_400000_NS6detail17trampoline_kernelINS0_14default_configENS1_35radix_sort_onesweep_config_selectorIfNS0_10empty_typeEEEZZNS1_29radix_sort_onesweep_iterationIS3_Lb0EN6thrust23THRUST_200600_302600_NS6detail15normal_iteratorINS9_10device_ptrIfEEEESE_PS5_SF_jNS0_19identity_decomposerENS1_16block_id_wrapperIjLb1EEEEE10hipError_tT1_PNSt15iterator_traitsISK_E10value_typeET2_T3_PNSL_ISQ_E10value_typeET4_T5_PSV_SW_PNS1_23onesweep_lookback_stateEbbT6_jjT7_P12ihipStream_tbENKUlT_T0_SK_SP_E_clIPfSE_SF_SF_EEDaS13_S14_SK_SP_EUlS13_E_NS1_11comp_targetILNS1_3genE0ELNS1_11target_archE4294967295ELNS1_3gpuE0ELNS1_3repE0EEENS1_47radix_sort_onesweep_sort_config_static_selectorELNS0_4arch9wavefront6targetE0EEEvSK_.numbered_sgpr, 0
	.set _ZN7rocprim17ROCPRIM_400000_NS6detail17trampoline_kernelINS0_14default_configENS1_35radix_sort_onesweep_config_selectorIfNS0_10empty_typeEEEZZNS1_29radix_sort_onesweep_iterationIS3_Lb0EN6thrust23THRUST_200600_302600_NS6detail15normal_iteratorINS9_10device_ptrIfEEEESE_PS5_SF_jNS0_19identity_decomposerENS1_16block_id_wrapperIjLb1EEEEE10hipError_tT1_PNSt15iterator_traitsISK_E10value_typeET2_T3_PNSL_ISQ_E10value_typeET4_T5_PSV_SW_PNS1_23onesweep_lookback_stateEbbT6_jjT7_P12ihipStream_tbENKUlT_T0_SK_SP_E_clIPfSE_SF_SF_EEDaS13_S14_SK_SP_EUlS13_E_NS1_11comp_targetILNS1_3genE0ELNS1_11target_archE4294967295ELNS1_3gpuE0ELNS1_3repE0EEENS1_47radix_sort_onesweep_sort_config_static_selectorELNS0_4arch9wavefront6targetE0EEEvSK_.num_named_barrier, 0
	.set _ZN7rocprim17ROCPRIM_400000_NS6detail17trampoline_kernelINS0_14default_configENS1_35radix_sort_onesweep_config_selectorIfNS0_10empty_typeEEEZZNS1_29radix_sort_onesweep_iterationIS3_Lb0EN6thrust23THRUST_200600_302600_NS6detail15normal_iteratorINS9_10device_ptrIfEEEESE_PS5_SF_jNS0_19identity_decomposerENS1_16block_id_wrapperIjLb1EEEEE10hipError_tT1_PNSt15iterator_traitsISK_E10value_typeET2_T3_PNSL_ISQ_E10value_typeET4_T5_PSV_SW_PNS1_23onesweep_lookback_stateEbbT6_jjT7_P12ihipStream_tbENKUlT_T0_SK_SP_E_clIPfSE_SF_SF_EEDaS13_S14_SK_SP_EUlS13_E_NS1_11comp_targetILNS1_3genE0ELNS1_11target_archE4294967295ELNS1_3gpuE0ELNS1_3repE0EEENS1_47radix_sort_onesweep_sort_config_static_selectorELNS0_4arch9wavefront6targetE0EEEvSK_.private_seg_size, 0
	.set _ZN7rocprim17ROCPRIM_400000_NS6detail17trampoline_kernelINS0_14default_configENS1_35radix_sort_onesweep_config_selectorIfNS0_10empty_typeEEEZZNS1_29radix_sort_onesweep_iterationIS3_Lb0EN6thrust23THRUST_200600_302600_NS6detail15normal_iteratorINS9_10device_ptrIfEEEESE_PS5_SF_jNS0_19identity_decomposerENS1_16block_id_wrapperIjLb1EEEEE10hipError_tT1_PNSt15iterator_traitsISK_E10value_typeET2_T3_PNSL_ISQ_E10value_typeET4_T5_PSV_SW_PNS1_23onesweep_lookback_stateEbbT6_jjT7_P12ihipStream_tbENKUlT_T0_SK_SP_E_clIPfSE_SF_SF_EEDaS13_S14_SK_SP_EUlS13_E_NS1_11comp_targetILNS1_3genE0ELNS1_11target_archE4294967295ELNS1_3gpuE0ELNS1_3repE0EEENS1_47radix_sort_onesweep_sort_config_static_selectorELNS0_4arch9wavefront6targetE0EEEvSK_.uses_vcc, 0
	.set _ZN7rocprim17ROCPRIM_400000_NS6detail17trampoline_kernelINS0_14default_configENS1_35radix_sort_onesweep_config_selectorIfNS0_10empty_typeEEEZZNS1_29radix_sort_onesweep_iterationIS3_Lb0EN6thrust23THRUST_200600_302600_NS6detail15normal_iteratorINS9_10device_ptrIfEEEESE_PS5_SF_jNS0_19identity_decomposerENS1_16block_id_wrapperIjLb1EEEEE10hipError_tT1_PNSt15iterator_traitsISK_E10value_typeET2_T3_PNSL_ISQ_E10value_typeET4_T5_PSV_SW_PNS1_23onesweep_lookback_stateEbbT6_jjT7_P12ihipStream_tbENKUlT_T0_SK_SP_E_clIPfSE_SF_SF_EEDaS13_S14_SK_SP_EUlS13_E_NS1_11comp_targetILNS1_3genE0ELNS1_11target_archE4294967295ELNS1_3gpuE0ELNS1_3repE0EEENS1_47radix_sort_onesweep_sort_config_static_selectorELNS0_4arch9wavefront6targetE0EEEvSK_.uses_flat_scratch, 0
	.set _ZN7rocprim17ROCPRIM_400000_NS6detail17trampoline_kernelINS0_14default_configENS1_35radix_sort_onesweep_config_selectorIfNS0_10empty_typeEEEZZNS1_29radix_sort_onesweep_iterationIS3_Lb0EN6thrust23THRUST_200600_302600_NS6detail15normal_iteratorINS9_10device_ptrIfEEEESE_PS5_SF_jNS0_19identity_decomposerENS1_16block_id_wrapperIjLb1EEEEE10hipError_tT1_PNSt15iterator_traitsISK_E10value_typeET2_T3_PNSL_ISQ_E10value_typeET4_T5_PSV_SW_PNS1_23onesweep_lookback_stateEbbT6_jjT7_P12ihipStream_tbENKUlT_T0_SK_SP_E_clIPfSE_SF_SF_EEDaS13_S14_SK_SP_EUlS13_E_NS1_11comp_targetILNS1_3genE0ELNS1_11target_archE4294967295ELNS1_3gpuE0ELNS1_3repE0EEENS1_47radix_sort_onesweep_sort_config_static_selectorELNS0_4arch9wavefront6targetE0EEEvSK_.has_dyn_sized_stack, 0
	.set _ZN7rocprim17ROCPRIM_400000_NS6detail17trampoline_kernelINS0_14default_configENS1_35radix_sort_onesweep_config_selectorIfNS0_10empty_typeEEEZZNS1_29radix_sort_onesweep_iterationIS3_Lb0EN6thrust23THRUST_200600_302600_NS6detail15normal_iteratorINS9_10device_ptrIfEEEESE_PS5_SF_jNS0_19identity_decomposerENS1_16block_id_wrapperIjLb1EEEEE10hipError_tT1_PNSt15iterator_traitsISK_E10value_typeET2_T3_PNSL_ISQ_E10value_typeET4_T5_PSV_SW_PNS1_23onesweep_lookback_stateEbbT6_jjT7_P12ihipStream_tbENKUlT_T0_SK_SP_E_clIPfSE_SF_SF_EEDaS13_S14_SK_SP_EUlS13_E_NS1_11comp_targetILNS1_3genE0ELNS1_11target_archE4294967295ELNS1_3gpuE0ELNS1_3repE0EEENS1_47radix_sort_onesweep_sort_config_static_selectorELNS0_4arch9wavefront6targetE0EEEvSK_.has_recursion, 0
	.set _ZN7rocprim17ROCPRIM_400000_NS6detail17trampoline_kernelINS0_14default_configENS1_35radix_sort_onesweep_config_selectorIfNS0_10empty_typeEEEZZNS1_29radix_sort_onesweep_iterationIS3_Lb0EN6thrust23THRUST_200600_302600_NS6detail15normal_iteratorINS9_10device_ptrIfEEEESE_PS5_SF_jNS0_19identity_decomposerENS1_16block_id_wrapperIjLb1EEEEE10hipError_tT1_PNSt15iterator_traitsISK_E10value_typeET2_T3_PNSL_ISQ_E10value_typeET4_T5_PSV_SW_PNS1_23onesweep_lookback_stateEbbT6_jjT7_P12ihipStream_tbENKUlT_T0_SK_SP_E_clIPfSE_SF_SF_EEDaS13_S14_SK_SP_EUlS13_E_NS1_11comp_targetILNS1_3genE0ELNS1_11target_archE4294967295ELNS1_3gpuE0ELNS1_3repE0EEENS1_47radix_sort_onesweep_sort_config_static_selectorELNS0_4arch9wavefront6targetE0EEEvSK_.has_indirect_call, 0
	.section	.AMDGPU.csdata,"",@progbits
; Kernel info:
; codeLenInByte = 0
; TotalNumSgprs: 0
; NumVgprs: 0
; ScratchSize: 0
; MemoryBound: 0
; FloatMode: 240
; IeeeMode: 1
; LDSByteSize: 0 bytes/workgroup (compile time only)
; SGPRBlocks: 0
; VGPRBlocks: 0
; NumSGPRsForWavesPerEU: 1
; NumVGPRsForWavesPerEU: 1
; Occupancy: 16
; WaveLimiterHint : 0
; COMPUTE_PGM_RSRC2:SCRATCH_EN: 0
; COMPUTE_PGM_RSRC2:USER_SGPR: 6
; COMPUTE_PGM_RSRC2:TRAP_HANDLER: 0
; COMPUTE_PGM_RSRC2:TGID_X_EN: 1
; COMPUTE_PGM_RSRC2:TGID_Y_EN: 0
; COMPUTE_PGM_RSRC2:TGID_Z_EN: 0
; COMPUTE_PGM_RSRC2:TIDIG_COMP_CNT: 0
	.section	.text._ZN7rocprim17ROCPRIM_400000_NS6detail17trampoline_kernelINS0_14default_configENS1_35radix_sort_onesweep_config_selectorIfNS0_10empty_typeEEEZZNS1_29radix_sort_onesweep_iterationIS3_Lb0EN6thrust23THRUST_200600_302600_NS6detail15normal_iteratorINS9_10device_ptrIfEEEESE_PS5_SF_jNS0_19identity_decomposerENS1_16block_id_wrapperIjLb1EEEEE10hipError_tT1_PNSt15iterator_traitsISK_E10value_typeET2_T3_PNSL_ISQ_E10value_typeET4_T5_PSV_SW_PNS1_23onesweep_lookback_stateEbbT6_jjT7_P12ihipStream_tbENKUlT_T0_SK_SP_E_clIPfSE_SF_SF_EEDaS13_S14_SK_SP_EUlS13_E_NS1_11comp_targetILNS1_3genE6ELNS1_11target_archE950ELNS1_3gpuE13ELNS1_3repE0EEENS1_47radix_sort_onesweep_sort_config_static_selectorELNS0_4arch9wavefront6targetE0EEEvSK_,"axG",@progbits,_ZN7rocprim17ROCPRIM_400000_NS6detail17trampoline_kernelINS0_14default_configENS1_35radix_sort_onesweep_config_selectorIfNS0_10empty_typeEEEZZNS1_29radix_sort_onesweep_iterationIS3_Lb0EN6thrust23THRUST_200600_302600_NS6detail15normal_iteratorINS9_10device_ptrIfEEEESE_PS5_SF_jNS0_19identity_decomposerENS1_16block_id_wrapperIjLb1EEEEE10hipError_tT1_PNSt15iterator_traitsISK_E10value_typeET2_T3_PNSL_ISQ_E10value_typeET4_T5_PSV_SW_PNS1_23onesweep_lookback_stateEbbT6_jjT7_P12ihipStream_tbENKUlT_T0_SK_SP_E_clIPfSE_SF_SF_EEDaS13_S14_SK_SP_EUlS13_E_NS1_11comp_targetILNS1_3genE6ELNS1_11target_archE950ELNS1_3gpuE13ELNS1_3repE0EEENS1_47radix_sort_onesweep_sort_config_static_selectorELNS0_4arch9wavefront6targetE0EEEvSK_,comdat
	.protected	_ZN7rocprim17ROCPRIM_400000_NS6detail17trampoline_kernelINS0_14default_configENS1_35radix_sort_onesweep_config_selectorIfNS0_10empty_typeEEEZZNS1_29radix_sort_onesweep_iterationIS3_Lb0EN6thrust23THRUST_200600_302600_NS6detail15normal_iteratorINS9_10device_ptrIfEEEESE_PS5_SF_jNS0_19identity_decomposerENS1_16block_id_wrapperIjLb1EEEEE10hipError_tT1_PNSt15iterator_traitsISK_E10value_typeET2_T3_PNSL_ISQ_E10value_typeET4_T5_PSV_SW_PNS1_23onesweep_lookback_stateEbbT6_jjT7_P12ihipStream_tbENKUlT_T0_SK_SP_E_clIPfSE_SF_SF_EEDaS13_S14_SK_SP_EUlS13_E_NS1_11comp_targetILNS1_3genE6ELNS1_11target_archE950ELNS1_3gpuE13ELNS1_3repE0EEENS1_47radix_sort_onesweep_sort_config_static_selectorELNS0_4arch9wavefront6targetE0EEEvSK_ ; -- Begin function _ZN7rocprim17ROCPRIM_400000_NS6detail17trampoline_kernelINS0_14default_configENS1_35radix_sort_onesweep_config_selectorIfNS0_10empty_typeEEEZZNS1_29radix_sort_onesweep_iterationIS3_Lb0EN6thrust23THRUST_200600_302600_NS6detail15normal_iteratorINS9_10device_ptrIfEEEESE_PS5_SF_jNS0_19identity_decomposerENS1_16block_id_wrapperIjLb1EEEEE10hipError_tT1_PNSt15iterator_traitsISK_E10value_typeET2_T3_PNSL_ISQ_E10value_typeET4_T5_PSV_SW_PNS1_23onesweep_lookback_stateEbbT6_jjT7_P12ihipStream_tbENKUlT_T0_SK_SP_E_clIPfSE_SF_SF_EEDaS13_S14_SK_SP_EUlS13_E_NS1_11comp_targetILNS1_3genE6ELNS1_11target_archE950ELNS1_3gpuE13ELNS1_3repE0EEENS1_47radix_sort_onesweep_sort_config_static_selectorELNS0_4arch9wavefront6targetE0EEEvSK_
	.globl	_ZN7rocprim17ROCPRIM_400000_NS6detail17trampoline_kernelINS0_14default_configENS1_35radix_sort_onesweep_config_selectorIfNS0_10empty_typeEEEZZNS1_29radix_sort_onesweep_iterationIS3_Lb0EN6thrust23THRUST_200600_302600_NS6detail15normal_iteratorINS9_10device_ptrIfEEEESE_PS5_SF_jNS0_19identity_decomposerENS1_16block_id_wrapperIjLb1EEEEE10hipError_tT1_PNSt15iterator_traitsISK_E10value_typeET2_T3_PNSL_ISQ_E10value_typeET4_T5_PSV_SW_PNS1_23onesweep_lookback_stateEbbT6_jjT7_P12ihipStream_tbENKUlT_T0_SK_SP_E_clIPfSE_SF_SF_EEDaS13_S14_SK_SP_EUlS13_E_NS1_11comp_targetILNS1_3genE6ELNS1_11target_archE950ELNS1_3gpuE13ELNS1_3repE0EEENS1_47radix_sort_onesweep_sort_config_static_selectorELNS0_4arch9wavefront6targetE0EEEvSK_
	.p2align	8
	.type	_ZN7rocprim17ROCPRIM_400000_NS6detail17trampoline_kernelINS0_14default_configENS1_35radix_sort_onesweep_config_selectorIfNS0_10empty_typeEEEZZNS1_29radix_sort_onesweep_iterationIS3_Lb0EN6thrust23THRUST_200600_302600_NS6detail15normal_iteratorINS9_10device_ptrIfEEEESE_PS5_SF_jNS0_19identity_decomposerENS1_16block_id_wrapperIjLb1EEEEE10hipError_tT1_PNSt15iterator_traitsISK_E10value_typeET2_T3_PNSL_ISQ_E10value_typeET4_T5_PSV_SW_PNS1_23onesweep_lookback_stateEbbT6_jjT7_P12ihipStream_tbENKUlT_T0_SK_SP_E_clIPfSE_SF_SF_EEDaS13_S14_SK_SP_EUlS13_E_NS1_11comp_targetILNS1_3genE6ELNS1_11target_archE950ELNS1_3gpuE13ELNS1_3repE0EEENS1_47radix_sort_onesweep_sort_config_static_selectorELNS0_4arch9wavefront6targetE0EEEvSK_,@function
_ZN7rocprim17ROCPRIM_400000_NS6detail17trampoline_kernelINS0_14default_configENS1_35radix_sort_onesweep_config_selectorIfNS0_10empty_typeEEEZZNS1_29radix_sort_onesweep_iterationIS3_Lb0EN6thrust23THRUST_200600_302600_NS6detail15normal_iteratorINS9_10device_ptrIfEEEESE_PS5_SF_jNS0_19identity_decomposerENS1_16block_id_wrapperIjLb1EEEEE10hipError_tT1_PNSt15iterator_traitsISK_E10value_typeET2_T3_PNSL_ISQ_E10value_typeET4_T5_PSV_SW_PNS1_23onesweep_lookback_stateEbbT6_jjT7_P12ihipStream_tbENKUlT_T0_SK_SP_E_clIPfSE_SF_SF_EEDaS13_S14_SK_SP_EUlS13_E_NS1_11comp_targetILNS1_3genE6ELNS1_11target_archE950ELNS1_3gpuE13ELNS1_3repE0EEENS1_47radix_sort_onesweep_sort_config_static_selectorELNS0_4arch9wavefront6targetE0EEEvSK_: ; @_ZN7rocprim17ROCPRIM_400000_NS6detail17trampoline_kernelINS0_14default_configENS1_35radix_sort_onesweep_config_selectorIfNS0_10empty_typeEEEZZNS1_29radix_sort_onesweep_iterationIS3_Lb0EN6thrust23THRUST_200600_302600_NS6detail15normal_iteratorINS9_10device_ptrIfEEEESE_PS5_SF_jNS0_19identity_decomposerENS1_16block_id_wrapperIjLb1EEEEE10hipError_tT1_PNSt15iterator_traitsISK_E10value_typeET2_T3_PNSL_ISQ_E10value_typeET4_T5_PSV_SW_PNS1_23onesweep_lookback_stateEbbT6_jjT7_P12ihipStream_tbENKUlT_T0_SK_SP_E_clIPfSE_SF_SF_EEDaS13_S14_SK_SP_EUlS13_E_NS1_11comp_targetILNS1_3genE6ELNS1_11target_archE950ELNS1_3gpuE13ELNS1_3repE0EEENS1_47radix_sort_onesweep_sort_config_static_selectorELNS0_4arch9wavefront6targetE0EEEvSK_
; %bb.0:
	.section	.rodata,"a",@progbits
	.p2align	6, 0x0
	.amdhsa_kernel _ZN7rocprim17ROCPRIM_400000_NS6detail17trampoline_kernelINS0_14default_configENS1_35radix_sort_onesweep_config_selectorIfNS0_10empty_typeEEEZZNS1_29radix_sort_onesweep_iterationIS3_Lb0EN6thrust23THRUST_200600_302600_NS6detail15normal_iteratorINS9_10device_ptrIfEEEESE_PS5_SF_jNS0_19identity_decomposerENS1_16block_id_wrapperIjLb1EEEEE10hipError_tT1_PNSt15iterator_traitsISK_E10value_typeET2_T3_PNSL_ISQ_E10value_typeET4_T5_PSV_SW_PNS1_23onesweep_lookback_stateEbbT6_jjT7_P12ihipStream_tbENKUlT_T0_SK_SP_E_clIPfSE_SF_SF_EEDaS13_S14_SK_SP_EUlS13_E_NS1_11comp_targetILNS1_3genE6ELNS1_11target_archE950ELNS1_3gpuE13ELNS1_3repE0EEENS1_47radix_sort_onesweep_sort_config_static_selectorELNS0_4arch9wavefront6targetE0EEEvSK_
		.amdhsa_group_segment_fixed_size 0
		.amdhsa_private_segment_fixed_size 0
		.amdhsa_kernarg_size 88
		.amdhsa_user_sgpr_count 6
		.amdhsa_user_sgpr_private_segment_buffer 1
		.amdhsa_user_sgpr_dispatch_ptr 0
		.amdhsa_user_sgpr_queue_ptr 0
		.amdhsa_user_sgpr_kernarg_segment_ptr 1
		.amdhsa_user_sgpr_dispatch_id 0
		.amdhsa_user_sgpr_flat_scratch_init 0
		.amdhsa_user_sgpr_private_segment_size 0
		.amdhsa_wavefront_size32 1
		.amdhsa_uses_dynamic_stack 0
		.amdhsa_system_sgpr_private_segment_wavefront_offset 0
		.amdhsa_system_sgpr_workgroup_id_x 1
		.amdhsa_system_sgpr_workgroup_id_y 0
		.amdhsa_system_sgpr_workgroup_id_z 0
		.amdhsa_system_sgpr_workgroup_info 0
		.amdhsa_system_vgpr_workitem_id 0
		.amdhsa_next_free_vgpr 1
		.amdhsa_next_free_sgpr 1
		.amdhsa_reserve_vcc 0
		.amdhsa_reserve_flat_scratch 0
		.amdhsa_float_round_mode_32 0
		.amdhsa_float_round_mode_16_64 0
		.amdhsa_float_denorm_mode_32 3
		.amdhsa_float_denorm_mode_16_64 3
		.amdhsa_dx10_clamp 1
		.amdhsa_ieee_mode 1
		.amdhsa_fp16_overflow 0
		.amdhsa_workgroup_processor_mode 1
		.amdhsa_memory_ordered 1
		.amdhsa_forward_progress 1
		.amdhsa_shared_vgpr_count 0
		.amdhsa_exception_fp_ieee_invalid_op 0
		.amdhsa_exception_fp_denorm_src 0
		.amdhsa_exception_fp_ieee_div_zero 0
		.amdhsa_exception_fp_ieee_overflow 0
		.amdhsa_exception_fp_ieee_underflow 0
		.amdhsa_exception_fp_ieee_inexact 0
		.amdhsa_exception_int_div_zero 0
	.end_amdhsa_kernel
	.section	.text._ZN7rocprim17ROCPRIM_400000_NS6detail17trampoline_kernelINS0_14default_configENS1_35radix_sort_onesweep_config_selectorIfNS0_10empty_typeEEEZZNS1_29radix_sort_onesweep_iterationIS3_Lb0EN6thrust23THRUST_200600_302600_NS6detail15normal_iteratorINS9_10device_ptrIfEEEESE_PS5_SF_jNS0_19identity_decomposerENS1_16block_id_wrapperIjLb1EEEEE10hipError_tT1_PNSt15iterator_traitsISK_E10value_typeET2_T3_PNSL_ISQ_E10value_typeET4_T5_PSV_SW_PNS1_23onesweep_lookback_stateEbbT6_jjT7_P12ihipStream_tbENKUlT_T0_SK_SP_E_clIPfSE_SF_SF_EEDaS13_S14_SK_SP_EUlS13_E_NS1_11comp_targetILNS1_3genE6ELNS1_11target_archE950ELNS1_3gpuE13ELNS1_3repE0EEENS1_47radix_sort_onesweep_sort_config_static_selectorELNS0_4arch9wavefront6targetE0EEEvSK_,"axG",@progbits,_ZN7rocprim17ROCPRIM_400000_NS6detail17trampoline_kernelINS0_14default_configENS1_35radix_sort_onesweep_config_selectorIfNS0_10empty_typeEEEZZNS1_29radix_sort_onesweep_iterationIS3_Lb0EN6thrust23THRUST_200600_302600_NS6detail15normal_iteratorINS9_10device_ptrIfEEEESE_PS5_SF_jNS0_19identity_decomposerENS1_16block_id_wrapperIjLb1EEEEE10hipError_tT1_PNSt15iterator_traitsISK_E10value_typeET2_T3_PNSL_ISQ_E10value_typeET4_T5_PSV_SW_PNS1_23onesweep_lookback_stateEbbT6_jjT7_P12ihipStream_tbENKUlT_T0_SK_SP_E_clIPfSE_SF_SF_EEDaS13_S14_SK_SP_EUlS13_E_NS1_11comp_targetILNS1_3genE6ELNS1_11target_archE950ELNS1_3gpuE13ELNS1_3repE0EEENS1_47radix_sort_onesweep_sort_config_static_selectorELNS0_4arch9wavefront6targetE0EEEvSK_,comdat
.Lfunc_end578:
	.size	_ZN7rocprim17ROCPRIM_400000_NS6detail17trampoline_kernelINS0_14default_configENS1_35radix_sort_onesweep_config_selectorIfNS0_10empty_typeEEEZZNS1_29radix_sort_onesweep_iterationIS3_Lb0EN6thrust23THRUST_200600_302600_NS6detail15normal_iteratorINS9_10device_ptrIfEEEESE_PS5_SF_jNS0_19identity_decomposerENS1_16block_id_wrapperIjLb1EEEEE10hipError_tT1_PNSt15iterator_traitsISK_E10value_typeET2_T3_PNSL_ISQ_E10value_typeET4_T5_PSV_SW_PNS1_23onesweep_lookback_stateEbbT6_jjT7_P12ihipStream_tbENKUlT_T0_SK_SP_E_clIPfSE_SF_SF_EEDaS13_S14_SK_SP_EUlS13_E_NS1_11comp_targetILNS1_3genE6ELNS1_11target_archE950ELNS1_3gpuE13ELNS1_3repE0EEENS1_47radix_sort_onesweep_sort_config_static_selectorELNS0_4arch9wavefront6targetE0EEEvSK_, .Lfunc_end578-_ZN7rocprim17ROCPRIM_400000_NS6detail17trampoline_kernelINS0_14default_configENS1_35radix_sort_onesweep_config_selectorIfNS0_10empty_typeEEEZZNS1_29radix_sort_onesweep_iterationIS3_Lb0EN6thrust23THRUST_200600_302600_NS6detail15normal_iteratorINS9_10device_ptrIfEEEESE_PS5_SF_jNS0_19identity_decomposerENS1_16block_id_wrapperIjLb1EEEEE10hipError_tT1_PNSt15iterator_traitsISK_E10value_typeET2_T3_PNSL_ISQ_E10value_typeET4_T5_PSV_SW_PNS1_23onesweep_lookback_stateEbbT6_jjT7_P12ihipStream_tbENKUlT_T0_SK_SP_E_clIPfSE_SF_SF_EEDaS13_S14_SK_SP_EUlS13_E_NS1_11comp_targetILNS1_3genE6ELNS1_11target_archE950ELNS1_3gpuE13ELNS1_3repE0EEENS1_47radix_sort_onesweep_sort_config_static_selectorELNS0_4arch9wavefront6targetE0EEEvSK_
                                        ; -- End function
	.set _ZN7rocprim17ROCPRIM_400000_NS6detail17trampoline_kernelINS0_14default_configENS1_35radix_sort_onesweep_config_selectorIfNS0_10empty_typeEEEZZNS1_29radix_sort_onesweep_iterationIS3_Lb0EN6thrust23THRUST_200600_302600_NS6detail15normal_iteratorINS9_10device_ptrIfEEEESE_PS5_SF_jNS0_19identity_decomposerENS1_16block_id_wrapperIjLb1EEEEE10hipError_tT1_PNSt15iterator_traitsISK_E10value_typeET2_T3_PNSL_ISQ_E10value_typeET4_T5_PSV_SW_PNS1_23onesweep_lookback_stateEbbT6_jjT7_P12ihipStream_tbENKUlT_T0_SK_SP_E_clIPfSE_SF_SF_EEDaS13_S14_SK_SP_EUlS13_E_NS1_11comp_targetILNS1_3genE6ELNS1_11target_archE950ELNS1_3gpuE13ELNS1_3repE0EEENS1_47radix_sort_onesweep_sort_config_static_selectorELNS0_4arch9wavefront6targetE0EEEvSK_.num_vgpr, 0
	.set _ZN7rocprim17ROCPRIM_400000_NS6detail17trampoline_kernelINS0_14default_configENS1_35radix_sort_onesweep_config_selectorIfNS0_10empty_typeEEEZZNS1_29radix_sort_onesweep_iterationIS3_Lb0EN6thrust23THRUST_200600_302600_NS6detail15normal_iteratorINS9_10device_ptrIfEEEESE_PS5_SF_jNS0_19identity_decomposerENS1_16block_id_wrapperIjLb1EEEEE10hipError_tT1_PNSt15iterator_traitsISK_E10value_typeET2_T3_PNSL_ISQ_E10value_typeET4_T5_PSV_SW_PNS1_23onesweep_lookback_stateEbbT6_jjT7_P12ihipStream_tbENKUlT_T0_SK_SP_E_clIPfSE_SF_SF_EEDaS13_S14_SK_SP_EUlS13_E_NS1_11comp_targetILNS1_3genE6ELNS1_11target_archE950ELNS1_3gpuE13ELNS1_3repE0EEENS1_47radix_sort_onesweep_sort_config_static_selectorELNS0_4arch9wavefront6targetE0EEEvSK_.num_agpr, 0
	.set _ZN7rocprim17ROCPRIM_400000_NS6detail17trampoline_kernelINS0_14default_configENS1_35radix_sort_onesweep_config_selectorIfNS0_10empty_typeEEEZZNS1_29radix_sort_onesweep_iterationIS3_Lb0EN6thrust23THRUST_200600_302600_NS6detail15normal_iteratorINS9_10device_ptrIfEEEESE_PS5_SF_jNS0_19identity_decomposerENS1_16block_id_wrapperIjLb1EEEEE10hipError_tT1_PNSt15iterator_traitsISK_E10value_typeET2_T3_PNSL_ISQ_E10value_typeET4_T5_PSV_SW_PNS1_23onesweep_lookback_stateEbbT6_jjT7_P12ihipStream_tbENKUlT_T0_SK_SP_E_clIPfSE_SF_SF_EEDaS13_S14_SK_SP_EUlS13_E_NS1_11comp_targetILNS1_3genE6ELNS1_11target_archE950ELNS1_3gpuE13ELNS1_3repE0EEENS1_47radix_sort_onesweep_sort_config_static_selectorELNS0_4arch9wavefront6targetE0EEEvSK_.numbered_sgpr, 0
	.set _ZN7rocprim17ROCPRIM_400000_NS6detail17trampoline_kernelINS0_14default_configENS1_35radix_sort_onesweep_config_selectorIfNS0_10empty_typeEEEZZNS1_29radix_sort_onesweep_iterationIS3_Lb0EN6thrust23THRUST_200600_302600_NS6detail15normal_iteratorINS9_10device_ptrIfEEEESE_PS5_SF_jNS0_19identity_decomposerENS1_16block_id_wrapperIjLb1EEEEE10hipError_tT1_PNSt15iterator_traitsISK_E10value_typeET2_T3_PNSL_ISQ_E10value_typeET4_T5_PSV_SW_PNS1_23onesweep_lookback_stateEbbT6_jjT7_P12ihipStream_tbENKUlT_T0_SK_SP_E_clIPfSE_SF_SF_EEDaS13_S14_SK_SP_EUlS13_E_NS1_11comp_targetILNS1_3genE6ELNS1_11target_archE950ELNS1_3gpuE13ELNS1_3repE0EEENS1_47radix_sort_onesweep_sort_config_static_selectorELNS0_4arch9wavefront6targetE0EEEvSK_.num_named_barrier, 0
	.set _ZN7rocprim17ROCPRIM_400000_NS6detail17trampoline_kernelINS0_14default_configENS1_35radix_sort_onesweep_config_selectorIfNS0_10empty_typeEEEZZNS1_29radix_sort_onesweep_iterationIS3_Lb0EN6thrust23THRUST_200600_302600_NS6detail15normal_iteratorINS9_10device_ptrIfEEEESE_PS5_SF_jNS0_19identity_decomposerENS1_16block_id_wrapperIjLb1EEEEE10hipError_tT1_PNSt15iterator_traitsISK_E10value_typeET2_T3_PNSL_ISQ_E10value_typeET4_T5_PSV_SW_PNS1_23onesweep_lookback_stateEbbT6_jjT7_P12ihipStream_tbENKUlT_T0_SK_SP_E_clIPfSE_SF_SF_EEDaS13_S14_SK_SP_EUlS13_E_NS1_11comp_targetILNS1_3genE6ELNS1_11target_archE950ELNS1_3gpuE13ELNS1_3repE0EEENS1_47radix_sort_onesweep_sort_config_static_selectorELNS0_4arch9wavefront6targetE0EEEvSK_.private_seg_size, 0
	.set _ZN7rocprim17ROCPRIM_400000_NS6detail17trampoline_kernelINS0_14default_configENS1_35radix_sort_onesweep_config_selectorIfNS0_10empty_typeEEEZZNS1_29radix_sort_onesweep_iterationIS3_Lb0EN6thrust23THRUST_200600_302600_NS6detail15normal_iteratorINS9_10device_ptrIfEEEESE_PS5_SF_jNS0_19identity_decomposerENS1_16block_id_wrapperIjLb1EEEEE10hipError_tT1_PNSt15iterator_traitsISK_E10value_typeET2_T3_PNSL_ISQ_E10value_typeET4_T5_PSV_SW_PNS1_23onesweep_lookback_stateEbbT6_jjT7_P12ihipStream_tbENKUlT_T0_SK_SP_E_clIPfSE_SF_SF_EEDaS13_S14_SK_SP_EUlS13_E_NS1_11comp_targetILNS1_3genE6ELNS1_11target_archE950ELNS1_3gpuE13ELNS1_3repE0EEENS1_47radix_sort_onesweep_sort_config_static_selectorELNS0_4arch9wavefront6targetE0EEEvSK_.uses_vcc, 0
	.set _ZN7rocprim17ROCPRIM_400000_NS6detail17trampoline_kernelINS0_14default_configENS1_35radix_sort_onesweep_config_selectorIfNS0_10empty_typeEEEZZNS1_29radix_sort_onesweep_iterationIS3_Lb0EN6thrust23THRUST_200600_302600_NS6detail15normal_iteratorINS9_10device_ptrIfEEEESE_PS5_SF_jNS0_19identity_decomposerENS1_16block_id_wrapperIjLb1EEEEE10hipError_tT1_PNSt15iterator_traitsISK_E10value_typeET2_T3_PNSL_ISQ_E10value_typeET4_T5_PSV_SW_PNS1_23onesweep_lookback_stateEbbT6_jjT7_P12ihipStream_tbENKUlT_T0_SK_SP_E_clIPfSE_SF_SF_EEDaS13_S14_SK_SP_EUlS13_E_NS1_11comp_targetILNS1_3genE6ELNS1_11target_archE950ELNS1_3gpuE13ELNS1_3repE0EEENS1_47radix_sort_onesweep_sort_config_static_selectorELNS0_4arch9wavefront6targetE0EEEvSK_.uses_flat_scratch, 0
	.set _ZN7rocprim17ROCPRIM_400000_NS6detail17trampoline_kernelINS0_14default_configENS1_35radix_sort_onesweep_config_selectorIfNS0_10empty_typeEEEZZNS1_29radix_sort_onesweep_iterationIS3_Lb0EN6thrust23THRUST_200600_302600_NS6detail15normal_iteratorINS9_10device_ptrIfEEEESE_PS5_SF_jNS0_19identity_decomposerENS1_16block_id_wrapperIjLb1EEEEE10hipError_tT1_PNSt15iterator_traitsISK_E10value_typeET2_T3_PNSL_ISQ_E10value_typeET4_T5_PSV_SW_PNS1_23onesweep_lookback_stateEbbT6_jjT7_P12ihipStream_tbENKUlT_T0_SK_SP_E_clIPfSE_SF_SF_EEDaS13_S14_SK_SP_EUlS13_E_NS1_11comp_targetILNS1_3genE6ELNS1_11target_archE950ELNS1_3gpuE13ELNS1_3repE0EEENS1_47radix_sort_onesweep_sort_config_static_selectorELNS0_4arch9wavefront6targetE0EEEvSK_.has_dyn_sized_stack, 0
	.set _ZN7rocprim17ROCPRIM_400000_NS6detail17trampoline_kernelINS0_14default_configENS1_35radix_sort_onesweep_config_selectorIfNS0_10empty_typeEEEZZNS1_29radix_sort_onesweep_iterationIS3_Lb0EN6thrust23THRUST_200600_302600_NS6detail15normal_iteratorINS9_10device_ptrIfEEEESE_PS5_SF_jNS0_19identity_decomposerENS1_16block_id_wrapperIjLb1EEEEE10hipError_tT1_PNSt15iterator_traitsISK_E10value_typeET2_T3_PNSL_ISQ_E10value_typeET4_T5_PSV_SW_PNS1_23onesweep_lookback_stateEbbT6_jjT7_P12ihipStream_tbENKUlT_T0_SK_SP_E_clIPfSE_SF_SF_EEDaS13_S14_SK_SP_EUlS13_E_NS1_11comp_targetILNS1_3genE6ELNS1_11target_archE950ELNS1_3gpuE13ELNS1_3repE0EEENS1_47radix_sort_onesweep_sort_config_static_selectorELNS0_4arch9wavefront6targetE0EEEvSK_.has_recursion, 0
	.set _ZN7rocprim17ROCPRIM_400000_NS6detail17trampoline_kernelINS0_14default_configENS1_35radix_sort_onesweep_config_selectorIfNS0_10empty_typeEEEZZNS1_29radix_sort_onesweep_iterationIS3_Lb0EN6thrust23THRUST_200600_302600_NS6detail15normal_iteratorINS9_10device_ptrIfEEEESE_PS5_SF_jNS0_19identity_decomposerENS1_16block_id_wrapperIjLb1EEEEE10hipError_tT1_PNSt15iterator_traitsISK_E10value_typeET2_T3_PNSL_ISQ_E10value_typeET4_T5_PSV_SW_PNS1_23onesweep_lookback_stateEbbT6_jjT7_P12ihipStream_tbENKUlT_T0_SK_SP_E_clIPfSE_SF_SF_EEDaS13_S14_SK_SP_EUlS13_E_NS1_11comp_targetILNS1_3genE6ELNS1_11target_archE950ELNS1_3gpuE13ELNS1_3repE0EEENS1_47radix_sort_onesweep_sort_config_static_selectorELNS0_4arch9wavefront6targetE0EEEvSK_.has_indirect_call, 0
	.section	.AMDGPU.csdata,"",@progbits
; Kernel info:
; codeLenInByte = 0
; TotalNumSgprs: 0
; NumVgprs: 0
; ScratchSize: 0
; MemoryBound: 0
; FloatMode: 240
; IeeeMode: 1
; LDSByteSize: 0 bytes/workgroup (compile time only)
; SGPRBlocks: 0
; VGPRBlocks: 0
; NumSGPRsForWavesPerEU: 1
; NumVGPRsForWavesPerEU: 1
; Occupancy: 16
; WaveLimiterHint : 0
; COMPUTE_PGM_RSRC2:SCRATCH_EN: 0
; COMPUTE_PGM_RSRC2:USER_SGPR: 6
; COMPUTE_PGM_RSRC2:TRAP_HANDLER: 0
; COMPUTE_PGM_RSRC2:TGID_X_EN: 1
; COMPUTE_PGM_RSRC2:TGID_Y_EN: 0
; COMPUTE_PGM_RSRC2:TGID_Z_EN: 0
; COMPUTE_PGM_RSRC2:TIDIG_COMP_CNT: 0
	.section	.text._ZN7rocprim17ROCPRIM_400000_NS6detail17trampoline_kernelINS0_14default_configENS1_35radix_sort_onesweep_config_selectorIfNS0_10empty_typeEEEZZNS1_29radix_sort_onesweep_iterationIS3_Lb0EN6thrust23THRUST_200600_302600_NS6detail15normal_iteratorINS9_10device_ptrIfEEEESE_PS5_SF_jNS0_19identity_decomposerENS1_16block_id_wrapperIjLb1EEEEE10hipError_tT1_PNSt15iterator_traitsISK_E10value_typeET2_T3_PNSL_ISQ_E10value_typeET4_T5_PSV_SW_PNS1_23onesweep_lookback_stateEbbT6_jjT7_P12ihipStream_tbENKUlT_T0_SK_SP_E_clIPfSE_SF_SF_EEDaS13_S14_SK_SP_EUlS13_E_NS1_11comp_targetILNS1_3genE5ELNS1_11target_archE942ELNS1_3gpuE9ELNS1_3repE0EEENS1_47radix_sort_onesweep_sort_config_static_selectorELNS0_4arch9wavefront6targetE0EEEvSK_,"axG",@progbits,_ZN7rocprim17ROCPRIM_400000_NS6detail17trampoline_kernelINS0_14default_configENS1_35radix_sort_onesweep_config_selectorIfNS0_10empty_typeEEEZZNS1_29radix_sort_onesweep_iterationIS3_Lb0EN6thrust23THRUST_200600_302600_NS6detail15normal_iteratorINS9_10device_ptrIfEEEESE_PS5_SF_jNS0_19identity_decomposerENS1_16block_id_wrapperIjLb1EEEEE10hipError_tT1_PNSt15iterator_traitsISK_E10value_typeET2_T3_PNSL_ISQ_E10value_typeET4_T5_PSV_SW_PNS1_23onesweep_lookback_stateEbbT6_jjT7_P12ihipStream_tbENKUlT_T0_SK_SP_E_clIPfSE_SF_SF_EEDaS13_S14_SK_SP_EUlS13_E_NS1_11comp_targetILNS1_3genE5ELNS1_11target_archE942ELNS1_3gpuE9ELNS1_3repE0EEENS1_47radix_sort_onesweep_sort_config_static_selectorELNS0_4arch9wavefront6targetE0EEEvSK_,comdat
	.protected	_ZN7rocprim17ROCPRIM_400000_NS6detail17trampoline_kernelINS0_14default_configENS1_35radix_sort_onesweep_config_selectorIfNS0_10empty_typeEEEZZNS1_29radix_sort_onesweep_iterationIS3_Lb0EN6thrust23THRUST_200600_302600_NS6detail15normal_iteratorINS9_10device_ptrIfEEEESE_PS5_SF_jNS0_19identity_decomposerENS1_16block_id_wrapperIjLb1EEEEE10hipError_tT1_PNSt15iterator_traitsISK_E10value_typeET2_T3_PNSL_ISQ_E10value_typeET4_T5_PSV_SW_PNS1_23onesweep_lookback_stateEbbT6_jjT7_P12ihipStream_tbENKUlT_T0_SK_SP_E_clIPfSE_SF_SF_EEDaS13_S14_SK_SP_EUlS13_E_NS1_11comp_targetILNS1_3genE5ELNS1_11target_archE942ELNS1_3gpuE9ELNS1_3repE0EEENS1_47radix_sort_onesweep_sort_config_static_selectorELNS0_4arch9wavefront6targetE0EEEvSK_ ; -- Begin function _ZN7rocprim17ROCPRIM_400000_NS6detail17trampoline_kernelINS0_14default_configENS1_35radix_sort_onesweep_config_selectorIfNS0_10empty_typeEEEZZNS1_29radix_sort_onesweep_iterationIS3_Lb0EN6thrust23THRUST_200600_302600_NS6detail15normal_iteratorINS9_10device_ptrIfEEEESE_PS5_SF_jNS0_19identity_decomposerENS1_16block_id_wrapperIjLb1EEEEE10hipError_tT1_PNSt15iterator_traitsISK_E10value_typeET2_T3_PNSL_ISQ_E10value_typeET4_T5_PSV_SW_PNS1_23onesweep_lookback_stateEbbT6_jjT7_P12ihipStream_tbENKUlT_T0_SK_SP_E_clIPfSE_SF_SF_EEDaS13_S14_SK_SP_EUlS13_E_NS1_11comp_targetILNS1_3genE5ELNS1_11target_archE942ELNS1_3gpuE9ELNS1_3repE0EEENS1_47radix_sort_onesweep_sort_config_static_selectorELNS0_4arch9wavefront6targetE0EEEvSK_
	.globl	_ZN7rocprim17ROCPRIM_400000_NS6detail17trampoline_kernelINS0_14default_configENS1_35radix_sort_onesweep_config_selectorIfNS0_10empty_typeEEEZZNS1_29radix_sort_onesweep_iterationIS3_Lb0EN6thrust23THRUST_200600_302600_NS6detail15normal_iteratorINS9_10device_ptrIfEEEESE_PS5_SF_jNS0_19identity_decomposerENS1_16block_id_wrapperIjLb1EEEEE10hipError_tT1_PNSt15iterator_traitsISK_E10value_typeET2_T3_PNSL_ISQ_E10value_typeET4_T5_PSV_SW_PNS1_23onesweep_lookback_stateEbbT6_jjT7_P12ihipStream_tbENKUlT_T0_SK_SP_E_clIPfSE_SF_SF_EEDaS13_S14_SK_SP_EUlS13_E_NS1_11comp_targetILNS1_3genE5ELNS1_11target_archE942ELNS1_3gpuE9ELNS1_3repE0EEENS1_47radix_sort_onesweep_sort_config_static_selectorELNS0_4arch9wavefront6targetE0EEEvSK_
	.p2align	8
	.type	_ZN7rocprim17ROCPRIM_400000_NS6detail17trampoline_kernelINS0_14default_configENS1_35radix_sort_onesweep_config_selectorIfNS0_10empty_typeEEEZZNS1_29radix_sort_onesweep_iterationIS3_Lb0EN6thrust23THRUST_200600_302600_NS6detail15normal_iteratorINS9_10device_ptrIfEEEESE_PS5_SF_jNS0_19identity_decomposerENS1_16block_id_wrapperIjLb1EEEEE10hipError_tT1_PNSt15iterator_traitsISK_E10value_typeET2_T3_PNSL_ISQ_E10value_typeET4_T5_PSV_SW_PNS1_23onesweep_lookback_stateEbbT6_jjT7_P12ihipStream_tbENKUlT_T0_SK_SP_E_clIPfSE_SF_SF_EEDaS13_S14_SK_SP_EUlS13_E_NS1_11comp_targetILNS1_3genE5ELNS1_11target_archE942ELNS1_3gpuE9ELNS1_3repE0EEENS1_47radix_sort_onesweep_sort_config_static_selectorELNS0_4arch9wavefront6targetE0EEEvSK_,@function
_ZN7rocprim17ROCPRIM_400000_NS6detail17trampoline_kernelINS0_14default_configENS1_35radix_sort_onesweep_config_selectorIfNS0_10empty_typeEEEZZNS1_29radix_sort_onesweep_iterationIS3_Lb0EN6thrust23THRUST_200600_302600_NS6detail15normal_iteratorINS9_10device_ptrIfEEEESE_PS5_SF_jNS0_19identity_decomposerENS1_16block_id_wrapperIjLb1EEEEE10hipError_tT1_PNSt15iterator_traitsISK_E10value_typeET2_T3_PNSL_ISQ_E10value_typeET4_T5_PSV_SW_PNS1_23onesweep_lookback_stateEbbT6_jjT7_P12ihipStream_tbENKUlT_T0_SK_SP_E_clIPfSE_SF_SF_EEDaS13_S14_SK_SP_EUlS13_E_NS1_11comp_targetILNS1_3genE5ELNS1_11target_archE942ELNS1_3gpuE9ELNS1_3repE0EEENS1_47radix_sort_onesweep_sort_config_static_selectorELNS0_4arch9wavefront6targetE0EEEvSK_: ; @_ZN7rocprim17ROCPRIM_400000_NS6detail17trampoline_kernelINS0_14default_configENS1_35radix_sort_onesweep_config_selectorIfNS0_10empty_typeEEEZZNS1_29radix_sort_onesweep_iterationIS3_Lb0EN6thrust23THRUST_200600_302600_NS6detail15normal_iteratorINS9_10device_ptrIfEEEESE_PS5_SF_jNS0_19identity_decomposerENS1_16block_id_wrapperIjLb1EEEEE10hipError_tT1_PNSt15iterator_traitsISK_E10value_typeET2_T3_PNSL_ISQ_E10value_typeET4_T5_PSV_SW_PNS1_23onesweep_lookback_stateEbbT6_jjT7_P12ihipStream_tbENKUlT_T0_SK_SP_E_clIPfSE_SF_SF_EEDaS13_S14_SK_SP_EUlS13_E_NS1_11comp_targetILNS1_3genE5ELNS1_11target_archE942ELNS1_3gpuE9ELNS1_3repE0EEENS1_47radix_sort_onesweep_sort_config_static_selectorELNS0_4arch9wavefront6targetE0EEEvSK_
; %bb.0:
	.section	.rodata,"a",@progbits
	.p2align	6, 0x0
	.amdhsa_kernel _ZN7rocprim17ROCPRIM_400000_NS6detail17trampoline_kernelINS0_14default_configENS1_35radix_sort_onesweep_config_selectorIfNS0_10empty_typeEEEZZNS1_29radix_sort_onesweep_iterationIS3_Lb0EN6thrust23THRUST_200600_302600_NS6detail15normal_iteratorINS9_10device_ptrIfEEEESE_PS5_SF_jNS0_19identity_decomposerENS1_16block_id_wrapperIjLb1EEEEE10hipError_tT1_PNSt15iterator_traitsISK_E10value_typeET2_T3_PNSL_ISQ_E10value_typeET4_T5_PSV_SW_PNS1_23onesweep_lookback_stateEbbT6_jjT7_P12ihipStream_tbENKUlT_T0_SK_SP_E_clIPfSE_SF_SF_EEDaS13_S14_SK_SP_EUlS13_E_NS1_11comp_targetILNS1_3genE5ELNS1_11target_archE942ELNS1_3gpuE9ELNS1_3repE0EEENS1_47radix_sort_onesweep_sort_config_static_selectorELNS0_4arch9wavefront6targetE0EEEvSK_
		.amdhsa_group_segment_fixed_size 0
		.amdhsa_private_segment_fixed_size 0
		.amdhsa_kernarg_size 88
		.amdhsa_user_sgpr_count 6
		.amdhsa_user_sgpr_private_segment_buffer 1
		.amdhsa_user_sgpr_dispatch_ptr 0
		.amdhsa_user_sgpr_queue_ptr 0
		.amdhsa_user_sgpr_kernarg_segment_ptr 1
		.amdhsa_user_sgpr_dispatch_id 0
		.amdhsa_user_sgpr_flat_scratch_init 0
		.amdhsa_user_sgpr_private_segment_size 0
		.amdhsa_wavefront_size32 1
		.amdhsa_uses_dynamic_stack 0
		.amdhsa_system_sgpr_private_segment_wavefront_offset 0
		.amdhsa_system_sgpr_workgroup_id_x 1
		.amdhsa_system_sgpr_workgroup_id_y 0
		.amdhsa_system_sgpr_workgroup_id_z 0
		.amdhsa_system_sgpr_workgroup_info 0
		.amdhsa_system_vgpr_workitem_id 0
		.amdhsa_next_free_vgpr 1
		.amdhsa_next_free_sgpr 1
		.amdhsa_reserve_vcc 0
		.amdhsa_reserve_flat_scratch 0
		.amdhsa_float_round_mode_32 0
		.amdhsa_float_round_mode_16_64 0
		.amdhsa_float_denorm_mode_32 3
		.amdhsa_float_denorm_mode_16_64 3
		.amdhsa_dx10_clamp 1
		.amdhsa_ieee_mode 1
		.amdhsa_fp16_overflow 0
		.amdhsa_workgroup_processor_mode 1
		.amdhsa_memory_ordered 1
		.amdhsa_forward_progress 1
		.amdhsa_shared_vgpr_count 0
		.amdhsa_exception_fp_ieee_invalid_op 0
		.amdhsa_exception_fp_denorm_src 0
		.amdhsa_exception_fp_ieee_div_zero 0
		.amdhsa_exception_fp_ieee_overflow 0
		.amdhsa_exception_fp_ieee_underflow 0
		.amdhsa_exception_fp_ieee_inexact 0
		.amdhsa_exception_int_div_zero 0
	.end_amdhsa_kernel
	.section	.text._ZN7rocprim17ROCPRIM_400000_NS6detail17trampoline_kernelINS0_14default_configENS1_35radix_sort_onesweep_config_selectorIfNS0_10empty_typeEEEZZNS1_29radix_sort_onesweep_iterationIS3_Lb0EN6thrust23THRUST_200600_302600_NS6detail15normal_iteratorINS9_10device_ptrIfEEEESE_PS5_SF_jNS0_19identity_decomposerENS1_16block_id_wrapperIjLb1EEEEE10hipError_tT1_PNSt15iterator_traitsISK_E10value_typeET2_T3_PNSL_ISQ_E10value_typeET4_T5_PSV_SW_PNS1_23onesweep_lookback_stateEbbT6_jjT7_P12ihipStream_tbENKUlT_T0_SK_SP_E_clIPfSE_SF_SF_EEDaS13_S14_SK_SP_EUlS13_E_NS1_11comp_targetILNS1_3genE5ELNS1_11target_archE942ELNS1_3gpuE9ELNS1_3repE0EEENS1_47radix_sort_onesweep_sort_config_static_selectorELNS0_4arch9wavefront6targetE0EEEvSK_,"axG",@progbits,_ZN7rocprim17ROCPRIM_400000_NS6detail17trampoline_kernelINS0_14default_configENS1_35radix_sort_onesweep_config_selectorIfNS0_10empty_typeEEEZZNS1_29radix_sort_onesweep_iterationIS3_Lb0EN6thrust23THRUST_200600_302600_NS6detail15normal_iteratorINS9_10device_ptrIfEEEESE_PS5_SF_jNS0_19identity_decomposerENS1_16block_id_wrapperIjLb1EEEEE10hipError_tT1_PNSt15iterator_traitsISK_E10value_typeET2_T3_PNSL_ISQ_E10value_typeET4_T5_PSV_SW_PNS1_23onesweep_lookback_stateEbbT6_jjT7_P12ihipStream_tbENKUlT_T0_SK_SP_E_clIPfSE_SF_SF_EEDaS13_S14_SK_SP_EUlS13_E_NS1_11comp_targetILNS1_3genE5ELNS1_11target_archE942ELNS1_3gpuE9ELNS1_3repE0EEENS1_47radix_sort_onesweep_sort_config_static_selectorELNS0_4arch9wavefront6targetE0EEEvSK_,comdat
.Lfunc_end579:
	.size	_ZN7rocprim17ROCPRIM_400000_NS6detail17trampoline_kernelINS0_14default_configENS1_35radix_sort_onesweep_config_selectorIfNS0_10empty_typeEEEZZNS1_29radix_sort_onesweep_iterationIS3_Lb0EN6thrust23THRUST_200600_302600_NS6detail15normal_iteratorINS9_10device_ptrIfEEEESE_PS5_SF_jNS0_19identity_decomposerENS1_16block_id_wrapperIjLb1EEEEE10hipError_tT1_PNSt15iterator_traitsISK_E10value_typeET2_T3_PNSL_ISQ_E10value_typeET4_T5_PSV_SW_PNS1_23onesweep_lookback_stateEbbT6_jjT7_P12ihipStream_tbENKUlT_T0_SK_SP_E_clIPfSE_SF_SF_EEDaS13_S14_SK_SP_EUlS13_E_NS1_11comp_targetILNS1_3genE5ELNS1_11target_archE942ELNS1_3gpuE9ELNS1_3repE0EEENS1_47radix_sort_onesweep_sort_config_static_selectorELNS0_4arch9wavefront6targetE0EEEvSK_, .Lfunc_end579-_ZN7rocprim17ROCPRIM_400000_NS6detail17trampoline_kernelINS0_14default_configENS1_35radix_sort_onesweep_config_selectorIfNS0_10empty_typeEEEZZNS1_29radix_sort_onesweep_iterationIS3_Lb0EN6thrust23THRUST_200600_302600_NS6detail15normal_iteratorINS9_10device_ptrIfEEEESE_PS5_SF_jNS0_19identity_decomposerENS1_16block_id_wrapperIjLb1EEEEE10hipError_tT1_PNSt15iterator_traitsISK_E10value_typeET2_T3_PNSL_ISQ_E10value_typeET4_T5_PSV_SW_PNS1_23onesweep_lookback_stateEbbT6_jjT7_P12ihipStream_tbENKUlT_T0_SK_SP_E_clIPfSE_SF_SF_EEDaS13_S14_SK_SP_EUlS13_E_NS1_11comp_targetILNS1_3genE5ELNS1_11target_archE942ELNS1_3gpuE9ELNS1_3repE0EEENS1_47radix_sort_onesweep_sort_config_static_selectorELNS0_4arch9wavefront6targetE0EEEvSK_
                                        ; -- End function
	.set _ZN7rocprim17ROCPRIM_400000_NS6detail17trampoline_kernelINS0_14default_configENS1_35radix_sort_onesweep_config_selectorIfNS0_10empty_typeEEEZZNS1_29radix_sort_onesweep_iterationIS3_Lb0EN6thrust23THRUST_200600_302600_NS6detail15normal_iteratorINS9_10device_ptrIfEEEESE_PS5_SF_jNS0_19identity_decomposerENS1_16block_id_wrapperIjLb1EEEEE10hipError_tT1_PNSt15iterator_traitsISK_E10value_typeET2_T3_PNSL_ISQ_E10value_typeET4_T5_PSV_SW_PNS1_23onesweep_lookback_stateEbbT6_jjT7_P12ihipStream_tbENKUlT_T0_SK_SP_E_clIPfSE_SF_SF_EEDaS13_S14_SK_SP_EUlS13_E_NS1_11comp_targetILNS1_3genE5ELNS1_11target_archE942ELNS1_3gpuE9ELNS1_3repE0EEENS1_47radix_sort_onesweep_sort_config_static_selectorELNS0_4arch9wavefront6targetE0EEEvSK_.num_vgpr, 0
	.set _ZN7rocprim17ROCPRIM_400000_NS6detail17trampoline_kernelINS0_14default_configENS1_35radix_sort_onesweep_config_selectorIfNS0_10empty_typeEEEZZNS1_29radix_sort_onesweep_iterationIS3_Lb0EN6thrust23THRUST_200600_302600_NS6detail15normal_iteratorINS9_10device_ptrIfEEEESE_PS5_SF_jNS0_19identity_decomposerENS1_16block_id_wrapperIjLb1EEEEE10hipError_tT1_PNSt15iterator_traitsISK_E10value_typeET2_T3_PNSL_ISQ_E10value_typeET4_T5_PSV_SW_PNS1_23onesweep_lookback_stateEbbT6_jjT7_P12ihipStream_tbENKUlT_T0_SK_SP_E_clIPfSE_SF_SF_EEDaS13_S14_SK_SP_EUlS13_E_NS1_11comp_targetILNS1_3genE5ELNS1_11target_archE942ELNS1_3gpuE9ELNS1_3repE0EEENS1_47radix_sort_onesweep_sort_config_static_selectorELNS0_4arch9wavefront6targetE0EEEvSK_.num_agpr, 0
	.set _ZN7rocprim17ROCPRIM_400000_NS6detail17trampoline_kernelINS0_14default_configENS1_35radix_sort_onesweep_config_selectorIfNS0_10empty_typeEEEZZNS1_29radix_sort_onesweep_iterationIS3_Lb0EN6thrust23THRUST_200600_302600_NS6detail15normal_iteratorINS9_10device_ptrIfEEEESE_PS5_SF_jNS0_19identity_decomposerENS1_16block_id_wrapperIjLb1EEEEE10hipError_tT1_PNSt15iterator_traitsISK_E10value_typeET2_T3_PNSL_ISQ_E10value_typeET4_T5_PSV_SW_PNS1_23onesweep_lookback_stateEbbT6_jjT7_P12ihipStream_tbENKUlT_T0_SK_SP_E_clIPfSE_SF_SF_EEDaS13_S14_SK_SP_EUlS13_E_NS1_11comp_targetILNS1_3genE5ELNS1_11target_archE942ELNS1_3gpuE9ELNS1_3repE0EEENS1_47radix_sort_onesweep_sort_config_static_selectorELNS0_4arch9wavefront6targetE0EEEvSK_.numbered_sgpr, 0
	.set _ZN7rocprim17ROCPRIM_400000_NS6detail17trampoline_kernelINS0_14default_configENS1_35radix_sort_onesweep_config_selectorIfNS0_10empty_typeEEEZZNS1_29radix_sort_onesweep_iterationIS3_Lb0EN6thrust23THRUST_200600_302600_NS6detail15normal_iteratorINS9_10device_ptrIfEEEESE_PS5_SF_jNS0_19identity_decomposerENS1_16block_id_wrapperIjLb1EEEEE10hipError_tT1_PNSt15iterator_traitsISK_E10value_typeET2_T3_PNSL_ISQ_E10value_typeET4_T5_PSV_SW_PNS1_23onesweep_lookback_stateEbbT6_jjT7_P12ihipStream_tbENKUlT_T0_SK_SP_E_clIPfSE_SF_SF_EEDaS13_S14_SK_SP_EUlS13_E_NS1_11comp_targetILNS1_3genE5ELNS1_11target_archE942ELNS1_3gpuE9ELNS1_3repE0EEENS1_47radix_sort_onesweep_sort_config_static_selectorELNS0_4arch9wavefront6targetE0EEEvSK_.num_named_barrier, 0
	.set _ZN7rocprim17ROCPRIM_400000_NS6detail17trampoline_kernelINS0_14default_configENS1_35radix_sort_onesweep_config_selectorIfNS0_10empty_typeEEEZZNS1_29radix_sort_onesweep_iterationIS3_Lb0EN6thrust23THRUST_200600_302600_NS6detail15normal_iteratorINS9_10device_ptrIfEEEESE_PS5_SF_jNS0_19identity_decomposerENS1_16block_id_wrapperIjLb1EEEEE10hipError_tT1_PNSt15iterator_traitsISK_E10value_typeET2_T3_PNSL_ISQ_E10value_typeET4_T5_PSV_SW_PNS1_23onesweep_lookback_stateEbbT6_jjT7_P12ihipStream_tbENKUlT_T0_SK_SP_E_clIPfSE_SF_SF_EEDaS13_S14_SK_SP_EUlS13_E_NS1_11comp_targetILNS1_3genE5ELNS1_11target_archE942ELNS1_3gpuE9ELNS1_3repE0EEENS1_47radix_sort_onesweep_sort_config_static_selectorELNS0_4arch9wavefront6targetE0EEEvSK_.private_seg_size, 0
	.set _ZN7rocprim17ROCPRIM_400000_NS6detail17trampoline_kernelINS0_14default_configENS1_35radix_sort_onesweep_config_selectorIfNS0_10empty_typeEEEZZNS1_29radix_sort_onesweep_iterationIS3_Lb0EN6thrust23THRUST_200600_302600_NS6detail15normal_iteratorINS9_10device_ptrIfEEEESE_PS5_SF_jNS0_19identity_decomposerENS1_16block_id_wrapperIjLb1EEEEE10hipError_tT1_PNSt15iterator_traitsISK_E10value_typeET2_T3_PNSL_ISQ_E10value_typeET4_T5_PSV_SW_PNS1_23onesweep_lookback_stateEbbT6_jjT7_P12ihipStream_tbENKUlT_T0_SK_SP_E_clIPfSE_SF_SF_EEDaS13_S14_SK_SP_EUlS13_E_NS1_11comp_targetILNS1_3genE5ELNS1_11target_archE942ELNS1_3gpuE9ELNS1_3repE0EEENS1_47radix_sort_onesweep_sort_config_static_selectorELNS0_4arch9wavefront6targetE0EEEvSK_.uses_vcc, 0
	.set _ZN7rocprim17ROCPRIM_400000_NS6detail17trampoline_kernelINS0_14default_configENS1_35radix_sort_onesweep_config_selectorIfNS0_10empty_typeEEEZZNS1_29radix_sort_onesweep_iterationIS3_Lb0EN6thrust23THRUST_200600_302600_NS6detail15normal_iteratorINS9_10device_ptrIfEEEESE_PS5_SF_jNS0_19identity_decomposerENS1_16block_id_wrapperIjLb1EEEEE10hipError_tT1_PNSt15iterator_traitsISK_E10value_typeET2_T3_PNSL_ISQ_E10value_typeET4_T5_PSV_SW_PNS1_23onesweep_lookback_stateEbbT6_jjT7_P12ihipStream_tbENKUlT_T0_SK_SP_E_clIPfSE_SF_SF_EEDaS13_S14_SK_SP_EUlS13_E_NS1_11comp_targetILNS1_3genE5ELNS1_11target_archE942ELNS1_3gpuE9ELNS1_3repE0EEENS1_47radix_sort_onesweep_sort_config_static_selectorELNS0_4arch9wavefront6targetE0EEEvSK_.uses_flat_scratch, 0
	.set _ZN7rocprim17ROCPRIM_400000_NS6detail17trampoline_kernelINS0_14default_configENS1_35radix_sort_onesweep_config_selectorIfNS0_10empty_typeEEEZZNS1_29radix_sort_onesweep_iterationIS3_Lb0EN6thrust23THRUST_200600_302600_NS6detail15normal_iteratorINS9_10device_ptrIfEEEESE_PS5_SF_jNS0_19identity_decomposerENS1_16block_id_wrapperIjLb1EEEEE10hipError_tT1_PNSt15iterator_traitsISK_E10value_typeET2_T3_PNSL_ISQ_E10value_typeET4_T5_PSV_SW_PNS1_23onesweep_lookback_stateEbbT6_jjT7_P12ihipStream_tbENKUlT_T0_SK_SP_E_clIPfSE_SF_SF_EEDaS13_S14_SK_SP_EUlS13_E_NS1_11comp_targetILNS1_3genE5ELNS1_11target_archE942ELNS1_3gpuE9ELNS1_3repE0EEENS1_47radix_sort_onesweep_sort_config_static_selectorELNS0_4arch9wavefront6targetE0EEEvSK_.has_dyn_sized_stack, 0
	.set _ZN7rocprim17ROCPRIM_400000_NS6detail17trampoline_kernelINS0_14default_configENS1_35radix_sort_onesweep_config_selectorIfNS0_10empty_typeEEEZZNS1_29radix_sort_onesweep_iterationIS3_Lb0EN6thrust23THRUST_200600_302600_NS6detail15normal_iteratorINS9_10device_ptrIfEEEESE_PS5_SF_jNS0_19identity_decomposerENS1_16block_id_wrapperIjLb1EEEEE10hipError_tT1_PNSt15iterator_traitsISK_E10value_typeET2_T3_PNSL_ISQ_E10value_typeET4_T5_PSV_SW_PNS1_23onesweep_lookback_stateEbbT6_jjT7_P12ihipStream_tbENKUlT_T0_SK_SP_E_clIPfSE_SF_SF_EEDaS13_S14_SK_SP_EUlS13_E_NS1_11comp_targetILNS1_3genE5ELNS1_11target_archE942ELNS1_3gpuE9ELNS1_3repE0EEENS1_47radix_sort_onesweep_sort_config_static_selectorELNS0_4arch9wavefront6targetE0EEEvSK_.has_recursion, 0
	.set _ZN7rocprim17ROCPRIM_400000_NS6detail17trampoline_kernelINS0_14default_configENS1_35radix_sort_onesweep_config_selectorIfNS0_10empty_typeEEEZZNS1_29radix_sort_onesweep_iterationIS3_Lb0EN6thrust23THRUST_200600_302600_NS6detail15normal_iteratorINS9_10device_ptrIfEEEESE_PS5_SF_jNS0_19identity_decomposerENS1_16block_id_wrapperIjLb1EEEEE10hipError_tT1_PNSt15iterator_traitsISK_E10value_typeET2_T3_PNSL_ISQ_E10value_typeET4_T5_PSV_SW_PNS1_23onesweep_lookback_stateEbbT6_jjT7_P12ihipStream_tbENKUlT_T0_SK_SP_E_clIPfSE_SF_SF_EEDaS13_S14_SK_SP_EUlS13_E_NS1_11comp_targetILNS1_3genE5ELNS1_11target_archE942ELNS1_3gpuE9ELNS1_3repE0EEENS1_47radix_sort_onesweep_sort_config_static_selectorELNS0_4arch9wavefront6targetE0EEEvSK_.has_indirect_call, 0
	.section	.AMDGPU.csdata,"",@progbits
; Kernel info:
; codeLenInByte = 0
; TotalNumSgprs: 0
; NumVgprs: 0
; ScratchSize: 0
; MemoryBound: 0
; FloatMode: 240
; IeeeMode: 1
; LDSByteSize: 0 bytes/workgroup (compile time only)
; SGPRBlocks: 0
; VGPRBlocks: 0
; NumSGPRsForWavesPerEU: 1
; NumVGPRsForWavesPerEU: 1
; Occupancy: 16
; WaveLimiterHint : 0
; COMPUTE_PGM_RSRC2:SCRATCH_EN: 0
; COMPUTE_PGM_RSRC2:USER_SGPR: 6
; COMPUTE_PGM_RSRC2:TRAP_HANDLER: 0
; COMPUTE_PGM_RSRC2:TGID_X_EN: 1
; COMPUTE_PGM_RSRC2:TGID_Y_EN: 0
; COMPUTE_PGM_RSRC2:TGID_Z_EN: 0
; COMPUTE_PGM_RSRC2:TIDIG_COMP_CNT: 0
	.section	.text._ZN7rocprim17ROCPRIM_400000_NS6detail17trampoline_kernelINS0_14default_configENS1_35radix_sort_onesweep_config_selectorIfNS0_10empty_typeEEEZZNS1_29radix_sort_onesweep_iterationIS3_Lb0EN6thrust23THRUST_200600_302600_NS6detail15normal_iteratorINS9_10device_ptrIfEEEESE_PS5_SF_jNS0_19identity_decomposerENS1_16block_id_wrapperIjLb1EEEEE10hipError_tT1_PNSt15iterator_traitsISK_E10value_typeET2_T3_PNSL_ISQ_E10value_typeET4_T5_PSV_SW_PNS1_23onesweep_lookback_stateEbbT6_jjT7_P12ihipStream_tbENKUlT_T0_SK_SP_E_clIPfSE_SF_SF_EEDaS13_S14_SK_SP_EUlS13_E_NS1_11comp_targetILNS1_3genE2ELNS1_11target_archE906ELNS1_3gpuE6ELNS1_3repE0EEENS1_47radix_sort_onesweep_sort_config_static_selectorELNS0_4arch9wavefront6targetE0EEEvSK_,"axG",@progbits,_ZN7rocprim17ROCPRIM_400000_NS6detail17trampoline_kernelINS0_14default_configENS1_35radix_sort_onesweep_config_selectorIfNS0_10empty_typeEEEZZNS1_29radix_sort_onesweep_iterationIS3_Lb0EN6thrust23THRUST_200600_302600_NS6detail15normal_iteratorINS9_10device_ptrIfEEEESE_PS5_SF_jNS0_19identity_decomposerENS1_16block_id_wrapperIjLb1EEEEE10hipError_tT1_PNSt15iterator_traitsISK_E10value_typeET2_T3_PNSL_ISQ_E10value_typeET4_T5_PSV_SW_PNS1_23onesweep_lookback_stateEbbT6_jjT7_P12ihipStream_tbENKUlT_T0_SK_SP_E_clIPfSE_SF_SF_EEDaS13_S14_SK_SP_EUlS13_E_NS1_11comp_targetILNS1_3genE2ELNS1_11target_archE906ELNS1_3gpuE6ELNS1_3repE0EEENS1_47radix_sort_onesweep_sort_config_static_selectorELNS0_4arch9wavefront6targetE0EEEvSK_,comdat
	.protected	_ZN7rocprim17ROCPRIM_400000_NS6detail17trampoline_kernelINS0_14default_configENS1_35radix_sort_onesweep_config_selectorIfNS0_10empty_typeEEEZZNS1_29radix_sort_onesweep_iterationIS3_Lb0EN6thrust23THRUST_200600_302600_NS6detail15normal_iteratorINS9_10device_ptrIfEEEESE_PS5_SF_jNS0_19identity_decomposerENS1_16block_id_wrapperIjLb1EEEEE10hipError_tT1_PNSt15iterator_traitsISK_E10value_typeET2_T3_PNSL_ISQ_E10value_typeET4_T5_PSV_SW_PNS1_23onesweep_lookback_stateEbbT6_jjT7_P12ihipStream_tbENKUlT_T0_SK_SP_E_clIPfSE_SF_SF_EEDaS13_S14_SK_SP_EUlS13_E_NS1_11comp_targetILNS1_3genE2ELNS1_11target_archE906ELNS1_3gpuE6ELNS1_3repE0EEENS1_47radix_sort_onesweep_sort_config_static_selectorELNS0_4arch9wavefront6targetE0EEEvSK_ ; -- Begin function _ZN7rocprim17ROCPRIM_400000_NS6detail17trampoline_kernelINS0_14default_configENS1_35radix_sort_onesweep_config_selectorIfNS0_10empty_typeEEEZZNS1_29radix_sort_onesweep_iterationIS3_Lb0EN6thrust23THRUST_200600_302600_NS6detail15normal_iteratorINS9_10device_ptrIfEEEESE_PS5_SF_jNS0_19identity_decomposerENS1_16block_id_wrapperIjLb1EEEEE10hipError_tT1_PNSt15iterator_traitsISK_E10value_typeET2_T3_PNSL_ISQ_E10value_typeET4_T5_PSV_SW_PNS1_23onesweep_lookback_stateEbbT6_jjT7_P12ihipStream_tbENKUlT_T0_SK_SP_E_clIPfSE_SF_SF_EEDaS13_S14_SK_SP_EUlS13_E_NS1_11comp_targetILNS1_3genE2ELNS1_11target_archE906ELNS1_3gpuE6ELNS1_3repE0EEENS1_47radix_sort_onesweep_sort_config_static_selectorELNS0_4arch9wavefront6targetE0EEEvSK_
	.globl	_ZN7rocprim17ROCPRIM_400000_NS6detail17trampoline_kernelINS0_14default_configENS1_35radix_sort_onesweep_config_selectorIfNS0_10empty_typeEEEZZNS1_29radix_sort_onesweep_iterationIS3_Lb0EN6thrust23THRUST_200600_302600_NS6detail15normal_iteratorINS9_10device_ptrIfEEEESE_PS5_SF_jNS0_19identity_decomposerENS1_16block_id_wrapperIjLb1EEEEE10hipError_tT1_PNSt15iterator_traitsISK_E10value_typeET2_T3_PNSL_ISQ_E10value_typeET4_T5_PSV_SW_PNS1_23onesweep_lookback_stateEbbT6_jjT7_P12ihipStream_tbENKUlT_T0_SK_SP_E_clIPfSE_SF_SF_EEDaS13_S14_SK_SP_EUlS13_E_NS1_11comp_targetILNS1_3genE2ELNS1_11target_archE906ELNS1_3gpuE6ELNS1_3repE0EEENS1_47radix_sort_onesweep_sort_config_static_selectorELNS0_4arch9wavefront6targetE0EEEvSK_
	.p2align	8
	.type	_ZN7rocprim17ROCPRIM_400000_NS6detail17trampoline_kernelINS0_14default_configENS1_35radix_sort_onesweep_config_selectorIfNS0_10empty_typeEEEZZNS1_29radix_sort_onesweep_iterationIS3_Lb0EN6thrust23THRUST_200600_302600_NS6detail15normal_iteratorINS9_10device_ptrIfEEEESE_PS5_SF_jNS0_19identity_decomposerENS1_16block_id_wrapperIjLb1EEEEE10hipError_tT1_PNSt15iterator_traitsISK_E10value_typeET2_T3_PNSL_ISQ_E10value_typeET4_T5_PSV_SW_PNS1_23onesweep_lookback_stateEbbT6_jjT7_P12ihipStream_tbENKUlT_T0_SK_SP_E_clIPfSE_SF_SF_EEDaS13_S14_SK_SP_EUlS13_E_NS1_11comp_targetILNS1_3genE2ELNS1_11target_archE906ELNS1_3gpuE6ELNS1_3repE0EEENS1_47radix_sort_onesweep_sort_config_static_selectorELNS0_4arch9wavefront6targetE0EEEvSK_,@function
_ZN7rocprim17ROCPRIM_400000_NS6detail17trampoline_kernelINS0_14default_configENS1_35radix_sort_onesweep_config_selectorIfNS0_10empty_typeEEEZZNS1_29radix_sort_onesweep_iterationIS3_Lb0EN6thrust23THRUST_200600_302600_NS6detail15normal_iteratorINS9_10device_ptrIfEEEESE_PS5_SF_jNS0_19identity_decomposerENS1_16block_id_wrapperIjLb1EEEEE10hipError_tT1_PNSt15iterator_traitsISK_E10value_typeET2_T3_PNSL_ISQ_E10value_typeET4_T5_PSV_SW_PNS1_23onesweep_lookback_stateEbbT6_jjT7_P12ihipStream_tbENKUlT_T0_SK_SP_E_clIPfSE_SF_SF_EEDaS13_S14_SK_SP_EUlS13_E_NS1_11comp_targetILNS1_3genE2ELNS1_11target_archE906ELNS1_3gpuE6ELNS1_3repE0EEENS1_47radix_sort_onesweep_sort_config_static_selectorELNS0_4arch9wavefront6targetE0EEEvSK_: ; @_ZN7rocprim17ROCPRIM_400000_NS6detail17trampoline_kernelINS0_14default_configENS1_35radix_sort_onesweep_config_selectorIfNS0_10empty_typeEEEZZNS1_29radix_sort_onesweep_iterationIS3_Lb0EN6thrust23THRUST_200600_302600_NS6detail15normal_iteratorINS9_10device_ptrIfEEEESE_PS5_SF_jNS0_19identity_decomposerENS1_16block_id_wrapperIjLb1EEEEE10hipError_tT1_PNSt15iterator_traitsISK_E10value_typeET2_T3_PNSL_ISQ_E10value_typeET4_T5_PSV_SW_PNS1_23onesweep_lookback_stateEbbT6_jjT7_P12ihipStream_tbENKUlT_T0_SK_SP_E_clIPfSE_SF_SF_EEDaS13_S14_SK_SP_EUlS13_E_NS1_11comp_targetILNS1_3genE2ELNS1_11target_archE906ELNS1_3gpuE6ELNS1_3repE0EEENS1_47radix_sort_onesweep_sort_config_static_selectorELNS0_4arch9wavefront6targetE0EEEvSK_
; %bb.0:
	.section	.rodata,"a",@progbits
	.p2align	6, 0x0
	.amdhsa_kernel _ZN7rocprim17ROCPRIM_400000_NS6detail17trampoline_kernelINS0_14default_configENS1_35radix_sort_onesweep_config_selectorIfNS0_10empty_typeEEEZZNS1_29radix_sort_onesweep_iterationIS3_Lb0EN6thrust23THRUST_200600_302600_NS6detail15normal_iteratorINS9_10device_ptrIfEEEESE_PS5_SF_jNS0_19identity_decomposerENS1_16block_id_wrapperIjLb1EEEEE10hipError_tT1_PNSt15iterator_traitsISK_E10value_typeET2_T3_PNSL_ISQ_E10value_typeET4_T5_PSV_SW_PNS1_23onesweep_lookback_stateEbbT6_jjT7_P12ihipStream_tbENKUlT_T0_SK_SP_E_clIPfSE_SF_SF_EEDaS13_S14_SK_SP_EUlS13_E_NS1_11comp_targetILNS1_3genE2ELNS1_11target_archE906ELNS1_3gpuE6ELNS1_3repE0EEENS1_47radix_sort_onesweep_sort_config_static_selectorELNS0_4arch9wavefront6targetE0EEEvSK_
		.amdhsa_group_segment_fixed_size 0
		.amdhsa_private_segment_fixed_size 0
		.amdhsa_kernarg_size 88
		.amdhsa_user_sgpr_count 6
		.amdhsa_user_sgpr_private_segment_buffer 1
		.amdhsa_user_sgpr_dispatch_ptr 0
		.amdhsa_user_sgpr_queue_ptr 0
		.amdhsa_user_sgpr_kernarg_segment_ptr 1
		.amdhsa_user_sgpr_dispatch_id 0
		.amdhsa_user_sgpr_flat_scratch_init 0
		.amdhsa_user_sgpr_private_segment_size 0
		.amdhsa_wavefront_size32 1
		.amdhsa_uses_dynamic_stack 0
		.amdhsa_system_sgpr_private_segment_wavefront_offset 0
		.amdhsa_system_sgpr_workgroup_id_x 1
		.amdhsa_system_sgpr_workgroup_id_y 0
		.amdhsa_system_sgpr_workgroup_id_z 0
		.amdhsa_system_sgpr_workgroup_info 0
		.amdhsa_system_vgpr_workitem_id 0
		.amdhsa_next_free_vgpr 1
		.amdhsa_next_free_sgpr 1
		.amdhsa_reserve_vcc 0
		.amdhsa_reserve_flat_scratch 0
		.amdhsa_float_round_mode_32 0
		.amdhsa_float_round_mode_16_64 0
		.amdhsa_float_denorm_mode_32 3
		.amdhsa_float_denorm_mode_16_64 3
		.amdhsa_dx10_clamp 1
		.amdhsa_ieee_mode 1
		.amdhsa_fp16_overflow 0
		.amdhsa_workgroup_processor_mode 1
		.amdhsa_memory_ordered 1
		.amdhsa_forward_progress 1
		.amdhsa_shared_vgpr_count 0
		.amdhsa_exception_fp_ieee_invalid_op 0
		.amdhsa_exception_fp_denorm_src 0
		.amdhsa_exception_fp_ieee_div_zero 0
		.amdhsa_exception_fp_ieee_overflow 0
		.amdhsa_exception_fp_ieee_underflow 0
		.amdhsa_exception_fp_ieee_inexact 0
		.amdhsa_exception_int_div_zero 0
	.end_amdhsa_kernel
	.section	.text._ZN7rocprim17ROCPRIM_400000_NS6detail17trampoline_kernelINS0_14default_configENS1_35radix_sort_onesweep_config_selectorIfNS0_10empty_typeEEEZZNS1_29radix_sort_onesweep_iterationIS3_Lb0EN6thrust23THRUST_200600_302600_NS6detail15normal_iteratorINS9_10device_ptrIfEEEESE_PS5_SF_jNS0_19identity_decomposerENS1_16block_id_wrapperIjLb1EEEEE10hipError_tT1_PNSt15iterator_traitsISK_E10value_typeET2_T3_PNSL_ISQ_E10value_typeET4_T5_PSV_SW_PNS1_23onesweep_lookback_stateEbbT6_jjT7_P12ihipStream_tbENKUlT_T0_SK_SP_E_clIPfSE_SF_SF_EEDaS13_S14_SK_SP_EUlS13_E_NS1_11comp_targetILNS1_3genE2ELNS1_11target_archE906ELNS1_3gpuE6ELNS1_3repE0EEENS1_47radix_sort_onesweep_sort_config_static_selectorELNS0_4arch9wavefront6targetE0EEEvSK_,"axG",@progbits,_ZN7rocprim17ROCPRIM_400000_NS6detail17trampoline_kernelINS0_14default_configENS1_35radix_sort_onesweep_config_selectorIfNS0_10empty_typeEEEZZNS1_29radix_sort_onesweep_iterationIS3_Lb0EN6thrust23THRUST_200600_302600_NS6detail15normal_iteratorINS9_10device_ptrIfEEEESE_PS5_SF_jNS0_19identity_decomposerENS1_16block_id_wrapperIjLb1EEEEE10hipError_tT1_PNSt15iterator_traitsISK_E10value_typeET2_T3_PNSL_ISQ_E10value_typeET4_T5_PSV_SW_PNS1_23onesweep_lookback_stateEbbT6_jjT7_P12ihipStream_tbENKUlT_T0_SK_SP_E_clIPfSE_SF_SF_EEDaS13_S14_SK_SP_EUlS13_E_NS1_11comp_targetILNS1_3genE2ELNS1_11target_archE906ELNS1_3gpuE6ELNS1_3repE0EEENS1_47radix_sort_onesweep_sort_config_static_selectorELNS0_4arch9wavefront6targetE0EEEvSK_,comdat
.Lfunc_end580:
	.size	_ZN7rocprim17ROCPRIM_400000_NS6detail17trampoline_kernelINS0_14default_configENS1_35radix_sort_onesweep_config_selectorIfNS0_10empty_typeEEEZZNS1_29radix_sort_onesweep_iterationIS3_Lb0EN6thrust23THRUST_200600_302600_NS6detail15normal_iteratorINS9_10device_ptrIfEEEESE_PS5_SF_jNS0_19identity_decomposerENS1_16block_id_wrapperIjLb1EEEEE10hipError_tT1_PNSt15iterator_traitsISK_E10value_typeET2_T3_PNSL_ISQ_E10value_typeET4_T5_PSV_SW_PNS1_23onesweep_lookback_stateEbbT6_jjT7_P12ihipStream_tbENKUlT_T0_SK_SP_E_clIPfSE_SF_SF_EEDaS13_S14_SK_SP_EUlS13_E_NS1_11comp_targetILNS1_3genE2ELNS1_11target_archE906ELNS1_3gpuE6ELNS1_3repE0EEENS1_47radix_sort_onesweep_sort_config_static_selectorELNS0_4arch9wavefront6targetE0EEEvSK_, .Lfunc_end580-_ZN7rocprim17ROCPRIM_400000_NS6detail17trampoline_kernelINS0_14default_configENS1_35radix_sort_onesweep_config_selectorIfNS0_10empty_typeEEEZZNS1_29radix_sort_onesweep_iterationIS3_Lb0EN6thrust23THRUST_200600_302600_NS6detail15normal_iteratorINS9_10device_ptrIfEEEESE_PS5_SF_jNS0_19identity_decomposerENS1_16block_id_wrapperIjLb1EEEEE10hipError_tT1_PNSt15iterator_traitsISK_E10value_typeET2_T3_PNSL_ISQ_E10value_typeET4_T5_PSV_SW_PNS1_23onesweep_lookback_stateEbbT6_jjT7_P12ihipStream_tbENKUlT_T0_SK_SP_E_clIPfSE_SF_SF_EEDaS13_S14_SK_SP_EUlS13_E_NS1_11comp_targetILNS1_3genE2ELNS1_11target_archE906ELNS1_3gpuE6ELNS1_3repE0EEENS1_47radix_sort_onesweep_sort_config_static_selectorELNS0_4arch9wavefront6targetE0EEEvSK_
                                        ; -- End function
	.set _ZN7rocprim17ROCPRIM_400000_NS6detail17trampoline_kernelINS0_14default_configENS1_35radix_sort_onesweep_config_selectorIfNS0_10empty_typeEEEZZNS1_29radix_sort_onesweep_iterationIS3_Lb0EN6thrust23THRUST_200600_302600_NS6detail15normal_iteratorINS9_10device_ptrIfEEEESE_PS5_SF_jNS0_19identity_decomposerENS1_16block_id_wrapperIjLb1EEEEE10hipError_tT1_PNSt15iterator_traitsISK_E10value_typeET2_T3_PNSL_ISQ_E10value_typeET4_T5_PSV_SW_PNS1_23onesweep_lookback_stateEbbT6_jjT7_P12ihipStream_tbENKUlT_T0_SK_SP_E_clIPfSE_SF_SF_EEDaS13_S14_SK_SP_EUlS13_E_NS1_11comp_targetILNS1_3genE2ELNS1_11target_archE906ELNS1_3gpuE6ELNS1_3repE0EEENS1_47radix_sort_onesweep_sort_config_static_selectorELNS0_4arch9wavefront6targetE0EEEvSK_.num_vgpr, 0
	.set _ZN7rocprim17ROCPRIM_400000_NS6detail17trampoline_kernelINS0_14default_configENS1_35radix_sort_onesweep_config_selectorIfNS0_10empty_typeEEEZZNS1_29radix_sort_onesweep_iterationIS3_Lb0EN6thrust23THRUST_200600_302600_NS6detail15normal_iteratorINS9_10device_ptrIfEEEESE_PS5_SF_jNS0_19identity_decomposerENS1_16block_id_wrapperIjLb1EEEEE10hipError_tT1_PNSt15iterator_traitsISK_E10value_typeET2_T3_PNSL_ISQ_E10value_typeET4_T5_PSV_SW_PNS1_23onesweep_lookback_stateEbbT6_jjT7_P12ihipStream_tbENKUlT_T0_SK_SP_E_clIPfSE_SF_SF_EEDaS13_S14_SK_SP_EUlS13_E_NS1_11comp_targetILNS1_3genE2ELNS1_11target_archE906ELNS1_3gpuE6ELNS1_3repE0EEENS1_47radix_sort_onesweep_sort_config_static_selectorELNS0_4arch9wavefront6targetE0EEEvSK_.num_agpr, 0
	.set _ZN7rocprim17ROCPRIM_400000_NS6detail17trampoline_kernelINS0_14default_configENS1_35radix_sort_onesweep_config_selectorIfNS0_10empty_typeEEEZZNS1_29radix_sort_onesweep_iterationIS3_Lb0EN6thrust23THRUST_200600_302600_NS6detail15normal_iteratorINS9_10device_ptrIfEEEESE_PS5_SF_jNS0_19identity_decomposerENS1_16block_id_wrapperIjLb1EEEEE10hipError_tT1_PNSt15iterator_traitsISK_E10value_typeET2_T3_PNSL_ISQ_E10value_typeET4_T5_PSV_SW_PNS1_23onesweep_lookback_stateEbbT6_jjT7_P12ihipStream_tbENKUlT_T0_SK_SP_E_clIPfSE_SF_SF_EEDaS13_S14_SK_SP_EUlS13_E_NS1_11comp_targetILNS1_3genE2ELNS1_11target_archE906ELNS1_3gpuE6ELNS1_3repE0EEENS1_47radix_sort_onesweep_sort_config_static_selectorELNS0_4arch9wavefront6targetE0EEEvSK_.numbered_sgpr, 0
	.set _ZN7rocprim17ROCPRIM_400000_NS6detail17trampoline_kernelINS0_14default_configENS1_35radix_sort_onesweep_config_selectorIfNS0_10empty_typeEEEZZNS1_29radix_sort_onesweep_iterationIS3_Lb0EN6thrust23THRUST_200600_302600_NS6detail15normal_iteratorINS9_10device_ptrIfEEEESE_PS5_SF_jNS0_19identity_decomposerENS1_16block_id_wrapperIjLb1EEEEE10hipError_tT1_PNSt15iterator_traitsISK_E10value_typeET2_T3_PNSL_ISQ_E10value_typeET4_T5_PSV_SW_PNS1_23onesweep_lookback_stateEbbT6_jjT7_P12ihipStream_tbENKUlT_T0_SK_SP_E_clIPfSE_SF_SF_EEDaS13_S14_SK_SP_EUlS13_E_NS1_11comp_targetILNS1_3genE2ELNS1_11target_archE906ELNS1_3gpuE6ELNS1_3repE0EEENS1_47radix_sort_onesweep_sort_config_static_selectorELNS0_4arch9wavefront6targetE0EEEvSK_.num_named_barrier, 0
	.set _ZN7rocprim17ROCPRIM_400000_NS6detail17trampoline_kernelINS0_14default_configENS1_35radix_sort_onesweep_config_selectorIfNS0_10empty_typeEEEZZNS1_29radix_sort_onesweep_iterationIS3_Lb0EN6thrust23THRUST_200600_302600_NS6detail15normal_iteratorINS9_10device_ptrIfEEEESE_PS5_SF_jNS0_19identity_decomposerENS1_16block_id_wrapperIjLb1EEEEE10hipError_tT1_PNSt15iterator_traitsISK_E10value_typeET2_T3_PNSL_ISQ_E10value_typeET4_T5_PSV_SW_PNS1_23onesweep_lookback_stateEbbT6_jjT7_P12ihipStream_tbENKUlT_T0_SK_SP_E_clIPfSE_SF_SF_EEDaS13_S14_SK_SP_EUlS13_E_NS1_11comp_targetILNS1_3genE2ELNS1_11target_archE906ELNS1_3gpuE6ELNS1_3repE0EEENS1_47radix_sort_onesweep_sort_config_static_selectorELNS0_4arch9wavefront6targetE0EEEvSK_.private_seg_size, 0
	.set _ZN7rocprim17ROCPRIM_400000_NS6detail17trampoline_kernelINS0_14default_configENS1_35radix_sort_onesweep_config_selectorIfNS0_10empty_typeEEEZZNS1_29radix_sort_onesweep_iterationIS3_Lb0EN6thrust23THRUST_200600_302600_NS6detail15normal_iteratorINS9_10device_ptrIfEEEESE_PS5_SF_jNS0_19identity_decomposerENS1_16block_id_wrapperIjLb1EEEEE10hipError_tT1_PNSt15iterator_traitsISK_E10value_typeET2_T3_PNSL_ISQ_E10value_typeET4_T5_PSV_SW_PNS1_23onesweep_lookback_stateEbbT6_jjT7_P12ihipStream_tbENKUlT_T0_SK_SP_E_clIPfSE_SF_SF_EEDaS13_S14_SK_SP_EUlS13_E_NS1_11comp_targetILNS1_3genE2ELNS1_11target_archE906ELNS1_3gpuE6ELNS1_3repE0EEENS1_47radix_sort_onesweep_sort_config_static_selectorELNS0_4arch9wavefront6targetE0EEEvSK_.uses_vcc, 0
	.set _ZN7rocprim17ROCPRIM_400000_NS6detail17trampoline_kernelINS0_14default_configENS1_35radix_sort_onesweep_config_selectorIfNS0_10empty_typeEEEZZNS1_29radix_sort_onesweep_iterationIS3_Lb0EN6thrust23THRUST_200600_302600_NS6detail15normal_iteratorINS9_10device_ptrIfEEEESE_PS5_SF_jNS0_19identity_decomposerENS1_16block_id_wrapperIjLb1EEEEE10hipError_tT1_PNSt15iterator_traitsISK_E10value_typeET2_T3_PNSL_ISQ_E10value_typeET4_T5_PSV_SW_PNS1_23onesweep_lookback_stateEbbT6_jjT7_P12ihipStream_tbENKUlT_T0_SK_SP_E_clIPfSE_SF_SF_EEDaS13_S14_SK_SP_EUlS13_E_NS1_11comp_targetILNS1_3genE2ELNS1_11target_archE906ELNS1_3gpuE6ELNS1_3repE0EEENS1_47radix_sort_onesweep_sort_config_static_selectorELNS0_4arch9wavefront6targetE0EEEvSK_.uses_flat_scratch, 0
	.set _ZN7rocprim17ROCPRIM_400000_NS6detail17trampoline_kernelINS0_14default_configENS1_35radix_sort_onesweep_config_selectorIfNS0_10empty_typeEEEZZNS1_29radix_sort_onesweep_iterationIS3_Lb0EN6thrust23THRUST_200600_302600_NS6detail15normal_iteratorINS9_10device_ptrIfEEEESE_PS5_SF_jNS0_19identity_decomposerENS1_16block_id_wrapperIjLb1EEEEE10hipError_tT1_PNSt15iterator_traitsISK_E10value_typeET2_T3_PNSL_ISQ_E10value_typeET4_T5_PSV_SW_PNS1_23onesweep_lookback_stateEbbT6_jjT7_P12ihipStream_tbENKUlT_T0_SK_SP_E_clIPfSE_SF_SF_EEDaS13_S14_SK_SP_EUlS13_E_NS1_11comp_targetILNS1_3genE2ELNS1_11target_archE906ELNS1_3gpuE6ELNS1_3repE0EEENS1_47radix_sort_onesweep_sort_config_static_selectorELNS0_4arch9wavefront6targetE0EEEvSK_.has_dyn_sized_stack, 0
	.set _ZN7rocprim17ROCPRIM_400000_NS6detail17trampoline_kernelINS0_14default_configENS1_35radix_sort_onesweep_config_selectorIfNS0_10empty_typeEEEZZNS1_29radix_sort_onesweep_iterationIS3_Lb0EN6thrust23THRUST_200600_302600_NS6detail15normal_iteratorINS9_10device_ptrIfEEEESE_PS5_SF_jNS0_19identity_decomposerENS1_16block_id_wrapperIjLb1EEEEE10hipError_tT1_PNSt15iterator_traitsISK_E10value_typeET2_T3_PNSL_ISQ_E10value_typeET4_T5_PSV_SW_PNS1_23onesweep_lookback_stateEbbT6_jjT7_P12ihipStream_tbENKUlT_T0_SK_SP_E_clIPfSE_SF_SF_EEDaS13_S14_SK_SP_EUlS13_E_NS1_11comp_targetILNS1_3genE2ELNS1_11target_archE906ELNS1_3gpuE6ELNS1_3repE0EEENS1_47radix_sort_onesweep_sort_config_static_selectorELNS0_4arch9wavefront6targetE0EEEvSK_.has_recursion, 0
	.set _ZN7rocprim17ROCPRIM_400000_NS6detail17trampoline_kernelINS0_14default_configENS1_35radix_sort_onesweep_config_selectorIfNS0_10empty_typeEEEZZNS1_29radix_sort_onesweep_iterationIS3_Lb0EN6thrust23THRUST_200600_302600_NS6detail15normal_iteratorINS9_10device_ptrIfEEEESE_PS5_SF_jNS0_19identity_decomposerENS1_16block_id_wrapperIjLb1EEEEE10hipError_tT1_PNSt15iterator_traitsISK_E10value_typeET2_T3_PNSL_ISQ_E10value_typeET4_T5_PSV_SW_PNS1_23onesweep_lookback_stateEbbT6_jjT7_P12ihipStream_tbENKUlT_T0_SK_SP_E_clIPfSE_SF_SF_EEDaS13_S14_SK_SP_EUlS13_E_NS1_11comp_targetILNS1_3genE2ELNS1_11target_archE906ELNS1_3gpuE6ELNS1_3repE0EEENS1_47radix_sort_onesweep_sort_config_static_selectorELNS0_4arch9wavefront6targetE0EEEvSK_.has_indirect_call, 0
	.section	.AMDGPU.csdata,"",@progbits
; Kernel info:
; codeLenInByte = 0
; TotalNumSgprs: 0
; NumVgprs: 0
; ScratchSize: 0
; MemoryBound: 0
; FloatMode: 240
; IeeeMode: 1
; LDSByteSize: 0 bytes/workgroup (compile time only)
; SGPRBlocks: 0
; VGPRBlocks: 0
; NumSGPRsForWavesPerEU: 1
; NumVGPRsForWavesPerEU: 1
; Occupancy: 16
; WaveLimiterHint : 0
; COMPUTE_PGM_RSRC2:SCRATCH_EN: 0
; COMPUTE_PGM_RSRC2:USER_SGPR: 6
; COMPUTE_PGM_RSRC2:TRAP_HANDLER: 0
; COMPUTE_PGM_RSRC2:TGID_X_EN: 1
; COMPUTE_PGM_RSRC2:TGID_Y_EN: 0
; COMPUTE_PGM_RSRC2:TGID_Z_EN: 0
; COMPUTE_PGM_RSRC2:TIDIG_COMP_CNT: 0
	.section	.text._ZN7rocprim17ROCPRIM_400000_NS6detail17trampoline_kernelINS0_14default_configENS1_35radix_sort_onesweep_config_selectorIfNS0_10empty_typeEEEZZNS1_29radix_sort_onesweep_iterationIS3_Lb0EN6thrust23THRUST_200600_302600_NS6detail15normal_iteratorINS9_10device_ptrIfEEEESE_PS5_SF_jNS0_19identity_decomposerENS1_16block_id_wrapperIjLb1EEEEE10hipError_tT1_PNSt15iterator_traitsISK_E10value_typeET2_T3_PNSL_ISQ_E10value_typeET4_T5_PSV_SW_PNS1_23onesweep_lookback_stateEbbT6_jjT7_P12ihipStream_tbENKUlT_T0_SK_SP_E_clIPfSE_SF_SF_EEDaS13_S14_SK_SP_EUlS13_E_NS1_11comp_targetILNS1_3genE4ELNS1_11target_archE910ELNS1_3gpuE8ELNS1_3repE0EEENS1_47radix_sort_onesweep_sort_config_static_selectorELNS0_4arch9wavefront6targetE0EEEvSK_,"axG",@progbits,_ZN7rocprim17ROCPRIM_400000_NS6detail17trampoline_kernelINS0_14default_configENS1_35radix_sort_onesweep_config_selectorIfNS0_10empty_typeEEEZZNS1_29radix_sort_onesweep_iterationIS3_Lb0EN6thrust23THRUST_200600_302600_NS6detail15normal_iteratorINS9_10device_ptrIfEEEESE_PS5_SF_jNS0_19identity_decomposerENS1_16block_id_wrapperIjLb1EEEEE10hipError_tT1_PNSt15iterator_traitsISK_E10value_typeET2_T3_PNSL_ISQ_E10value_typeET4_T5_PSV_SW_PNS1_23onesweep_lookback_stateEbbT6_jjT7_P12ihipStream_tbENKUlT_T0_SK_SP_E_clIPfSE_SF_SF_EEDaS13_S14_SK_SP_EUlS13_E_NS1_11comp_targetILNS1_3genE4ELNS1_11target_archE910ELNS1_3gpuE8ELNS1_3repE0EEENS1_47radix_sort_onesweep_sort_config_static_selectorELNS0_4arch9wavefront6targetE0EEEvSK_,comdat
	.protected	_ZN7rocprim17ROCPRIM_400000_NS6detail17trampoline_kernelINS0_14default_configENS1_35radix_sort_onesweep_config_selectorIfNS0_10empty_typeEEEZZNS1_29radix_sort_onesweep_iterationIS3_Lb0EN6thrust23THRUST_200600_302600_NS6detail15normal_iteratorINS9_10device_ptrIfEEEESE_PS5_SF_jNS0_19identity_decomposerENS1_16block_id_wrapperIjLb1EEEEE10hipError_tT1_PNSt15iterator_traitsISK_E10value_typeET2_T3_PNSL_ISQ_E10value_typeET4_T5_PSV_SW_PNS1_23onesweep_lookback_stateEbbT6_jjT7_P12ihipStream_tbENKUlT_T0_SK_SP_E_clIPfSE_SF_SF_EEDaS13_S14_SK_SP_EUlS13_E_NS1_11comp_targetILNS1_3genE4ELNS1_11target_archE910ELNS1_3gpuE8ELNS1_3repE0EEENS1_47radix_sort_onesweep_sort_config_static_selectorELNS0_4arch9wavefront6targetE0EEEvSK_ ; -- Begin function _ZN7rocprim17ROCPRIM_400000_NS6detail17trampoline_kernelINS0_14default_configENS1_35radix_sort_onesweep_config_selectorIfNS0_10empty_typeEEEZZNS1_29radix_sort_onesweep_iterationIS3_Lb0EN6thrust23THRUST_200600_302600_NS6detail15normal_iteratorINS9_10device_ptrIfEEEESE_PS5_SF_jNS0_19identity_decomposerENS1_16block_id_wrapperIjLb1EEEEE10hipError_tT1_PNSt15iterator_traitsISK_E10value_typeET2_T3_PNSL_ISQ_E10value_typeET4_T5_PSV_SW_PNS1_23onesweep_lookback_stateEbbT6_jjT7_P12ihipStream_tbENKUlT_T0_SK_SP_E_clIPfSE_SF_SF_EEDaS13_S14_SK_SP_EUlS13_E_NS1_11comp_targetILNS1_3genE4ELNS1_11target_archE910ELNS1_3gpuE8ELNS1_3repE0EEENS1_47radix_sort_onesweep_sort_config_static_selectorELNS0_4arch9wavefront6targetE0EEEvSK_
	.globl	_ZN7rocprim17ROCPRIM_400000_NS6detail17trampoline_kernelINS0_14default_configENS1_35radix_sort_onesweep_config_selectorIfNS0_10empty_typeEEEZZNS1_29radix_sort_onesweep_iterationIS3_Lb0EN6thrust23THRUST_200600_302600_NS6detail15normal_iteratorINS9_10device_ptrIfEEEESE_PS5_SF_jNS0_19identity_decomposerENS1_16block_id_wrapperIjLb1EEEEE10hipError_tT1_PNSt15iterator_traitsISK_E10value_typeET2_T3_PNSL_ISQ_E10value_typeET4_T5_PSV_SW_PNS1_23onesweep_lookback_stateEbbT6_jjT7_P12ihipStream_tbENKUlT_T0_SK_SP_E_clIPfSE_SF_SF_EEDaS13_S14_SK_SP_EUlS13_E_NS1_11comp_targetILNS1_3genE4ELNS1_11target_archE910ELNS1_3gpuE8ELNS1_3repE0EEENS1_47radix_sort_onesweep_sort_config_static_selectorELNS0_4arch9wavefront6targetE0EEEvSK_
	.p2align	8
	.type	_ZN7rocprim17ROCPRIM_400000_NS6detail17trampoline_kernelINS0_14default_configENS1_35radix_sort_onesweep_config_selectorIfNS0_10empty_typeEEEZZNS1_29radix_sort_onesweep_iterationIS3_Lb0EN6thrust23THRUST_200600_302600_NS6detail15normal_iteratorINS9_10device_ptrIfEEEESE_PS5_SF_jNS0_19identity_decomposerENS1_16block_id_wrapperIjLb1EEEEE10hipError_tT1_PNSt15iterator_traitsISK_E10value_typeET2_T3_PNSL_ISQ_E10value_typeET4_T5_PSV_SW_PNS1_23onesweep_lookback_stateEbbT6_jjT7_P12ihipStream_tbENKUlT_T0_SK_SP_E_clIPfSE_SF_SF_EEDaS13_S14_SK_SP_EUlS13_E_NS1_11comp_targetILNS1_3genE4ELNS1_11target_archE910ELNS1_3gpuE8ELNS1_3repE0EEENS1_47radix_sort_onesweep_sort_config_static_selectorELNS0_4arch9wavefront6targetE0EEEvSK_,@function
_ZN7rocprim17ROCPRIM_400000_NS6detail17trampoline_kernelINS0_14default_configENS1_35radix_sort_onesweep_config_selectorIfNS0_10empty_typeEEEZZNS1_29radix_sort_onesweep_iterationIS3_Lb0EN6thrust23THRUST_200600_302600_NS6detail15normal_iteratorINS9_10device_ptrIfEEEESE_PS5_SF_jNS0_19identity_decomposerENS1_16block_id_wrapperIjLb1EEEEE10hipError_tT1_PNSt15iterator_traitsISK_E10value_typeET2_T3_PNSL_ISQ_E10value_typeET4_T5_PSV_SW_PNS1_23onesweep_lookback_stateEbbT6_jjT7_P12ihipStream_tbENKUlT_T0_SK_SP_E_clIPfSE_SF_SF_EEDaS13_S14_SK_SP_EUlS13_E_NS1_11comp_targetILNS1_3genE4ELNS1_11target_archE910ELNS1_3gpuE8ELNS1_3repE0EEENS1_47radix_sort_onesweep_sort_config_static_selectorELNS0_4arch9wavefront6targetE0EEEvSK_: ; @_ZN7rocprim17ROCPRIM_400000_NS6detail17trampoline_kernelINS0_14default_configENS1_35radix_sort_onesweep_config_selectorIfNS0_10empty_typeEEEZZNS1_29radix_sort_onesweep_iterationIS3_Lb0EN6thrust23THRUST_200600_302600_NS6detail15normal_iteratorINS9_10device_ptrIfEEEESE_PS5_SF_jNS0_19identity_decomposerENS1_16block_id_wrapperIjLb1EEEEE10hipError_tT1_PNSt15iterator_traitsISK_E10value_typeET2_T3_PNSL_ISQ_E10value_typeET4_T5_PSV_SW_PNS1_23onesweep_lookback_stateEbbT6_jjT7_P12ihipStream_tbENKUlT_T0_SK_SP_E_clIPfSE_SF_SF_EEDaS13_S14_SK_SP_EUlS13_E_NS1_11comp_targetILNS1_3genE4ELNS1_11target_archE910ELNS1_3gpuE8ELNS1_3repE0EEENS1_47radix_sort_onesweep_sort_config_static_selectorELNS0_4arch9wavefront6targetE0EEEvSK_
; %bb.0:
	.section	.rodata,"a",@progbits
	.p2align	6, 0x0
	.amdhsa_kernel _ZN7rocprim17ROCPRIM_400000_NS6detail17trampoline_kernelINS0_14default_configENS1_35radix_sort_onesweep_config_selectorIfNS0_10empty_typeEEEZZNS1_29radix_sort_onesweep_iterationIS3_Lb0EN6thrust23THRUST_200600_302600_NS6detail15normal_iteratorINS9_10device_ptrIfEEEESE_PS5_SF_jNS0_19identity_decomposerENS1_16block_id_wrapperIjLb1EEEEE10hipError_tT1_PNSt15iterator_traitsISK_E10value_typeET2_T3_PNSL_ISQ_E10value_typeET4_T5_PSV_SW_PNS1_23onesweep_lookback_stateEbbT6_jjT7_P12ihipStream_tbENKUlT_T0_SK_SP_E_clIPfSE_SF_SF_EEDaS13_S14_SK_SP_EUlS13_E_NS1_11comp_targetILNS1_3genE4ELNS1_11target_archE910ELNS1_3gpuE8ELNS1_3repE0EEENS1_47radix_sort_onesweep_sort_config_static_selectorELNS0_4arch9wavefront6targetE0EEEvSK_
		.amdhsa_group_segment_fixed_size 0
		.amdhsa_private_segment_fixed_size 0
		.amdhsa_kernarg_size 88
		.amdhsa_user_sgpr_count 6
		.amdhsa_user_sgpr_private_segment_buffer 1
		.amdhsa_user_sgpr_dispatch_ptr 0
		.amdhsa_user_sgpr_queue_ptr 0
		.amdhsa_user_sgpr_kernarg_segment_ptr 1
		.amdhsa_user_sgpr_dispatch_id 0
		.amdhsa_user_sgpr_flat_scratch_init 0
		.amdhsa_user_sgpr_private_segment_size 0
		.amdhsa_wavefront_size32 1
		.amdhsa_uses_dynamic_stack 0
		.amdhsa_system_sgpr_private_segment_wavefront_offset 0
		.amdhsa_system_sgpr_workgroup_id_x 1
		.amdhsa_system_sgpr_workgroup_id_y 0
		.amdhsa_system_sgpr_workgroup_id_z 0
		.amdhsa_system_sgpr_workgroup_info 0
		.amdhsa_system_vgpr_workitem_id 0
		.amdhsa_next_free_vgpr 1
		.amdhsa_next_free_sgpr 1
		.amdhsa_reserve_vcc 0
		.amdhsa_reserve_flat_scratch 0
		.amdhsa_float_round_mode_32 0
		.amdhsa_float_round_mode_16_64 0
		.amdhsa_float_denorm_mode_32 3
		.amdhsa_float_denorm_mode_16_64 3
		.amdhsa_dx10_clamp 1
		.amdhsa_ieee_mode 1
		.amdhsa_fp16_overflow 0
		.amdhsa_workgroup_processor_mode 1
		.amdhsa_memory_ordered 1
		.amdhsa_forward_progress 1
		.amdhsa_shared_vgpr_count 0
		.amdhsa_exception_fp_ieee_invalid_op 0
		.amdhsa_exception_fp_denorm_src 0
		.amdhsa_exception_fp_ieee_div_zero 0
		.amdhsa_exception_fp_ieee_overflow 0
		.amdhsa_exception_fp_ieee_underflow 0
		.amdhsa_exception_fp_ieee_inexact 0
		.amdhsa_exception_int_div_zero 0
	.end_amdhsa_kernel
	.section	.text._ZN7rocprim17ROCPRIM_400000_NS6detail17trampoline_kernelINS0_14default_configENS1_35radix_sort_onesweep_config_selectorIfNS0_10empty_typeEEEZZNS1_29radix_sort_onesweep_iterationIS3_Lb0EN6thrust23THRUST_200600_302600_NS6detail15normal_iteratorINS9_10device_ptrIfEEEESE_PS5_SF_jNS0_19identity_decomposerENS1_16block_id_wrapperIjLb1EEEEE10hipError_tT1_PNSt15iterator_traitsISK_E10value_typeET2_T3_PNSL_ISQ_E10value_typeET4_T5_PSV_SW_PNS1_23onesweep_lookback_stateEbbT6_jjT7_P12ihipStream_tbENKUlT_T0_SK_SP_E_clIPfSE_SF_SF_EEDaS13_S14_SK_SP_EUlS13_E_NS1_11comp_targetILNS1_3genE4ELNS1_11target_archE910ELNS1_3gpuE8ELNS1_3repE0EEENS1_47radix_sort_onesweep_sort_config_static_selectorELNS0_4arch9wavefront6targetE0EEEvSK_,"axG",@progbits,_ZN7rocprim17ROCPRIM_400000_NS6detail17trampoline_kernelINS0_14default_configENS1_35radix_sort_onesweep_config_selectorIfNS0_10empty_typeEEEZZNS1_29radix_sort_onesweep_iterationIS3_Lb0EN6thrust23THRUST_200600_302600_NS6detail15normal_iteratorINS9_10device_ptrIfEEEESE_PS5_SF_jNS0_19identity_decomposerENS1_16block_id_wrapperIjLb1EEEEE10hipError_tT1_PNSt15iterator_traitsISK_E10value_typeET2_T3_PNSL_ISQ_E10value_typeET4_T5_PSV_SW_PNS1_23onesweep_lookback_stateEbbT6_jjT7_P12ihipStream_tbENKUlT_T0_SK_SP_E_clIPfSE_SF_SF_EEDaS13_S14_SK_SP_EUlS13_E_NS1_11comp_targetILNS1_3genE4ELNS1_11target_archE910ELNS1_3gpuE8ELNS1_3repE0EEENS1_47radix_sort_onesweep_sort_config_static_selectorELNS0_4arch9wavefront6targetE0EEEvSK_,comdat
.Lfunc_end581:
	.size	_ZN7rocprim17ROCPRIM_400000_NS6detail17trampoline_kernelINS0_14default_configENS1_35radix_sort_onesweep_config_selectorIfNS0_10empty_typeEEEZZNS1_29radix_sort_onesweep_iterationIS3_Lb0EN6thrust23THRUST_200600_302600_NS6detail15normal_iteratorINS9_10device_ptrIfEEEESE_PS5_SF_jNS0_19identity_decomposerENS1_16block_id_wrapperIjLb1EEEEE10hipError_tT1_PNSt15iterator_traitsISK_E10value_typeET2_T3_PNSL_ISQ_E10value_typeET4_T5_PSV_SW_PNS1_23onesweep_lookback_stateEbbT6_jjT7_P12ihipStream_tbENKUlT_T0_SK_SP_E_clIPfSE_SF_SF_EEDaS13_S14_SK_SP_EUlS13_E_NS1_11comp_targetILNS1_3genE4ELNS1_11target_archE910ELNS1_3gpuE8ELNS1_3repE0EEENS1_47radix_sort_onesweep_sort_config_static_selectorELNS0_4arch9wavefront6targetE0EEEvSK_, .Lfunc_end581-_ZN7rocprim17ROCPRIM_400000_NS6detail17trampoline_kernelINS0_14default_configENS1_35radix_sort_onesweep_config_selectorIfNS0_10empty_typeEEEZZNS1_29radix_sort_onesweep_iterationIS3_Lb0EN6thrust23THRUST_200600_302600_NS6detail15normal_iteratorINS9_10device_ptrIfEEEESE_PS5_SF_jNS0_19identity_decomposerENS1_16block_id_wrapperIjLb1EEEEE10hipError_tT1_PNSt15iterator_traitsISK_E10value_typeET2_T3_PNSL_ISQ_E10value_typeET4_T5_PSV_SW_PNS1_23onesweep_lookback_stateEbbT6_jjT7_P12ihipStream_tbENKUlT_T0_SK_SP_E_clIPfSE_SF_SF_EEDaS13_S14_SK_SP_EUlS13_E_NS1_11comp_targetILNS1_3genE4ELNS1_11target_archE910ELNS1_3gpuE8ELNS1_3repE0EEENS1_47radix_sort_onesweep_sort_config_static_selectorELNS0_4arch9wavefront6targetE0EEEvSK_
                                        ; -- End function
	.set _ZN7rocprim17ROCPRIM_400000_NS6detail17trampoline_kernelINS0_14default_configENS1_35radix_sort_onesweep_config_selectorIfNS0_10empty_typeEEEZZNS1_29radix_sort_onesweep_iterationIS3_Lb0EN6thrust23THRUST_200600_302600_NS6detail15normal_iteratorINS9_10device_ptrIfEEEESE_PS5_SF_jNS0_19identity_decomposerENS1_16block_id_wrapperIjLb1EEEEE10hipError_tT1_PNSt15iterator_traitsISK_E10value_typeET2_T3_PNSL_ISQ_E10value_typeET4_T5_PSV_SW_PNS1_23onesweep_lookback_stateEbbT6_jjT7_P12ihipStream_tbENKUlT_T0_SK_SP_E_clIPfSE_SF_SF_EEDaS13_S14_SK_SP_EUlS13_E_NS1_11comp_targetILNS1_3genE4ELNS1_11target_archE910ELNS1_3gpuE8ELNS1_3repE0EEENS1_47radix_sort_onesweep_sort_config_static_selectorELNS0_4arch9wavefront6targetE0EEEvSK_.num_vgpr, 0
	.set _ZN7rocprim17ROCPRIM_400000_NS6detail17trampoline_kernelINS0_14default_configENS1_35radix_sort_onesweep_config_selectorIfNS0_10empty_typeEEEZZNS1_29radix_sort_onesweep_iterationIS3_Lb0EN6thrust23THRUST_200600_302600_NS6detail15normal_iteratorINS9_10device_ptrIfEEEESE_PS5_SF_jNS0_19identity_decomposerENS1_16block_id_wrapperIjLb1EEEEE10hipError_tT1_PNSt15iterator_traitsISK_E10value_typeET2_T3_PNSL_ISQ_E10value_typeET4_T5_PSV_SW_PNS1_23onesweep_lookback_stateEbbT6_jjT7_P12ihipStream_tbENKUlT_T0_SK_SP_E_clIPfSE_SF_SF_EEDaS13_S14_SK_SP_EUlS13_E_NS1_11comp_targetILNS1_3genE4ELNS1_11target_archE910ELNS1_3gpuE8ELNS1_3repE0EEENS1_47radix_sort_onesweep_sort_config_static_selectorELNS0_4arch9wavefront6targetE0EEEvSK_.num_agpr, 0
	.set _ZN7rocprim17ROCPRIM_400000_NS6detail17trampoline_kernelINS0_14default_configENS1_35radix_sort_onesweep_config_selectorIfNS0_10empty_typeEEEZZNS1_29radix_sort_onesweep_iterationIS3_Lb0EN6thrust23THRUST_200600_302600_NS6detail15normal_iteratorINS9_10device_ptrIfEEEESE_PS5_SF_jNS0_19identity_decomposerENS1_16block_id_wrapperIjLb1EEEEE10hipError_tT1_PNSt15iterator_traitsISK_E10value_typeET2_T3_PNSL_ISQ_E10value_typeET4_T5_PSV_SW_PNS1_23onesweep_lookback_stateEbbT6_jjT7_P12ihipStream_tbENKUlT_T0_SK_SP_E_clIPfSE_SF_SF_EEDaS13_S14_SK_SP_EUlS13_E_NS1_11comp_targetILNS1_3genE4ELNS1_11target_archE910ELNS1_3gpuE8ELNS1_3repE0EEENS1_47radix_sort_onesweep_sort_config_static_selectorELNS0_4arch9wavefront6targetE0EEEvSK_.numbered_sgpr, 0
	.set _ZN7rocprim17ROCPRIM_400000_NS6detail17trampoline_kernelINS0_14default_configENS1_35radix_sort_onesweep_config_selectorIfNS0_10empty_typeEEEZZNS1_29radix_sort_onesweep_iterationIS3_Lb0EN6thrust23THRUST_200600_302600_NS6detail15normal_iteratorINS9_10device_ptrIfEEEESE_PS5_SF_jNS0_19identity_decomposerENS1_16block_id_wrapperIjLb1EEEEE10hipError_tT1_PNSt15iterator_traitsISK_E10value_typeET2_T3_PNSL_ISQ_E10value_typeET4_T5_PSV_SW_PNS1_23onesweep_lookback_stateEbbT6_jjT7_P12ihipStream_tbENKUlT_T0_SK_SP_E_clIPfSE_SF_SF_EEDaS13_S14_SK_SP_EUlS13_E_NS1_11comp_targetILNS1_3genE4ELNS1_11target_archE910ELNS1_3gpuE8ELNS1_3repE0EEENS1_47radix_sort_onesweep_sort_config_static_selectorELNS0_4arch9wavefront6targetE0EEEvSK_.num_named_barrier, 0
	.set _ZN7rocprim17ROCPRIM_400000_NS6detail17trampoline_kernelINS0_14default_configENS1_35radix_sort_onesweep_config_selectorIfNS0_10empty_typeEEEZZNS1_29radix_sort_onesweep_iterationIS3_Lb0EN6thrust23THRUST_200600_302600_NS6detail15normal_iteratorINS9_10device_ptrIfEEEESE_PS5_SF_jNS0_19identity_decomposerENS1_16block_id_wrapperIjLb1EEEEE10hipError_tT1_PNSt15iterator_traitsISK_E10value_typeET2_T3_PNSL_ISQ_E10value_typeET4_T5_PSV_SW_PNS1_23onesweep_lookback_stateEbbT6_jjT7_P12ihipStream_tbENKUlT_T0_SK_SP_E_clIPfSE_SF_SF_EEDaS13_S14_SK_SP_EUlS13_E_NS1_11comp_targetILNS1_3genE4ELNS1_11target_archE910ELNS1_3gpuE8ELNS1_3repE0EEENS1_47radix_sort_onesweep_sort_config_static_selectorELNS0_4arch9wavefront6targetE0EEEvSK_.private_seg_size, 0
	.set _ZN7rocprim17ROCPRIM_400000_NS6detail17trampoline_kernelINS0_14default_configENS1_35radix_sort_onesweep_config_selectorIfNS0_10empty_typeEEEZZNS1_29radix_sort_onesweep_iterationIS3_Lb0EN6thrust23THRUST_200600_302600_NS6detail15normal_iteratorINS9_10device_ptrIfEEEESE_PS5_SF_jNS0_19identity_decomposerENS1_16block_id_wrapperIjLb1EEEEE10hipError_tT1_PNSt15iterator_traitsISK_E10value_typeET2_T3_PNSL_ISQ_E10value_typeET4_T5_PSV_SW_PNS1_23onesweep_lookback_stateEbbT6_jjT7_P12ihipStream_tbENKUlT_T0_SK_SP_E_clIPfSE_SF_SF_EEDaS13_S14_SK_SP_EUlS13_E_NS1_11comp_targetILNS1_3genE4ELNS1_11target_archE910ELNS1_3gpuE8ELNS1_3repE0EEENS1_47radix_sort_onesweep_sort_config_static_selectorELNS0_4arch9wavefront6targetE0EEEvSK_.uses_vcc, 0
	.set _ZN7rocprim17ROCPRIM_400000_NS6detail17trampoline_kernelINS0_14default_configENS1_35radix_sort_onesweep_config_selectorIfNS0_10empty_typeEEEZZNS1_29radix_sort_onesweep_iterationIS3_Lb0EN6thrust23THRUST_200600_302600_NS6detail15normal_iteratorINS9_10device_ptrIfEEEESE_PS5_SF_jNS0_19identity_decomposerENS1_16block_id_wrapperIjLb1EEEEE10hipError_tT1_PNSt15iterator_traitsISK_E10value_typeET2_T3_PNSL_ISQ_E10value_typeET4_T5_PSV_SW_PNS1_23onesweep_lookback_stateEbbT6_jjT7_P12ihipStream_tbENKUlT_T0_SK_SP_E_clIPfSE_SF_SF_EEDaS13_S14_SK_SP_EUlS13_E_NS1_11comp_targetILNS1_3genE4ELNS1_11target_archE910ELNS1_3gpuE8ELNS1_3repE0EEENS1_47radix_sort_onesweep_sort_config_static_selectorELNS0_4arch9wavefront6targetE0EEEvSK_.uses_flat_scratch, 0
	.set _ZN7rocprim17ROCPRIM_400000_NS6detail17trampoline_kernelINS0_14default_configENS1_35radix_sort_onesweep_config_selectorIfNS0_10empty_typeEEEZZNS1_29radix_sort_onesweep_iterationIS3_Lb0EN6thrust23THRUST_200600_302600_NS6detail15normal_iteratorINS9_10device_ptrIfEEEESE_PS5_SF_jNS0_19identity_decomposerENS1_16block_id_wrapperIjLb1EEEEE10hipError_tT1_PNSt15iterator_traitsISK_E10value_typeET2_T3_PNSL_ISQ_E10value_typeET4_T5_PSV_SW_PNS1_23onesweep_lookback_stateEbbT6_jjT7_P12ihipStream_tbENKUlT_T0_SK_SP_E_clIPfSE_SF_SF_EEDaS13_S14_SK_SP_EUlS13_E_NS1_11comp_targetILNS1_3genE4ELNS1_11target_archE910ELNS1_3gpuE8ELNS1_3repE0EEENS1_47radix_sort_onesweep_sort_config_static_selectorELNS0_4arch9wavefront6targetE0EEEvSK_.has_dyn_sized_stack, 0
	.set _ZN7rocprim17ROCPRIM_400000_NS6detail17trampoline_kernelINS0_14default_configENS1_35radix_sort_onesweep_config_selectorIfNS0_10empty_typeEEEZZNS1_29radix_sort_onesweep_iterationIS3_Lb0EN6thrust23THRUST_200600_302600_NS6detail15normal_iteratorINS9_10device_ptrIfEEEESE_PS5_SF_jNS0_19identity_decomposerENS1_16block_id_wrapperIjLb1EEEEE10hipError_tT1_PNSt15iterator_traitsISK_E10value_typeET2_T3_PNSL_ISQ_E10value_typeET4_T5_PSV_SW_PNS1_23onesweep_lookback_stateEbbT6_jjT7_P12ihipStream_tbENKUlT_T0_SK_SP_E_clIPfSE_SF_SF_EEDaS13_S14_SK_SP_EUlS13_E_NS1_11comp_targetILNS1_3genE4ELNS1_11target_archE910ELNS1_3gpuE8ELNS1_3repE0EEENS1_47radix_sort_onesweep_sort_config_static_selectorELNS0_4arch9wavefront6targetE0EEEvSK_.has_recursion, 0
	.set _ZN7rocprim17ROCPRIM_400000_NS6detail17trampoline_kernelINS0_14default_configENS1_35radix_sort_onesweep_config_selectorIfNS0_10empty_typeEEEZZNS1_29radix_sort_onesweep_iterationIS3_Lb0EN6thrust23THRUST_200600_302600_NS6detail15normal_iteratorINS9_10device_ptrIfEEEESE_PS5_SF_jNS0_19identity_decomposerENS1_16block_id_wrapperIjLb1EEEEE10hipError_tT1_PNSt15iterator_traitsISK_E10value_typeET2_T3_PNSL_ISQ_E10value_typeET4_T5_PSV_SW_PNS1_23onesweep_lookback_stateEbbT6_jjT7_P12ihipStream_tbENKUlT_T0_SK_SP_E_clIPfSE_SF_SF_EEDaS13_S14_SK_SP_EUlS13_E_NS1_11comp_targetILNS1_3genE4ELNS1_11target_archE910ELNS1_3gpuE8ELNS1_3repE0EEENS1_47radix_sort_onesweep_sort_config_static_selectorELNS0_4arch9wavefront6targetE0EEEvSK_.has_indirect_call, 0
	.section	.AMDGPU.csdata,"",@progbits
; Kernel info:
; codeLenInByte = 0
; TotalNumSgprs: 0
; NumVgprs: 0
; ScratchSize: 0
; MemoryBound: 0
; FloatMode: 240
; IeeeMode: 1
; LDSByteSize: 0 bytes/workgroup (compile time only)
; SGPRBlocks: 0
; VGPRBlocks: 0
; NumSGPRsForWavesPerEU: 1
; NumVGPRsForWavesPerEU: 1
; Occupancy: 16
; WaveLimiterHint : 0
; COMPUTE_PGM_RSRC2:SCRATCH_EN: 0
; COMPUTE_PGM_RSRC2:USER_SGPR: 6
; COMPUTE_PGM_RSRC2:TRAP_HANDLER: 0
; COMPUTE_PGM_RSRC2:TGID_X_EN: 1
; COMPUTE_PGM_RSRC2:TGID_Y_EN: 0
; COMPUTE_PGM_RSRC2:TGID_Z_EN: 0
; COMPUTE_PGM_RSRC2:TIDIG_COMP_CNT: 0
	.section	.text._ZN7rocprim17ROCPRIM_400000_NS6detail17trampoline_kernelINS0_14default_configENS1_35radix_sort_onesweep_config_selectorIfNS0_10empty_typeEEEZZNS1_29radix_sort_onesweep_iterationIS3_Lb0EN6thrust23THRUST_200600_302600_NS6detail15normal_iteratorINS9_10device_ptrIfEEEESE_PS5_SF_jNS0_19identity_decomposerENS1_16block_id_wrapperIjLb1EEEEE10hipError_tT1_PNSt15iterator_traitsISK_E10value_typeET2_T3_PNSL_ISQ_E10value_typeET4_T5_PSV_SW_PNS1_23onesweep_lookback_stateEbbT6_jjT7_P12ihipStream_tbENKUlT_T0_SK_SP_E_clIPfSE_SF_SF_EEDaS13_S14_SK_SP_EUlS13_E_NS1_11comp_targetILNS1_3genE3ELNS1_11target_archE908ELNS1_3gpuE7ELNS1_3repE0EEENS1_47radix_sort_onesweep_sort_config_static_selectorELNS0_4arch9wavefront6targetE0EEEvSK_,"axG",@progbits,_ZN7rocprim17ROCPRIM_400000_NS6detail17trampoline_kernelINS0_14default_configENS1_35radix_sort_onesweep_config_selectorIfNS0_10empty_typeEEEZZNS1_29radix_sort_onesweep_iterationIS3_Lb0EN6thrust23THRUST_200600_302600_NS6detail15normal_iteratorINS9_10device_ptrIfEEEESE_PS5_SF_jNS0_19identity_decomposerENS1_16block_id_wrapperIjLb1EEEEE10hipError_tT1_PNSt15iterator_traitsISK_E10value_typeET2_T3_PNSL_ISQ_E10value_typeET4_T5_PSV_SW_PNS1_23onesweep_lookback_stateEbbT6_jjT7_P12ihipStream_tbENKUlT_T0_SK_SP_E_clIPfSE_SF_SF_EEDaS13_S14_SK_SP_EUlS13_E_NS1_11comp_targetILNS1_3genE3ELNS1_11target_archE908ELNS1_3gpuE7ELNS1_3repE0EEENS1_47radix_sort_onesweep_sort_config_static_selectorELNS0_4arch9wavefront6targetE0EEEvSK_,comdat
	.protected	_ZN7rocprim17ROCPRIM_400000_NS6detail17trampoline_kernelINS0_14default_configENS1_35radix_sort_onesweep_config_selectorIfNS0_10empty_typeEEEZZNS1_29radix_sort_onesweep_iterationIS3_Lb0EN6thrust23THRUST_200600_302600_NS6detail15normal_iteratorINS9_10device_ptrIfEEEESE_PS5_SF_jNS0_19identity_decomposerENS1_16block_id_wrapperIjLb1EEEEE10hipError_tT1_PNSt15iterator_traitsISK_E10value_typeET2_T3_PNSL_ISQ_E10value_typeET4_T5_PSV_SW_PNS1_23onesweep_lookback_stateEbbT6_jjT7_P12ihipStream_tbENKUlT_T0_SK_SP_E_clIPfSE_SF_SF_EEDaS13_S14_SK_SP_EUlS13_E_NS1_11comp_targetILNS1_3genE3ELNS1_11target_archE908ELNS1_3gpuE7ELNS1_3repE0EEENS1_47radix_sort_onesweep_sort_config_static_selectorELNS0_4arch9wavefront6targetE0EEEvSK_ ; -- Begin function _ZN7rocprim17ROCPRIM_400000_NS6detail17trampoline_kernelINS0_14default_configENS1_35radix_sort_onesweep_config_selectorIfNS0_10empty_typeEEEZZNS1_29radix_sort_onesweep_iterationIS3_Lb0EN6thrust23THRUST_200600_302600_NS6detail15normal_iteratorINS9_10device_ptrIfEEEESE_PS5_SF_jNS0_19identity_decomposerENS1_16block_id_wrapperIjLb1EEEEE10hipError_tT1_PNSt15iterator_traitsISK_E10value_typeET2_T3_PNSL_ISQ_E10value_typeET4_T5_PSV_SW_PNS1_23onesweep_lookback_stateEbbT6_jjT7_P12ihipStream_tbENKUlT_T0_SK_SP_E_clIPfSE_SF_SF_EEDaS13_S14_SK_SP_EUlS13_E_NS1_11comp_targetILNS1_3genE3ELNS1_11target_archE908ELNS1_3gpuE7ELNS1_3repE0EEENS1_47radix_sort_onesweep_sort_config_static_selectorELNS0_4arch9wavefront6targetE0EEEvSK_
	.globl	_ZN7rocprim17ROCPRIM_400000_NS6detail17trampoline_kernelINS0_14default_configENS1_35radix_sort_onesweep_config_selectorIfNS0_10empty_typeEEEZZNS1_29radix_sort_onesweep_iterationIS3_Lb0EN6thrust23THRUST_200600_302600_NS6detail15normal_iteratorINS9_10device_ptrIfEEEESE_PS5_SF_jNS0_19identity_decomposerENS1_16block_id_wrapperIjLb1EEEEE10hipError_tT1_PNSt15iterator_traitsISK_E10value_typeET2_T3_PNSL_ISQ_E10value_typeET4_T5_PSV_SW_PNS1_23onesweep_lookback_stateEbbT6_jjT7_P12ihipStream_tbENKUlT_T0_SK_SP_E_clIPfSE_SF_SF_EEDaS13_S14_SK_SP_EUlS13_E_NS1_11comp_targetILNS1_3genE3ELNS1_11target_archE908ELNS1_3gpuE7ELNS1_3repE0EEENS1_47radix_sort_onesweep_sort_config_static_selectorELNS0_4arch9wavefront6targetE0EEEvSK_
	.p2align	8
	.type	_ZN7rocprim17ROCPRIM_400000_NS6detail17trampoline_kernelINS0_14default_configENS1_35radix_sort_onesweep_config_selectorIfNS0_10empty_typeEEEZZNS1_29radix_sort_onesweep_iterationIS3_Lb0EN6thrust23THRUST_200600_302600_NS6detail15normal_iteratorINS9_10device_ptrIfEEEESE_PS5_SF_jNS0_19identity_decomposerENS1_16block_id_wrapperIjLb1EEEEE10hipError_tT1_PNSt15iterator_traitsISK_E10value_typeET2_T3_PNSL_ISQ_E10value_typeET4_T5_PSV_SW_PNS1_23onesweep_lookback_stateEbbT6_jjT7_P12ihipStream_tbENKUlT_T0_SK_SP_E_clIPfSE_SF_SF_EEDaS13_S14_SK_SP_EUlS13_E_NS1_11comp_targetILNS1_3genE3ELNS1_11target_archE908ELNS1_3gpuE7ELNS1_3repE0EEENS1_47radix_sort_onesweep_sort_config_static_selectorELNS0_4arch9wavefront6targetE0EEEvSK_,@function
_ZN7rocprim17ROCPRIM_400000_NS6detail17trampoline_kernelINS0_14default_configENS1_35radix_sort_onesweep_config_selectorIfNS0_10empty_typeEEEZZNS1_29radix_sort_onesweep_iterationIS3_Lb0EN6thrust23THRUST_200600_302600_NS6detail15normal_iteratorINS9_10device_ptrIfEEEESE_PS5_SF_jNS0_19identity_decomposerENS1_16block_id_wrapperIjLb1EEEEE10hipError_tT1_PNSt15iterator_traitsISK_E10value_typeET2_T3_PNSL_ISQ_E10value_typeET4_T5_PSV_SW_PNS1_23onesweep_lookback_stateEbbT6_jjT7_P12ihipStream_tbENKUlT_T0_SK_SP_E_clIPfSE_SF_SF_EEDaS13_S14_SK_SP_EUlS13_E_NS1_11comp_targetILNS1_3genE3ELNS1_11target_archE908ELNS1_3gpuE7ELNS1_3repE0EEENS1_47radix_sort_onesweep_sort_config_static_selectorELNS0_4arch9wavefront6targetE0EEEvSK_: ; @_ZN7rocprim17ROCPRIM_400000_NS6detail17trampoline_kernelINS0_14default_configENS1_35radix_sort_onesweep_config_selectorIfNS0_10empty_typeEEEZZNS1_29radix_sort_onesweep_iterationIS3_Lb0EN6thrust23THRUST_200600_302600_NS6detail15normal_iteratorINS9_10device_ptrIfEEEESE_PS5_SF_jNS0_19identity_decomposerENS1_16block_id_wrapperIjLb1EEEEE10hipError_tT1_PNSt15iterator_traitsISK_E10value_typeET2_T3_PNSL_ISQ_E10value_typeET4_T5_PSV_SW_PNS1_23onesweep_lookback_stateEbbT6_jjT7_P12ihipStream_tbENKUlT_T0_SK_SP_E_clIPfSE_SF_SF_EEDaS13_S14_SK_SP_EUlS13_E_NS1_11comp_targetILNS1_3genE3ELNS1_11target_archE908ELNS1_3gpuE7ELNS1_3repE0EEENS1_47radix_sort_onesweep_sort_config_static_selectorELNS0_4arch9wavefront6targetE0EEEvSK_
; %bb.0:
	.section	.rodata,"a",@progbits
	.p2align	6, 0x0
	.amdhsa_kernel _ZN7rocprim17ROCPRIM_400000_NS6detail17trampoline_kernelINS0_14default_configENS1_35radix_sort_onesweep_config_selectorIfNS0_10empty_typeEEEZZNS1_29radix_sort_onesweep_iterationIS3_Lb0EN6thrust23THRUST_200600_302600_NS6detail15normal_iteratorINS9_10device_ptrIfEEEESE_PS5_SF_jNS0_19identity_decomposerENS1_16block_id_wrapperIjLb1EEEEE10hipError_tT1_PNSt15iterator_traitsISK_E10value_typeET2_T3_PNSL_ISQ_E10value_typeET4_T5_PSV_SW_PNS1_23onesweep_lookback_stateEbbT6_jjT7_P12ihipStream_tbENKUlT_T0_SK_SP_E_clIPfSE_SF_SF_EEDaS13_S14_SK_SP_EUlS13_E_NS1_11comp_targetILNS1_3genE3ELNS1_11target_archE908ELNS1_3gpuE7ELNS1_3repE0EEENS1_47radix_sort_onesweep_sort_config_static_selectorELNS0_4arch9wavefront6targetE0EEEvSK_
		.amdhsa_group_segment_fixed_size 0
		.amdhsa_private_segment_fixed_size 0
		.amdhsa_kernarg_size 88
		.amdhsa_user_sgpr_count 6
		.amdhsa_user_sgpr_private_segment_buffer 1
		.amdhsa_user_sgpr_dispatch_ptr 0
		.amdhsa_user_sgpr_queue_ptr 0
		.amdhsa_user_sgpr_kernarg_segment_ptr 1
		.amdhsa_user_sgpr_dispatch_id 0
		.amdhsa_user_sgpr_flat_scratch_init 0
		.amdhsa_user_sgpr_private_segment_size 0
		.amdhsa_wavefront_size32 1
		.amdhsa_uses_dynamic_stack 0
		.amdhsa_system_sgpr_private_segment_wavefront_offset 0
		.amdhsa_system_sgpr_workgroup_id_x 1
		.amdhsa_system_sgpr_workgroup_id_y 0
		.amdhsa_system_sgpr_workgroup_id_z 0
		.amdhsa_system_sgpr_workgroup_info 0
		.amdhsa_system_vgpr_workitem_id 0
		.amdhsa_next_free_vgpr 1
		.amdhsa_next_free_sgpr 1
		.amdhsa_reserve_vcc 0
		.amdhsa_reserve_flat_scratch 0
		.amdhsa_float_round_mode_32 0
		.amdhsa_float_round_mode_16_64 0
		.amdhsa_float_denorm_mode_32 3
		.amdhsa_float_denorm_mode_16_64 3
		.amdhsa_dx10_clamp 1
		.amdhsa_ieee_mode 1
		.amdhsa_fp16_overflow 0
		.amdhsa_workgroup_processor_mode 1
		.amdhsa_memory_ordered 1
		.amdhsa_forward_progress 1
		.amdhsa_shared_vgpr_count 0
		.amdhsa_exception_fp_ieee_invalid_op 0
		.amdhsa_exception_fp_denorm_src 0
		.amdhsa_exception_fp_ieee_div_zero 0
		.amdhsa_exception_fp_ieee_overflow 0
		.amdhsa_exception_fp_ieee_underflow 0
		.amdhsa_exception_fp_ieee_inexact 0
		.amdhsa_exception_int_div_zero 0
	.end_amdhsa_kernel
	.section	.text._ZN7rocprim17ROCPRIM_400000_NS6detail17trampoline_kernelINS0_14default_configENS1_35radix_sort_onesweep_config_selectorIfNS0_10empty_typeEEEZZNS1_29radix_sort_onesweep_iterationIS3_Lb0EN6thrust23THRUST_200600_302600_NS6detail15normal_iteratorINS9_10device_ptrIfEEEESE_PS5_SF_jNS0_19identity_decomposerENS1_16block_id_wrapperIjLb1EEEEE10hipError_tT1_PNSt15iterator_traitsISK_E10value_typeET2_T3_PNSL_ISQ_E10value_typeET4_T5_PSV_SW_PNS1_23onesweep_lookback_stateEbbT6_jjT7_P12ihipStream_tbENKUlT_T0_SK_SP_E_clIPfSE_SF_SF_EEDaS13_S14_SK_SP_EUlS13_E_NS1_11comp_targetILNS1_3genE3ELNS1_11target_archE908ELNS1_3gpuE7ELNS1_3repE0EEENS1_47radix_sort_onesweep_sort_config_static_selectorELNS0_4arch9wavefront6targetE0EEEvSK_,"axG",@progbits,_ZN7rocprim17ROCPRIM_400000_NS6detail17trampoline_kernelINS0_14default_configENS1_35radix_sort_onesweep_config_selectorIfNS0_10empty_typeEEEZZNS1_29radix_sort_onesweep_iterationIS3_Lb0EN6thrust23THRUST_200600_302600_NS6detail15normal_iteratorINS9_10device_ptrIfEEEESE_PS5_SF_jNS0_19identity_decomposerENS1_16block_id_wrapperIjLb1EEEEE10hipError_tT1_PNSt15iterator_traitsISK_E10value_typeET2_T3_PNSL_ISQ_E10value_typeET4_T5_PSV_SW_PNS1_23onesweep_lookback_stateEbbT6_jjT7_P12ihipStream_tbENKUlT_T0_SK_SP_E_clIPfSE_SF_SF_EEDaS13_S14_SK_SP_EUlS13_E_NS1_11comp_targetILNS1_3genE3ELNS1_11target_archE908ELNS1_3gpuE7ELNS1_3repE0EEENS1_47radix_sort_onesweep_sort_config_static_selectorELNS0_4arch9wavefront6targetE0EEEvSK_,comdat
.Lfunc_end582:
	.size	_ZN7rocprim17ROCPRIM_400000_NS6detail17trampoline_kernelINS0_14default_configENS1_35radix_sort_onesweep_config_selectorIfNS0_10empty_typeEEEZZNS1_29radix_sort_onesweep_iterationIS3_Lb0EN6thrust23THRUST_200600_302600_NS6detail15normal_iteratorINS9_10device_ptrIfEEEESE_PS5_SF_jNS0_19identity_decomposerENS1_16block_id_wrapperIjLb1EEEEE10hipError_tT1_PNSt15iterator_traitsISK_E10value_typeET2_T3_PNSL_ISQ_E10value_typeET4_T5_PSV_SW_PNS1_23onesweep_lookback_stateEbbT6_jjT7_P12ihipStream_tbENKUlT_T0_SK_SP_E_clIPfSE_SF_SF_EEDaS13_S14_SK_SP_EUlS13_E_NS1_11comp_targetILNS1_3genE3ELNS1_11target_archE908ELNS1_3gpuE7ELNS1_3repE0EEENS1_47radix_sort_onesweep_sort_config_static_selectorELNS0_4arch9wavefront6targetE0EEEvSK_, .Lfunc_end582-_ZN7rocprim17ROCPRIM_400000_NS6detail17trampoline_kernelINS0_14default_configENS1_35radix_sort_onesweep_config_selectorIfNS0_10empty_typeEEEZZNS1_29radix_sort_onesweep_iterationIS3_Lb0EN6thrust23THRUST_200600_302600_NS6detail15normal_iteratorINS9_10device_ptrIfEEEESE_PS5_SF_jNS0_19identity_decomposerENS1_16block_id_wrapperIjLb1EEEEE10hipError_tT1_PNSt15iterator_traitsISK_E10value_typeET2_T3_PNSL_ISQ_E10value_typeET4_T5_PSV_SW_PNS1_23onesweep_lookback_stateEbbT6_jjT7_P12ihipStream_tbENKUlT_T0_SK_SP_E_clIPfSE_SF_SF_EEDaS13_S14_SK_SP_EUlS13_E_NS1_11comp_targetILNS1_3genE3ELNS1_11target_archE908ELNS1_3gpuE7ELNS1_3repE0EEENS1_47radix_sort_onesweep_sort_config_static_selectorELNS0_4arch9wavefront6targetE0EEEvSK_
                                        ; -- End function
	.set _ZN7rocprim17ROCPRIM_400000_NS6detail17trampoline_kernelINS0_14default_configENS1_35radix_sort_onesweep_config_selectorIfNS0_10empty_typeEEEZZNS1_29radix_sort_onesweep_iterationIS3_Lb0EN6thrust23THRUST_200600_302600_NS6detail15normal_iteratorINS9_10device_ptrIfEEEESE_PS5_SF_jNS0_19identity_decomposerENS1_16block_id_wrapperIjLb1EEEEE10hipError_tT1_PNSt15iterator_traitsISK_E10value_typeET2_T3_PNSL_ISQ_E10value_typeET4_T5_PSV_SW_PNS1_23onesweep_lookback_stateEbbT6_jjT7_P12ihipStream_tbENKUlT_T0_SK_SP_E_clIPfSE_SF_SF_EEDaS13_S14_SK_SP_EUlS13_E_NS1_11comp_targetILNS1_3genE3ELNS1_11target_archE908ELNS1_3gpuE7ELNS1_3repE0EEENS1_47radix_sort_onesweep_sort_config_static_selectorELNS0_4arch9wavefront6targetE0EEEvSK_.num_vgpr, 0
	.set _ZN7rocprim17ROCPRIM_400000_NS6detail17trampoline_kernelINS0_14default_configENS1_35radix_sort_onesweep_config_selectorIfNS0_10empty_typeEEEZZNS1_29radix_sort_onesweep_iterationIS3_Lb0EN6thrust23THRUST_200600_302600_NS6detail15normal_iteratorINS9_10device_ptrIfEEEESE_PS5_SF_jNS0_19identity_decomposerENS1_16block_id_wrapperIjLb1EEEEE10hipError_tT1_PNSt15iterator_traitsISK_E10value_typeET2_T3_PNSL_ISQ_E10value_typeET4_T5_PSV_SW_PNS1_23onesweep_lookback_stateEbbT6_jjT7_P12ihipStream_tbENKUlT_T0_SK_SP_E_clIPfSE_SF_SF_EEDaS13_S14_SK_SP_EUlS13_E_NS1_11comp_targetILNS1_3genE3ELNS1_11target_archE908ELNS1_3gpuE7ELNS1_3repE0EEENS1_47radix_sort_onesweep_sort_config_static_selectorELNS0_4arch9wavefront6targetE0EEEvSK_.num_agpr, 0
	.set _ZN7rocprim17ROCPRIM_400000_NS6detail17trampoline_kernelINS0_14default_configENS1_35radix_sort_onesweep_config_selectorIfNS0_10empty_typeEEEZZNS1_29radix_sort_onesweep_iterationIS3_Lb0EN6thrust23THRUST_200600_302600_NS6detail15normal_iteratorINS9_10device_ptrIfEEEESE_PS5_SF_jNS0_19identity_decomposerENS1_16block_id_wrapperIjLb1EEEEE10hipError_tT1_PNSt15iterator_traitsISK_E10value_typeET2_T3_PNSL_ISQ_E10value_typeET4_T5_PSV_SW_PNS1_23onesweep_lookback_stateEbbT6_jjT7_P12ihipStream_tbENKUlT_T0_SK_SP_E_clIPfSE_SF_SF_EEDaS13_S14_SK_SP_EUlS13_E_NS1_11comp_targetILNS1_3genE3ELNS1_11target_archE908ELNS1_3gpuE7ELNS1_3repE0EEENS1_47radix_sort_onesweep_sort_config_static_selectorELNS0_4arch9wavefront6targetE0EEEvSK_.numbered_sgpr, 0
	.set _ZN7rocprim17ROCPRIM_400000_NS6detail17trampoline_kernelINS0_14default_configENS1_35radix_sort_onesweep_config_selectorIfNS0_10empty_typeEEEZZNS1_29radix_sort_onesweep_iterationIS3_Lb0EN6thrust23THRUST_200600_302600_NS6detail15normal_iteratorINS9_10device_ptrIfEEEESE_PS5_SF_jNS0_19identity_decomposerENS1_16block_id_wrapperIjLb1EEEEE10hipError_tT1_PNSt15iterator_traitsISK_E10value_typeET2_T3_PNSL_ISQ_E10value_typeET4_T5_PSV_SW_PNS1_23onesweep_lookback_stateEbbT6_jjT7_P12ihipStream_tbENKUlT_T0_SK_SP_E_clIPfSE_SF_SF_EEDaS13_S14_SK_SP_EUlS13_E_NS1_11comp_targetILNS1_3genE3ELNS1_11target_archE908ELNS1_3gpuE7ELNS1_3repE0EEENS1_47radix_sort_onesweep_sort_config_static_selectorELNS0_4arch9wavefront6targetE0EEEvSK_.num_named_barrier, 0
	.set _ZN7rocprim17ROCPRIM_400000_NS6detail17trampoline_kernelINS0_14default_configENS1_35radix_sort_onesweep_config_selectorIfNS0_10empty_typeEEEZZNS1_29radix_sort_onesweep_iterationIS3_Lb0EN6thrust23THRUST_200600_302600_NS6detail15normal_iteratorINS9_10device_ptrIfEEEESE_PS5_SF_jNS0_19identity_decomposerENS1_16block_id_wrapperIjLb1EEEEE10hipError_tT1_PNSt15iterator_traitsISK_E10value_typeET2_T3_PNSL_ISQ_E10value_typeET4_T5_PSV_SW_PNS1_23onesweep_lookback_stateEbbT6_jjT7_P12ihipStream_tbENKUlT_T0_SK_SP_E_clIPfSE_SF_SF_EEDaS13_S14_SK_SP_EUlS13_E_NS1_11comp_targetILNS1_3genE3ELNS1_11target_archE908ELNS1_3gpuE7ELNS1_3repE0EEENS1_47radix_sort_onesweep_sort_config_static_selectorELNS0_4arch9wavefront6targetE0EEEvSK_.private_seg_size, 0
	.set _ZN7rocprim17ROCPRIM_400000_NS6detail17trampoline_kernelINS0_14default_configENS1_35radix_sort_onesweep_config_selectorIfNS0_10empty_typeEEEZZNS1_29radix_sort_onesweep_iterationIS3_Lb0EN6thrust23THRUST_200600_302600_NS6detail15normal_iteratorINS9_10device_ptrIfEEEESE_PS5_SF_jNS0_19identity_decomposerENS1_16block_id_wrapperIjLb1EEEEE10hipError_tT1_PNSt15iterator_traitsISK_E10value_typeET2_T3_PNSL_ISQ_E10value_typeET4_T5_PSV_SW_PNS1_23onesweep_lookback_stateEbbT6_jjT7_P12ihipStream_tbENKUlT_T0_SK_SP_E_clIPfSE_SF_SF_EEDaS13_S14_SK_SP_EUlS13_E_NS1_11comp_targetILNS1_3genE3ELNS1_11target_archE908ELNS1_3gpuE7ELNS1_3repE0EEENS1_47radix_sort_onesweep_sort_config_static_selectorELNS0_4arch9wavefront6targetE0EEEvSK_.uses_vcc, 0
	.set _ZN7rocprim17ROCPRIM_400000_NS6detail17trampoline_kernelINS0_14default_configENS1_35radix_sort_onesweep_config_selectorIfNS0_10empty_typeEEEZZNS1_29radix_sort_onesweep_iterationIS3_Lb0EN6thrust23THRUST_200600_302600_NS6detail15normal_iteratorINS9_10device_ptrIfEEEESE_PS5_SF_jNS0_19identity_decomposerENS1_16block_id_wrapperIjLb1EEEEE10hipError_tT1_PNSt15iterator_traitsISK_E10value_typeET2_T3_PNSL_ISQ_E10value_typeET4_T5_PSV_SW_PNS1_23onesweep_lookback_stateEbbT6_jjT7_P12ihipStream_tbENKUlT_T0_SK_SP_E_clIPfSE_SF_SF_EEDaS13_S14_SK_SP_EUlS13_E_NS1_11comp_targetILNS1_3genE3ELNS1_11target_archE908ELNS1_3gpuE7ELNS1_3repE0EEENS1_47radix_sort_onesweep_sort_config_static_selectorELNS0_4arch9wavefront6targetE0EEEvSK_.uses_flat_scratch, 0
	.set _ZN7rocprim17ROCPRIM_400000_NS6detail17trampoline_kernelINS0_14default_configENS1_35radix_sort_onesweep_config_selectorIfNS0_10empty_typeEEEZZNS1_29radix_sort_onesweep_iterationIS3_Lb0EN6thrust23THRUST_200600_302600_NS6detail15normal_iteratorINS9_10device_ptrIfEEEESE_PS5_SF_jNS0_19identity_decomposerENS1_16block_id_wrapperIjLb1EEEEE10hipError_tT1_PNSt15iterator_traitsISK_E10value_typeET2_T3_PNSL_ISQ_E10value_typeET4_T5_PSV_SW_PNS1_23onesweep_lookback_stateEbbT6_jjT7_P12ihipStream_tbENKUlT_T0_SK_SP_E_clIPfSE_SF_SF_EEDaS13_S14_SK_SP_EUlS13_E_NS1_11comp_targetILNS1_3genE3ELNS1_11target_archE908ELNS1_3gpuE7ELNS1_3repE0EEENS1_47radix_sort_onesweep_sort_config_static_selectorELNS0_4arch9wavefront6targetE0EEEvSK_.has_dyn_sized_stack, 0
	.set _ZN7rocprim17ROCPRIM_400000_NS6detail17trampoline_kernelINS0_14default_configENS1_35radix_sort_onesweep_config_selectorIfNS0_10empty_typeEEEZZNS1_29radix_sort_onesweep_iterationIS3_Lb0EN6thrust23THRUST_200600_302600_NS6detail15normal_iteratorINS9_10device_ptrIfEEEESE_PS5_SF_jNS0_19identity_decomposerENS1_16block_id_wrapperIjLb1EEEEE10hipError_tT1_PNSt15iterator_traitsISK_E10value_typeET2_T3_PNSL_ISQ_E10value_typeET4_T5_PSV_SW_PNS1_23onesweep_lookback_stateEbbT6_jjT7_P12ihipStream_tbENKUlT_T0_SK_SP_E_clIPfSE_SF_SF_EEDaS13_S14_SK_SP_EUlS13_E_NS1_11comp_targetILNS1_3genE3ELNS1_11target_archE908ELNS1_3gpuE7ELNS1_3repE0EEENS1_47radix_sort_onesweep_sort_config_static_selectorELNS0_4arch9wavefront6targetE0EEEvSK_.has_recursion, 0
	.set _ZN7rocprim17ROCPRIM_400000_NS6detail17trampoline_kernelINS0_14default_configENS1_35radix_sort_onesweep_config_selectorIfNS0_10empty_typeEEEZZNS1_29radix_sort_onesweep_iterationIS3_Lb0EN6thrust23THRUST_200600_302600_NS6detail15normal_iteratorINS9_10device_ptrIfEEEESE_PS5_SF_jNS0_19identity_decomposerENS1_16block_id_wrapperIjLb1EEEEE10hipError_tT1_PNSt15iterator_traitsISK_E10value_typeET2_T3_PNSL_ISQ_E10value_typeET4_T5_PSV_SW_PNS1_23onesweep_lookback_stateEbbT6_jjT7_P12ihipStream_tbENKUlT_T0_SK_SP_E_clIPfSE_SF_SF_EEDaS13_S14_SK_SP_EUlS13_E_NS1_11comp_targetILNS1_3genE3ELNS1_11target_archE908ELNS1_3gpuE7ELNS1_3repE0EEENS1_47radix_sort_onesweep_sort_config_static_selectorELNS0_4arch9wavefront6targetE0EEEvSK_.has_indirect_call, 0
	.section	.AMDGPU.csdata,"",@progbits
; Kernel info:
; codeLenInByte = 0
; TotalNumSgprs: 0
; NumVgprs: 0
; ScratchSize: 0
; MemoryBound: 0
; FloatMode: 240
; IeeeMode: 1
; LDSByteSize: 0 bytes/workgroup (compile time only)
; SGPRBlocks: 0
; VGPRBlocks: 0
; NumSGPRsForWavesPerEU: 1
; NumVGPRsForWavesPerEU: 1
; Occupancy: 16
; WaveLimiterHint : 0
; COMPUTE_PGM_RSRC2:SCRATCH_EN: 0
; COMPUTE_PGM_RSRC2:USER_SGPR: 6
; COMPUTE_PGM_RSRC2:TRAP_HANDLER: 0
; COMPUTE_PGM_RSRC2:TGID_X_EN: 1
; COMPUTE_PGM_RSRC2:TGID_Y_EN: 0
; COMPUTE_PGM_RSRC2:TGID_Z_EN: 0
; COMPUTE_PGM_RSRC2:TIDIG_COMP_CNT: 0
	.section	.text._ZN7rocprim17ROCPRIM_400000_NS6detail17trampoline_kernelINS0_14default_configENS1_35radix_sort_onesweep_config_selectorIfNS0_10empty_typeEEEZZNS1_29radix_sort_onesweep_iterationIS3_Lb0EN6thrust23THRUST_200600_302600_NS6detail15normal_iteratorINS9_10device_ptrIfEEEESE_PS5_SF_jNS0_19identity_decomposerENS1_16block_id_wrapperIjLb1EEEEE10hipError_tT1_PNSt15iterator_traitsISK_E10value_typeET2_T3_PNSL_ISQ_E10value_typeET4_T5_PSV_SW_PNS1_23onesweep_lookback_stateEbbT6_jjT7_P12ihipStream_tbENKUlT_T0_SK_SP_E_clIPfSE_SF_SF_EEDaS13_S14_SK_SP_EUlS13_E_NS1_11comp_targetILNS1_3genE10ELNS1_11target_archE1201ELNS1_3gpuE5ELNS1_3repE0EEENS1_47radix_sort_onesweep_sort_config_static_selectorELNS0_4arch9wavefront6targetE0EEEvSK_,"axG",@progbits,_ZN7rocprim17ROCPRIM_400000_NS6detail17trampoline_kernelINS0_14default_configENS1_35radix_sort_onesweep_config_selectorIfNS0_10empty_typeEEEZZNS1_29radix_sort_onesweep_iterationIS3_Lb0EN6thrust23THRUST_200600_302600_NS6detail15normal_iteratorINS9_10device_ptrIfEEEESE_PS5_SF_jNS0_19identity_decomposerENS1_16block_id_wrapperIjLb1EEEEE10hipError_tT1_PNSt15iterator_traitsISK_E10value_typeET2_T3_PNSL_ISQ_E10value_typeET4_T5_PSV_SW_PNS1_23onesweep_lookback_stateEbbT6_jjT7_P12ihipStream_tbENKUlT_T0_SK_SP_E_clIPfSE_SF_SF_EEDaS13_S14_SK_SP_EUlS13_E_NS1_11comp_targetILNS1_3genE10ELNS1_11target_archE1201ELNS1_3gpuE5ELNS1_3repE0EEENS1_47radix_sort_onesweep_sort_config_static_selectorELNS0_4arch9wavefront6targetE0EEEvSK_,comdat
	.protected	_ZN7rocprim17ROCPRIM_400000_NS6detail17trampoline_kernelINS0_14default_configENS1_35radix_sort_onesweep_config_selectorIfNS0_10empty_typeEEEZZNS1_29radix_sort_onesweep_iterationIS3_Lb0EN6thrust23THRUST_200600_302600_NS6detail15normal_iteratorINS9_10device_ptrIfEEEESE_PS5_SF_jNS0_19identity_decomposerENS1_16block_id_wrapperIjLb1EEEEE10hipError_tT1_PNSt15iterator_traitsISK_E10value_typeET2_T3_PNSL_ISQ_E10value_typeET4_T5_PSV_SW_PNS1_23onesweep_lookback_stateEbbT6_jjT7_P12ihipStream_tbENKUlT_T0_SK_SP_E_clIPfSE_SF_SF_EEDaS13_S14_SK_SP_EUlS13_E_NS1_11comp_targetILNS1_3genE10ELNS1_11target_archE1201ELNS1_3gpuE5ELNS1_3repE0EEENS1_47radix_sort_onesweep_sort_config_static_selectorELNS0_4arch9wavefront6targetE0EEEvSK_ ; -- Begin function _ZN7rocprim17ROCPRIM_400000_NS6detail17trampoline_kernelINS0_14default_configENS1_35radix_sort_onesweep_config_selectorIfNS0_10empty_typeEEEZZNS1_29radix_sort_onesweep_iterationIS3_Lb0EN6thrust23THRUST_200600_302600_NS6detail15normal_iteratorINS9_10device_ptrIfEEEESE_PS5_SF_jNS0_19identity_decomposerENS1_16block_id_wrapperIjLb1EEEEE10hipError_tT1_PNSt15iterator_traitsISK_E10value_typeET2_T3_PNSL_ISQ_E10value_typeET4_T5_PSV_SW_PNS1_23onesweep_lookback_stateEbbT6_jjT7_P12ihipStream_tbENKUlT_T0_SK_SP_E_clIPfSE_SF_SF_EEDaS13_S14_SK_SP_EUlS13_E_NS1_11comp_targetILNS1_3genE10ELNS1_11target_archE1201ELNS1_3gpuE5ELNS1_3repE0EEENS1_47radix_sort_onesweep_sort_config_static_selectorELNS0_4arch9wavefront6targetE0EEEvSK_
	.globl	_ZN7rocprim17ROCPRIM_400000_NS6detail17trampoline_kernelINS0_14default_configENS1_35radix_sort_onesweep_config_selectorIfNS0_10empty_typeEEEZZNS1_29radix_sort_onesweep_iterationIS3_Lb0EN6thrust23THRUST_200600_302600_NS6detail15normal_iteratorINS9_10device_ptrIfEEEESE_PS5_SF_jNS0_19identity_decomposerENS1_16block_id_wrapperIjLb1EEEEE10hipError_tT1_PNSt15iterator_traitsISK_E10value_typeET2_T3_PNSL_ISQ_E10value_typeET4_T5_PSV_SW_PNS1_23onesweep_lookback_stateEbbT6_jjT7_P12ihipStream_tbENKUlT_T0_SK_SP_E_clIPfSE_SF_SF_EEDaS13_S14_SK_SP_EUlS13_E_NS1_11comp_targetILNS1_3genE10ELNS1_11target_archE1201ELNS1_3gpuE5ELNS1_3repE0EEENS1_47radix_sort_onesweep_sort_config_static_selectorELNS0_4arch9wavefront6targetE0EEEvSK_
	.p2align	8
	.type	_ZN7rocprim17ROCPRIM_400000_NS6detail17trampoline_kernelINS0_14default_configENS1_35radix_sort_onesweep_config_selectorIfNS0_10empty_typeEEEZZNS1_29radix_sort_onesweep_iterationIS3_Lb0EN6thrust23THRUST_200600_302600_NS6detail15normal_iteratorINS9_10device_ptrIfEEEESE_PS5_SF_jNS0_19identity_decomposerENS1_16block_id_wrapperIjLb1EEEEE10hipError_tT1_PNSt15iterator_traitsISK_E10value_typeET2_T3_PNSL_ISQ_E10value_typeET4_T5_PSV_SW_PNS1_23onesweep_lookback_stateEbbT6_jjT7_P12ihipStream_tbENKUlT_T0_SK_SP_E_clIPfSE_SF_SF_EEDaS13_S14_SK_SP_EUlS13_E_NS1_11comp_targetILNS1_3genE10ELNS1_11target_archE1201ELNS1_3gpuE5ELNS1_3repE0EEENS1_47radix_sort_onesweep_sort_config_static_selectorELNS0_4arch9wavefront6targetE0EEEvSK_,@function
_ZN7rocprim17ROCPRIM_400000_NS6detail17trampoline_kernelINS0_14default_configENS1_35radix_sort_onesweep_config_selectorIfNS0_10empty_typeEEEZZNS1_29radix_sort_onesweep_iterationIS3_Lb0EN6thrust23THRUST_200600_302600_NS6detail15normal_iteratorINS9_10device_ptrIfEEEESE_PS5_SF_jNS0_19identity_decomposerENS1_16block_id_wrapperIjLb1EEEEE10hipError_tT1_PNSt15iterator_traitsISK_E10value_typeET2_T3_PNSL_ISQ_E10value_typeET4_T5_PSV_SW_PNS1_23onesweep_lookback_stateEbbT6_jjT7_P12ihipStream_tbENKUlT_T0_SK_SP_E_clIPfSE_SF_SF_EEDaS13_S14_SK_SP_EUlS13_E_NS1_11comp_targetILNS1_3genE10ELNS1_11target_archE1201ELNS1_3gpuE5ELNS1_3repE0EEENS1_47radix_sort_onesweep_sort_config_static_selectorELNS0_4arch9wavefront6targetE0EEEvSK_: ; @_ZN7rocprim17ROCPRIM_400000_NS6detail17trampoline_kernelINS0_14default_configENS1_35radix_sort_onesweep_config_selectorIfNS0_10empty_typeEEEZZNS1_29radix_sort_onesweep_iterationIS3_Lb0EN6thrust23THRUST_200600_302600_NS6detail15normal_iteratorINS9_10device_ptrIfEEEESE_PS5_SF_jNS0_19identity_decomposerENS1_16block_id_wrapperIjLb1EEEEE10hipError_tT1_PNSt15iterator_traitsISK_E10value_typeET2_T3_PNSL_ISQ_E10value_typeET4_T5_PSV_SW_PNS1_23onesweep_lookback_stateEbbT6_jjT7_P12ihipStream_tbENKUlT_T0_SK_SP_E_clIPfSE_SF_SF_EEDaS13_S14_SK_SP_EUlS13_E_NS1_11comp_targetILNS1_3genE10ELNS1_11target_archE1201ELNS1_3gpuE5ELNS1_3repE0EEENS1_47radix_sort_onesweep_sort_config_static_selectorELNS0_4arch9wavefront6targetE0EEEvSK_
; %bb.0:
	.section	.rodata,"a",@progbits
	.p2align	6, 0x0
	.amdhsa_kernel _ZN7rocprim17ROCPRIM_400000_NS6detail17trampoline_kernelINS0_14default_configENS1_35radix_sort_onesweep_config_selectorIfNS0_10empty_typeEEEZZNS1_29radix_sort_onesweep_iterationIS3_Lb0EN6thrust23THRUST_200600_302600_NS6detail15normal_iteratorINS9_10device_ptrIfEEEESE_PS5_SF_jNS0_19identity_decomposerENS1_16block_id_wrapperIjLb1EEEEE10hipError_tT1_PNSt15iterator_traitsISK_E10value_typeET2_T3_PNSL_ISQ_E10value_typeET4_T5_PSV_SW_PNS1_23onesweep_lookback_stateEbbT6_jjT7_P12ihipStream_tbENKUlT_T0_SK_SP_E_clIPfSE_SF_SF_EEDaS13_S14_SK_SP_EUlS13_E_NS1_11comp_targetILNS1_3genE10ELNS1_11target_archE1201ELNS1_3gpuE5ELNS1_3repE0EEENS1_47radix_sort_onesweep_sort_config_static_selectorELNS0_4arch9wavefront6targetE0EEEvSK_
		.amdhsa_group_segment_fixed_size 0
		.amdhsa_private_segment_fixed_size 0
		.amdhsa_kernarg_size 88
		.amdhsa_user_sgpr_count 6
		.amdhsa_user_sgpr_private_segment_buffer 1
		.amdhsa_user_sgpr_dispatch_ptr 0
		.amdhsa_user_sgpr_queue_ptr 0
		.amdhsa_user_sgpr_kernarg_segment_ptr 1
		.amdhsa_user_sgpr_dispatch_id 0
		.amdhsa_user_sgpr_flat_scratch_init 0
		.amdhsa_user_sgpr_private_segment_size 0
		.amdhsa_wavefront_size32 1
		.amdhsa_uses_dynamic_stack 0
		.amdhsa_system_sgpr_private_segment_wavefront_offset 0
		.amdhsa_system_sgpr_workgroup_id_x 1
		.amdhsa_system_sgpr_workgroup_id_y 0
		.amdhsa_system_sgpr_workgroup_id_z 0
		.amdhsa_system_sgpr_workgroup_info 0
		.amdhsa_system_vgpr_workitem_id 0
		.amdhsa_next_free_vgpr 1
		.amdhsa_next_free_sgpr 1
		.amdhsa_reserve_vcc 0
		.amdhsa_reserve_flat_scratch 0
		.amdhsa_float_round_mode_32 0
		.amdhsa_float_round_mode_16_64 0
		.amdhsa_float_denorm_mode_32 3
		.amdhsa_float_denorm_mode_16_64 3
		.amdhsa_dx10_clamp 1
		.amdhsa_ieee_mode 1
		.amdhsa_fp16_overflow 0
		.amdhsa_workgroup_processor_mode 1
		.amdhsa_memory_ordered 1
		.amdhsa_forward_progress 1
		.amdhsa_shared_vgpr_count 0
		.amdhsa_exception_fp_ieee_invalid_op 0
		.amdhsa_exception_fp_denorm_src 0
		.amdhsa_exception_fp_ieee_div_zero 0
		.amdhsa_exception_fp_ieee_overflow 0
		.amdhsa_exception_fp_ieee_underflow 0
		.amdhsa_exception_fp_ieee_inexact 0
		.amdhsa_exception_int_div_zero 0
	.end_amdhsa_kernel
	.section	.text._ZN7rocprim17ROCPRIM_400000_NS6detail17trampoline_kernelINS0_14default_configENS1_35radix_sort_onesweep_config_selectorIfNS0_10empty_typeEEEZZNS1_29radix_sort_onesweep_iterationIS3_Lb0EN6thrust23THRUST_200600_302600_NS6detail15normal_iteratorINS9_10device_ptrIfEEEESE_PS5_SF_jNS0_19identity_decomposerENS1_16block_id_wrapperIjLb1EEEEE10hipError_tT1_PNSt15iterator_traitsISK_E10value_typeET2_T3_PNSL_ISQ_E10value_typeET4_T5_PSV_SW_PNS1_23onesweep_lookback_stateEbbT6_jjT7_P12ihipStream_tbENKUlT_T0_SK_SP_E_clIPfSE_SF_SF_EEDaS13_S14_SK_SP_EUlS13_E_NS1_11comp_targetILNS1_3genE10ELNS1_11target_archE1201ELNS1_3gpuE5ELNS1_3repE0EEENS1_47radix_sort_onesweep_sort_config_static_selectorELNS0_4arch9wavefront6targetE0EEEvSK_,"axG",@progbits,_ZN7rocprim17ROCPRIM_400000_NS6detail17trampoline_kernelINS0_14default_configENS1_35radix_sort_onesweep_config_selectorIfNS0_10empty_typeEEEZZNS1_29radix_sort_onesweep_iterationIS3_Lb0EN6thrust23THRUST_200600_302600_NS6detail15normal_iteratorINS9_10device_ptrIfEEEESE_PS5_SF_jNS0_19identity_decomposerENS1_16block_id_wrapperIjLb1EEEEE10hipError_tT1_PNSt15iterator_traitsISK_E10value_typeET2_T3_PNSL_ISQ_E10value_typeET4_T5_PSV_SW_PNS1_23onesweep_lookback_stateEbbT6_jjT7_P12ihipStream_tbENKUlT_T0_SK_SP_E_clIPfSE_SF_SF_EEDaS13_S14_SK_SP_EUlS13_E_NS1_11comp_targetILNS1_3genE10ELNS1_11target_archE1201ELNS1_3gpuE5ELNS1_3repE0EEENS1_47radix_sort_onesweep_sort_config_static_selectorELNS0_4arch9wavefront6targetE0EEEvSK_,comdat
.Lfunc_end583:
	.size	_ZN7rocprim17ROCPRIM_400000_NS6detail17trampoline_kernelINS0_14default_configENS1_35radix_sort_onesweep_config_selectorIfNS0_10empty_typeEEEZZNS1_29radix_sort_onesweep_iterationIS3_Lb0EN6thrust23THRUST_200600_302600_NS6detail15normal_iteratorINS9_10device_ptrIfEEEESE_PS5_SF_jNS0_19identity_decomposerENS1_16block_id_wrapperIjLb1EEEEE10hipError_tT1_PNSt15iterator_traitsISK_E10value_typeET2_T3_PNSL_ISQ_E10value_typeET4_T5_PSV_SW_PNS1_23onesweep_lookback_stateEbbT6_jjT7_P12ihipStream_tbENKUlT_T0_SK_SP_E_clIPfSE_SF_SF_EEDaS13_S14_SK_SP_EUlS13_E_NS1_11comp_targetILNS1_3genE10ELNS1_11target_archE1201ELNS1_3gpuE5ELNS1_3repE0EEENS1_47radix_sort_onesweep_sort_config_static_selectorELNS0_4arch9wavefront6targetE0EEEvSK_, .Lfunc_end583-_ZN7rocprim17ROCPRIM_400000_NS6detail17trampoline_kernelINS0_14default_configENS1_35radix_sort_onesweep_config_selectorIfNS0_10empty_typeEEEZZNS1_29radix_sort_onesweep_iterationIS3_Lb0EN6thrust23THRUST_200600_302600_NS6detail15normal_iteratorINS9_10device_ptrIfEEEESE_PS5_SF_jNS0_19identity_decomposerENS1_16block_id_wrapperIjLb1EEEEE10hipError_tT1_PNSt15iterator_traitsISK_E10value_typeET2_T3_PNSL_ISQ_E10value_typeET4_T5_PSV_SW_PNS1_23onesweep_lookback_stateEbbT6_jjT7_P12ihipStream_tbENKUlT_T0_SK_SP_E_clIPfSE_SF_SF_EEDaS13_S14_SK_SP_EUlS13_E_NS1_11comp_targetILNS1_3genE10ELNS1_11target_archE1201ELNS1_3gpuE5ELNS1_3repE0EEENS1_47radix_sort_onesweep_sort_config_static_selectorELNS0_4arch9wavefront6targetE0EEEvSK_
                                        ; -- End function
	.set _ZN7rocprim17ROCPRIM_400000_NS6detail17trampoline_kernelINS0_14default_configENS1_35radix_sort_onesweep_config_selectorIfNS0_10empty_typeEEEZZNS1_29radix_sort_onesweep_iterationIS3_Lb0EN6thrust23THRUST_200600_302600_NS6detail15normal_iteratorINS9_10device_ptrIfEEEESE_PS5_SF_jNS0_19identity_decomposerENS1_16block_id_wrapperIjLb1EEEEE10hipError_tT1_PNSt15iterator_traitsISK_E10value_typeET2_T3_PNSL_ISQ_E10value_typeET4_T5_PSV_SW_PNS1_23onesweep_lookback_stateEbbT6_jjT7_P12ihipStream_tbENKUlT_T0_SK_SP_E_clIPfSE_SF_SF_EEDaS13_S14_SK_SP_EUlS13_E_NS1_11comp_targetILNS1_3genE10ELNS1_11target_archE1201ELNS1_3gpuE5ELNS1_3repE0EEENS1_47radix_sort_onesweep_sort_config_static_selectorELNS0_4arch9wavefront6targetE0EEEvSK_.num_vgpr, 0
	.set _ZN7rocprim17ROCPRIM_400000_NS6detail17trampoline_kernelINS0_14default_configENS1_35radix_sort_onesweep_config_selectorIfNS0_10empty_typeEEEZZNS1_29radix_sort_onesweep_iterationIS3_Lb0EN6thrust23THRUST_200600_302600_NS6detail15normal_iteratorINS9_10device_ptrIfEEEESE_PS5_SF_jNS0_19identity_decomposerENS1_16block_id_wrapperIjLb1EEEEE10hipError_tT1_PNSt15iterator_traitsISK_E10value_typeET2_T3_PNSL_ISQ_E10value_typeET4_T5_PSV_SW_PNS1_23onesweep_lookback_stateEbbT6_jjT7_P12ihipStream_tbENKUlT_T0_SK_SP_E_clIPfSE_SF_SF_EEDaS13_S14_SK_SP_EUlS13_E_NS1_11comp_targetILNS1_3genE10ELNS1_11target_archE1201ELNS1_3gpuE5ELNS1_3repE0EEENS1_47radix_sort_onesweep_sort_config_static_selectorELNS0_4arch9wavefront6targetE0EEEvSK_.num_agpr, 0
	.set _ZN7rocprim17ROCPRIM_400000_NS6detail17trampoline_kernelINS0_14default_configENS1_35radix_sort_onesweep_config_selectorIfNS0_10empty_typeEEEZZNS1_29radix_sort_onesweep_iterationIS3_Lb0EN6thrust23THRUST_200600_302600_NS6detail15normal_iteratorINS9_10device_ptrIfEEEESE_PS5_SF_jNS0_19identity_decomposerENS1_16block_id_wrapperIjLb1EEEEE10hipError_tT1_PNSt15iterator_traitsISK_E10value_typeET2_T3_PNSL_ISQ_E10value_typeET4_T5_PSV_SW_PNS1_23onesweep_lookback_stateEbbT6_jjT7_P12ihipStream_tbENKUlT_T0_SK_SP_E_clIPfSE_SF_SF_EEDaS13_S14_SK_SP_EUlS13_E_NS1_11comp_targetILNS1_3genE10ELNS1_11target_archE1201ELNS1_3gpuE5ELNS1_3repE0EEENS1_47radix_sort_onesweep_sort_config_static_selectorELNS0_4arch9wavefront6targetE0EEEvSK_.numbered_sgpr, 0
	.set _ZN7rocprim17ROCPRIM_400000_NS6detail17trampoline_kernelINS0_14default_configENS1_35radix_sort_onesweep_config_selectorIfNS0_10empty_typeEEEZZNS1_29radix_sort_onesweep_iterationIS3_Lb0EN6thrust23THRUST_200600_302600_NS6detail15normal_iteratorINS9_10device_ptrIfEEEESE_PS5_SF_jNS0_19identity_decomposerENS1_16block_id_wrapperIjLb1EEEEE10hipError_tT1_PNSt15iterator_traitsISK_E10value_typeET2_T3_PNSL_ISQ_E10value_typeET4_T5_PSV_SW_PNS1_23onesweep_lookback_stateEbbT6_jjT7_P12ihipStream_tbENKUlT_T0_SK_SP_E_clIPfSE_SF_SF_EEDaS13_S14_SK_SP_EUlS13_E_NS1_11comp_targetILNS1_3genE10ELNS1_11target_archE1201ELNS1_3gpuE5ELNS1_3repE0EEENS1_47radix_sort_onesweep_sort_config_static_selectorELNS0_4arch9wavefront6targetE0EEEvSK_.num_named_barrier, 0
	.set _ZN7rocprim17ROCPRIM_400000_NS6detail17trampoline_kernelINS0_14default_configENS1_35radix_sort_onesweep_config_selectorIfNS0_10empty_typeEEEZZNS1_29radix_sort_onesweep_iterationIS3_Lb0EN6thrust23THRUST_200600_302600_NS6detail15normal_iteratorINS9_10device_ptrIfEEEESE_PS5_SF_jNS0_19identity_decomposerENS1_16block_id_wrapperIjLb1EEEEE10hipError_tT1_PNSt15iterator_traitsISK_E10value_typeET2_T3_PNSL_ISQ_E10value_typeET4_T5_PSV_SW_PNS1_23onesweep_lookback_stateEbbT6_jjT7_P12ihipStream_tbENKUlT_T0_SK_SP_E_clIPfSE_SF_SF_EEDaS13_S14_SK_SP_EUlS13_E_NS1_11comp_targetILNS1_3genE10ELNS1_11target_archE1201ELNS1_3gpuE5ELNS1_3repE0EEENS1_47radix_sort_onesweep_sort_config_static_selectorELNS0_4arch9wavefront6targetE0EEEvSK_.private_seg_size, 0
	.set _ZN7rocprim17ROCPRIM_400000_NS6detail17trampoline_kernelINS0_14default_configENS1_35radix_sort_onesweep_config_selectorIfNS0_10empty_typeEEEZZNS1_29radix_sort_onesweep_iterationIS3_Lb0EN6thrust23THRUST_200600_302600_NS6detail15normal_iteratorINS9_10device_ptrIfEEEESE_PS5_SF_jNS0_19identity_decomposerENS1_16block_id_wrapperIjLb1EEEEE10hipError_tT1_PNSt15iterator_traitsISK_E10value_typeET2_T3_PNSL_ISQ_E10value_typeET4_T5_PSV_SW_PNS1_23onesweep_lookback_stateEbbT6_jjT7_P12ihipStream_tbENKUlT_T0_SK_SP_E_clIPfSE_SF_SF_EEDaS13_S14_SK_SP_EUlS13_E_NS1_11comp_targetILNS1_3genE10ELNS1_11target_archE1201ELNS1_3gpuE5ELNS1_3repE0EEENS1_47radix_sort_onesweep_sort_config_static_selectorELNS0_4arch9wavefront6targetE0EEEvSK_.uses_vcc, 0
	.set _ZN7rocprim17ROCPRIM_400000_NS6detail17trampoline_kernelINS0_14default_configENS1_35radix_sort_onesweep_config_selectorIfNS0_10empty_typeEEEZZNS1_29radix_sort_onesweep_iterationIS3_Lb0EN6thrust23THRUST_200600_302600_NS6detail15normal_iteratorINS9_10device_ptrIfEEEESE_PS5_SF_jNS0_19identity_decomposerENS1_16block_id_wrapperIjLb1EEEEE10hipError_tT1_PNSt15iterator_traitsISK_E10value_typeET2_T3_PNSL_ISQ_E10value_typeET4_T5_PSV_SW_PNS1_23onesweep_lookback_stateEbbT6_jjT7_P12ihipStream_tbENKUlT_T0_SK_SP_E_clIPfSE_SF_SF_EEDaS13_S14_SK_SP_EUlS13_E_NS1_11comp_targetILNS1_3genE10ELNS1_11target_archE1201ELNS1_3gpuE5ELNS1_3repE0EEENS1_47radix_sort_onesweep_sort_config_static_selectorELNS0_4arch9wavefront6targetE0EEEvSK_.uses_flat_scratch, 0
	.set _ZN7rocprim17ROCPRIM_400000_NS6detail17trampoline_kernelINS0_14default_configENS1_35radix_sort_onesweep_config_selectorIfNS0_10empty_typeEEEZZNS1_29radix_sort_onesweep_iterationIS3_Lb0EN6thrust23THRUST_200600_302600_NS6detail15normal_iteratorINS9_10device_ptrIfEEEESE_PS5_SF_jNS0_19identity_decomposerENS1_16block_id_wrapperIjLb1EEEEE10hipError_tT1_PNSt15iterator_traitsISK_E10value_typeET2_T3_PNSL_ISQ_E10value_typeET4_T5_PSV_SW_PNS1_23onesweep_lookback_stateEbbT6_jjT7_P12ihipStream_tbENKUlT_T0_SK_SP_E_clIPfSE_SF_SF_EEDaS13_S14_SK_SP_EUlS13_E_NS1_11comp_targetILNS1_3genE10ELNS1_11target_archE1201ELNS1_3gpuE5ELNS1_3repE0EEENS1_47radix_sort_onesweep_sort_config_static_selectorELNS0_4arch9wavefront6targetE0EEEvSK_.has_dyn_sized_stack, 0
	.set _ZN7rocprim17ROCPRIM_400000_NS6detail17trampoline_kernelINS0_14default_configENS1_35radix_sort_onesweep_config_selectorIfNS0_10empty_typeEEEZZNS1_29radix_sort_onesweep_iterationIS3_Lb0EN6thrust23THRUST_200600_302600_NS6detail15normal_iteratorINS9_10device_ptrIfEEEESE_PS5_SF_jNS0_19identity_decomposerENS1_16block_id_wrapperIjLb1EEEEE10hipError_tT1_PNSt15iterator_traitsISK_E10value_typeET2_T3_PNSL_ISQ_E10value_typeET4_T5_PSV_SW_PNS1_23onesweep_lookback_stateEbbT6_jjT7_P12ihipStream_tbENKUlT_T0_SK_SP_E_clIPfSE_SF_SF_EEDaS13_S14_SK_SP_EUlS13_E_NS1_11comp_targetILNS1_3genE10ELNS1_11target_archE1201ELNS1_3gpuE5ELNS1_3repE0EEENS1_47radix_sort_onesweep_sort_config_static_selectorELNS0_4arch9wavefront6targetE0EEEvSK_.has_recursion, 0
	.set _ZN7rocprim17ROCPRIM_400000_NS6detail17trampoline_kernelINS0_14default_configENS1_35radix_sort_onesweep_config_selectorIfNS0_10empty_typeEEEZZNS1_29radix_sort_onesweep_iterationIS3_Lb0EN6thrust23THRUST_200600_302600_NS6detail15normal_iteratorINS9_10device_ptrIfEEEESE_PS5_SF_jNS0_19identity_decomposerENS1_16block_id_wrapperIjLb1EEEEE10hipError_tT1_PNSt15iterator_traitsISK_E10value_typeET2_T3_PNSL_ISQ_E10value_typeET4_T5_PSV_SW_PNS1_23onesweep_lookback_stateEbbT6_jjT7_P12ihipStream_tbENKUlT_T0_SK_SP_E_clIPfSE_SF_SF_EEDaS13_S14_SK_SP_EUlS13_E_NS1_11comp_targetILNS1_3genE10ELNS1_11target_archE1201ELNS1_3gpuE5ELNS1_3repE0EEENS1_47radix_sort_onesweep_sort_config_static_selectorELNS0_4arch9wavefront6targetE0EEEvSK_.has_indirect_call, 0
	.section	.AMDGPU.csdata,"",@progbits
; Kernel info:
; codeLenInByte = 0
; TotalNumSgprs: 0
; NumVgprs: 0
; ScratchSize: 0
; MemoryBound: 0
; FloatMode: 240
; IeeeMode: 1
; LDSByteSize: 0 bytes/workgroup (compile time only)
; SGPRBlocks: 0
; VGPRBlocks: 0
; NumSGPRsForWavesPerEU: 1
; NumVGPRsForWavesPerEU: 1
; Occupancy: 16
; WaveLimiterHint : 0
; COMPUTE_PGM_RSRC2:SCRATCH_EN: 0
; COMPUTE_PGM_RSRC2:USER_SGPR: 6
; COMPUTE_PGM_RSRC2:TRAP_HANDLER: 0
; COMPUTE_PGM_RSRC2:TGID_X_EN: 1
; COMPUTE_PGM_RSRC2:TGID_Y_EN: 0
; COMPUTE_PGM_RSRC2:TGID_Z_EN: 0
; COMPUTE_PGM_RSRC2:TIDIG_COMP_CNT: 0
	.section	.text._ZN7rocprim17ROCPRIM_400000_NS6detail17trampoline_kernelINS0_14default_configENS1_35radix_sort_onesweep_config_selectorIfNS0_10empty_typeEEEZZNS1_29radix_sort_onesweep_iterationIS3_Lb0EN6thrust23THRUST_200600_302600_NS6detail15normal_iteratorINS9_10device_ptrIfEEEESE_PS5_SF_jNS0_19identity_decomposerENS1_16block_id_wrapperIjLb1EEEEE10hipError_tT1_PNSt15iterator_traitsISK_E10value_typeET2_T3_PNSL_ISQ_E10value_typeET4_T5_PSV_SW_PNS1_23onesweep_lookback_stateEbbT6_jjT7_P12ihipStream_tbENKUlT_T0_SK_SP_E_clIPfSE_SF_SF_EEDaS13_S14_SK_SP_EUlS13_E_NS1_11comp_targetILNS1_3genE9ELNS1_11target_archE1100ELNS1_3gpuE3ELNS1_3repE0EEENS1_47radix_sort_onesweep_sort_config_static_selectorELNS0_4arch9wavefront6targetE0EEEvSK_,"axG",@progbits,_ZN7rocprim17ROCPRIM_400000_NS6detail17trampoline_kernelINS0_14default_configENS1_35radix_sort_onesweep_config_selectorIfNS0_10empty_typeEEEZZNS1_29radix_sort_onesweep_iterationIS3_Lb0EN6thrust23THRUST_200600_302600_NS6detail15normal_iteratorINS9_10device_ptrIfEEEESE_PS5_SF_jNS0_19identity_decomposerENS1_16block_id_wrapperIjLb1EEEEE10hipError_tT1_PNSt15iterator_traitsISK_E10value_typeET2_T3_PNSL_ISQ_E10value_typeET4_T5_PSV_SW_PNS1_23onesweep_lookback_stateEbbT6_jjT7_P12ihipStream_tbENKUlT_T0_SK_SP_E_clIPfSE_SF_SF_EEDaS13_S14_SK_SP_EUlS13_E_NS1_11comp_targetILNS1_3genE9ELNS1_11target_archE1100ELNS1_3gpuE3ELNS1_3repE0EEENS1_47radix_sort_onesweep_sort_config_static_selectorELNS0_4arch9wavefront6targetE0EEEvSK_,comdat
	.protected	_ZN7rocprim17ROCPRIM_400000_NS6detail17trampoline_kernelINS0_14default_configENS1_35radix_sort_onesweep_config_selectorIfNS0_10empty_typeEEEZZNS1_29radix_sort_onesweep_iterationIS3_Lb0EN6thrust23THRUST_200600_302600_NS6detail15normal_iteratorINS9_10device_ptrIfEEEESE_PS5_SF_jNS0_19identity_decomposerENS1_16block_id_wrapperIjLb1EEEEE10hipError_tT1_PNSt15iterator_traitsISK_E10value_typeET2_T3_PNSL_ISQ_E10value_typeET4_T5_PSV_SW_PNS1_23onesweep_lookback_stateEbbT6_jjT7_P12ihipStream_tbENKUlT_T0_SK_SP_E_clIPfSE_SF_SF_EEDaS13_S14_SK_SP_EUlS13_E_NS1_11comp_targetILNS1_3genE9ELNS1_11target_archE1100ELNS1_3gpuE3ELNS1_3repE0EEENS1_47radix_sort_onesweep_sort_config_static_selectorELNS0_4arch9wavefront6targetE0EEEvSK_ ; -- Begin function _ZN7rocprim17ROCPRIM_400000_NS6detail17trampoline_kernelINS0_14default_configENS1_35radix_sort_onesweep_config_selectorIfNS0_10empty_typeEEEZZNS1_29radix_sort_onesweep_iterationIS3_Lb0EN6thrust23THRUST_200600_302600_NS6detail15normal_iteratorINS9_10device_ptrIfEEEESE_PS5_SF_jNS0_19identity_decomposerENS1_16block_id_wrapperIjLb1EEEEE10hipError_tT1_PNSt15iterator_traitsISK_E10value_typeET2_T3_PNSL_ISQ_E10value_typeET4_T5_PSV_SW_PNS1_23onesweep_lookback_stateEbbT6_jjT7_P12ihipStream_tbENKUlT_T0_SK_SP_E_clIPfSE_SF_SF_EEDaS13_S14_SK_SP_EUlS13_E_NS1_11comp_targetILNS1_3genE9ELNS1_11target_archE1100ELNS1_3gpuE3ELNS1_3repE0EEENS1_47radix_sort_onesweep_sort_config_static_selectorELNS0_4arch9wavefront6targetE0EEEvSK_
	.globl	_ZN7rocprim17ROCPRIM_400000_NS6detail17trampoline_kernelINS0_14default_configENS1_35radix_sort_onesweep_config_selectorIfNS0_10empty_typeEEEZZNS1_29radix_sort_onesweep_iterationIS3_Lb0EN6thrust23THRUST_200600_302600_NS6detail15normal_iteratorINS9_10device_ptrIfEEEESE_PS5_SF_jNS0_19identity_decomposerENS1_16block_id_wrapperIjLb1EEEEE10hipError_tT1_PNSt15iterator_traitsISK_E10value_typeET2_T3_PNSL_ISQ_E10value_typeET4_T5_PSV_SW_PNS1_23onesweep_lookback_stateEbbT6_jjT7_P12ihipStream_tbENKUlT_T0_SK_SP_E_clIPfSE_SF_SF_EEDaS13_S14_SK_SP_EUlS13_E_NS1_11comp_targetILNS1_3genE9ELNS1_11target_archE1100ELNS1_3gpuE3ELNS1_3repE0EEENS1_47radix_sort_onesweep_sort_config_static_selectorELNS0_4arch9wavefront6targetE0EEEvSK_
	.p2align	8
	.type	_ZN7rocprim17ROCPRIM_400000_NS6detail17trampoline_kernelINS0_14default_configENS1_35radix_sort_onesweep_config_selectorIfNS0_10empty_typeEEEZZNS1_29radix_sort_onesweep_iterationIS3_Lb0EN6thrust23THRUST_200600_302600_NS6detail15normal_iteratorINS9_10device_ptrIfEEEESE_PS5_SF_jNS0_19identity_decomposerENS1_16block_id_wrapperIjLb1EEEEE10hipError_tT1_PNSt15iterator_traitsISK_E10value_typeET2_T3_PNSL_ISQ_E10value_typeET4_T5_PSV_SW_PNS1_23onesweep_lookback_stateEbbT6_jjT7_P12ihipStream_tbENKUlT_T0_SK_SP_E_clIPfSE_SF_SF_EEDaS13_S14_SK_SP_EUlS13_E_NS1_11comp_targetILNS1_3genE9ELNS1_11target_archE1100ELNS1_3gpuE3ELNS1_3repE0EEENS1_47radix_sort_onesweep_sort_config_static_selectorELNS0_4arch9wavefront6targetE0EEEvSK_,@function
_ZN7rocprim17ROCPRIM_400000_NS6detail17trampoline_kernelINS0_14default_configENS1_35radix_sort_onesweep_config_selectorIfNS0_10empty_typeEEEZZNS1_29radix_sort_onesweep_iterationIS3_Lb0EN6thrust23THRUST_200600_302600_NS6detail15normal_iteratorINS9_10device_ptrIfEEEESE_PS5_SF_jNS0_19identity_decomposerENS1_16block_id_wrapperIjLb1EEEEE10hipError_tT1_PNSt15iterator_traitsISK_E10value_typeET2_T3_PNSL_ISQ_E10value_typeET4_T5_PSV_SW_PNS1_23onesweep_lookback_stateEbbT6_jjT7_P12ihipStream_tbENKUlT_T0_SK_SP_E_clIPfSE_SF_SF_EEDaS13_S14_SK_SP_EUlS13_E_NS1_11comp_targetILNS1_3genE9ELNS1_11target_archE1100ELNS1_3gpuE3ELNS1_3repE0EEENS1_47radix_sort_onesweep_sort_config_static_selectorELNS0_4arch9wavefront6targetE0EEEvSK_: ; @_ZN7rocprim17ROCPRIM_400000_NS6detail17trampoline_kernelINS0_14default_configENS1_35radix_sort_onesweep_config_selectorIfNS0_10empty_typeEEEZZNS1_29radix_sort_onesweep_iterationIS3_Lb0EN6thrust23THRUST_200600_302600_NS6detail15normal_iteratorINS9_10device_ptrIfEEEESE_PS5_SF_jNS0_19identity_decomposerENS1_16block_id_wrapperIjLb1EEEEE10hipError_tT1_PNSt15iterator_traitsISK_E10value_typeET2_T3_PNSL_ISQ_E10value_typeET4_T5_PSV_SW_PNS1_23onesweep_lookback_stateEbbT6_jjT7_P12ihipStream_tbENKUlT_T0_SK_SP_E_clIPfSE_SF_SF_EEDaS13_S14_SK_SP_EUlS13_E_NS1_11comp_targetILNS1_3genE9ELNS1_11target_archE1100ELNS1_3gpuE3ELNS1_3repE0EEENS1_47radix_sort_onesweep_sort_config_static_selectorELNS0_4arch9wavefront6targetE0EEEvSK_
; %bb.0:
	.section	.rodata,"a",@progbits
	.p2align	6, 0x0
	.amdhsa_kernel _ZN7rocprim17ROCPRIM_400000_NS6detail17trampoline_kernelINS0_14default_configENS1_35radix_sort_onesweep_config_selectorIfNS0_10empty_typeEEEZZNS1_29radix_sort_onesweep_iterationIS3_Lb0EN6thrust23THRUST_200600_302600_NS6detail15normal_iteratorINS9_10device_ptrIfEEEESE_PS5_SF_jNS0_19identity_decomposerENS1_16block_id_wrapperIjLb1EEEEE10hipError_tT1_PNSt15iterator_traitsISK_E10value_typeET2_T3_PNSL_ISQ_E10value_typeET4_T5_PSV_SW_PNS1_23onesweep_lookback_stateEbbT6_jjT7_P12ihipStream_tbENKUlT_T0_SK_SP_E_clIPfSE_SF_SF_EEDaS13_S14_SK_SP_EUlS13_E_NS1_11comp_targetILNS1_3genE9ELNS1_11target_archE1100ELNS1_3gpuE3ELNS1_3repE0EEENS1_47radix_sort_onesweep_sort_config_static_selectorELNS0_4arch9wavefront6targetE0EEEvSK_
		.amdhsa_group_segment_fixed_size 0
		.amdhsa_private_segment_fixed_size 0
		.amdhsa_kernarg_size 88
		.amdhsa_user_sgpr_count 6
		.amdhsa_user_sgpr_private_segment_buffer 1
		.amdhsa_user_sgpr_dispatch_ptr 0
		.amdhsa_user_sgpr_queue_ptr 0
		.amdhsa_user_sgpr_kernarg_segment_ptr 1
		.amdhsa_user_sgpr_dispatch_id 0
		.amdhsa_user_sgpr_flat_scratch_init 0
		.amdhsa_user_sgpr_private_segment_size 0
		.amdhsa_wavefront_size32 1
		.amdhsa_uses_dynamic_stack 0
		.amdhsa_system_sgpr_private_segment_wavefront_offset 0
		.amdhsa_system_sgpr_workgroup_id_x 1
		.amdhsa_system_sgpr_workgroup_id_y 0
		.amdhsa_system_sgpr_workgroup_id_z 0
		.amdhsa_system_sgpr_workgroup_info 0
		.amdhsa_system_vgpr_workitem_id 0
		.amdhsa_next_free_vgpr 1
		.amdhsa_next_free_sgpr 1
		.amdhsa_reserve_vcc 0
		.amdhsa_reserve_flat_scratch 0
		.amdhsa_float_round_mode_32 0
		.amdhsa_float_round_mode_16_64 0
		.amdhsa_float_denorm_mode_32 3
		.amdhsa_float_denorm_mode_16_64 3
		.amdhsa_dx10_clamp 1
		.amdhsa_ieee_mode 1
		.amdhsa_fp16_overflow 0
		.amdhsa_workgroup_processor_mode 1
		.amdhsa_memory_ordered 1
		.amdhsa_forward_progress 1
		.amdhsa_shared_vgpr_count 0
		.amdhsa_exception_fp_ieee_invalid_op 0
		.amdhsa_exception_fp_denorm_src 0
		.amdhsa_exception_fp_ieee_div_zero 0
		.amdhsa_exception_fp_ieee_overflow 0
		.amdhsa_exception_fp_ieee_underflow 0
		.amdhsa_exception_fp_ieee_inexact 0
		.amdhsa_exception_int_div_zero 0
	.end_amdhsa_kernel
	.section	.text._ZN7rocprim17ROCPRIM_400000_NS6detail17trampoline_kernelINS0_14default_configENS1_35radix_sort_onesweep_config_selectorIfNS0_10empty_typeEEEZZNS1_29radix_sort_onesweep_iterationIS3_Lb0EN6thrust23THRUST_200600_302600_NS6detail15normal_iteratorINS9_10device_ptrIfEEEESE_PS5_SF_jNS0_19identity_decomposerENS1_16block_id_wrapperIjLb1EEEEE10hipError_tT1_PNSt15iterator_traitsISK_E10value_typeET2_T3_PNSL_ISQ_E10value_typeET4_T5_PSV_SW_PNS1_23onesweep_lookback_stateEbbT6_jjT7_P12ihipStream_tbENKUlT_T0_SK_SP_E_clIPfSE_SF_SF_EEDaS13_S14_SK_SP_EUlS13_E_NS1_11comp_targetILNS1_3genE9ELNS1_11target_archE1100ELNS1_3gpuE3ELNS1_3repE0EEENS1_47radix_sort_onesweep_sort_config_static_selectorELNS0_4arch9wavefront6targetE0EEEvSK_,"axG",@progbits,_ZN7rocprim17ROCPRIM_400000_NS6detail17trampoline_kernelINS0_14default_configENS1_35radix_sort_onesweep_config_selectorIfNS0_10empty_typeEEEZZNS1_29radix_sort_onesweep_iterationIS3_Lb0EN6thrust23THRUST_200600_302600_NS6detail15normal_iteratorINS9_10device_ptrIfEEEESE_PS5_SF_jNS0_19identity_decomposerENS1_16block_id_wrapperIjLb1EEEEE10hipError_tT1_PNSt15iterator_traitsISK_E10value_typeET2_T3_PNSL_ISQ_E10value_typeET4_T5_PSV_SW_PNS1_23onesweep_lookback_stateEbbT6_jjT7_P12ihipStream_tbENKUlT_T0_SK_SP_E_clIPfSE_SF_SF_EEDaS13_S14_SK_SP_EUlS13_E_NS1_11comp_targetILNS1_3genE9ELNS1_11target_archE1100ELNS1_3gpuE3ELNS1_3repE0EEENS1_47radix_sort_onesweep_sort_config_static_selectorELNS0_4arch9wavefront6targetE0EEEvSK_,comdat
.Lfunc_end584:
	.size	_ZN7rocprim17ROCPRIM_400000_NS6detail17trampoline_kernelINS0_14default_configENS1_35radix_sort_onesweep_config_selectorIfNS0_10empty_typeEEEZZNS1_29radix_sort_onesweep_iterationIS3_Lb0EN6thrust23THRUST_200600_302600_NS6detail15normal_iteratorINS9_10device_ptrIfEEEESE_PS5_SF_jNS0_19identity_decomposerENS1_16block_id_wrapperIjLb1EEEEE10hipError_tT1_PNSt15iterator_traitsISK_E10value_typeET2_T3_PNSL_ISQ_E10value_typeET4_T5_PSV_SW_PNS1_23onesweep_lookback_stateEbbT6_jjT7_P12ihipStream_tbENKUlT_T0_SK_SP_E_clIPfSE_SF_SF_EEDaS13_S14_SK_SP_EUlS13_E_NS1_11comp_targetILNS1_3genE9ELNS1_11target_archE1100ELNS1_3gpuE3ELNS1_3repE0EEENS1_47radix_sort_onesweep_sort_config_static_selectorELNS0_4arch9wavefront6targetE0EEEvSK_, .Lfunc_end584-_ZN7rocprim17ROCPRIM_400000_NS6detail17trampoline_kernelINS0_14default_configENS1_35radix_sort_onesweep_config_selectorIfNS0_10empty_typeEEEZZNS1_29radix_sort_onesweep_iterationIS3_Lb0EN6thrust23THRUST_200600_302600_NS6detail15normal_iteratorINS9_10device_ptrIfEEEESE_PS5_SF_jNS0_19identity_decomposerENS1_16block_id_wrapperIjLb1EEEEE10hipError_tT1_PNSt15iterator_traitsISK_E10value_typeET2_T3_PNSL_ISQ_E10value_typeET4_T5_PSV_SW_PNS1_23onesweep_lookback_stateEbbT6_jjT7_P12ihipStream_tbENKUlT_T0_SK_SP_E_clIPfSE_SF_SF_EEDaS13_S14_SK_SP_EUlS13_E_NS1_11comp_targetILNS1_3genE9ELNS1_11target_archE1100ELNS1_3gpuE3ELNS1_3repE0EEENS1_47radix_sort_onesweep_sort_config_static_selectorELNS0_4arch9wavefront6targetE0EEEvSK_
                                        ; -- End function
	.set _ZN7rocprim17ROCPRIM_400000_NS6detail17trampoline_kernelINS0_14default_configENS1_35radix_sort_onesweep_config_selectorIfNS0_10empty_typeEEEZZNS1_29radix_sort_onesweep_iterationIS3_Lb0EN6thrust23THRUST_200600_302600_NS6detail15normal_iteratorINS9_10device_ptrIfEEEESE_PS5_SF_jNS0_19identity_decomposerENS1_16block_id_wrapperIjLb1EEEEE10hipError_tT1_PNSt15iterator_traitsISK_E10value_typeET2_T3_PNSL_ISQ_E10value_typeET4_T5_PSV_SW_PNS1_23onesweep_lookback_stateEbbT6_jjT7_P12ihipStream_tbENKUlT_T0_SK_SP_E_clIPfSE_SF_SF_EEDaS13_S14_SK_SP_EUlS13_E_NS1_11comp_targetILNS1_3genE9ELNS1_11target_archE1100ELNS1_3gpuE3ELNS1_3repE0EEENS1_47radix_sort_onesweep_sort_config_static_selectorELNS0_4arch9wavefront6targetE0EEEvSK_.num_vgpr, 0
	.set _ZN7rocprim17ROCPRIM_400000_NS6detail17trampoline_kernelINS0_14default_configENS1_35radix_sort_onesweep_config_selectorIfNS0_10empty_typeEEEZZNS1_29radix_sort_onesweep_iterationIS3_Lb0EN6thrust23THRUST_200600_302600_NS6detail15normal_iteratorINS9_10device_ptrIfEEEESE_PS5_SF_jNS0_19identity_decomposerENS1_16block_id_wrapperIjLb1EEEEE10hipError_tT1_PNSt15iterator_traitsISK_E10value_typeET2_T3_PNSL_ISQ_E10value_typeET4_T5_PSV_SW_PNS1_23onesweep_lookback_stateEbbT6_jjT7_P12ihipStream_tbENKUlT_T0_SK_SP_E_clIPfSE_SF_SF_EEDaS13_S14_SK_SP_EUlS13_E_NS1_11comp_targetILNS1_3genE9ELNS1_11target_archE1100ELNS1_3gpuE3ELNS1_3repE0EEENS1_47radix_sort_onesweep_sort_config_static_selectorELNS0_4arch9wavefront6targetE0EEEvSK_.num_agpr, 0
	.set _ZN7rocprim17ROCPRIM_400000_NS6detail17trampoline_kernelINS0_14default_configENS1_35radix_sort_onesweep_config_selectorIfNS0_10empty_typeEEEZZNS1_29radix_sort_onesweep_iterationIS3_Lb0EN6thrust23THRUST_200600_302600_NS6detail15normal_iteratorINS9_10device_ptrIfEEEESE_PS5_SF_jNS0_19identity_decomposerENS1_16block_id_wrapperIjLb1EEEEE10hipError_tT1_PNSt15iterator_traitsISK_E10value_typeET2_T3_PNSL_ISQ_E10value_typeET4_T5_PSV_SW_PNS1_23onesweep_lookback_stateEbbT6_jjT7_P12ihipStream_tbENKUlT_T0_SK_SP_E_clIPfSE_SF_SF_EEDaS13_S14_SK_SP_EUlS13_E_NS1_11comp_targetILNS1_3genE9ELNS1_11target_archE1100ELNS1_3gpuE3ELNS1_3repE0EEENS1_47radix_sort_onesweep_sort_config_static_selectorELNS0_4arch9wavefront6targetE0EEEvSK_.numbered_sgpr, 0
	.set _ZN7rocprim17ROCPRIM_400000_NS6detail17trampoline_kernelINS0_14default_configENS1_35radix_sort_onesweep_config_selectorIfNS0_10empty_typeEEEZZNS1_29radix_sort_onesweep_iterationIS3_Lb0EN6thrust23THRUST_200600_302600_NS6detail15normal_iteratorINS9_10device_ptrIfEEEESE_PS5_SF_jNS0_19identity_decomposerENS1_16block_id_wrapperIjLb1EEEEE10hipError_tT1_PNSt15iterator_traitsISK_E10value_typeET2_T3_PNSL_ISQ_E10value_typeET4_T5_PSV_SW_PNS1_23onesweep_lookback_stateEbbT6_jjT7_P12ihipStream_tbENKUlT_T0_SK_SP_E_clIPfSE_SF_SF_EEDaS13_S14_SK_SP_EUlS13_E_NS1_11comp_targetILNS1_3genE9ELNS1_11target_archE1100ELNS1_3gpuE3ELNS1_3repE0EEENS1_47radix_sort_onesweep_sort_config_static_selectorELNS0_4arch9wavefront6targetE0EEEvSK_.num_named_barrier, 0
	.set _ZN7rocprim17ROCPRIM_400000_NS6detail17trampoline_kernelINS0_14default_configENS1_35radix_sort_onesweep_config_selectorIfNS0_10empty_typeEEEZZNS1_29radix_sort_onesweep_iterationIS3_Lb0EN6thrust23THRUST_200600_302600_NS6detail15normal_iteratorINS9_10device_ptrIfEEEESE_PS5_SF_jNS0_19identity_decomposerENS1_16block_id_wrapperIjLb1EEEEE10hipError_tT1_PNSt15iterator_traitsISK_E10value_typeET2_T3_PNSL_ISQ_E10value_typeET4_T5_PSV_SW_PNS1_23onesweep_lookback_stateEbbT6_jjT7_P12ihipStream_tbENKUlT_T0_SK_SP_E_clIPfSE_SF_SF_EEDaS13_S14_SK_SP_EUlS13_E_NS1_11comp_targetILNS1_3genE9ELNS1_11target_archE1100ELNS1_3gpuE3ELNS1_3repE0EEENS1_47radix_sort_onesweep_sort_config_static_selectorELNS0_4arch9wavefront6targetE0EEEvSK_.private_seg_size, 0
	.set _ZN7rocprim17ROCPRIM_400000_NS6detail17trampoline_kernelINS0_14default_configENS1_35radix_sort_onesweep_config_selectorIfNS0_10empty_typeEEEZZNS1_29radix_sort_onesweep_iterationIS3_Lb0EN6thrust23THRUST_200600_302600_NS6detail15normal_iteratorINS9_10device_ptrIfEEEESE_PS5_SF_jNS0_19identity_decomposerENS1_16block_id_wrapperIjLb1EEEEE10hipError_tT1_PNSt15iterator_traitsISK_E10value_typeET2_T3_PNSL_ISQ_E10value_typeET4_T5_PSV_SW_PNS1_23onesweep_lookback_stateEbbT6_jjT7_P12ihipStream_tbENKUlT_T0_SK_SP_E_clIPfSE_SF_SF_EEDaS13_S14_SK_SP_EUlS13_E_NS1_11comp_targetILNS1_3genE9ELNS1_11target_archE1100ELNS1_3gpuE3ELNS1_3repE0EEENS1_47radix_sort_onesweep_sort_config_static_selectorELNS0_4arch9wavefront6targetE0EEEvSK_.uses_vcc, 0
	.set _ZN7rocprim17ROCPRIM_400000_NS6detail17trampoline_kernelINS0_14default_configENS1_35radix_sort_onesweep_config_selectorIfNS0_10empty_typeEEEZZNS1_29radix_sort_onesweep_iterationIS3_Lb0EN6thrust23THRUST_200600_302600_NS6detail15normal_iteratorINS9_10device_ptrIfEEEESE_PS5_SF_jNS0_19identity_decomposerENS1_16block_id_wrapperIjLb1EEEEE10hipError_tT1_PNSt15iterator_traitsISK_E10value_typeET2_T3_PNSL_ISQ_E10value_typeET4_T5_PSV_SW_PNS1_23onesweep_lookback_stateEbbT6_jjT7_P12ihipStream_tbENKUlT_T0_SK_SP_E_clIPfSE_SF_SF_EEDaS13_S14_SK_SP_EUlS13_E_NS1_11comp_targetILNS1_3genE9ELNS1_11target_archE1100ELNS1_3gpuE3ELNS1_3repE0EEENS1_47radix_sort_onesweep_sort_config_static_selectorELNS0_4arch9wavefront6targetE0EEEvSK_.uses_flat_scratch, 0
	.set _ZN7rocprim17ROCPRIM_400000_NS6detail17trampoline_kernelINS0_14default_configENS1_35radix_sort_onesweep_config_selectorIfNS0_10empty_typeEEEZZNS1_29radix_sort_onesweep_iterationIS3_Lb0EN6thrust23THRUST_200600_302600_NS6detail15normal_iteratorINS9_10device_ptrIfEEEESE_PS5_SF_jNS0_19identity_decomposerENS1_16block_id_wrapperIjLb1EEEEE10hipError_tT1_PNSt15iterator_traitsISK_E10value_typeET2_T3_PNSL_ISQ_E10value_typeET4_T5_PSV_SW_PNS1_23onesweep_lookback_stateEbbT6_jjT7_P12ihipStream_tbENKUlT_T0_SK_SP_E_clIPfSE_SF_SF_EEDaS13_S14_SK_SP_EUlS13_E_NS1_11comp_targetILNS1_3genE9ELNS1_11target_archE1100ELNS1_3gpuE3ELNS1_3repE0EEENS1_47radix_sort_onesweep_sort_config_static_selectorELNS0_4arch9wavefront6targetE0EEEvSK_.has_dyn_sized_stack, 0
	.set _ZN7rocprim17ROCPRIM_400000_NS6detail17trampoline_kernelINS0_14default_configENS1_35radix_sort_onesweep_config_selectorIfNS0_10empty_typeEEEZZNS1_29radix_sort_onesweep_iterationIS3_Lb0EN6thrust23THRUST_200600_302600_NS6detail15normal_iteratorINS9_10device_ptrIfEEEESE_PS5_SF_jNS0_19identity_decomposerENS1_16block_id_wrapperIjLb1EEEEE10hipError_tT1_PNSt15iterator_traitsISK_E10value_typeET2_T3_PNSL_ISQ_E10value_typeET4_T5_PSV_SW_PNS1_23onesweep_lookback_stateEbbT6_jjT7_P12ihipStream_tbENKUlT_T0_SK_SP_E_clIPfSE_SF_SF_EEDaS13_S14_SK_SP_EUlS13_E_NS1_11comp_targetILNS1_3genE9ELNS1_11target_archE1100ELNS1_3gpuE3ELNS1_3repE0EEENS1_47radix_sort_onesweep_sort_config_static_selectorELNS0_4arch9wavefront6targetE0EEEvSK_.has_recursion, 0
	.set _ZN7rocprim17ROCPRIM_400000_NS6detail17trampoline_kernelINS0_14default_configENS1_35radix_sort_onesweep_config_selectorIfNS0_10empty_typeEEEZZNS1_29radix_sort_onesweep_iterationIS3_Lb0EN6thrust23THRUST_200600_302600_NS6detail15normal_iteratorINS9_10device_ptrIfEEEESE_PS5_SF_jNS0_19identity_decomposerENS1_16block_id_wrapperIjLb1EEEEE10hipError_tT1_PNSt15iterator_traitsISK_E10value_typeET2_T3_PNSL_ISQ_E10value_typeET4_T5_PSV_SW_PNS1_23onesweep_lookback_stateEbbT6_jjT7_P12ihipStream_tbENKUlT_T0_SK_SP_E_clIPfSE_SF_SF_EEDaS13_S14_SK_SP_EUlS13_E_NS1_11comp_targetILNS1_3genE9ELNS1_11target_archE1100ELNS1_3gpuE3ELNS1_3repE0EEENS1_47radix_sort_onesweep_sort_config_static_selectorELNS0_4arch9wavefront6targetE0EEEvSK_.has_indirect_call, 0
	.section	.AMDGPU.csdata,"",@progbits
; Kernel info:
; codeLenInByte = 0
; TotalNumSgprs: 0
; NumVgprs: 0
; ScratchSize: 0
; MemoryBound: 0
; FloatMode: 240
; IeeeMode: 1
; LDSByteSize: 0 bytes/workgroup (compile time only)
; SGPRBlocks: 0
; VGPRBlocks: 0
; NumSGPRsForWavesPerEU: 1
; NumVGPRsForWavesPerEU: 1
; Occupancy: 16
; WaveLimiterHint : 0
; COMPUTE_PGM_RSRC2:SCRATCH_EN: 0
; COMPUTE_PGM_RSRC2:USER_SGPR: 6
; COMPUTE_PGM_RSRC2:TRAP_HANDLER: 0
; COMPUTE_PGM_RSRC2:TGID_X_EN: 1
; COMPUTE_PGM_RSRC2:TGID_Y_EN: 0
; COMPUTE_PGM_RSRC2:TGID_Z_EN: 0
; COMPUTE_PGM_RSRC2:TIDIG_COMP_CNT: 0
	.section	.text._ZN7rocprim17ROCPRIM_400000_NS6detail17trampoline_kernelINS0_14default_configENS1_35radix_sort_onesweep_config_selectorIfNS0_10empty_typeEEEZZNS1_29radix_sort_onesweep_iterationIS3_Lb0EN6thrust23THRUST_200600_302600_NS6detail15normal_iteratorINS9_10device_ptrIfEEEESE_PS5_SF_jNS0_19identity_decomposerENS1_16block_id_wrapperIjLb1EEEEE10hipError_tT1_PNSt15iterator_traitsISK_E10value_typeET2_T3_PNSL_ISQ_E10value_typeET4_T5_PSV_SW_PNS1_23onesweep_lookback_stateEbbT6_jjT7_P12ihipStream_tbENKUlT_T0_SK_SP_E_clIPfSE_SF_SF_EEDaS13_S14_SK_SP_EUlS13_E_NS1_11comp_targetILNS1_3genE8ELNS1_11target_archE1030ELNS1_3gpuE2ELNS1_3repE0EEENS1_47radix_sort_onesweep_sort_config_static_selectorELNS0_4arch9wavefront6targetE0EEEvSK_,"axG",@progbits,_ZN7rocprim17ROCPRIM_400000_NS6detail17trampoline_kernelINS0_14default_configENS1_35radix_sort_onesweep_config_selectorIfNS0_10empty_typeEEEZZNS1_29radix_sort_onesweep_iterationIS3_Lb0EN6thrust23THRUST_200600_302600_NS6detail15normal_iteratorINS9_10device_ptrIfEEEESE_PS5_SF_jNS0_19identity_decomposerENS1_16block_id_wrapperIjLb1EEEEE10hipError_tT1_PNSt15iterator_traitsISK_E10value_typeET2_T3_PNSL_ISQ_E10value_typeET4_T5_PSV_SW_PNS1_23onesweep_lookback_stateEbbT6_jjT7_P12ihipStream_tbENKUlT_T0_SK_SP_E_clIPfSE_SF_SF_EEDaS13_S14_SK_SP_EUlS13_E_NS1_11comp_targetILNS1_3genE8ELNS1_11target_archE1030ELNS1_3gpuE2ELNS1_3repE0EEENS1_47radix_sort_onesweep_sort_config_static_selectorELNS0_4arch9wavefront6targetE0EEEvSK_,comdat
	.protected	_ZN7rocprim17ROCPRIM_400000_NS6detail17trampoline_kernelINS0_14default_configENS1_35radix_sort_onesweep_config_selectorIfNS0_10empty_typeEEEZZNS1_29radix_sort_onesweep_iterationIS3_Lb0EN6thrust23THRUST_200600_302600_NS6detail15normal_iteratorINS9_10device_ptrIfEEEESE_PS5_SF_jNS0_19identity_decomposerENS1_16block_id_wrapperIjLb1EEEEE10hipError_tT1_PNSt15iterator_traitsISK_E10value_typeET2_T3_PNSL_ISQ_E10value_typeET4_T5_PSV_SW_PNS1_23onesweep_lookback_stateEbbT6_jjT7_P12ihipStream_tbENKUlT_T0_SK_SP_E_clIPfSE_SF_SF_EEDaS13_S14_SK_SP_EUlS13_E_NS1_11comp_targetILNS1_3genE8ELNS1_11target_archE1030ELNS1_3gpuE2ELNS1_3repE0EEENS1_47radix_sort_onesweep_sort_config_static_selectorELNS0_4arch9wavefront6targetE0EEEvSK_ ; -- Begin function _ZN7rocprim17ROCPRIM_400000_NS6detail17trampoline_kernelINS0_14default_configENS1_35radix_sort_onesweep_config_selectorIfNS0_10empty_typeEEEZZNS1_29radix_sort_onesweep_iterationIS3_Lb0EN6thrust23THRUST_200600_302600_NS6detail15normal_iteratorINS9_10device_ptrIfEEEESE_PS5_SF_jNS0_19identity_decomposerENS1_16block_id_wrapperIjLb1EEEEE10hipError_tT1_PNSt15iterator_traitsISK_E10value_typeET2_T3_PNSL_ISQ_E10value_typeET4_T5_PSV_SW_PNS1_23onesweep_lookback_stateEbbT6_jjT7_P12ihipStream_tbENKUlT_T0_SK_SP_E_clIPfSE_SF_SF_EEDaS13_S14_SK_SP_EUlS13_E_NS1_11comp_targetILNS1_3genE8ELNS1_11target_archE1030ELNS1_3gpuE2ELNS1_3repE0EEENS1_47radix_sort_onesweep_sort_config_static_selectorELNS0_4arch9wavefront6targetE0EEEvSK_
	.globl	_ZN7rocprim17ROCPRIM_400000_NS6detail17trampoline_kernelINS0_14default_configENS1_35radix_sort_onesweep_config_selectorIfNS0_10empty_typeEEEZZNS1_29radix_sort_onesweep_iterationIS3_Lb0EN6thrust23THRUST_200600_302600_NS6detail15normal_iteratorINS9_10device_ptrIfEEEESE_PS5_SF_jNS0_19identity_decomposerENS1_16block_id_wrapperIjLb1EEEEE10hipError_tT1_PNSt15iterator_traitsISK_E10value_typeET2_T3_PNSL_ISQ_E10value_typeET4_T5_PSV_SW_PNS1_23onesweep_lookback_stateEbbT6_jjT7_P12ihipStream_tbENKUlT_T0_SK_SP_E_clIPfSE_SF_SF_EEDaS13_S14_SK_SP_EUlS13_E_NS1_11comp_targetILNS1_3genE8ELNS1_11target_archE1030ELNS1_3gpuE2ELNS1_3repE0EEENS1_47radix_sort_onesweep_sort_config_static_selectorELNS0_4arch9wavefront6targetE0EEEvSK_
	.p2align	8
	.type	_ZN7rocprim17ROCPRIM_400000_NS6detail17trampoline_kernelINS0_14default_configENS1_35radix_sort_onesweep_config_selectorIfNS0_10empty_typeEEEZZNS1_29radix_sort_onesweep_iterationIS3_Lb0EN6thrust23THRUST_200600_302600_NS6detail15normal_iteratorINS9_10device_ptrIfEEEESE_PS5_SF_jNS0_19identity_decomposerENS1_16block_id_wrapperIjLb1EEEEE10hipError_tT1_PNSt15iterator_traitsISK_E10value_typeET2_T3_PNSL_ISQ_E10value_typeET4_T5_PSV_SW_PNS1_23onesweep_lookback_stateEbbT6_jjT7_P12ihipStream_tbENKUlT_T0_SK_SP_E_clIPfSE_SF_SF_EEDaS13_S14_SK_SP_EUlS13_E_NS1_11comp_targetILNS1_3genE8ELNS1_11target_archE1030ELNS1_3gpuE2ELNS1_3repE0EEENS1_47radix_sort_onesweep_sort_config_static_selectorELNS0_4arch9wavefront6targetE0EEEvSK_,@function
_ZN7rocprim17ROCPRIM_400000_NS6detail17trampoline_kernelINS0_14default_configENS1_35radix_sort_onesweep_config_selectorIfNS0_10empty_typeEEEZZNS1_29radix_sort_onesweep_iterationIS3_Lb0EN6thrust23THRUST_200600_302600_NS6detail15normal_iteratorINS9_10device_ptrIfEEEESE_PS5_SF_jNS0_19identity_decomposerENS1_16block_id_wrapperIjLb1EEEEE10hipError_tT1_PNSt15iterator_traitsISK_E10value_typeET2_T3_PNSL_ISQ_E10value_typeET4_T5_PSV_SW_PNS1_23onesweep_lookback_stateEbbT6_jjT7_P12ihipStream_tbENKUlT_T0_SK_SP_E_clIPfSE_SF_SF_EEDaS13_S14_SK_SP_EUlS13_E_NS1_11comp_targetILNS1_3genE8ELNS1_11target_archE1030ELNS1_3gpuE2ELNS1_3repE0EEENS1_47radix_sort_onesweep_sort_config_static_selectorELNS0_4arch9wavefront6targetE0EEEvSK_: ; @_ZN7rocprim17ROCPRIM_400000_NS6detail17trampoline_kernelINS0_14default_configENS1_35radix_sort_onesweep_config_selectorIfNS0_10empty_typeEEEZZNS1_29radix_sort_onesweep_iterationIS3_Lb0EN6thrust23THRUST_200600_302600_NS6detail15normal_iteratorINS9_10device_ptrIfEEEESE_PS5_SF_jNS0_19identity_decomposerENS1_16block_id_wrapperIjLb1EEEEE10hipError_tT1_PNSt15iterator_traitsISK_E10value_typeET2_T3_PNSL_ISQ_E10value_typeET4_T5_PSV_SW_PNS1_23onesweep_lookback_stateEbbT6_jjT7_P12ihipStream_tbENKUlT_T0_SK_SP_E_clIPfSE_SF_SF_EEDaS13_S14_SK_SP_EUlS13_E_NS1_11comp_targetILNS1_3genE8ELNS1_11target_archE1030ELNS1_3gpuE2ELNS1_3repE0EEENS1_47radix_sort_onesweep_sort_config_static_selectorELNS0_4arch9wavefront6targetE0EEEvSK_
; %bb.0:
	s_clause 0x2
	s_load_dwordx4 s[12:15], s[4:5], 0x28
	s_load_dwordx2 s[10:11], s[4:5], 0x38
	s_load_dwordx4 s[20:23], s[4:5], 0x44
	v_cmp_eq_u32_e64 s0, 0, v0
	s_and_saveexec_b32 s1, s0
	s_cbranch_execz .LBB585_4
; %bb.1:
	s_mov_b32 s3, exec_lo
	s_mov_b32 s2, exec_lo
	v_mbcnt_lo_u32_b32 v3, s3, 0
                                        ; implicit-def: $vgpr4
	v_cmpx_eq_u32_e32 0, v3
	s_cbranch_execz .LBB585_3
; %bb.2:
	s_load_dwordx2 s[8:9], s[4:5], 0x50
	s_bcnt1_i32_b32 s3, s3
	v_mov_b32_e32 v4, 0
	v_mov_b32_e32 v5, s3
	s_waitcnt lgkmcnt(0)
	global_atomic_add v4, v4, v5, s[8:9] glc
.LBB585_3:
	s_or_b32 exec_lo, exec_lo, s2
	s_waitcnt vmcnt(0)
	v_readfirstlane_b32 s2, v4
	v_mov_b32_e32 v4, 0
	v_add_nc_u32_e32 v3, s2, v3
	ds_write_b32 v4, v3 offset:36992
.LBB585_4:
	s_or_b32 exec_lo, exec_lo, s1
	v_mov_b32_e32 v3, 0
	s_clause 0x1
	s_load_dwordx4 s[16:19], s[4:5], 0x0
	s_load_dword s1, s[4:5], 0x20
	s_waitcnt lgkmcnt(0)
	s_barrier
	buffer_gl0_inv
	ds_read_b32 v3, v3 offset:36992
	v_mbcnt_lo_u32_b32 v11, -1, 0
	v_and_b32_e32 v12, 0x3e0, v0
	s_mov_b32 s2, -1
	s_waitcnt lgkmcnt(0)
	s_barrier
	buffer_gl0_inv
	v_readfirstlane_b32 s23, v3
	v_cmp_le_u32_e32 vcc_lo, s22, v3
	s_mul_i32 s24, s23, 0x1800
	s_cbranch_vccz .LBB585_64
; %bb.5:
	s_mov_b32 s25, 0
	s_mulk_i32 s22, 0xe800
	v_mul_u32_u24_e32 v3, 6, v12
	v_lshlrev_b32_e32 v4, 2, v11
	s_lshl_b64 s[2:3], s[24:25], 2
	s_add_i32 s22, s22, s1
	s_add_u32 s1, s16, s2
	s_addc_u32 s2, s17, s3
	v_lshlrev_b32_e32 v5, 2, v3
	v_add_co_u32 v4, s1, s1, v4
	v_add_co_ci_u32_e64 v6, null, s2, 0, s1
	v_or_b32_e32 v13, v11, v3
	v_bfrev_b32_e32 v3, -2
	v_add_co_u32 v9, vcc_lo, v4, v5
	v_add_co_ci_u32_e64 v10, null, 0, v6, vcc_lo
	v_mov_b32_e32 v4, v3
	v_mov_b32_e32 v5, v3
	;; [unrolled: 1-line block ×5, first 2 shown]
	s_mov_b32 s1, exec_lo
	v_cmpx_gt_u32_e64 s22, v13
	s_cbranch_execz .LBB585_7
; %bb.6:
	global_load_dword v14, v[9:10], off
	v_mov_b32_e32 v15, v3
	v_mov_b32_e32 v16, v3
	;; [unrolled: 1-line block ×5, first 2 shown]
	s_waitcnt vmcnt(0)
	v_mov_b32_e32 v3, v14
	v_mov_b32_e32 v4, v15
	;; [unrolled: 1-line block ×6, first 2 shown]
.LBB585_7:
	s_or_b32 exec_lo, exec_lo, s1
	v_or_b32_e32 v14, 32, v13
	s_mov_b32 s1, exec_lo
	v_cmpx_gt_u32_e64 s22, v14
	s_cbranch_execz .LBB585_9
; %bb.8:
	global_load_dword v4, v[9:10], off offset:128
.LBB585_9:
	s_or_b32 exec_lo, exec_lo, s1
	v_add_nc_u32_e32 v14, 64, v13
	s_mov_b32 s1, exec_lo
	v_cmpx_gt_u32_e64 s22, v14
	s_cbranch_execz .LBB585_11
; %bb.10:
	global_load_dword v5, v[9:10], off offset:256
.LBB585_11:
	s_or_b32 exec_lo, exec_lo, s1
	v_add_nc_u32_e32 v14, 0x60, v13
	;; [unrolled: 8-line block ×4, first 2 shown]
	s_mov_b32 s1, exec_lo
	v_cmpx_gt_u32_e64 s22, v13
	s_cbranch_execz .LBB585_17
; %bb.16:
	global_load_dword v8, v[9:10], off offset:640
.LBB585_17:
	s_or_b32 exec_lo, exec_lo, s1
	s_clause 0x1
	s_load_dword s1, s[4:5], 0x64
	s_load_dword s25, s[4:5], 0x58
	s_add_u32 s2, s4, 0x58
	s_addc_u32 s3, s5, 0
	v_mov_b32_e32 v10, 0
	v_cmp_lt_i32_e32 vcc_lo, -1, v3
	v_cndmask_b32_e64 v13, -1, 0x80000000, vcc_lo
	v_xor_b32_e32 v13, v13, v3
	v_cmp_ne_u32_e32 vcc_lo, 0x7fffffff, v13
	s_waitcnt lgkmcnt(0)
	s_lshr_b32 s7, s1, 16
	s_cmp_lt_u32 s6, s25
	s_cselect_b32 s1, 12, 18
	v_cndmask_b32_e32 v3, 0x80000000, v13, vcc_lo
	s_add_u32 s2, s2, s1
	s_addc_u32 s3, s3, 0
	s_lshl_b32 s1, -1, s21
	global_load_ushort v9, v10, s[2:3]
	v_lshrrev_b32_e32 v3, s20, v3
	s_not_b32 s26, s1
	v_and_b32_e32 v3, s26, v3
	v_and_b32_e32 v14, 1, v3
	v_lshlrev_b32_e32 v15, 30, v3
	v_lshlrev_b32_e32 v16, 29, v3
	;; [unrolled: 1-line block ×4, first 2 shown]
	v_add_co_u32 v14, s1, v14, -1
	v_cndmask_b32_e64 v17, 0, 1, s1
	v_not_b32_e32 v21, v15
	v_cmp_gt_i32_e64 s1, 0, v15
	v_not_b32_e32 v15, v16
	v_lshlrev_b32_e32 v20, 26, v3
	v_cmp_ne_u32_e32 vcc_lo, 0, v17
	v_ashrrev_i32_e32 v21, 31, v21
	v_lshlrev_b32_e32 v17, 25, v3
	v_ashrrev_i32_e32 v15, 31, v15
	v_xor_b32_e32 v14, vcc_lo, v14
	v_cmp_gt_i32_e32 vcc_lo, 0, v16
	v_not_b32_e32 v16, v18
	v_xor_b32_e32 v21, s1, v21
	v_cmp_gt_i32_e64 s1, 0, v18
	v_and_b32_e32 v14, exec_lo, v14
	v_not_b32_e32 v18, v19
	v_ashrrev_i32_e32 v16, 31, v16
	v_xor_b32_e32 v15, vcc_lo, v15
	v_cmp_gt_i32_e32 vcc_lo, 0, v19
	v_and_b32_e32 v14, v14, v21
	v_not_b32_e32 v19, v20
	v_ashrrev_i32_e32 v18, 31, v18
	v_xor_b32_e32 v16, s1, v16
	v_cmp_gt_i32_e64 s1, 0, v20
	v_and_b32_e32 v14, v14, v15
	v_not_b32_e32 v15, v17
	v_ashrrev_i32_e32 v19, 31, v19
	v_xor_b32_e32 v18, vcc_lo, v18
	v_cmp_gt_i32_e32 vcc_lo, 0, v17
	v_and_b32_e32 v14, v14, v16
	v_lshlrev_b32_e32 v16, 24, v3
	v_ashrrev_i32_e32 v15, 31, v15
	v_xor_b32_e32 v17, s1, v19
	v_and_b32_e32 v14, v14, v18
	v_not_b32_e32 v18, v16
	v_xor_b32_e32 v15, vcc_lo, v15
	v_cmp_gt_i32_e32 vcc_lo, 0, v16
	v_mul_u32_u24_e32 v16, 36, v0
	v_and_b32_e32 v14, v14, v17
	v_mad_u32_u24 v17, v2, s7, v1
	v_ashrrev_i32_e32 v18, 31, v18
	ds_write2_b32 v16, v10, v10 offset0:32 offset1:33
	v_and_b32_e32 v19, v14, v15
	ds_write2_b32 v16, v10, v10 offset0:34 offset1:35
	ds_write2_b32 v16, v10, v10 offset0:36 offset1:37
	;; [unrolled: 1-line block ×3, first 2 shown]
	ds_write_b32 v16, v10 offset:160
	s_waitcnt vmcnt(0) lgkmcnt(0)
	s_barrier
	buffer_gl0_inv
	; wave barrier
	v_mad_u64_u32 v[14:15], null, v17, v9, v[0:1]
	v_xor_b32_e32 v9, vcc_lo, v18
	v_mul_lo_u32 v17, 0x84, v3
	v_and_b32_e32 v9, v19, v9
	v_lshrrev_b32_e32 v14, 3, v14
	v_mbcnt_lo_u32_b32 v15, v9, 0
	v_and_b32_e32 v3, 0x1ffffffc, v14
	v_cmp_ne_u32_e64 s1, 0, v9
	v_cmp_eq_u32_e32 vcc_lo, 0, v15
	v_add_nc_u32_e32 v17, v3, v17
	s_and_b32 s2, s1, vcc_lo
	s_and_saveexec_b32 s1, s2
; %bb.18:
	v_bcnt_u32_b32 v9, v9, 0
	ds_write_b32 v17, v9 offset:128
; %bb.19:
	s_or_b32 exec_lo, exec_lo, s1
	v_cmp_lt_i32_e32 vcc_lo, -1, v4
	; wave barrier
	v_cndmask_b32_e64 v9, -1, 0x80000000, vcc_lo
	v_xor_b32_e32 v14, v9, v4
	v_cmp_ne_u32_e32 vcc_lo, 0x7fffffff, v14
	v_cndmask_b32_e32 v4, 0x80000000, v14, vcc_lo
	v_lshrrev_b32_e32 v4, s20, v4
	v_and_b32_e32 v4, s26, v4
	v_and_b32_e32 v10, 1, v4
	v_lshlrev_b32_e32 v18, 30, v4
	v_lshlrev_b32_e32 v19, 29, v4
	;; [unrolled: 1-line block ×4, first 2 shown]
	v_add_co_u32 v10, s1, v10, -1
	v_cndmask_b32_e64 v21, 0, 1, s1
	v_not_b32_e32 v25, v18
	v_cmp_gt_i32_e64 s1, 0, v18
	v_not_b32_e32 v18, v19
	v_lshlrev_b32_e32 v23, 26, v4
	v_cmp_ne_u32_e32 vcc_lo, 0, v21
	v_ashrrev_i32_e32 v21, 31, v25
	v_lshlrev_b32_e32 v24, 25, v4
	v_ashrrev_i32_e32 v18, 31, v18
	v_mul_lo_u32 v9, 0x84, v4
	v_xor_b32_e32 v10, vcc_lo, v10
	v_cmp_gt_i32_e32 vcc_lo, 0, v19
	v_not_b32_e32 v19, v20
	v_xor_b32_e32 v21, s1, v21
	v_cmp_gt_i32_e64 s1, 0, v20
	v_and_b32_e32 v10, exec_lo, v10
	v_not_b32_e32 v20, v22
	v_ashrrev_i32_e32 v19, 31, v19
	v_xor_b32_e32 v18, vcc_lo, v18
	v_cmp_gt_i32_e32 vcc_lo, 0, v22
	v_and_b32_e32 v10, v10, v21
	v_not_b32_e32 v21, v23
	v_ashrrev_i32_e32 v20, 31, v20
	v_xor_b32_e32 v19, s1, v19
	v_lshlrev_b32_e32 v4, 24, v4
	v_and_b32_e32 v10, v10, v18
	v_cmp_gt_i32_e64 s1, 0, v23
	v_not_b32_e32 v18, v24
	v_ashrrev_i32_e32 v21, 31, v21
	v_xor_b32_e32 v20, vcc_lo, v20
	v_and_b32_e32 v10, v10, v19
	v_cmp_gt_i32_e32 vcc_lo, 0, v24
	v_not_b32_e32 v19, v4
	v_ashrrev_i32_e32 v18, 31, v18
	v_xor_b32_e32 v21, s1, v21
	v_and_b32_e32 v10, v10, v20
	v_cmp_gt_i32_e64 s1, 0, v4
	v_ashrrev_i32_e32 v4, 31, v19
	v_xor_b32_e32 v18, vcc_lo, v18
	v_and_b32_e32 v10, v10, v21
	v_add_nc_u32_e32 v21, v3, v9
	v_xor_b32_e32 v4, s1, v4
	v_and_b32_e32 v9, v10, v18
	ds_read_b32 v19, v21 offset:128
	; wave barrier
	v_and_b32_e32 v4, v9, v4
	v_mbcnt_lo_u32_b32 v20, v4, 0
	v_cmp_ne_u32_e64 s1, 0, v4
	v_cmp_eq_u32_e32 vcc_lo, 0, v20
	s_and_b32 s2, s1, vcc_lo
	s_and_saveexec_b32 s1, s2
	s_cbranch_execz .LBB585_21
; %bb.20:
	s_waitcnt lgkmcnt(0)
	v_bcnt_u32_b32 v4, v4, v19
	ds_write_b32 v21, v4 offset:128
.LBB585_21:
	s_or_b32 exec_lo, exec_lo, s1
	v_cmp_lt_i32_e32 vcc_lo, -1, v5
	; wave barrier
	v_cndmask_b32_e64 v4, -1, 0x80000000, vcc_lo
	v_xor_b32_e32 v18, v4, v5
	v_cmp_ne_u32_e32 vcc_lo, 0x7fffffff, v18
	v_cndmask_b32_e32 v4, 0x80000000, v18, vcc_lo
	v_lshrrev_b32_e32 v4, s20, v4
	v_and_b32_e32 v4, s26, v4
	v_and_b32_e32 v9, 1, v4
	v_lshlrev_b32_e32 v10, 30, v4
	v_lshlrev_b32_e32 v22, 29, v4
	;; [unrolled: 1-line block ×4, first 2 shown]
	v_add_co_u32 v9, s1, v9, -1
	v_cndmask_b32_e64 v24, 0, 1, s1
	v_not_b32_e32 v28, v10
	v_cmp_gt_i32_e64 s1, 0, v10
	v_not_b32_e32 v10, v22
	v_lshlrev_b32_e32 v26, 26, v4
	v_cmp_ne_u32_e32 vcc_lo, 0, v24
	v_ashrrev_i32_e32 v24, 31, v28
	v_lshlrev_b32_e32 v27, 25, v4
	v_ashrrev_i32_e32 v10, 31, v10
	v_mul_lo_u32 v5, 0x84, v4
	v_xor_b32_e32 v9, vcc_lo, v9
	v_cmp_gt_i32_e32 vcc_lo, 0, v22
	v_not_b32_e32 v22, v23
	v_xor_b32_e32 v24, s1, v24
	v_cmp_gt_i32_e64 s1, 0, v23
	v_and_b32_e32 v9, exec_lo, v9
	v_not_b32_e32 v23, v25
	v_ashrrev_i32_e32 v22, 31, v22
	v_xor_b32_e32 v10, vcc_lo, v10
	v_cmp_gt_i32_e32 vcc_lo, 0, v25
	v_and_b32_e32 v9, v9, v24
	v_not_b32_e32 v24, v26
	v_ashrrev_i32_e32 v23, 31, v23
	v_xor_b32_e32 v22, s1, v22
	v_lshlrev_b32_e32 v4, 24, v4
	v_and_b32_e32 v9, v9, v10
	v_cmp_gt_i32_e64 s1, 0, v26
	v_not_b32_e32 v10, v27
	v_ashrrev_i32_e32 v24, 31, v24
	v_xor_b32_e32 v23, vcc_lo, v23
	v_and_b32_e32 v9, v9, v22
	v_cmp_gt_i32_e32 vcc_lo, 0, v27
	v_not_b32_e32 v22, v4
	v_ashrrev_i32_e32 v10, 31, v10
	v_xor_b32_e32 v24, s1, v24
	v_and_b32_e32 v9, v9, v23
	v_cmp_gt_i32_e64 s1, 0, v4
	v_ashrrev_i32_e32 v4, 31, v22
	v_xor_b32_e32 v10, vcc_lo, v10
	v_add_nc_u32_e32 v25, v3, v5
	v_and_b32_e32 v9, v9, v24
	v_xor_b32_e32 v4, s1, v4
	ds_read_b32 v23, v25 offset:128
	v_and_b32_e32 v5, v9, v10
	; wave barrier
	v_and_b32_e32 v4, v5, v4
	v_mbcnt_lo_u32_b32 v24, v4, 0
	v_cmp_ne_u32_e64 s1, 0, v4
	v_cmp_eq_u32_e32 vcc_lo, 0, v24
	s_and_b32 s2, s1, vcc_lo
	s_and_saveexec_b32 s1, s2
	s_cbranch_execz .LBB585_23
; %bb.22:
	s_waitcnt lgkmcnt(0)
	v_bcnt_u32_b32 v4, v4, v23
	ds_write_b32 v25, v4 offset:128
.LBB585_23:
	s_or_b32 exec_lo, exec_lo, s1
	v_cmp_lt_i32_e32 vcc_lo, -1, v6
	; wave barrier
	v_cndmask_b32_e64 v4, -1, 0x80000000, vcc_lo
	v_xor_b32_e32 v22, v4, v6
	v_cmp_ne_u32_e32 vcc_lo, 0x7fffffff, v22
	v_cndmask_b32_e32 v4, 0x80000000, v22, vcc_lo
	v_lshrrev_b32_e32 v4, s20, v4
	v_and_b32_e32 v4, s26, v4
	v_and_b32_e32 v6, 1, v4
	v_lshlrev_b32_e32 v9, 30, v4
	v_lshlrev_b32_e32 v10, 29, v4
	;; [unrolled: 1-line block ×4, first 2 shown]
	v_add_co_u32 v6, s1, v6, -1
	v_cndmask_b32_e64 v27, 0, 1, s1
	v_not_b32_e32 v31, v9
	v_cmp_gt_i32_e64 s1, 0, v9
	v_not_b32_e32 v9, v10
	v_lshlrev_b32_e32 v29, 26, v4
	v_cmp_ne_u32_e32 vcc_lo, 0, v27
	v_ashrrev_i32_e32 v27, 31, v31
	v_lshlrev_b32_e32 v30, 25, v4
	v_ashrrev_i32_e32 v9, 31, v9
	v_mul_lo_u32 v5, 0x84, v4
	v_xor_b32_e32 v6, vcc_lo, v6
	v_cmp_gt_i32_e32 vcc_lo, 0, v10
	v_not_b32_e32 v10, v26
	v_xor_b32_e32 v27, s1, v27
	v_cmp_gt_i32_e64 s1, 0, v26
	v_and_b32_e32 v6, exec_lo, v6
	v_not_b32_e32 v26, v28
	v_ashrrev_i32_e32 v10, 31, v10
	v_xor_b32_e32 v9, vcc_lo, v9
	v_cmp_gt_i32_e32 vcc_lo, 0, v28
	v_and_b32_e32 v6, v6, v27
	v_not_b32_e32 v27, v29
	v_ashrrev_i32_e32 v26, 31, v26
	v_xor_b32_e32 v10, s1, v10
	v_lshlrev_b32_e32 v4, 24, v4
	v_and_b32_e32 v6, v6, v9
	v_cmp_gt_i32_e64 s1, 0, v29
	v_not_b32_e32 v9, v30
	v_ashrrev_i32_e32 v27, 31, v27
	v_xor_b32_e32 v26, vcc_lo, v26
	v_and_b32_e32 v6, v6, v10
	v_cmp_gt_i32_e32 vcc_lo, 0, v30
	v_not_b32_e32 v10, v4
	v_ashrrev_i32_e32 v9, 31, v9
	v_xor_b32_e32 v27, s1, v27
	v_and_b32_e32 v6, v6, v26
	v_cmp_gt_i32_e64 s1, 0, v4
	v_ashrrev_i32_e32 v4, 31, v10
	v_xor_b32_e32 v9, vcc_lo, v9
	v_add_nc_u32_e32 v29, v3, v5
	v_and_b32_e32 v6, v6, v27
	v_xor_b32_e32 v4, s1, v4
	ds_read_b32 v26, v29 offset:128
	v_and_b32_e32 v5, v6, v9
	; wave barrier
	v_and_b32_e32 v4, v5, v4
	v_mbcnt_lo_u32_b32 v28, v4, 0
	v_cmp_ne_u32_e64 s1, 0, v4
	v_cmp_eq_u32_e32 vcc_lo, 0, v28
	s_and_b32 s2, s1, vcc_lo
	s_and_saveexec_b32 s1, s2
	s_cbranch_execz .LBB585_25
; %bb.24:
	s_waitcnt lgkmcnt(0)
	v_bcnt_u32_b32 v4, v4, v26
	ds_write_b32 v29, v4 offset:128
.LBB585_25:
	s_or_b32 exec_lo, exec_lo, s1
	v_cmp_lt_i32_e32 vcc_lo, -1, v7
	; wave barrier
	v_cndmask_b32_e64 v4, -1, 0x80000000, vcc_lo
	v_xor_b32_e32 v27, v4, v7
	v_cmp_ne_u32_e32 vcc_lo, 0x7fffffff, v27
	v_cndmask_b32_e32 v4, 0x80000000, v27, vcc_lo
	v_lshrrev_b32_e32 v4, s20, v4
	v_and_b32_e32 v4, s26, v4
	v_and_b32_e32 v6, 1, v4
	v_lshlrev_b32_e32 v7, 30, v4
	v_lshlrev_b32_e32 v9, 29, v4
	;; [unrolled: 1-line block ×4, first 2 shown]
	v_add_co_u32 v6, s1, v6, -1
	v_cndmask_b32_e64 v30, 0, 1, s1
	v_not_b32_e32 v34, v7
	v_cmp_gt_i32_e64 s1, 0, v7
	v_not_b32_e32 v7, v9
	v_lshlrev_b32_e32 v32, 26, v4
	v_cmp_ne_u32_e32 vcc_lo, 0, v30
	v_ashrrev_i32_e32 v30, 31, v34
	v_lshlrev_b32_e32 v33, 25, v4
	v_ashrrev_i32_e32 v7, 31, v7
	v_mul_lo_u32 v5, 0x84, v4
	v_xor_b32_e32 v6, vcc_lo, v6
	v_cmp_gt_i32_e32 vcc_lo, 0, v9
	v_not_b32_e32 v9, v10
	v_xor_b32_e32 v30, s1, v30
	v_cmp_gt_i32_e64 s1, 0, v10
	v_and_b32_e32 v6, exec_lo, v6
	v_not_b32_e32 v10, v31
	v_ashrrev_i32_e32 v9, 31, v9
	v_xor_b32_e32 v7, vcc_lo, v7
	v_cmp_gt_i32_e32 vcc_lo, 0, v31
	v_and_b32_e32 v6, v6, v30
	v_not_b32_e32 v30, v32
	v_ashrrev_i32_e32 v10, 31, v10
	v_xor_b32_e32 v9, s1, v9
	v_lshlrev_b32_e32 v4, 24, v4
	v_and_b32_e32 v6, v6, v7
	v_cmp_gt_i32_e64 s1, 0, v32
	v_not_b32_e32 v7, v33
	v_ashrrev_i32_e32 v30, 31, v30
	v_xor_b32_e32 v10, vcc_lo, v10
	v_and_b32_e32 v6, v6, v9
	v_cmp_gt_i32_e32 vcc_lo, 0, v33
	v_not_b32_e32 v9, v4
	v_ashrrev_i32_e32 v7, 31, v7
	v_xor_b32_e32 v30, s1, v30
	v_and_b32_e32 v6, v6, v10
	v_cmp_gt_i32_e64 s1, 0, v4
	v_ashrrev_i32_e32 v4, 31, v9
	v_xor_b32_e32 v7, vcc_lo, v7
	v_add_nc_u32_e32 v33, v3, v5
	v_and_b32_e32 v6, v6, v30
	v_xor_b32_e32 v4, s1, v4
	ds_read_b32 v30, v33 offset:128
	v_and_b32_e32 v5, v6, v7
	; wave barrier
	v_and_b32_e32 v4, v5, v4
	v_mbcnt_lo_u32_b32 v31, v4, 0
	v_cmp_ne_u32_e64 s1, 0, v4
	v_cmp_eq_u32_e32 vcc_lo, 0, v31
	s_and_b32 s2, s1, vcc_lo
	s_and_saveexec_b32 s1, s2
	s_cbranch_execz .LBB585_27
; %bb.26:
	s_waitcnt lgkmcnt(0)
	v_bcnt_u32_b32 v4, v4, v30
	ds_write_b32 v33, v4 offset:128
.LBB585_27:
	s_or_b32 exec_lo, exec_lo, s1
	v_cmp_lt_i32_e32 vcc_lo, -1, v8
	; wave barrier
	v_cndmask_b32_e64 v4, -1, 0x80000000, vcc_lo
	v_xor_b32_e32 v32, v4, v8
	v_cmp_ne_u32_e32 vcc_lo, 0x7fffffff, v32
	v_cndmask_b32_e32 v4, 0x80000000, v32, vcc_lo
	v_lshrrev_b32_e32 v4, s20, v4
	v_and_b32_e32 v4, s26, v4
	v_and_b32_e32 v6, 1, v4
	v_lshlrev_b32_e32 v7, 30, v4
	v_lshlrev_b32_e32 v8, 29, v4
	;; [unrolled: 1-line block ×4, first 2 shown]
	v_add_co_u32 v6, s1, v6, -1
	v_cndmask_b32_e64 v10, 0, 1, s1
	v_not_b32_e32 v37, v7
	v_cmp_gt_i32_e64 s1, 0, v7
	v_not_b32_e32 v7, v8
	v_lshlrev_b32_e32 v35, 26, v4
	v_cmp_ne_u32_e32 vcc_lo, 0, v10
	v_ashrrev_i32_e32 v10, 31, v37
	v_lshlrev_b32_e32 v36, 25, v4
	v_ashrrev_i32_e32 v7, 31, v7
	v_mul_lo_u32 v5, 0x84, v4
	v_xor_b32_e32 v6, vcc_lo, v6
	v_cmp_gt_i32_e32 vcc_lo, 0, v8
	v_not_b32_e32 v8, v9
	v_xor_b32_e32 v10, s1, v10
	v_cmp_gt_i32_e64 s1, 0, v9
	v_and_b32_e32 v6, exec_lo, v6
	v_not_b32_e32 v9, v34
	v_ashrrev_i32_e32 v8, 31, v8
	v_xor_b32_e32 v7, vcc_lo, v7
	v_cmp_gt_i32_e32 vcc_lo, 0, v34
	v_and_b32_e32 v6, v6, v10
	v_not_b32_e32 v10, v35
	v_ashrrev_i32_e32 v9, 31, v9
	v_xor_b32_e32 v8, s1, v8
	v_lshlrev_b32_e32 v4, 24, v4
	v_and_b32_e32 v6, v6, v7
	v_cmp_gt_i32_e64 s1, 0, v35
	v_not_b32_e32 v7, v36
	v_ashrrev_i32_e32 v10, 31, v10
	v_xor_b32_e32 v9, vcc_lo, v9
	v_and_b32_e32 v6, v6, v8
	v_cmp_gt_i32_e32 vcc_lo, 0, v36
	v_not_b32_e32 v8, v4
	v_ashrrev_i32_e32 v7, 31, v7
	v_xor_b32_e32 v10, s1, v10
	v_and_b32_e32 v6, v6, v9
	v_cmp_gt_i32_e64 s1, 0, v4
	v_ashrrev_i32_e32 v4, 31, v8
	v_xor_b32_e32 v7, vcc_lo, v7
	v_add_nc_u32_e32 v36, v3, v5
	v_and_b32_e32 v6, v6, v10
	v_xor_b32_e32 v3, s1, v4
	ds_read_b32 v34, v36 offset:128
	v_and_b32_e32 v4, v6, v7
	; wave barrier
	v_and_b32_e32 v3, v4, v3
	v_mbcnt_lo_u32_b32 v35, v3, 0
	v_cmp_ne_u32_e64 s1, 0, v3
	v_cmp_eq_u32_e32 vcc_lo, 0, v35
	s_and_b32 s2, s1, vcc_lo
	s_and_saveexec_b32 s1, s2
	s_cbranch_execz .LBB585_29
; %bb.28:
	s_waitcnt lgkmcnt(0)
	v_bcnt_u32_b32 v3, v3, v34
	ds_write_b32 v36, v3 offset:128
.LBB585_29:
	s_or_b32 exec_lo, exec_lo, s1
	; wave barrier
	s_waitcnt lgkmcnt(0)
	s_barrier
	buffer_gl0_inv
	ds_read2_b32 v[9:10], v16 offset0:32 offset1:33
	ds_read2_b32 v[7:8], v16 offset0:34 offset1:35
	;; [unrolled: 1-line block ×4, first 2 shown]
	ds_read_b32 v37, v16 offset:160
	v_and_b32_e32 v40, 16, v11
	v_and_b32_e32 v41, 31, v0
	s_mov_b32 s9, exec_lo
	v_cmp_eq_u32_e64 s7, 0, v40
	s_waitcnt lgkmcnt(3)
	v_add3_u32 v38, v10, v9, v7
	s_waitcnt lgkmcnt(2)
	v_add3_u32 v38, v38, v8, v5
	;; [unrolled: 2-line block ×4, first 2 shown]
	v_and_b32_e32 v38, 15, v11
	v_mov_b32_dpp v39, v37 row_shr:1 row_mask:0xf bank_mask:0xf
	v_cmp_eq_u32_e32 vcc_lo, 0, v38
	v_cmp_lt_u32_e64 s1, 1, v38
	v_cmp_lt_u32_e64 s2, 3, v38
	v_cmp_lt_u32_e64 s3, 7, v38
	v_cndmask_b32_e64 v39, v39, 0, vcc_lo
	v_add_nc_u32_e32 v37, v39, v37
	v_mov_b32_dpp v39, v37 row_shr:2 row_mask:0xf bank_mask:0xf
	v_cndmask_b32_e64 v39, 0, v39, s1
	v_add_nc_u32_e32 v37, v37, v39
	v_mov_b32_dpp v39, v37 row_shr:4 row_mask:0xf bank_mask:0xf
	v_cndmask_b32_e64 v39, 0, v39, s2
	;; [unrolled: 3-line block ×3, first 2 shown]
	v_bfe_i32 v39, v11, 4, 1
	v_add_nc_u32_e32 v37, v37, v38
	ds_swizzle_b32 v38, v37 offset:swizzle(BROADCAST,32,15)
	s_waitcnt lgkmcnt(0)
	v_and_b32_e32 v39, v39, v38
	v_lshrrev_b32_e32 v38, 5, v0
	v_add_nc_u32_e32 v37, v37, v39
	v_cmpx_eq_u32_e32 31, v41
; %bb.30:
	v_lshlrev_b32_e32 v39, 2, v38
	ds_write_b32 v39, v37
; %bb.31:
	s_or_b32 exec_lo, exec_lo, s9
	v_cmp_lt_u32_e64 s8, 31, v0
	s_mov_b32 s27, exec_lo
	s_waitcnt lgkmcnt(0)
	s_barrier
	buffer_gl0_inv
	v_cmpx_gt_u32_e32 32, v0
	s_cbranch_execz .LBB585_33
; %bb.32:
	v_lshlrev_b32_e32 v39, 2, v0
	ds_read_b32 v40, v39
	s_waitcnt lgkmcnt(0)
	v_mov_b32_dpp v41, v40 row_shr:1 row_mask:0xf bank_mask:0xf
	v_cndmask_b32_e64 v41, v41, 0, vcc_lo
	v_add_nc_u32_e32 v40, v41, v40
	v_mov_b32_dpp v41, v40 row_shr:2 row_mask:0xf bank_mask:0xf
	v_cndmask_b32_e64 v41, 0, v41, s1
	v_add_nc_u32_e32 v40, v40, v41
	v_mov_b32_dpp v41, v40 row_shr:4 row_mask:0xf bank_mask:0xf
	v_cndmask_b32_e64 v41, 0, v41, s2
	;; [unrolled: 3-line block ×3, first 2 shown]
	v_add_nc_u32_e32 v40, v40, v41
	ds_swizzle_b32 v41, v40 offset:swizzle(BROADCAST,32,15)
	s_waitcnt lgkmcnt(0)
	v_cndmask_b32_e64 v41, v41, 0, s7
	v_add_nc_u32_e32 v40, v40, v41
	ds_write_b32 v39, v40
.LBB585_33:
	s_or_b32 exec_lo, exec_lo, s27
	v_mov_b32_e32 v39, 0
	s_waitcnt lgkmcnt(0)
	s_barrier
	buffer_gl0_inv
	s_and_saveexec_b32 s1, s8
; %bb.34:
	v_lshl_add_u32 v38, v38, 2, -4
	ds_read_b32 v39, v38
; %bb.35:
	s_or_b32 exec_lo, exec_lo, s1
	v_sub_co_u32 v38, vcc_lo, v11, 1
	s_waitcnt lgkmcnt(0)
	v_add_nc_u32_e32 v37, v39, v37
	v_cmp_gt_i32_e64 s1, 0, v38
	v_cndmask_b32_e64 v38, v38, v11, s1
	v_cmp_gt_u32_e64 s1, 0x100, v0
	v_lshlrev_b32_e32 v38, 2, v38
	ds_bpermute_b32 v37, v38, v37
	s_waitcnt lgkmcnt(0)
	v_cndmask_b32_e32 v37, v37, v39, vcc_lo
	v_cmp_lt_u32_e32 vcc_lo, 0xff, v0
	v_cndmask_b32_e64 v37, v37, 0, s0
	v_add_nc_u32_e32 v9, v37, v9
	v_add_nc_u32_e32 v10, v9, v10
	;; [unrolled: 1-line block ×8, first 2 shown]
	ds_write2_b32 v16, v37, v9 offset0:32 offset1:33
	ds_write2_b32 v16, v10, v7 offset0:34 offset1:35
	;; [unrolled: 1-line block ×4, first 2 shown]
	ds_write_b32 v16, v4 offset:160
	s_waitcnt lgkmcnt(0)
	s_barrier
	buffer_gl0_inv
	ds_read_b32 v7, v17 offset:128
	ds_read_b32 v8, v21 offset:128
	;; [unrolled: 1-line block ×6, first 2 shown]
                                        ; implicit-def: $vgpr9
                                        ; implicit-def: $vgpr10
	s_and_saveexec_b32 s3, s1
	s_cbranch_execz .LBB585_39
; %bb.36:
	v_mul_u32_u24_e32 v9, 0x84, v0
	v_add_nc_u32_e32 v16, 1, v0
	v_mov_b32_e32 v10, 0x1800
	s_mov_b32 s7, exec_lo
	ds_read_b32 v9, v9 offset:128
	v_cmpx_ne_u32_e32 0x100, v16
; %bb.37:
	v_mul_u32_u24_e32 v10, 0x84, v16
	ds_read_b32 v10, v10 offset:128
; %bb.38:
	s_or_b32 exec_lo, exec_lo, s7
	s_waitcnt lgkmcnt(0)
	v_sub_nc_u32_e32 v10, v10, v9
.LBB585_39:
	s_or_b32 exec_lo, exec_lo, s3
	v_lshlrev_b32_e32 v15, 2, v15
	s_waitcnt lgkmcnt(4)
	v_lshlrev_b32_e32 v8, 2, v8
	v_lshlrev_b32_e32 v16, 2, v20
	;; [unrolled: 1-line block ×3, first 2 shown]
	s_waitcnt lgkmcnt(0)
	v_lshl_add_u32 v7, v7, 2, v15
	s_barrier
	buffer_gl0_inv
	v_lshlrev_b32_e32 v6, 2, v6
	v_add3_u32 v8, v8, v16, v17
	ds_write_b32 v7, v13 offset:1024
	v_lshlrev_b32_e32 v7, 2, v24
	v_lshlrev_b32_e32 v13, 2, v23
	;; [unrolled: 1-line block ×11, first 2 shown]
	v_add3_u32 v6, v6, v7, v13
	v_add3_u32 v7, v4, v17, v19
	v_mov_b32_e32 v4, 0
	v_lshlrev_b32_e32 v13, 2, v0
	v_add3_u32 v5, v5, v15, v16
	v_add3_u32 v3, v3, v20, v21
	ds_write_b32 v8, v14 offset:1024
	ds_write_b32 v6, v18 offset:1024
	;; [unrolled: 1-line block ×5, first 2 shown]
	s_and_saveexec_b32 s2, s1
	s_cbranch_execz .LBB585_49
; %bb.40:
	v_lshl_add_u32 v3, s23, 8, v0
	v_mov_b32_e32 v14, 0
	s_mov_b32 s3, 0
	s_mov_b32 s7, s23
	v_lshlrev_b64 v[5:6], 2, v[3:4]
	v_or_b32_e32 v3, 2.0, v10
	v_add_co_u32 v5, s1, s10, v5
	v_add_co_ci_u32_e64 v6, null, s11, v6, s1
                                        ; implicit-def: $sgpr1
	global_store_dword v[5:6], v3, off
	s_branch .LBB585_43
	.p2align	6
.LBB585_41:                             ;   in Loop: Header=BB585_43 Depth=1
	s_or_b32 exec_lo, exec_lo, s9
.LBB585_42:                             ;   in Loop: Header=BB585_43 Depth=1
	s_or_b32 exec_lo, exec_lo, s8
	v_and_b32_e32 v7, 0x3fffffff, v3
	v_cmp_gt_i32_e64 s1, -2.0, v3
	v_add_nc_u32_e32 v14, v7, v14
	s_and_b32 s8, exec_lo, s1
	s_or_b32 s3, s8, s3
	s_andn2_b32 exec_lo, exec_lo, s3
	s_cbranch_execz .LBB585_48
.LBB585_43:                             ; =>This Loop Header: Depth=1
                                        ;     Child Loop BB585_46 Depth 2
	s_or_b32 s1, s1, exec_lo
	s_cmp_eq_u32 s7, 0
	s_cbranch_scc1 .LBB585_47
; %bb.44:                               ;   in Loop: Header=BB585_43 Depth=1
	s_add_i32 s7, s7, -1
	s_mov_b32 s8, exec_lo
	v_lshl_or_b32 v3, s7, 8, v0
	v_lshlrev_b64 v[7:8], 2, v[3:4]
	v_add_co_u32 v7, s1, s10, v7
	v_add_co_ci_u32_e64 v8, null, s11, v8, s1
	global_load_dword v3, v[7:8], off glc dlc
	s_waitcnt vmcnt(0)
	v_cmpx_gt_u32_e32 2.0, v3
	s_cbranch_execz .LBB585_42
; %bb.45:                               ;   in Loop: Header=BB585_43 Depth=1
	s_mov_b32 s9, 0
.LBB585_46:                             ;   Parent Loop BB585_43 Depth=1
                                        ; =>  This Inner Loop Header: Depth=2
	global_load_dword v3, v[7:8], off glc dlc
	s_waitcnt vmcnt(0)
	v_cmp_lt_u32_e64 s1, 0x3fffffff, v3
	s_or_b32 s9, s1, s9
	s_andn2_b32 exec_lo, exec_lo, s9
	s_cbranch_execnz .LBB585_46
	s_branch .LBB585_41
.LBB585_47:                             ;   in Loop: Header=BB585_43 Depth=1
                                        ; implicit-def: $sgpr7
	s_and_b32 s8, exec_lo, s1
	s_or_b32 s3, s8, s3
	s_andn2_b32 exec_lo, exec_lo, s3
	s_cbranch_execnz .LBB585_43
.LBB585_48:
	s_or_b32 exec_lo, exec_lo, s3
	v_add_nc_u32_e32 v3, v14, v10
	v_sub_nc_u32_e32 v4, v14, v9
	v_or_b32_e32 v3, 0x80000000, v3
	global_store_dword v[5:6], v3, off
	global_load_dword v3, v13, s[12:13]
	s_waitcnt vmcnt(0)
	v_add_nc_u32_e32 v3, v4, v3
	ds_write_b32 v13, v3
.LBB585_49:
	s_or_b32 exec_lo, exec_lo, s2
	s_mov_b32 s2, exec_lo
	s_waitcnt lgkmcnt(0)
	s_waitcnt_vscnt null, 0x0
	s_barrier
	buffer_gl0_inv
	v_cmpx_gt_u32_e64 s22, v0
	s_cbranch_execz .LBB585_51
; %bb.50:
	ds_read_b32 v5, v13 offset:1024
	v_mov_b32_e32 v4, 0
	s_waitcnt lgkmcnt(0)
	v_cmp_ne_u32_e64 s1, 0x7fffffff, v5
	v_cndmask_b32_e64 v3, 0x80000000, v5, s1
	v_cmp_lt_i32_e64 s1, -1, v5
	v_lshrrev_b32_e32 v3, s20, v3
	v_cndmask_b32_e64 v6, 0x80000000, -1, s1
	v_and_b32_e32 v3, s26, v3
	v_xor_b32_e32 v5, v6, v5
	v_lshlrev_b32_e32 v3, 2, v3
	ds_read_b32 v3, v3
	s_waitcnt lgkmcnt(0)
	v_add_nc_u32_e32 v3, v3, v0
	v_lshlrev_b64 v[3:4], 2, v[3:4]
	v_add_co_u32 v3, s1, s18, v3
	v_add_co_ci_u32_e64 v4, null, s19, v4, s1
	global_store_dword v[3:4], v5, off
.LBB585_51:
	s_or_b32 exec_lo, exec_lo, s2
	v_or_b32_e32 v3, 0x400, v0
	s_mov_b32 s2, exec_lo
	v_cmpx_gt_u32_e64 s22, v3
	s_cbranch_execz .LBB585_53
; %bb.52:
	ds_read_b32 v5, v13 offset:5120
	s_waitcnt lgkmcnt(0)
	v_cmp_ne_u32_e64 s1, 0x7fffffff, v5
	v_cndmask_b32_e64 v4, 0x80000000, v5, s1
	v_cmp_lt_i32_e64 s1, -1, v5
	v_lshrrev_b32_e32 v4, s20, v4
	v_and_b32_e32 v4, s26, v4
	v_lshlrev_b32_e32 v4, 2, v4
	ds_read_b32 v6, v4
	v_mov_b32_e32 v4, 0
	s_waitcnt lgkmcnt(0)
	v_add_nc_u32_e32 v3, v6, v3
	v_cndmask_b32_e64 v6, 0x80000000, -1, s1
	v_lshlrev_b64 v[3:4], 2, v[3:4]
	v_xor_b32_e32 v5, v6, v5
	v_add_co_u32 v3, s1, s18, v3
	v_add_co_ci_u32_e64 v4, null, s19, v4, s1
	global_store_dword v[3:4], v5, off
.LBB585_53:
	s_or_b32 exec_lo, exec_lo, s2
	v_or_b32_e32 v3, 0x800, v0
	s_mov_b32 s2, exec_lo
	v_cmpx_gt_u32_e64 s22, v3
	s_cbranch_execz .LBB585_55
; %bb.54:
	ds_read_b32 v5, v13 offset:9216
	s_waitcnt lgkmcnt(0)
	v_cmp_ne_u32_e64 s1, 0x7fffffff, v5
	v_cndmask_b32_e64 v4, 0x80000000, v5, s1
	v_cmp_lt_i32_e64 s1, -1, v5
	v_lshrrev_b32_e32 v4, s20, v4
	v_and_b32_e32 v4, s26, v4
	v_lshlrev_b32_e32 v4, 2, v4
	ds_read_b32 v6, v4
	v_mov_b32_e32 v4, 0
	s_waitcnt lgkmcnt(0)
	v_add_nc_u32_e32 v3, v6, v3
	v_cndmask_b32_e64 v6, 0x80000000, -1, s1
	v_lshlrev_b64 v[3:4], 2, v[3:4]
	v_xor_b32_e32 v5, v6, v5
	v_add_co_u32 v3, s1, s18, v3
	v_add_co_ci_u32_e64 v4, null, s19, v4, s1
	global_store_dword v[3:4], v5, off
.LBB585_55:
	;; [unrolled: 25-line block ×5, first 2 shown]
	s_or_b32 exec_lo, exec_lo, s2
	s_add_i32 s25, s25, -1
	s_cmp_eq_u32 s23, s25
	s_cselect_b32 s1, -1, 0
	s_xor_b32 s2, vcc_lo, -1
	s_and_b32 s2, s2, s1
	s_and_saveexec_b32 s1, s2
	s_cbranch_execz .LBB585_63
; %bb.62:
	ds_read_b32 v3, v13
	s_waitcnt lgkmcnt(0)
	v_add3_u32 v3, v9, v10, v3
	global_store_dword v13, v3, s[14:15]
.LBB585_63:
	s_or_b32 exec_lo, exec_lo, s1
	s_mov_b32 s2, 0
.LBB585_64:
	s_and_b32 vcc_lo, exec_lo, s2
	s_cbranch_vccz .LBB585_99
; %bb.65:
	s_mov_b32 s25, 0
	v_mul_u32_u24_e32 v3, 6, v12
	v_lshlrev_b32_e32 v4, 2, v11
	s_lshl_b64 s[2:3], s[24:25], 2
	v_mov_b32_e32 v14, 0
	s_add_u32 s1, s16, s2
	s_addc_u32 s2, s17, s3
	v_lshlrev_b32_e32 v3, 2, v3
	v_add_co_u32 v4, s1, s1, v4
	v_add_co_ci_u32_e64 v5, null, s2, 0, s1
	s_add_u32 s2, s4, 0x58
	v_add_co_u32 v8, vcc_lo, v4, v3
	v_add_co_ci_u32_e64 v9, null, 0, v5, vcc_lo
	s_addc_u32 s3, s5, 0
	global_load_dword v10, v[8:9], off
	s_clause 0x1
	s_load_dword s1, s[4:5], 0x64
	s_load_dword s7, s[4:5], 0x58
	s_waitcnt lgkmcnt(0)
	s_lshr_b32 s4, s1, 16
	s_cmp_lt_u32 s6, s7
	v_mad_u32_u24 v1, v2, s4, v1
	s_cselect_b32 s1, 12, 18
	s_add_u32 s2, s2, s1
	s_addc_u32 s3, s3, 0
	global_load_ushort v12, v14, s[2:3]
	s_clause 0x4
	global_load_dword v7, v[8:9], off offset:128
	global_load_dword v6, v[8:9], off offset:256
	;; [unrolled: 1-line block ×5, first 2 shown]
	s_lshl_b32 s1, -1, s21
	s_not_b32 s8, s1
	s_waitcnt vmcnt(6)
	v_cmp_lt_i32_e32 vcc_lo, -1, v10
	v_cndmask_b32_e64 v8, -1, 0x80000000, vcc_lo
	v_xor_b32_e32 v9, v8, v10
	v_cmp_ne_u32_e32 vcc_lo, 0x7fffffff, v9
	v_cndmask_b32_e32 v8, 0x80000000, v9, vcc_lo
	s_waitcnt vmcnt(5)
	v_mad_u64_u32 v[1:2], null, v1, v12, v[0:1]
	v_lshrrev_b32_e32 v8, s20, v8
	v_and_b32_e32 v8, s8, v8
	v_lshrrev_b32_e32 v1, 3, v1
	v_and_b32_e32 v10, 1, v8
	v_lshlrev_b32_e32 v13, 30, v8
	v_lshlrev_b32_e32 v15, 29, v8
	v_lshlrev_b32_e32 v16, 28, v8
	v_lshlrev_b32_e32 v18, 27, v8
	v_add_co_u32 v10, s1, v10, -1
	v_cndmask_b32_e64 v17, 0, 1, s1
	v_not_b32_e32 v21, v13
	v_cmp_gt_i32_e64 s1, 0, v13
	v_not_b32_e32 v13, v15
	v_lshlrev_b32_e32 v19, 26, v8
	v_cmp_ne_u32_e32 vcc_lo, 0, v17
	v_ashrrev_i32_e32 v21, 31, v21
	v_lshlrev_b32_e32 v20, 25, v8
	v_ashrrev_i32_e32 v13, 31, v13
	v_lshlrev_b32_e32 v17, 24, v8
	v_xor_b32_e32 v10, vcc_lo, v10
	v_cmp_gt_i32_e32 vcc_lo, 0, v15
	v_not_b32_e32 v15, v16
	v_xor_b32_e32 v21, s1, v21
	v_cmp_gt_i32_e64 s1, 0, v16
	v_and_b32_e32 v10, exec_lo, v10
	v_not_b32_e32 v16, v18
	v_ashrrev_i32_e32 v15, 31, v15
	v_xor_b32_e32 v13, vcc_lo, v13
	v_cmp_gt_i32_e32 vcc_lo, 0, v18
	v_and_b32_e32 v10, v10, v21
	v_not_b32_e32 v18, v19
	v_ashrrev_i32_e32 v16, 31, v16
	v_xor_b32_e32 v15, s1, v15
	v_cmp_gt_i32_e64 s1, 0, v19
	v_and_b32_e32 v10, v10, v13
	v_not_b32_e32 v13, v20
	v_ashrrev_i32_e32 v18, 31, v18
	v_xor_b32_e32 v16, vcc_lo, v16
	v_cmp_gt_i32_e32 vcc_lo, 0, v20
	v_and_b32_e32 v10, v10, v15
	v_not_b32_e32 v15, v17
	v_ashrrev_i32_e32 v13, 31, v13
	v_xor_b32_e32 v18, s1, v18
	v_cmp_gt_i32_e64 s1, 0, v17
	v_and_b32_e32 v10, v10, v16
	v_ashrrev_i32_e32 v15, 31, v15
	v_xor_b32_e32 v16, vcc_lo, v13
	v_mul_lo_u32 v8, 0x84, v8
	v_mul_u32_u24_e32 v13, 36, v0
	v_and_b32_e32 v10, v10, v18
	v_xor_b32_e32 v2, s1, v15
	v_and_b32_e32 v1, 0x1ffffffc, v1
	ds_write2_b32 v13, v14, v14 offset0:32 offset1:33
	v_and_b32_e32 v10, v10, v16
	ds_write2_b32 v13, v14, v14 offset0:34 offset1:35
	ds_write2_b32 v13, v14, v14 offset0:36 offset1:37
	;; [unrolled: 1-line block ×3, first 2 shown]
	ds_write_b32 v13, v14 offset:160
	v_add_nc_u32_e32 v14, v1, v8
	s_waitcnt vmcnt(0) lgkmcnt(0)
	s_waitcnt_vscnt null, 0x0
	v_and_b32_e32 v2, v10, v2
	s_barrier
	buffer_gl0_inv
	; wave barrier
	v_mbcnt_lo_u32_b32 v12, v2, 0
	v_cmp_ne_u32_e64 s1, 0, v2
	v_cmp_eq_u32_e32 vcc_lo, 0, v12
	s_and_b32 s2, s1, vcc_lo
	s_and_saveexec_b32 s1, s2
; %bb.66:
	v_bcnt_u32_b32 v2, v2, 0
	ds_write_b32 v14, v2 offset:128
; %bb.67:
	s_or_b32 exec_lo, exec_lo, s1
	v_cmp_lt_i32_e32 vcc_lo, -1, v7
	; wave barrier
	v_cndmask_b32_e64 v2, -1, 0x80000000, vcc_lo
	v_xor_b32_e32 v10, v2, v7
	v_cmp_ne_u32_e32 vcc_lo, 0x7fffffff, v10
	v_cndmask_b32_e32 v2, 0x80000000, v10, vcc_lo
	v_lshrrev_b32_e32 v2, s20, v2
	v_and_b32_e32 v2, s8, v2
	v_and_b32_e32 v8, 1, v2
	v_lshlrev_b32_e32 v15, 30, v2
	v_lshlrev_b32_e32 v16, 29, v2
	;; [unrolled: 1-line block ×4, first 2 shown]
	v_add_co_u32 v8, s1, v8, -1
	v_cndmask_b32_e64 v18, 0, 1, s1
	v_not_b32_e32 v22, v15
	v_cmp_gt_i32_e64 s1, 0, v15
	v_not_b32_e32 v15, v16
	v_lshlrev_b32_e32 v20, 26, v2
	v_cmp_ne_u32_e32 vcc_lo, 0, v18
	v_ashrrev_i32_e32 v18, 31, v22
	v_lshlrev_b32_e32 v21, 25, v2
	v_ashrrev_i32_e32 v15, 31, v15
	v_mul_lo_u32 v7, 0x84, v2
	v_xor_b32_e32 v8, vcc_lo, v8
	v_cmp_gt_i32_e32 vcc_lo, 0, v16
	v_not_b32_e32 v16, v17
	v_xor_b32_e32 v18, s1, v18
	v_cmp_gt_i32_e64 s1, 0, v17
	v_and_b32_e32 v8, exec_lo, v8
	v_not_b32_e32 v17, v19
	v_ashrrev_i32_e32 v16, 31, v16
	v_xor_b32_e32 v15, vcc_lo, v15
	v_cmp_gt_i32_e32 vcc_lo, 0, v19
	v_and_b32_e32 v8, v8, v18
	v_not_b32_e32 v18, v20
	v_ashrrev_i32_e32 v17, 31, v17
	v_xor_b32_e32 v16, s1, v16
	v_lshlrev_b32_e32 v2, 24, v2
	v_and_b32_e32 v8, v8, v15
	v_cmp_gt_i32_e64 s1, 0, v20
	v_not_b32_e32 v15, v21
	v_ashrrev_i32_e32 v18, 31, v18
	v_xor_b32_e32 v17, vcc_lo, v17
	v_and_b32_e32 v8, v8, v16
	v_cmp_gt_i32_e32 vcc_lo, 0, v21
	v_not_b32_e32 v16, v2
	v_ashrrev_i32_e32 v15, 31, v15
	v_xor_b32_e32 v18, s1, v18
	v_and_b32_e32 v8, v8, v17
	v_cmp_gt_i32_e64 s1, 0, v2
	v_ashrrev_i32_e32 v2, 31, v16
	v_xor_b32_e32 v15, vcc_lo, v15
	v_and_b32_e32 v8, v8, v18
	v_add_nc_u32_e32 v18, v1, v7
	v_xor_b32_e32 v2, s1, v2
	v_and_b32_e32 v7, v8, v15
	ds_read_b32 v16, v18 offset:128
	; wave barrier
	v_and_b32_e32 v2, v7, v2
	v_mbcnt_lo_u32_b32 v17, v2, 0
	v_cmp_ne_u32_e64 s1, 0, v2
	v_cmp_eq_u32_e32 vcc_lo, 0, v17
	s_and_b32 s2, s1, vcc_lo
	s_and_saveexec_b32 s1, s2
	s_cbranch_execz .LBB585_69
; %bb.68:
	s_waitcnt lgkmcnt(0)
	v_bcnt_u32_b32 v2, v2, v16
	ds_write_b32 v18, v2 offset:128
.LBB585_69:
	s_or_b32 exec_lo, exec_lo, s1
	v_cmp_lt_i32_e32 vcc_lo, -1, v6
	; wave barrier
	v_cndmask_b32_e64 v2, -1, 0x80000000, vcc_lo
	v_xor_b32_e32 v15, v2, v6
	v_cmp_ne_u32_e32 vcc_lo, 0x7fffffff, v15
	v_cndmask_b32_e32 v2, 0x80000000, v15, vcc_lo
	v_lshrrev_b32_e32 v2, s20, v2
	v_and_b32_e32 v2, s8, v2
	v_and_b32_e32 v7, 1, v2
	v_lshlrev_b32_e32 v8, 30, v2
	v_lshlrev_b32_e32 v19, 29, v2
	v_lshlrev_b32_e32 v20, 28, v2
	v_lshlrev_b32_e32 v22, 27, v2
	v_add_co_u32 v7, s1, v7, -1
	v_cndmask_b32_e64 v21, 0, 1, s1
	v_not_b32_e32 v25, v8
	v_cmp_gt_i32_e64 s1, 0, v8
	v_not_b32_e32 v8, v19
	v_lshlrev_b32_e32 v23, 26, v2
	v_cmp_ne_u32_e32 vcc_lo, 0, v21
	v_ashrrev_i32_e32 v21, 31, v25
	v_lshlrev_b32_e32 v24, 25, v2
	v_ashrrev_i32_e32 v8, 31, v8
	v_mul_lo_u32 v6, 0x84, v2
	v_xor_b32_e32 v7, vcc_lo, v7
	v_cmp_gt_i32_e32 vcc_lo, 0, v19
	v_not_b32_e32 v19, v20
	v_xor_b32_e32 v21, s1, v21
	v_cmp_gt_i32_e64 s1, 0, v20
	v_and_b32_e32 v7, exec_lo, v7
	v_not_b32_e32 v20, v22
	v_ashrrev_i32_e32 v19, 31, v19
	v_xor_b32_e32 v8, vcc_lo, v8
	v_cmp_gt_i32_e32 vcc_lo, 0, v22
	v_and_b32_e32 v7, v7, v21
	v_not_b32_e32 v21, v23
	v_ashrrev_i32_e32 v20, 31, v20
	v_xor_b32_e32 v19, s1, v19
	v_lshlrev_b32_e32 v2, 24, v2
	v_and_b32_e32 v7, v7, v8
	v_cmp_gt_i32_e64 s1, 0, v23
	v_not_b32_e32 v8, v24
	v_ashrrev_i32_e32 v21, 31, v21
	v_xor_b32_e32 v20, vcc_lo, v20
	v_and_b32_e32 v7, v7, v19
	v_cmp_gt_i32_e32 vcc_lo, 0, v24
	v_not_b32_e32 v19, v2
	v_ashrrev_i32_e32 v8, 31, v8
	v_xor_b32_e32 v21, s1, v21
	v_and_b32_e32 v7, v7, v20
	v_cmp_gt_i32_e64 s1, 0, v2
	v_ashrrev_i32_e32 v2, 31, v19
	v_xor_b32_e32 v8, vcc_lo, v8
	v_add_nc_u32_e32 v22, v1, v6
	v_and_b32_e32 v7, v7, v21
	v_xor_b32_e32 v2, s1, v2
	ds_read_b32 v19, v22 offset:128
	v_and_b32_e32 v6, v7, v8
	; wave barrier
	v_and_b32_e32 v2, v6, v2
	v_mbcnt_lo_u32_b32 v21, v2, 0
	v_cmp_ne_u32_e64 s1, 0, v2
	v_cmp_eq_u32_e32 vcc_lo, 0, v21
	s_and_b32 s2, s1, vcc_lo
	s_and_saveexec_b32 s1, s2
	s_cbranch_execz .LBB585_71
; %bb.70:
	s_waitcnt lgkmcnt(0)
	v_bcnt_u32_b32 v2, v2, v19
	ds_write_b32 v22, v2 offset:128
.LBB585_71:
	s_or_b32 exec_lo, exec_lo, s1
	v_cmp_lt_i32_e32 vcc_lo, -1, v5
	; wave barrier
	v_cndmask_b32_e64 v2, -1, 0x80000000, vcc_lo
	v_xor_b32_e32 v20, v2, v5
	v_cmp_ne_u32_e32 vcc_lo, 0x7fffffff, v20
	v_cndmask_b32_e32 v2, 0x80000000, v20, vcc_lo
	v_lshrrev_b32_e32 v2, s20, v2
	v_and_b32_e32 v2, s8, v2
	v_and_b32_e32 v6, 1, v2
	v_lshlrev_b32_e32 v7, 30, v2
	v_lshlrev_b32_e32 v8, 29, v2
	;; [unrolled: 1-line block ×4, first 2 shown]
	v_add_co_u32 v6, s1, v6, -1
	v_cndmask_b32_e64 v24, 0, 1, s1
	v_not_b32_e32 v28, v7
	v_cmp_gt_i32_e64 s1, 0, v7
	v_not_b32_e32 v7, v8
	v_lshlrev_b32_e32 v26, 26, v2
	v_cmp_ne_u32_e32 vcc_lo, 0, v24
	v_ashrrev_i32_e32 v24, 31, v28
	v_lshlrev_b32_e32 v27, 25, v2
	v_ashrrev_i32_e32 v7, 31, v7
	v_mul_lo_u32 v5, 0x84, v2
	v_xor_b32_e32 v6, vcc_lo, v6
	v_cmp_gt_i32_e32 vcc_lo, 0, v8
	v_not_b32_e32 v8, v23
	v_xor_b32_e32 v24, s1, v24
	v_cmp_gt_i32_e64 s1, 0, v23
	v_and_b32_e32 v6, exec_lo, v6
	v_not_b32_e32 v23, v25
	v_ashrrev_i32_e32 v8, 31, v8
	v_xor_b32_e32 v7, vcc_lo, v7
	v_cmp_gt_i32_e32 vcc_lo, 0, v25
	v_and_b32_e32 v6, v6, v24
	v_not_b32_e32 v24, v26
	v_ashrrev_i32_e32 v23, 31, v23
	v_xor_b32_e32 v8, s1, v8
	v_lshlrev_b32_e32 v2, 24, v2
	v_and_b32_e32 v6, v6, v7
	v_cmp_gt_i32_e64 s1, 0, v26
	v_not_b32_e32 v7, v27
	v_ashrrev_i32_e32 v24, 31, v24
	v_xor_b32_e32 v23, vcc_lo, v23
	v_and_b32_e32 v6, v6, v8
	v_cmp_gt_i32_e32 vcc_lo, 0, v27
	v_not_b32_e32 v8, v2
	v_ashrrev_i32_e32 v7, 31, v7
	v_xor_b32_e32 v24, s1, v24
	v_and_b32_e32 v6, v6, v23
	v_cmp_gt_i32_e64 s1, 0, v2
	v_ashrrev_i32_e32 v2, 31, v8
	v_xor_b32_e32 v7, vcc_lo, v7
	v_add_nc_u32_e32 v27, v1, v5
	v_and_b32_e32 v6, v6, v24
	v_xor_b32_e32 v2, s1, v2
	ds_read_b32 v24, v27 offset:128
	v_and_b32_e32 v5, v6, v7
	; wave barrier
	v_and_b32_e32 v2, v5, v2
	v_mbcnt_lo_u32_b32 v26, v2, 0
	v_cmp_ne_u32_e64 s1, 0, v2
	v_cmp_eq_u32_e32 vcc_lo, 0, v26
	s_and_b32 s2, s1, vcc_lo
	s_and_saveexec_b32 s1, s2
	s_cbranch_execz .LBB585_73
; %bb.72:
	s_waitcnt lgkmcnt(0)
	v_bcnt_u32_b32 v2, v2, v24
	ds_write_b32 v27, v2 offset:128
.LBB585_73:
	s_or_b32 exec_lo, exec_lo, s1
	v_cmp_lt_i32_e32 vcc_lo, -1, v4
	; wave barrier
	v_cndmask_b32_e64 v2, -1, 0x80000000, vcc_lo
	v_xor_b32_e32 v25, v2, v4
	v_cmp_ne_u32_e32 vcc_lo, 0x7fffffff, v25
	v_cndmask_b32_e32 v2, 0x80000000, v25, vcc_lo
	v_lshrrev_b32_e32 v2, s20, v2
	v_and_b32_e32 v2, s8, v2
	v_and_b32_e32 v5, 1, v2
	v_lshlrev_b32_e32 v6, 30, v2
	v_lshlrev_b32_e32 v7, 29, v2
	;; [unrolled: 1-line block ×4, first 2 shown]
	v_add_co_u32 v5, s1, v5, -1
	v_cndmask_b32_e64 v23, 0, 1, s1
	v_not_b32_e32 v31, v6
	v_cmp_gt_i32_e64 s1, 0, v6
	v_not_b32_e32 v6, v7
	v_lshlrev_b32_e32 v29, 26, v2
	v_cmp_ne_u32_e32 vcc_lo, 0, v23
	v_ashrrev_i32_e32 v23, 31, v31
	v_lshlrev_b32_e32 v30, 25, v2
	v_ashrrev_i32_e32 v6, 31, v6
	v_mul_lo_u32 v4, 0x84, v2
	v_xor_b32_e32 v5, vcc_lo, v5
	v_cmp_gt_i32_e32 vcc_lo, 0, v7
	v_not_b32_e32 v7, v8
	v_xor_b32_e32 v23, s1, v23
	v_cmp_gt_i32_e64 s1, 0, v8
	v_and_b32_e32 v5, exec_lo, v5
	v_not_b32_e32 v8, v28
	v_ashrrev_i32_e32 v7, 31, v7
	v_xor_b32_e32 v6, vcc_lo, v6
	v_cmp_gt_i32_e32 vcc_lo, 0, v28
	v_and_b32_e32 v5, v5, v23
	v_not_b32_e32 v23, v29
	v_ashrrev_i32_e32 v8, 31, v8
	v_xor_b32_e32 v7, s1, v7
	v_lshlrev_b32_e32 v2, 24, v2
	v_and_b32_e32 v5, v5, v6
	v_cmp_gt_i32_e64 s1, 0, v29
	v_not_b32_e32 v6, v30
	v_ashrrev_i32_e32 v23, 31, v23
	v_xor_b32_e32 v8, vcc_lo, v8
	v_and_b32_e32 v5, v5, v7
	v_cmp_gt_i32_e32 vcc_lo, 0, v30
	v_not_b32_e32 v7, v2
	v_ashrrev_i32_e32 v6, 31, v6
	v_xor_b32_e32 v23, s1, v23
	v_and_b32_e32 v5, v5, v8
	v_cmp_gt_i32_e64 s1, 0, v2
	v_ashrrev_i32_e32 v2, 31, v7
	v_xor_b32_e32 v6, vcc_lo, v6
	v_add_nc_u32_e32 v31, v1, v4
	v_and_b32_e32 v5, v5, v23
	v_xor_b32_e32 v2, s1, v2
	ds_read_b32 v28, v31 offset:128
	v_and_b32_e32 v4, v5, v6
	; wave barrier
	v_and_b32_e32 v2, v4, v2
	v_mbcnt_lo_u32_b32 v29, v2, 0
	v_cmp_ne_u32_e64 s1, 0, v2
	v_cmp_eq_u32_e32 vcc_lo, 0, v29
	s_and_b32 s2, s1, vcc_lo
	s_and_saveexec_b32 s1, s2
	s_cbranch_execz .LBB585_75
; %bb.74:
	s_waitcnt lgkmcnt(0)
	v_bcnt_u32_b32 v2, v2, v28
	ds_write_b32 v31, v2 offset:128
.LBB585_75:
	s_or_b32 exec_lo, exec_lo, s1
	v_cmp_lt_i32_e32 vcc_lo, -1, v3
	; wave barrier
	v_cndmask_b32_e64 v2, -1, 0x80000000, vcc_lo
	v_xor_b32_e32 v30, v2, v3
	v_cmp_ne_u32_e32 vcc_lo, 0x7fffffff, v30
	v_cndmask_b32_e32 v2, 0x80000000, v30, vcc_lo
	v_lshrrev_b32_e32 v2, s20, v2
	v_and_b32_e32 v2, s8, v2
	v_and_b32_e32 v4, 1, v2
	v_lshlrev_b32_e32 v5, 30, v2
	v_lshlrev_b32_e32 v6, 29, v2
	;; [unrolled: 1-line block ×4, first 2 shown]
	v_add_co_u32 v4, s1, v4, -1
	v_cndmask_b32_e64 v8, 0, 1, s1
	v_not_b32_e32 v34, v5
	v_cmp_gt_i32_e64 s1, 0, v5
	v_not_b32_e32 v5, v6
	v_lshlrev_b32_e32 v32, 26, v2
	v_cmp_ne_u32_e32 vcc_lo, 0, v8
	v_ashrrev_i32_e32 v8, 31, v34
	v_lshlrev_b32_e32 v33, 25, v2
	v_ashrrev_i32_e32 v5, 31, v5
	v_mul_lo_u32 v3, 0x84, v2
	v_xor_b32_e32 v4, vcc_lo, v4
	v_cmp_gt_i32_e32 vcc_lo, 0, v6
	v_not_b32_e32 v6, v7
	v_xor_b32_e32 v8, s1, v8
	v_cmp_gt_i32_e64 s1, 0, v7
	v_and_b32_e32 v4, exec_lo, v4
	v_not_b32_e32 v7, v23
	v_ashrrev_i32_e32 v6, 31, v6
	v_xor_b32_e32 v5, vcc_lo, v5
	v_cmp_gt_i32_e32 vcc_lo, 0, v23
	v_and_b32_e32 v4, v4, v8
	v_not_b32_e32 v8, v32
	v_ashrrev_i32_e32 v7, 31, v7
	v_xor_b32_e32 v6, s1, v6
	v_lshlrev_b32_e32 v2, 24, v2
	v_and_b32_e32 v4, v4, v5
	v_cmp_gt_i32_e64 s1, 0, v32
	v_not_b32_e32 v5, v33
	v_ashrrev_i32_e32 v8, 31, v8
	v_xor_b32_e32 v7, vcc_lo, v7
	v_and_b32_e32 v4, v4, v6
	v_cmp_gt_i32_e32 vcc_lo, 0, v33
	v_not_b32_e32 v6, v2
	v_ashrrev_i32_e32 v5, 31, v5
	v_xor_b32_e32 v8, s1, v8
	v_and_b32_e32 v4, v4, v7
	v_cmp_gt_i32_e64 s1, 0, v2
	v_ashrrev_i32_e32 v2, 31, v6
	v_xor_b32_e32 v5, vcc_lo, v5
	v_add_nc_u32_e32 v34, v1, v3
	v_and_b32_e32 v4, v4, v8
	v_xor_b32_e32 v1, s1, v2
	ds_read_b32 v32, v34 offset:128
	v_and_b32_e32 v2, v4, v5
	; wave barrier
	v_and_b32_e32 v1, v2, v1
	v_mbcnt_lo_u32_b32 v33, v1, 0
	v_cmp_ne_u32_e64 s1, 0, v1
	v_cmp_eq_u32_e32 vcc_lo, 0, v33
	s_and_b32 s2, s1, vcc_lo
	s_and_saveexec_b32 s1, s2
	s_cbranch_execz .LBB585_77
; %bb.76:
	s_waitcnt lgkmcnt(0)
	v_bcnt_u32_b32 v1, v1, v32
	ds_write_b32 v34, v1 offset:128
.LBB585_77:
	s_or_b32 exec_lo, exec_lo, s1
	; wave barrier
	s_waitcnt lgkmcnt(0)
	s_barrier
	buffer_gl0_inv
	ds_read2_b32 v[7:8], v13 offset0:32 offset1:33
	ds_read2_b32 v[5:6], v13 offset0:34 offset1:35
	;; [unrolled: 1-line block ×4, first 2 shown]
	ds_read_b32 v23, v13 offset:160
	v_and_b32_e32 v37, 16, v11
	v_and_b32_e32 v38, 31, v0
	s_mov_b32 s6, exec_lo
	v_cmp_eq_u32_e64 s4, 0, v37
	s_waitcnt lgkmcnt(3)
	v_add3_u32 v35, v8, v7, v5
	s_waitcnt lgkmcnt(2)
	v_add3_u32 v35, v35, v6, v3
	;; [unrolled: 2-line block ×4, first 2 shown]
	v_and_b32_e32 v35, 15, v11
	v_mov_b32_dpp v36, v23 row_shr:1 row_mask:0xf bank_mask:0xf
	v_cmp_eq_u32_e32 vcc_lo, 0, v35
	v_cmp_lt_u32_e64 s1, 1, v35
	v_cmp_lt_u32_e64 s2, 3, v35
	;; [unrolled: 1-line block ×3, first 2 shown]
	v_cndmask_b32_e64 v36, v36, 0, vcc_lo
	v_add_nc_u32_e32 v23, v36, v23
	v_mov_b32_dpp v36, v23 row_shr:2 row_mask:0xf bank_mask:0xf
	v_cndmask_b32_e64 v36, 0, v36, s1
	v_add_nc_u32_e32 v23, v23, v36
	v_mov_b32_dpp v36, v23 row_shr:4 row_mask:0xf bank_mask:0xf
	v_cndmask_b32_e64 v36, 0, v36, s2
	;; [unrolled: 3-line block ×3, first 2 shown]
	v_bfe_i32 v36, v11, 4, 1
	v_add_nc_u32_e32 v23, v23, v35
	ds_swizzle_b32 v35, v23 offset:swizzle(BROADCAST,32,15)
	s_waitcnt lgkmcnt(0)
	v_and_b32_e32 v35, v36, v35
	v_lshrrev_b32_e32 v36, 5, v0
	v_add_nc_u32_e32 v35, v23, v35
	v_cmpx_eq_u32_e32 31, v38
; %bb.78:
	v_lshlrev_b32_e32 v23, 2, v36
	ds_write_b32 v23, v35
; %bb.79:
	s_or_b32 exec_lo, exec_lo, s6
	v_cmp_lt_u32_e64 s5, 31, v0
	v_lshlrev_b32_e32 v23, 2, v0
	s_mov_b32 s9, exec_lo
	s_waitcnt lgkmcnt(0)
	s_barrier
	buffer_gl0_inv
	v_cmpx_gt_u32_e32 32, v0
	s_cbranch_execz .LBB585_81
; %bb.80:
	ds_read_b32 v37, v23
	s_waitcnt lgkmcnt(0)
	v_mov_b32_dpp v38, v37 row_shr:1 row_mask:0xf bank_mask:0xf
	v_cndmask_b32_e64 v38, v38, 0, vcc_lo
	v_add_nc_u32_e32 v37, v38, v37
	v_mov_b32_dpp v38, v37 row_shr:2 row_mask:0xf bank_mask:0xf
	v_cndmask_b32_e64 v38, 0, v38, s1
	v_add_nc_u32_e32 v37, v37, v38
	v_mov_b32_dpp v38, v37 row_shr:4 row_mask:0xf bank_mask:0xf
	v_cndmask_b32_e64 v38, 0, v38, s2
	;; [unrolled: 3-line block ×3, first 2 shown]
	v_add_nc_u32_e32 v37, v37, v38
	ds_swizzle_b32 v38, v37 offset:swizzle(BROADCAST,32,15)
	s_waitcnt lgkmcnt(0)
	v_cndmask_b32_e64 v38, v38, 0, s4
	v_add_nc_u32_e32 v37, v37, v38
	ds_write_b32 v23, v37
.LBB585_81:
	s_or_b32 exec_lo, exec_lo, s9
	v_mov_b32_e32 v37, 0
	s_waitcnt lgkmcnt(0)
	s_barrier
	buffer_gl0_inv
	s_and_saveexec_b32 s1, s5
; %bb.82:
	v_lshl_add_u32 v36, v36, 2, -4
	ds_read_b32 v37, v36
; %bb.83:
	s_or_b32 exec_lo, exec_lo, s1
	v_sub_co_u32 v36, vcc_lo, v11, 1
	s_waitcnt lgkmcnt(0)
	v_add_nc_u32_e32 v35, v37, v35
	v_cmp_gt_i32_e64 s1, 0, v36
	v_cndmask_b32_e64 v11, v36, v11, s1
	v_lshlrev_b32_e32 v11, 2, v11
	ds_bpermute_b32 v11, v11, v35
	s_waitcnt lgkmcnt(0)
	v_cndmask_b32_e32 v11, v11, v37, vcc_lo
	v_cmp_lt_u32_e32 vcc_lo, 0xff, v0
	v_cndmask_b32_e64 v11, v11, 0, s0
	v_cmp_gt_u32_e64 s0, 0x100, v0
	v_add_nc_u32_e32 v7, v11, v7
	v_add_nc_u32_e32 v8, v7, v8
	v_add_nc_u32_e32 v5, v8, v5
	v_add_nc_u32_e32 v6, v5, v6
	v_add_nc_u32_e32 v3, v6, v3
	v_add_nc_u32_e32 v4, v3, v4
	v_add_nc_u32_e32 v1, v4, v1
	v_add_nc_u32_e32 v2, v1, v2
	ds_write2_b32 v13, v11, v7 offset0:32 offset1:33
	ds_write2_b32 v13, v8, v5 offset0:34 offset1:35
	;; [unrolled: 1-line block ×4, first 2 shown]
	ds_write_b32 v13, v2 offset:160
	s_waitcnt lgkmcnt(0)
	s_barrier
	buffer_gl0_inv
	ds_read_b32 v5, v14 offset:128
	ds_read_b32 v6, v18 offset:128
	;; [unrolled: 1-line block ×6, first 2 shown]
                                        ; implicit-def: $vgpr7
                                        ; implicit-def: $vgpr8
	s_and_saveexec_b32 s2, s0
	s_cbranch_execz .LBB585_87
; %bb.84:
	v_mul_u32_u24_e32 v7, 0x84, v0
	v_add_nc_u32_e32 v11, 1, v0
	v_mov_b32_e32 v8, 0x1800
	s_mov_b32 s3, exec_lo
	ds_read_b32 v7, v7 offset:128
	v_cmpx_ne_u32_e32 0x100, v11
; %bb.85:
	v_mul_u32_u24_e32 v8, 0x84, v11
	ds_read_b32 v8, v8 offset:128
; %bb.86:
	s_or_b32 exec_lo, exec_lo, s3
	s_waitcnt lgkmcnt(0)
	v_sub_nc_u32_e32 v8, v8, v7
.LBB585_87:
	s_or_b32 exec_lo, exec_lo, s2
	v_lshlrev_b32_e32 v11, 2, v12
	s_waitcnt lgkmcnt(4)
	v_lshlrev_b32_e32 v6, 2, v6
	v_lshlrev_b32_e32 v12, 2, v17
	;; [unrolled: 1-line block ×3, first 2 shown]
	s_waitcnt lgkmcnt(0)
	v_lshl_add_u32 v5, v5, 2, v11
	s_barrier
	buffer_gl0_inv
	v_lshlrev_b32_e32 v4, 2, v4
	v_add3_u32 v6, v6, v12, v13
	ds_write_b32 v5, v9 offset:1024
	v_lshlrev_b32_e32 v5, 2, v21
	v_lshlrev_b32_e32 v9, 2, v19
	;; [unrolled: 1-line block ×11, first 2 shown]
	v_add3_u32 v4, v4, v5, v9
	v_add3_u32 v5, v2, v13, v14
	v_mov_b32_e32 v2, 0
	v_add3_u32 v3, v3, v11, v12
	v_add3_u32 v1, v1, v16, v17
	ds_write_b32 v6, v10 offset:1024
	ds_write_b32 v4, v15 offset:1024
	;; [unrolled: 1-line block ×5, first 2 shown]
	s_and_saveexec_b32 s1, s0
	s_cbranch_execz .LBB585_97
; %bb.88:
	v_lshl_add_u32 v1, s23, 8, v0
	v_mov_b32_e32 v9, 0
	s_mov_b32 s2, 0
	s_mov_b32 s3, s23
	v_lshlrev_b64 v[3:4], 2, v[1:2]
	v_or_b32_e32 v1, 2.0, v8
	v_add_co_u32 v3, s0, s10, v3
	v_add_co_ci_u32_e64 v4, null, s11, v4, s0
                                        ; implicit-def: $sgpr0
	global_store_dword v[3:4], v1, off
	s_branch .LBB585_91
	.p2align	6
.LBB585_89:                             ;   in Loop: Header=BB585_91 Depth=1
	s_or_b32 exec_lo, exec_lo, s5
.LBB585_90:                             ;   in Loop: Header=BB585_91 Depth=1
	s_or_b32 exec_lo, exec_lo, s4
	v_and_b32_e32 v5, 0x3fffffff, v1
	v_cmp_gt_i32_e64 s0, -2.0, v1
	v_add_nc_u32_e32 v9, v5, v9
	s_and_b32 s4, exec_lo, s0
	s_or_b32 s2, s4, s2
	s_andn2_b32 exec_lo, exec_lo, s2
	s_cbranch_execz .LBB585_96
.LBB585_91:                             ; =>This Loop Header: Depth=1
                                        ;     Child Loop BB585_94 Depth 2
	s_or_b32 s0, s0, exec_lo
	s_cmp_eq_u32 s3, 0
	s_cbranch_scc1 .LBB585_95
; %bb.92:                               ;   in Loop: Header=BB585_91 Depth=1
	s_add_i32 s3, s3, -1
	s_mov_b32 s4, exec_lo
	v_lshl_or_b32 v1, s3, 8, v0
	v_lshlrev_b64 v[5:6], 2, v[1:2]
	v_add_co_u32 v5, s0, s10, v5
	v_add_co_ci_u32_e64 v6, null, s11, v6, s0
	global_load_dword v1, v[5:6], off glc dlc
	s_waitcnt vmcnt(0)
	v_cmpx_gt_u32_e32 2.0, v1
	s_cbranch_execz .LBB585_90
; %bb.93:                               ;   in Loop: Header=BB585_91 Depth=1
	s_mov_b32 s5, 0
.LBB585_94:                             ;   Parent Loop BB585_91 Depth=1
                                        ; =>  This Inner Loop Header: Depth=2
	global_load_dword v1, v[5:6], off glc dlc
	s_waitcnt vmcnt(0)
	v_cmp_lt_u32_e64 s0, 0x3fffffff, v1
	s_or_b32 s5, s0, s5
	s_andn2_b32 exec_lo, exec_lo, s5
	s_cbranch_execnz .LBB585_94
	s_branch .LBB585_89
.LBB585_95:                             ;   in Loop: Header=BB585_91 Depth=1
                                        ; implicit-def: $sgpr3
	s_and_b32 s4, exec_lo, s0
	s_or_b32 s2, s4, s2
	s_andn2_b32 exec_lo, exec_lo, s2
	s_cbranch_execnz .LBB585_91
.LBB585_96:
	s_or_b32 exec_lo, exec_lo, s2
	v_add_nc_u32_e32 v1, v9, v8
	v_sub_nc_u32_e32 v2, v9, v7
	v_or_b32_e32 v1, 0x80000000, v1
	global_store_dword v[3:4], v1, off
	global_load_dword v1, v23, s[12:13]
	s_waitcnt vmcnt(0)
	v_add_nc_u32_e32 v1, v2, v1
	ds_write_b32 v23, v1
.LBB585_97:
	s_or_b32 exec_lo, exec_lo, s1
	s_waitcnt lgkmcnt(0)
	s_waitcnt_vscnt null, 0x0
	s_barrier
	buffer_gl0_inv
	ds_read2st64_b32 v[1:2], v23 offset0:4 offset1:20
	ds_read2st64_b32 v[3:4], v23 offset0:36 offset1:52
	;; [unrolled: 1-line block ×3, first 2 shown]
	v_mov_b32_e32 v10, 0
	s_add_i32 s7, s7, -1
	s_cmp_eq_u32 s23, s7
	s_waitcnt lgkmcnt(2)
	v_cmp_ne_u32_e64 s0, 0x7fffffff, v1
	v_cndmask_b32_e64 v9, 0x80000000, v1, s0
	v_cmp_lt_i32_e64 s0, -1, v1
	v_lshrrev_b32_e32 v9, s20, v9
	v_cndmask_b32_e64 v11, 0x80000000, -1, s0
	v_cmp_ne_u32_e64 s0, 0x7fffffff, v2
	v_and_b32_e32 v9, s8, v9
	v_xor_b32_e32 v24, v11, v1
	v_cndmask_b32_e64 v12, 0x80000000, v2, s0
	v_cmp_lt_i32_e64 s0, -1, v2
	v_lshlrev_b32_e32 v9, 2, v9
	v_lshrrev_b32_e32 v12, s20, v12
	v_cndmask_b32_e64 v13, 0x80000000, -1, s0
	s_waitcnt lgkmcnt(1)
	v_cmp_ne_u32_e64 s0, 0x7fffffff, v3
	ds_read_b32 v9, v9
	v_and_b32_e32 v12, s8, v12
	v_cndmask_b32_e64 v14, 0x80000000, v3, s0
	v_cmp_ne_u32_e64 s0, 0x7fffffff, v4
	v_lshlrev_b32_e32 v12, 2, v12
	v_lshrrev_b32_e32 v14, s20, v14
	v_cndmask_b32_e64 v15, 0x80000000, v4, s0
	s_waitcnt lgkmcnt(1)
	v_cmp_ne_u32_e64 s0, 0x7fffffff, v5
	ds_read_b32 v18, v12
	v_and_b32_e32 v14, s8, v14
	v_lshrrev_b32_e32 v15, s20, v15
	v_cndmask_b32_e64 v16, 0x80000000, v5, s0
	v_cmp_ne_u32_e64 s0, 0x7fffffff, v6
	v_lshlrev_b32_e32 v12, 2, v14
	v_and_b32_e32 v15, s8, v15
	v_lshrrev_b32_e32 v16, s20, v16
	v_cndmask_b32_e64 v17, 0x80000000, v6, s0
	v_cmp_lt_i32_e64 s0, -1, v3
	ds_read_b32 v19, v12
	v_lshlrev_b32_e32 v15, 2, v15
	v_and_b32_e32 v16, s8, v16
	v_lshrrev_b32_e32 v17, s20, v17
	v_cndmask_b32_e64 v14, 0x80000000, -1, s0
	v_cmp_lt_i32_e64 s0, -1, v4
	s_waitcnt lgkmcnt(2)
	v_add_nc_u32_e32 v9, v9, v0
	v_lshlrev_b32_e32 v16, 2, v16
	v_and_b32_e32 v17, s8, v17
	v_xor_b32_e32 v25, v14, v3
	v_lshlrev_b32_e32 v12, 2, v17
	ds_read_b32 v15, v15
	ds_read_b32 v16, v16
	;; [unrolled: 1-line block ×3, first 2 shown]
	v_cndmask_b32_e64 v17, 0x80000000, -1, s0
	v_cmp_lt_i32_e64 s0, -1, v5
	v_lshlrev_b64 v[11:12], 2, v[9:10]
	s_waitcnt lgkmcnt(4)
	v_add3_u32 v9, v18, v0, 0x400
	v_xor_b32_e32 v18, v13, v2
	v_xor_b32_e32 v17, v17, v4
	v_cndmask_b32_e64 v21, 0x80000000, -1, s0
	v_cmp_lt_i32_e64 s0, -1, v6
	v_lshlrev_b64 v[1:2], 2, v[9:10]
	s_waitcnt lgkmcnt(3)
	v_add3_u32 v9, v19, v0, 0x800
	v_xor_b32_e32 v5, v21, v5
	v_cndmask_b32_e64 v22, 0x80000000, -1, s0
	v_add_co_u32 v3, s0, s18, v11
	v_add_co_ci_u32_e64 v4, null, s19, v12, s0
	v_lshlrev_b64 v[11:12], 2, v[9:10]
	s_waitcnt lgkmcnt(2)
	v_add3_u32 v9, v15, v0, 0xc00
	v_add_co_u32 v1, s0, s18, v1
	v_add_co_ci_u32_e64 v2, null, s19, v2, s0
	v_lshlrev_b64 v[13:14], 2, v[9:10]
	s_waitcnt lgkmcnt(1)
	v_add3_u32 v9, v16, v0, 0x1000
	;; [unrolled: 5-line block ×3, first 2 shown]
	global_store_dword v[3:4], v24, off
	global_store_dword v[1:2], v18, off
	;; [unrolled: 1-line block ×3, first 2 shown]
	v_add_co_u32 v13, s0, s18, v13
	v_add_co_ci_u32_e64 v14, null, s19, v14, s0
	v_lshlrev_b64 v[0:1], 2, v[9:10]
	v_add_co_u32 v2, s0, s18, v15
	v_add_co_ci_u32_e64 v3, null, s19, v16, s0
	v_xor_b32_e32 v4, v22, v6
	v_add_co_u32 v0, s0, s18, v0
	v_add_co_ci_u32_e64 v1, null, s19, v1, s0
	s_cselect_b32 s0, -1, 0
	s_xor_b32 s1, vcc_lo, -1
	global_store_dword v[13:14], v17, off
	s_and_b32 s0, s1, s0
	global_store_dword v[2:3], v5, off
	global_store_dword v[0:1], v4, off
	s_and_saveexec_b32 s1, s0
	s_cbranch_execz .LBB585_99
; %bb.98:
	ds_read_b32 v0, v23
	s_waitcnt lgkmcnt(0)
	v_add3_u32 v0, v7, v8, v0
	global_store_dword v23, v0, s[14:15]
.LBB585_99:
	s_endpgm
	.section	.rodata,"a",@progbits
	.p2align	6, 0x0
	.amdhsa_kernel _ZN7rocprim17ROCPRIM_400000_NS6detail17trampoline_kernelINS0_14default_configENS1_35radix_sort_onesweep_config_selectorIfNS0_10empty_typeEEEZZNS1_29radix_sort_onesweep_iterationIS3_Lb0EN6thrust23THRUST_200600_302600_NS6detail15normal_iteratorINS9_10device_ptrIfEEEESE_PS5_SF_jNS0_19identity_decomposerENS1_16block_id_wrapperIjLb1EEEEE10hipError_tT1_PNSt15iterator_traitsISK_E10value_typeET2_T3_PNSL_ISQ_E10value_typeET4_T5_PSV_SW_PNS1_23onesweep_lookback_stateEbbT6_jjT7_P12ihipStream_tbENKUlT_T0_SK_SP_E_clIPfSE_SF_SF_EEDaS13_S14_SK_SP_EUlS13_E_NS1_11comp_targetILNS1_3genE8ELNS1_11target_archE1030ELNS1_3gpuE2ELNS1_3repE0EEENS1_47radix_sort_onesweep_sort_config_static_selectorELNS0_4arch9wavefront6targetE0EEEvSK_
		.amdhsa_group_segment_fixed_size 37000
		.amdhsa_private_segment_fixed_size 0
		.amdhsa_kernarg_size 344
		.amdhsa_user_sgpr_count 6
		.amdhsa_user_sgpr_private_segment_buffer 1
		.amdhsa_user_sgpr_dispatch_ptr 0
		.amdhsa_user_sgpr_queue_ptr 0
		.amdhsa_user_sgpr_kernarg_segment_ptr 1
		.amdhsa_user_sgpr_dispatch_id 0
		.amdhsa_user_sgpr_flat_scratch_init 0
		.amdhsa_user_sgpr_private_segment_size 0
		.amdhsa_wavefront_size32 1
		.amdhsa_uses_dynamic_stack 0
		.amdhsa_system_sgpr_private_segment_wavefront_offset 0
		.amdhsa_system_sgpr_workgroup_id_x 1
		.amdhsa_system_sgpr_workgroup_id_y 0
		.amdhsa_system_sgpr_workgroup_id_z 0
		.amdhsa_system_sgpr_workgroup_info 0
		.amdhsa_system_vgpr_workitem_id 2
		.amdhsa_next_free_vgpr 42
		.amdhsa_next_free_sgpr 28
		.amdhsa_reserve_vcc 1
		.amdhsa_reserve_flat_scratch 0
		.amdhsa_float_round_mode_32 0
		.amdhsa_float_round_mode_16_64 0
		.amdhsa_float_denorm_mode_32 3
		.amdhsa_float_denorm_mode_16_64 3
		.amdhsa_dx10_clamp 1
		.amdhsa_ieee_mode 1
		.amdhsa_fp16_overflow 0
		.amdhsa_workgroup_processor_mode 1
		.amdhsa_memory_ordered 1
		.amdhsa_forward_progress 1
		.amdhsa_shared_vgpr_count 0
		.amdhsa_exception_fp_ieee_invalid_op 0
		.amdhsa_exception_fp_denorm_src 0
		.amdhsa_exception_fp_ieee_div_zero 0
		.amdhsa_exception_fp_ieee_overflow 0
		.amdhsa_exception_fp_ieee_underflow 0
		.amdhsa_exception_fp_ieee_inexact 0
		.amdhsa_exception_int_div_zero 0
	.end_amdhsa_kernel
	.section	.text._ZN7rocprim17ROCPRIM_400000_NS6detail17trampoline_kernelINS0_14default_configENS1_35radix_sort_onesweep_config_selectorIfNS0_10empty_typeEEEZZNS1_29radix_sort_onesweep_iterationIS3_Lb0EN6thrust23THRUST_200600_302600_NS6detail15normal_iteratorINS9_10device_ptrIfEEEESE_PS5_SF_jNS0_19identity_decomposerENS1_16block_id_wrapperIjLb1EEEEE10hipError_tT1_PNSt15iterator_traitsISK_E10value_typeET2_T3_PNSL_ISQ_E10value_typeET4_T5_PSV_SW_PNS1_23onesweep_lookback_stateEbbT6_jjT7_P12ihipStream_tbENKUlT_T0_SK_SP_E_clIPfSE_SF_SF_EEDaS13_S14_SK_SP_EUlS13_E_NS1_11comp_targetILNS1_3genE8ELNS1_11target_archE1030ELNS1_3gpuE2ELNS1_3repE0EEENS1_47radix_sort_onesweep_sort_config_static_selectorELNS0_4arch9wavefront6targetE0EEEvSK_,"axG",@progbits,_ZN7rocprim17ROCPRIM_400000_NS6detail17trampoline_kernelINS0_14default_configENS1_35radix_sort_onesweep_config_selectorIfNS0_10empty_typeEEEZZNS1_29radix_sort_onesweep_iterationIS3_Lb0EN6thrust23THRUST_200600_302600_NS6detail15normal_iteratorINS9_10device_ptrIfEEEESE_PS5_SF_jNS0_19identity_decomposerENS1_16block_id_wrapperIjLb1EEEEE10hipError_tT1_PNSt15iterator_traitsISK_E10value_typeET2_T3_PNSL_ISQ_E10value_typeET4_T5_PSV_SW_PNS1_23onesweep_lookback_stateEbbT6_jjT7_P12ihipStream_tbENKUlT_T0_SK_SP_E_clIPfSE_SF_SF_EEDaS13_S14_SK_SP_EUlS13_E_NS1_11comp_targetILNS1_3genE8ELNS1_11target_archE1030ELNS1_3gpuE2ELNS1_3repE0EEENS1_47radix_sort_onesweep_sort_config_static_selectorELNS0_4arch9wavefront6targetE0EEEvSK_,comdat
.Lfunc_end585:
	.size	_ZN7rocprim17ROCPRIM_400000_NS6detail17trampoline_kernelINS0_14default_configENS1_35radix_sort_onesweep_config_selectorIfNS0_10empty_typeEEEZZNS1_29radix_sort_onesweep_iterationIS3_Lb0EN6thrust23THRUST_200600_302600_NS6detail15normal_iteratorINS9_10device_ptrIfEEEESE_PS5_SF_jNS0_19identity_decomposerENS1_16block_id_wrapperIjLb1EEEEE10hipError_tT1_PNSt15iterator_traitsISK_E10value_typeET2_T3_PNSL_ISQ_E10value_typeET4_T5_PSV_SW_PNS1_23onesweep_lookback_stateEbbT6_jjT7_P12ihipStream_tbENKUlT_T0_SK_SP_E_clIPfSE_SF_SF_EEDaS13_S14_SK_SP_EUlS13_E_NS1_11comp_targetILNS1_3genE8ELNS1_11target_archE1030ELNS1_3gpuE2ELNS1_3repE0EEENS1_47radix_sort_onesweep_sort_config_static_selectorELNS0_4arch9wavefront6targetE0EEEvSK_, .Lfunc_end585-_ZN7rocprim17ROCPRIM_400000_NS6detail17trampoline_kernelINS0_14default_configENS1_35radix_sort_onesweep_config_selectorIfNS0_10empty_typeEEEZZNS1_29radix_sort_onesweep_iterationIS3_Lb0EN6thrust23THRUST_200600_302600_NS6detail15normal_iteratorINS9_10device_ptrIfEEEESE_PS5_SF_jNS0_19identity_decomposerENS1_16block_id_wrapperIjLb1EEEEE10hipError_tT1_PNSt15iterator_traitsISK_E10value_typeET2_T3_PNSL_ISQ_E10value_typeET4_T5_PSV_SW_PNS1_23onesweep_lookback_stateEbbT6_jjT7_P12ihipStream_tbENKUlT_T0_SK_SP_E_clIPfSE_SF_SF_EEDaS13_S14_SK_SP_EUlS13_E_NS1_11comp_targetILNS1_3genE8ELNS1_11target_archE1030ELNS1_3gpuE2ELNS1_3repE0EEENS1_47radix_sort_onesweep_sort_config_static_selectorELNS0_4arch9wavefront6targetE0EEEvSK_
                                        ; -- End function
	.set _ZN7rocprim17ROCPRIM_400000_NS6detail17trampoline_kernelINS0_14default_configENS1_35radix_sort_onesweep_config_selectorIfNS0_10empty_typeEEEZZNS1_29radix_sort_onesweep_iterationIS3_Lb0EN6thrust23THRUST_200600_302600_NS6detail15normal_iteratorINS9_10device_ptrIfEEEESE_PS5_SF_jNS0_19identity_decomposerENS1_16block_id_wrapperIjLb1EEEEE10hipError_tT1_PNSt15iterator_traitsISK_E10value_typeET2_T3_PNSL_ISQ_E10value_typeET4_T5_PSV_SW_PNS1_23onesweep_lookback_stateEbbT6_jjT7_P12ihipStream_tbENKUlT_T0_SK_SP_E_clIPfSE_SF_SF_EEDaS13_S14_SK_SP_EUlS13_E_NS1_11comp_targetILNS1_3genE8ELNS1_11target_archE1030ELNS1_3gpuE2ELNS1_3repE0EEENS1_47radix_sort_onesweep_sort_config_static_selectorELNS0_4arch9wavefront6targetE0EEEvSK_.num_vgpr, 42
	.set _ZN7rocprim17ROCPRIM_400000_NS6detail17trampoline_kernelINS0_14default_configENS1_35radix_sort_onesweep_config_selectorIfNS0_10empty_typeEEEZZNS1_29radix_sort_onesweep_iterationIS3_Lb0EN6thrust23THRUST_200600_302600_NS6detail15normal_iteratorINS9_10device_ptrIfEEEESE_PS5_SF_jNS0_19identity_decomposerENS1_16block_id_wrapperIjLb1EEEEE10hipError_tT1_PNSt15iterator_traitsISK_E10value_typeET2_T3_PNSL_ISQ_E10value_typeET4_T5_PSV_SW_PNS1_23onesweep_lookback_stateEbbT6_jjT7_P12ihipStream_tbENKUlT_T0_SK_SP_E_clIPfSE_SF_SF_EEDaS13_S14_SK_SP_EUlS13_E_NS1_11comp_targetILNS1_3genE8ELNS1_11target_archE1030ELNS1_3gpuE2ELNS1_3repE0EEENS1_47radix_sort_onesweep_sort_config_static_selectorELNS0_4arch9wavefront6targetE0EEEvSK_.num_agpr, 0
	.set _ZN7rocprim17ROCPRIM_400000_NS6detail17trampoline_kernelINS0_14default_configENS1_35radix_sort_onesweep_config_selectorIfNS0_10empty_typeEEEZZNS1_29radix_sort_onesweep_iterationIS3_Lb0EN6thrust23THRUST_200600_302600_NS6detail15normal_iteratorINS9_10device_ptrIfEEEESE_PS5_SF_jNS0_19identity_decomposerENS1_16block_id_wrapperIjLb1EEEEE10hipError_tT1_PNSt15iterator_traitsISK_E10value_typeET2_T3_PNSL_ISQ_E10value_typeET4_T5_PSV_SW_PNS1_23onesweep_lookback_stateEbbT6_jjT7_P12ihipStream_tbENKUlT_T0_SK_SP_E_clIPfSE_SF_SF_EEDaS13_S14_SK_SP_EUlS13_E_NS1_11comp_targetILNS1_3genE8ELNS1_11target_archE1030ELNS1_3gpuE2ELNS1_3repE0EEENS1_47radix_sort_onesweep_sort_config_static_selectorELNS0_4arch9wavefront6targetE0EEEvSK_.numbered_sgpr, 28
	.set _ZN7rocprim17ROCPRIM_400000_NS6detail17trampoline_kernelINS0_14default_configENS1_35radix_sort_onesweep_config_selectorIfNS0_10empty_typeEEEZZNS1_29radix_sort_onesweep_iterationIS3_Lb0EN6thrust23THRUST_200600_302600_NS6detail15normal_iteratorINS9_10device_ptrIfEEEESE_PS5_SF_jNS0_19identity_decomposerENS1_16block_id_wrapperIjLb1EEEEE10hipError_tT1_PNSt15iterator_traitsISK_E10value_typeET2_T3_PNSL_ISQ_E10value_typeET4_T5_PSV_SW_PNS1_23onesweep_lookback_stateEbbT6_jjT7_P12ihipStream_tbENKUlT_T0_SK_SP_E_clIPfSE_SF_SF_EEDaS13_S14_SK_SP_EUlS13_E_NS1_11comp_targetILNS1_3genE8ELNS1_11target_archE1030ELNS1_3gpuE2ELNS1_3repE0EEENS1_47radix_sort_onesweep_sort_config_static_selectorELNS0_4arch9wavefront6targetE0EEEvSK_.num_named_barrier, 0
	.set _ZN7rocprim17ROCPRIM_400000_NS6detail17trampoline_kernelINS0_14default_configENS1_35radix_sort_onesweep_config_selectorIfNS0_10empty_typeEEEZZNS1_29radix_sort_onesweep_iterationIS3_Lb0EN6thrust23THRUST_200600_302600_NS6detail15normal_iteratorINS9_10device_ptrIfEEEESE_PS5_SF_jNS0_19identity_decomposerENS1_16block_id_wrapperIjLb1EEEEE10hipError_tT1_PNSt15iterator_traitsISK_E10value_typeET2_T3_PNSL_ISQ_E10value_typeET4_T5_PSV_SW_PNS1_23onesweep_lookback_stateEbbT6_jjT7_P12ihipStream_tbENKUlT_T0_SK_SP_E_clIPfSE_SF_SF_EEDaS13_S14_SK_SP_EUlS13_E_NS1_11comp_targetILNS1_3genE8ELNS1_11target_archE1030ELNS1_3gpuE2ELNS1_3repE0EEENS1_47radix_sort_onesweep_sort_config_static_selectorELNS0_4arch9wavefront6targetE0EEEvSK_.private_seg_size, 0
	.set _ZN7rocprim17ROCPRIM_400000_NS6detail17trampoline_kernelINS0_14default_configENS1_35radix_sort_onesweep_config_selectorIfNS0_10empty_typeEEEZZNS1_29radix_sort_onesweep_iterationIS3_Lb0EN6thrust23THRUST_200600_302600_NS6detail15normal_iteratorINS9_10device_ptrIfEEEESE_PS5_SF_jNS0_19identity_decomposerENS1_16block_id_wrapperIjLb1EEEEE10hipError_tT1_PNSt15iterator_traitsISK_E10value_typeET2_T3_PNSL_ISQ_E10value_typeET4_T5_PSV_SW_PNS1_23onesweep_lookback_stateEbbT6_jjT7_P12ihipStream_tbENKUlT_T0_SK_SP_E_clIPfSE_SF_SF_EEDaS13_S14_SK_SP_EUlS13_E_NS1_11comp_targetILNS1_3genE8ELNS1_11target_archE1030ELNS1_3gpuE2ELNS1_3repE0EEENS1_47radix_sort_onesweep_sort_config_static_selectorELNS0_4arch9wavefront6targetE0EEEvSK_.uses_vcc, 1
	.set _ZN7rocprim17ROCPRIM_400000_NS6detail17trampoline_kernelINS0_14default_configENS1_35radix_sort_onesweep_config_selectorIfNS0_10empty_typeEEEZZNS1_29radix_sort_onesweep_iterationIS3_Lb0EN6thrust23THRUST_200600_302600_NS6detail15normal_iteratorINS9_10device_ptrIfEEEESE_PS5_SF_jNS0_19identity_decomposerENS1_16block_id_wrapperIjLb1EEEEE10hipError_tT1_PNSt15iterator_traitsISK_E10value_typeET2_T3_PNSL_ISQ_E10value_typeET4_T5_PSV_SW_PNS1_23onesweep_lookback_stateEbbT6_jjT7_P12ihipStream_tbENKUlT_T0_SK_SP_E_clIPfSE_SF_SF_EEDaS13_S14_SK_SP_EUlS13_E_NS1_11comp_targetILNS1_3genE8ELNS1_11target_archE1030ELNS1_3gpuE2ELNS1_3repE0EEENS1_47radix_sort_onesweep_sort_config_static_selectorELNS0_4arch9wavefront6targetE0EEEvSK_.uses_flat_scratch, 0
	.set _ZN7rocprim17ROCPRIM_400000_NS6detail17trampoline_kernelINS0_14default_configENS1_35radix_sort_onesweep_config_selectorIfNS0_10empty_typeEEEZZNS1_29radix_sort_onesweep_iterationIS3_Lb0EN6thrust23THRUST_200600_302600_NS6detail15normal_iteratorINS9_10device_ptrIfEEEESE_PS5_SF_jNS0_19identity_decomposerENS1_16block_id_wrapperIjLb1EEEEE10hipError_tT1_PNSt15iterator_traitsISK_E10value_typeET2_T3_PNSL_ISQ_E10value_typeET4_T5_PSV_SW_PNS1_23onesweep_lookback_stateEbbT6_jjT7_P12ihipStream_tbENKUlT_T0_SK_SP_E_clIPfSE_SF_SF_EEDaS13_S14_SK_SP_EUlS13_E_NS1_11comp_targetILNS1_3genE8ELNS1_11target_archE1030ELNS1_3gpuE2ELNS1_3repE0EEENS1_47radix_sort_onesweep_sort_config_static_selectorELNS0_4arch9wavefront6targetE0EEEvSK_.has_dyn_sized_stack, 0
	.set _ZN7rocprim17ROCPRIM_400000_NS6detail17trampoline_kernelINS0_14default_configENS1_35radix_sort_onesweep_config_selectorIfNS0_10empty_typeEEEZZNS1_29radix_sort_onesweep_iterationIS3_Lb0EN6thrust23THRUST_200600_302600_NS6detail15normal_iteratorINS9_10device_ptrIfEEEESE_PS5_SF_jNS0_19identity_decomposerENS1_16block_id_wrapperIjLb1EEEEE10hipError_tT1_PNSt15iterator_traitsISK_E10value_typeET2_T3_PNSL_ISQ_E10value_typeET4_T5_PSV_SW_PNS1_23onesweep_lookback_stateEbbT6_jjT7_P12ihipStream_tbENKUlT_T0_SK_SP_E_clIPfSE_SF_SF_EEDaS13_S14_SK_SP_EUlS13_E_NS1_11comp_targetILNS1_3genE8ELNS1_11target_archE1030ELNS1_3gpuE2ELNS1_3repE0EEENS1_47radix_sort_onesweep_sort_config_static_selectorELNS0_4arch9wavefront6targetE0EEEvSK_.has_recursion, 0
	.set _ZN7rocprim17ROCPRIM_400000_NS6detail17trampoline_kernelINS0_14default_configENS1_35radix_sort_onesweep_config_selectorIfNS0_10empty_typeEEEZZNS1_29radix_sort_onesweep_iterationIS3_Lb0EN6thrust23THRUST_200600_302600_NS6detail15normal_iteratorINS9_10device_ptrIfEEEESE_PS5_SF_jNS0_19identity_decomposerENS1_16block_id_wrapperIjLb1EEEEE10hipError_tT1_PNSt15iterator_traitsISK_E10value_typeET2_T3_PNSL_ISQ_E10value_typeET4_T5_PSV_SW_PNS1_23onesweep_lookback_stateEbbT6_jjT7_P12ihipStream_tbENKUlT_T0_SK_SP_E_clIPfSE_SF_SF_EEDaS13_S14_SK_SP_EUlS13_E_NS1_11comp_targetILNS1_3genE8ELNS1_11target_archE1030ELNS1_3gpuE2ELNS1_3repE0EEENS1_47radix_sort_onesweep_sort_config_static_selectorELNS0_4arch9wavefront6targetE0EEEvSK_.has_indirect_call, 0
	.section	.AMDGPU.csdata,"",@progbits
; Kernel info:
; codeLenInByte = 9488
; TotalNumSgprs: 30
; NumVgprs: 42
; ScratchSize: 0
; MemoryBound: 0
; FloatMode: 240
; IeeeMode: 1
; LDSByteSize: 37000 bytes/workgroup (compile time only)
; SGPRBlocks: 0
; VGPRBlocks: 5
; NumSGPRsForWavesPerEU: 30
; NumVGPRsForWavesPerEU: 42
; Occupancy: 16
; WaveLimiterHint : 1
; COMPUTE_PGM_RSRC2:SCRATCH_EN: 0
; COMPUTE_PGM_RSRC2:USER_SGPR: 6
; COMPUTE_PGM_RSRC2:TRAP_HANDLER: 0
; COMPUTE_PGM_RSRC2:TGID_X_EN: 1
; COMPUTE_PGM_RSRC2:TGID_Y_EN: 0
; COMPUTE_PGM_RSRC2:TGID_Z_EN: 0
; COMPUTE_PGM_RSRC2:TIDIG_COMP_CNT: 2
	.section	.text._ZN7rocprim17ROCPRIM_400000_NS6detail17trampoline_kernelINS0_14default_configENS1_35radix_sort_onesweep_config_selectorIfNS0_10empty_typeEEEZZNS1_29radix_sort_onesweep_iterationIS3_Lb0EN6thrust23THRUST_200600_302600_NS6detail15normal_iteratorINS9_10device_ptrIfEEEESE_PS5_SF_jNS0_19identity_decomposerENS1_16block_id_wrapperIjLb0EEEEE10hipError_tT1_PNSt15iterator_traitsISK_E10value_typeET2_T3_PNSL_ISQ_E10value_typeET4_T5_PSV_SW_PNS1_23onesweep_lookback_stateEbbT6_jjT7_P12ihipStream_tbENKUlT_T0_SK_SP_E_clISE_SE_SF_SF_EEDaS13_S14_SK_SP_EUlS13_E_NS1_11comp_targetILNS1_3genE0ELNS1_11target_archE4294967295ELNS1_3gpuE0ELNS1_3repE0EEENS1_47radix_sort_onesweep_sort_config_static_selectorELNS0_4arch9wavefront6targetE0EEEvSK_,"axG",@progbits,_ZN7rocprim17ROCPRIM_400000_NS6detail17trampoline_kernelINS0_14default_configENS1_35radix_sort_onesweep_config_selectorIfNS0_10empty_typeEEEZZNS1_29radix_sort_onesweep_iterationIS3_Lb0EN6thrust23THRUST_200600_302600_NS6detail15normal_iteratorINS9_10device_ptrIfEEEESE_PS5_SF_jNS0_19identity_decomposerENS1_16block_id_wrapperIjLb0EEEEE10hipError_tT1_PNSt15iterator_traitsISK_E10value_typeET2_T3_PNSL_ISQ_E10value_typeET4_T5_PSV_SW_PNS1_23onesweep_lookback_stateEbbT6_jjT7_P12ihipStream_tbENKUlT_T0_SK_SP_E_clISE_SE_SF_SF_EEDaS13_S14_SK_SP_EUlS13_E_NS1_11comp_targetILNS1_3genE0ELNS1_11target_archE4294967295ELNS1_3gpuE0ELNS1_3repE0EEENS1_47radix_sort_onesweep_sort_config_static_selectorELNS0_4arch9wavefront6targetE0EEEvSK_,comdat
	.protected	_ZN7rocprim17ROCPRIM_400000_NS6detail17trampoline_kernelINS0_14default_configENS1_35radix_sort_onesweep_config_selectorIfNS0_10empty_typeEEEZZNS1_29radix_sort_onesweep_iterationIS3_Lb0EN6thrust23THRUST_200600_302600_NS6detail15normal_iteratorINS9_10device_ptrIfEEEESE_PS5_SF_jNS0_19identity_decomposerENS1_16block_id_wrapperIjLb0EEEEE10hipError_tT1_PNSt15iterator_traitsISK_E10value_typeET2_T3_PNSL_ISQ_E10value_typeET4_T5_PSV_SW_PNS1_23onesweep_lookback_stateEbbT6_jjT7_P12ihipStream_tbENKUlT_T0_SK_SP_E_clISE_SE_SF_SF_EEDaS13_S14_SK_SP_EUlS13_E_NS1_11comp_targetILNS1_3genE0ELNS1_11target_archE4294967295ELNS1_3gpuE0ELNS1_3repE0EEENS1_47radix_sort_onesweep_sort_config_static_selectorELNS0_4arch9wavefront6targetE0EEEvSK_ ; -- Begin function _ZN7rocprim17ROCPRIM_400000_NS6detail17trampoline_kernelINS0_14default_configENS1_35radix_sort_onesweep_config_selectorIfNS0_10empty_typeEEEZZNS1_29radix_sort_onesweep_iterationIS3_Lb0EN6thrust23THRUST_200600_302600_NS6detail15normal_iteratorINS9_10device_ptrIfEEEESE_PS5_SF_jNS0_19identity_decomposerENS1_16block_id_wrapperIjLb0EEEEE10hipError_tT1_PNSt15iterator_traitsISK_E10value_typeET2_T3_PNSL_ISQ_E10value_typeET4_T5_PSV_SW_PNS1_23onesweep_lookback_stateEbbT6_jjT7_P12ihipStream_tbENKUlT_T0_SK_SP_E_clISE_SE_SF_SF_EEDaS13_S14_SK_SP_EUlS13_E_NS1_11comp_targetILNS1_3genE0ELNS1_11target_archE4294967295ELNS1_3gpuE0ELNS1_3repE0EEENS1_47radix_sort_onesweep_sort_config_static_selectorELNS0_4arch9wavefront6targetE0EEEvSK_
	.globl	_ZN7rocprim17ROCPRIM_400000_NS6detail17trampoline_kernelINS0_14default_configENS1_35radix_sort_onesweep_config_selectorIfNS0_10empty_typeEEEZZNS1_29radix_sort_onesweep_iterationIS3_Lb0EN6thrust23THRUST_200600_302600_NS6detail15normal_iteratorINS9_10device_ptrIfEEEESE_PS5_SF_jNS0_19identity_decomposerENS1_16block_id_wrapperIjLb0EEEEE10hipError_tT1_PNSt15iterator_traitsISK_E10value_typeET2_T3_PNSL_ISQ_E10value_typeET4_T5_PSV_SW_PNS1_23onesweep_lookback_stateEbbT6_jjT7_P12ihipStream_tbENKUlT_T0_SK_SP_E_clISE_SE_SF_SF_EEDaS13_S14_SK_SP_EUlS13_E_NS1_11comp_targetILNS1_3genE0ELNS1_11target_archE4294967295ELNS1_3gpuE0ELNS1_3repE0EEENS1_47radix_sort_onesweep_sort_config_static_selectorELNS0_4arch9wavefront6targetE0EEEvSK_
	.p2align	8
	.type	_ZN7rocprim17ROCPRIM_400000_NS6detail17trampoline_kernelINS0_14default_configENS1_35radix_sort_onesweep_config_selectorIfNS0_10empty_typeEEEZZNS1_29radix_sort_onesweep_iterationIS3_Lb0EN6thrust23THRUST_200600_302600_NS6detail15normal_iteratorINS9_10device_ptrIfEEEESE_PS5_SF_jNS0_19identity_decomposerENS1_16block_id_wrapperIjLb0EEEEE10hipError_tT1_PNSt15iterator_traitsISK_E10value_typeET2_T3_PNSL_ISQ_E10value_typeET4_T5_PSV_SW_PNS1_23onesweep_lookback_stateEbbT6_jjT7_P12ihipStream_tbENKUlT_T0_SK_SP_E_clISE_SE_SF_SF_EEDaS13_S14_SK_SP_EUlS13_E_NS1_11comp_targetILNS1_3genE0ELNS1_11target_archE4294967295ELNS1_3gpuE0ELNS1_3repE0EEENS1_47radix_sort_onesweep_sort_config_static_selectorELNS0_4arch9wavefront6targetE0EEEvSK_,@function
_ZN7rocprim17ROCPRIM_400000_NS6detail17trampoline_kernelINS0_14default_configENS1_35radix_sort_onesweep_config_selectorIfNS0_10empty_typeEEEZZNS1_29radix_sort_onesweep_iterationIS3_Lb0EN6thrust23THRUST_200600_302600_NS6detail15normal_iteratorINS9_10device_ptrIfEEEESE_PS5_SF_jNS0_19identity_decomposerENS1_16block_id_wrapperIjLb0EEEEE10hipError_tT1_PNSt15iterator_traitsISK_E10value_typeET2_T3_PNSL_ISQ_E10value_typeET4_T5_PSV_SW_PNS1_23onesweep_lookback_stateEbbT6_jjT7_P12ihipStream_tbENKUlT_T0_SK_SP_E_clISE_SE_SF_SF_EEDaS13_S14_SK_SP_EUlS13_E_NS1_11comp_targetILNS1_3genE0ELNS1_11target_archE4294967295ELNS1_3gpuE0ELNS1_3repE0EEENS1_47radix_sort_onesweep_sort_config_static_selectorELNS0_4arch9wavefront6targetE0EEEvSK_: ; @_ZN7rocprim17ROCPRIM_400000_NS6detail17trampoline_kernelINS0_14default_configENS1_35radix_sort_onesweep_config_selectorIfNS0_10empty_typeEEEZZNS1_29radix_sort_onesweep_iterationIS3_Lb0EN6thrust23THRUST_200600_302600_NS6detail15normal_iteratorINS9_10device_ptrIfEEEESE_PS5_SF_jNS0_19identity_decomposerENS1_16block_id_wrapperIjLb0EEEEE10hipError_tT1_PNSt15iterator_traitsISK_E10value_typeET2_T3_PNSL_ISQ_E10value_typeET4_T5_PSV_SW_PNS1_23onesweep_lookback_stateEbbT6_jjT7_P12ihipStream_tbENKUlT_T0_SK_SP_E_clISE_SE_SF_SF_EEDaS13_S14_SK_SP_EUlS13_E_NS1_11comp_targetILNS1_3genE0ELNS1_11target_archE4294967295ELNS1_3gpuE0ELNS1_3repE0EEENS1_47radix_sort_onesweep_sort_config_static_selectorELNS0_4arch9wavefront6targetE0EEEvSK_
; %bb.0:
	.section	.rodata,"a",@progbits
	.p2align	6, 0x0
	.amdhsa_kernel _ZN7rocprim17ROCPRIM_400000_NS6detail17trampoline_kernelINS0_14default_configENS1_35radix_sort_onesweep_config_selectorIfNS0_10empty_typeEEEZZNS1_29radix_sort_onesweep_iterationIS3_Lb0EN6thrust23THRUST_200600_302600_NS6detail15normal_iteratorINS9_10device_ptrIfEEEESE_PS5_SF_jNS0_19identity_decomposerENS1_16block_id_wrapperIjLb0EEEEE10hipError_tT1_PNSt15iterator_traitsISK_E10value_typeET2_T3_PNSL_ISQ_E10value_typeET4_T5_PSV_SW_PNS1_23onesweep_lookback_stateEbbT6_jjT7_P12ihipStream_tbENKUlT_T0_SK_SP_E_clISE_SE_SF_SF_EEDaS13_S14_SK_SP_EUlS13_E_NS1_11comp_targetILNS1_3genE0ELNS1_11target_archE4294967295ELNS1_3gpuE0ELNS1_3repE0EEENS1_47radix_sort_onesweep_sort_config_static_selectorELNS0_4arch9wavefront6targetE0EEEvSK_
		.amdhsa_group_segment_fixed_size 0
		.amdhsa_private_segment_fixed_size 0
		.amdhsa_kernarg_size 88
		.amdhsa_user_sgpr_count 6
		.amdhsa_user_sgpr_private_segment_buffer 1
		.amdhsa_user_sgpr_dispatch_ptr 0
		.amdhsa_user_sgpr_queue_ptr 0
		.amdhsa_user_sgpr_kernarg_segment_ptr 1
		.amdhsa_user_sgpr_dispatch_id 0
		.amdhsa_user_sgpr_flat_scratch_init 0
		.amdhsa_user_sgpr_private_segment_size 0
		.amdhsa_wavefront_size32 1
		.amdhsa_uses_dynamic_stack 0
		.amdhsa_system_sgpr_private_segment_wavefront_offset 0
		.amdhsa_system_sgpr_workgroup_id_x 1
		.amdhsa_system_sgpr_workgroup_id_y 0
		.amdhsa_system_sgpr_workgroup_id_z 0
		.amdhsa_system_sgpr_workgroup_info 0
		.amdhsa_system_vgpr_workitem_id 0
		.amdhsa_next_free_vgpr 1
		.amdhsa_next_free_sgpr 1
		.amdhsa_reserve_vcc 0
		.amdhsa_reserve_flat_scratch 0
		.amdhsa_float_round_mode_32 0
		.amdhsa_float_round_mode_16_64 0
		.amdhsa_float_denorm_mode_32 3
		.amdhsa_float_denorm_mode_16_64 3
		.amdhsa_dx10_clamp 1
		.amdhsa_ieee_mode 1
		.amdhsa_fp16_overflow 0
		.amdhsa_workgroup_processor_mode 1
		.amdhsa_memory_ordered 1
		.amdhsa_forward_progress 1
		.amdhsa_shared_vgpr_count 0
		.amdhsa_exception_fp_ieee_invalid_op 0
		.amdhsa_exception_fp_denorm_src 0
		.amdhsa_exception_fp_ieee_div_zero 0
		.amdhsa_exception_fp_ieee_overflow 0
		.amdhsa_exception_fp_ieee_underflow 0
		.amdhsa_exception_fp_ieee_inexact 0
		.amdhsa_exception_int_div_zero 0
	.end_amdhsa_kernel
	.section	.text._ZN7rocprim17ROCPRIM_400000_NS6detail17trampoline_kernelINS0_14default_configENS1_35radix_sort_onesweep_config_selectorIfNS0_10empty_typeEEEZZNS1_29radix_sort_onesweep_iterationIS3_Lb0EN6thrust23THRUST_200600_302600_NS6detail15normal_iteratorINS9_10device_ptrIfEEEESE_PS5_SF_jNS0_19identity_decomposerENS1_16block_id_wrapperIjLb0EEEEE10hipError_tT1_PNSt15iterator_traitsISK_E10value_typeET2_T3_PNSL_ISQ_E10value_typeET4_T5_PSV_SW_PNS1_23onesweep_lookback_stateEbbT6_jjT7_P12ihipStream_tbENKUlT_T0_SK_SP_E_clISE_SE_SF_SF_EEDaS13_S14_SK_SP_EUlS13_E_NS1_11comp_targetILNS1_3genE0ELNS1_11target_archE4294967295ELNS1_3gpuE0ELNS1_3repE0EEENS1_47radix_sort_onesweep_sort_config_static_selectorELNS0_4arch9wavefront6targetE0EEEvSK_,"axG",@progbits,_ZN7rocprim17ROCPRIM_400000_NS6detail17trampoline_kernelINS0_14default_configENS1_35radix_sort_onesweep_config_selectorIfNS0_10empty_typeEEEZZNS1_29radix_sort_onesweep_iterationIS3_Lb0EN6thrust23THRUST_200600_302600_NS6detail15normal_iteratorINS9_10device_ptrIfEEEESE_PS5_SF_jNS0_19identity_decomposerENS1_16block_id_wrapperIjLb0EEEEE10hipError_tT1_PNSt15iterator_traitsISK_E10value_typeET2_T3_PNSL_ISQ_E10value_typeET4_T5_PSV_SW_PNS1_23onesweep_lookback_stateEbbT6_jjT7_P12ihipStream_tbENKUlT_T0_SK_SP_E_clISE_SE_SF_SF_EEDaS13_S14_SK_SP_EUlS13_E_NS1_11comp_targetILNS1_3genE0ELNS1_11target_archE4294967295ELNS1_3gpuE0ELNS1_3repE0EEENS1_47radix_sort_onesweep_sort_config_static_selectorELNS0_4arch9wavefront6targetE0EEEvSK_,comdat
.Lfunc_end586:
	.size	_ZN7rocprim17ROCPRIM_400000_NS6detail17trampoline_kernelINS0_14default_configENS1_35radix_sort_onesweep_config_selectorIfNS0_10empty_typeEEEZZNS1_29radix_sort_onesweep_iterationIS3_Lb0EN6thrust23THRUST_200600_302600_NS6detail15normal_iteratorINS9_10device_ptrIfEEEESE_PS5_SF_jNS0_19identity_decomposerENS1_16block_id_wrapperIjLb0EEEEE10hipError_tT1_PNSt15iterator_traitsISK_E10value_typeET2_T3_PNSL_ISQ_E10value_typeET4_T5_PSV_SW_PNS1_23onesweep_lookback_stateEbbT6_jjT7_P12ihipStream_tbENKUlT_T0_SK_SP_E_clISE_SE_SF_SF_EEDaS13_S14_SK_SP_EUlS13_E_NS1_11comp_targetILNS1_3genE0ELNS1_11target_archE4294967295ELNS1_3gpuE0ELNS1_3repE0EEENS1_47radix_sort_onesweep_sort_config_static_selectorELNS0_4arch9wavefront6targetE0EEEvSK_, .Lfunc_end586-_ZN7rocprim17ROCPRIM_400000_NS6detail17trampoline_kernelINS0_14default_configENS1_35radix_sort_onesweep_config_selectorIfNS0_10empty_typeEEEZZNS1_29radix_sort_onesweep_iterationIS3_Lb0EN6thrust23THRUST_200600_302600_NS6detail15normal_iteratorINS9_10device_ptrIfEEEESE_PS5_SF_jNS0_19identity_decomposerENS1_16block_id_wrapperIjLb0EEEEE10hipError_tT1_PNSt15iterator_traitsISK_E10value_typeET2_T3_PNSL_ISQ_E10value_typeET4_T5_PSV_SW_PNS1_23onesweep_lookback_stateEbbT6_jjT7_P12ihipStream_tbENKUlT_T0_SK_SP_E_clISE_SE_SF_SF_EEDaS13_S14_SK_SP_EUlS13_E_NS1_11comp_targetILNS1_3genE0ELNS1_11target_archE4294967295ELNS1_3gpuE0ELNS1_3repE0EEENS1_47radix_sort_onesweep_sort_config_static_selectorELNS0_4arch9wavefront6targetE0EEEvSK_
                                        ; -- End function
	.set _ZN7rocprim17ROCPRIM_400000_NS6detail17trampoline_kernelINS0_14default_configENS1_35radix_sort_onesweep_config_selectorIfNS0_10empty_typeEEEZZNS1_29radix_sort_onesweep_iterationIS3_Lb0EN6thrust23THRUST_200600_302600_NS6detail15normal_iteratorINS9_10device_ptrIfEEEESE_PS5_SF_jNS0_19identity_decomposerENS1_16block_id_wrapperIjLb0EEEEE10hipError_tT1_PNSt15iterator_traitsISK_E10value_typeET2_T3_PNSL_ISQ_E10value_typeET4_T5_PSV_SW_PNS1_23onesweep_lookback_stateEbbT6_jjT7_P12ihipStream_tbENKUlT_T0_SK_SP_E_clISE_SE_SF_SF_EEDaS13_S14_SK_SP_EUlS13_E_NS1_11comp_targetILNS1_3genE0ELNS1_11target_archE4294967295ELNS1_3gpuE0ELNS1_3repE0EEENS1_47radix_sort_onesweep_sort_config_static_selectorELNS0_4arch9wavefront6targetE0EEEvSK_.num_vgpr, 0
	.set _ZN7rocprim17ROCPRIM_400000_NS6detail17trampoline_kernelINS0_14default_configENS1_35radix_sort_onesweep_config_selectorIfNS0_10empty_typeEEEZZNS1_29radix_sort_onesweep_iterationIS3_Lb0EN6thrust23THRUST_200600_302600_NS6detail15normal_iteratorINS9_10device_ptrIfEEEESE_PS5_SF_jNS0_19identity_decomposerENS1_16block_id_wrapperIjLb0EEEEE10hipError_tT1_PNSt15iterator_traitsISK_E10value_typeET2_T3_PNSL_ISQ_E10value_typeET4_T5_PSV_SW_PNS1_23onesweep_lookback_stateEbbT6_jjT7_P12ihipStream_tbENKUlT_T0_SK_SP_E_clISE_SE_SF_SF_EEDaS13_S14_SK_SP_EUlS13_E_NS1_11comp_targetILNS1_3genE0ELNS1_11target_archE4294967295ELNS1_3gpuE0ELNS1_3repE0EEENS1_47radix_sort_onesweep_sort_config_static_selectorELNS0_4arch9wavefront6targetE0EEEvSK_.num_agpr, 0
	.set _ZN7rocprim17ROCPRIM_400000_NS6detail17trampoline_kernelINS0_14default_configENS1_35radix_sort_onesweep_config_selectorIfNS0_10empty_typeEEEZZNS1_29radix_sort_onesweep_iterationIS3_Lb0EN6thrust23THRUST_200600_302600_NS6detail15normal_iteratorINS9_10device_ptrIfEEEESE_PS5_SF_jNS0_19identity_decomposerENS1_16block_id_wrapperIjLb0EEEEE10hipError_tT1_PNSt15iterator_traitsISK_E10value_typeET2_T3_PNSL_ISQ_E10value_typeET4_T5_PSV_SW_PNS1_23onesweep_lookback_stateEbbT6_jjT7_P12ihipStream_tbENKUlT_T0_SK_SP_E_clISE_SE_SF_SF_EEDaS13_S14_SK_SP_EUlS13_E_NS1_11comp_targetILNS1_3genE0ELNS1_11target_archE4294967295ELNS1_3gpuE0ELNS1_3repE0EEENS1_47radix_sort_onesweep_sort_config_static_selectorELNS0_4arch9wavefront6targetE0EEEvSK_.numbered_sgpr, 0
	.set _ZN7rocprim17ROCPRIM_400000_NS6detail17trampoline_kernelINS0_14default_configENS1_35radix_sort_onesweep_config_selectorIfNS0_10empty_typeEEEZZNS1_29radix_sort_onesweep_iterationIS3_Lb0EN6thrust23THRUST_200600_302600_NS6detail15normal_iteratorINS9_10device_ptrIfEEEESE_PS5_SF_jNS0_19identity_decomposerENS1_16block_id_wrapperIjLb0EEEEE10hipError_tT1_PNSt15iterator_traitsISK_E10value_typeET2_T3_PNSL_ISQ_E10value_typeET4_T5_PSV_SW_PNS1_23onesweep_lookback_stateEbbT6_jjT7_P12ihipStream_tbENKUlT_T0_SK_SP_E_clISE_SE_SF_SF_EEDaS13_S14_SK_SP_EUlS13_E_NS1_11comp_targetILNS1_3genE0ELNS1_11target_archE4294967295ELNS1_3gpuE0ELNS1_3repE0EEENS1_47radix_sort_onesweep_sort_config_static_selectorELNS0_4arch9wavefront6targetE0EEEvSK_.num_named_barrier, 0
	.set _ZN7rocprim17ROCPRIM_400000_NS6detail17trampoline_kernelINS0_14default_configENS1_35radix_sort_onesweep_config_selectorIfNS0_10empty_typeEEEZZNS1_29radix_sort_onesweep_iterationIS3_Lb0EN6thrust23THRUST_200600_302600_NS6detail15normal_iteratorINS9_10device_ptrIfEEEESE_PS5_SF_jNS0_19identity_decomposerENS1_16block_id_wrapperIjLb0EEEEE10hipError_tT1_PNSt15iterator_traitsISK_E10value_typeET2_T3_PNSL_ISQ_E10value_typeET4_T5_PSV_SW_PNS1_23onesweep_lookback_stateEbbT6_jjT7_P12ihipStream_tbENKUlT_T0_SK_SP_E_clISE_SE_SF_SF_EEDaS13_S14_SK_SP_EUlS13_E_NS1_11comp_targetILNS1_3genE0ELNS1_11target_archE4294967295ELNS1_3gpuE0ELNS1_3repE0EEENS1_47radix_sort_onesweep_sort_config_static_selectorELNS0_4arch9wavefront6targetE0EEEvSK_.private_seg_size, 0
	.set _ZN7rocprim17ROCPRIM_400000_NS6detail17trampoline_kernelINS0_14default_configENS1_35radix_sort_onesweep_config_selectorIfNS0_10empty_typeEEEZZNS1_29radix_sort_onesweep_iterationIS3_Lb0EN6thrust23THRUST_200600_302600_NS6detail15normal_iteratorINS9_10device_ptrIfEEEESE_PS5_SF_jNS0_19identity_decomposerENS1_16block_id_wrapperIjLb0EEEEE10hipError_tT1_PNSt15iterator_traitsISK_E10value_typeET2_T3_PNSL_ISQ_E10value_typeET4_T5_PSV_SW_PNS1_23onesweep_lookback_stateEbbT6_jjT7_P12ihipStream_tbENKUlT_T0_SK_SP_E_clISE_SE_SF_SF_EEDaS13_S14_SK_SP_EUlS13_E_NS1_11comp_targetILNS1_3genE0ELNS1_11target_archE4294967295ELNS1_3gpuE0ELNS1_3repE0EEENS1_47radix_sort_onesweep_sort_config_static_selectorELNS0_4arch9wavefront6targetE0EEEvSK_.uses_vcc, 0
	.set _ZN7rocprim17ROCPRIM_400000_NS6detail17trampoline_kernelINS0_14default_configENS1_35radix_sort_onesweep_config_selectorIfNS0_10empty_typeEEEZZNS1_29radix_sort_onesweep_iterationIS3_Lb0EN6thrust23THRUST_200600_302600_NS6detail15normal_iteratorINS9_10device_ptrIfEEEESE_PS5_SF_jNS0_19identity_decomposerENS1_16block_id_wrapperIjLb0EEEEE10hipError_tT1_PNSt15iterator_traitsISK_E10value_typeET2_T3_PNSL_ISQ_E10value_typeET4_T5_PSV_SW_PNS1_23onesweep_lookback_stateEbbT6_jjT7_P12ihipStream_tbENKUlT_T0_SK_SP_E_clISE_SE_SF_SF_EEDaS13_S14_SK_SP_EUlS13_E_NS1_11comp_targetILNS1_3genE0ELNS1_11target_archE4294967295ELNS1_3gpuE0ELNS1_3repE0EEENS1_47radix_sort_onesweep_sort_config_static_selectorELNS0_4arch9wavefront6targetE0EEEvSK_.uses_flat_scratch, 0
	.set _ZN7rocprim17ROCPRIM_400000_NS6detail17trampoline_kernelINS0_14default_configENS1_35radix_sort_onesweep_config_selectorIfNS0_10empty_typeEEEZZNS1_29radix_sort_onesweep_iterationIS3_Lb0EN6thrust23THRUST_200600_302600_NS6detail15normal_iteratorINS9_10device_ptrIfEEEESE_PS5_SF_jNS0_19identity_decomposerENS1_16block_id_wrapperIjLb0EEEEE10hipError_tT1_PNSt15iterator_traitsISK_E10value_typeET2_T3_PNSL_ISQ_E10value_typeET4_T5_PSV_SW_PNS1_23onesweep_lookback_stateEbbT6_jjT7_P12ihipStream_tbENKUlT_T0_SK_SP_E_clISE_SE_SF_SF_EEDaS13_S14_SK_SP_EUlS13_E_NS1_11comp_targetILNS1_3genE0ELNS1_11target_archE4294967295ELNS1_3gpuE0ELNS1_3repE0EEENS1_47radix_sort_onesweep_sort_config_static_selectorELNS0_4arch9wavefront6targetE0EEEvSK_.has_dyn_sized_stack, 0
	.set _ZN7rocprim17ROCPRIM_400000_NS6detail17trampoline_kernelINS0_14default_configENS1_35radix_sort_onesweep_config_selectorIfNS0_10empty_typeEEEZZNS1_29radix_sort_onesweep_iterationIS3_Lb0EN6thrust23THRUST_200600_302600_NS6detail15normal_iteratorINS9_10device_ptrIfEEEESE_PS5_SF_jNS0_19identity_decomposerENS1_16block_id_wrapperIjLb0EEEEE10hipError_tT1_PNSt15iterator_traitsISK_E10value_typeET2_T3_PNSL_ISQ_E10value_typeET4_T5_PSV_SW_PNS1_23onesweep_lookback_stateEbbT6_jjT7_P12ihipStream_tbENKUlT_T0_SK_SP_E_clISE_SE_SF_SF_EEDaS13_S14_SK_SP_EUlS13_E_NS1_11comp_targetILNS1_3genE0ELNS1_11target_archE4294967295ELNS1_3gpuE0ELNS1_3repE0EEENS1_47radix_sort_onesweep_sort_config_static_selectorELNS0_4arch9wavefront6targetE0EEEvSK_.has_recursion, 0
	.set _ZN7rocprim17ROCPRIM_400000_NS6detail17trampoline_kernelINS0_14default_configENS1_35radix_sort_onesweep_config_selectorIfNS0_10empty_typeEEEZZNS1_29radix_sort_onesweep_iterationIS3_Lb0EN6thrust23THRUST_200600_302600_NS6detail15normal_iteratorINS9_10device_ptrIfEEEESE_PS5_SF_jNS0_19identity_decomposerENS1_16block_id_wrapperIjLb0EEEEE10hipError_tT1_PNSt15iterator_traitsISK_E10value_typeET2_T3_PNSL_ISQ_E10value_typeET4_T5_PSV_SW_PNS1_23onesweep_lookback_stateEbbT6_jjT7_P12ihipStream_tbENKUlT_T0_SK_SP_E_clISE_SE_SF_SF_EEDaS13_S14_SK_SP_EUlS13_E_NS1_11comp_targetILNS1_3genE0ELNS1_11target_archE4294967295ELNS1_3gpuE0ELNS1_3repE0EEENS1_47radix_sort_onesweep_sort_config_static_selectorELNS0_4arch9wavefront6targetE0EEEvSK_.has_indirect_call, 0
	.section	.AMDGPU.csdata,"",@progbits
; Kernel info:
; codeLenInByte = 0
; TotalNumSgprs: 0
; NumVgprs: 0
; ScratchSize: 0
; MemoryBound: 0
; FloatMode: 240
; IeeeMode: 1
; LDSByteSize: 0 bytes/workgroup (compile time only)
; SGPRBlocks: 0
; VGPRBlocks: 0
; NumSGPRsForWavesPerEU: 1
; NumVGPRsForWavesPerEU: 1
; Occupancy: 16
; WaveLimiterHint : 0
; COMPUTE_PGM_RSRC2:SCRATCH_EN: 0
; COMPUTE_PGM_RSRC2:USER_SGPR: 6
; COMPUTE_PGM_RSRC2:TRAP_HANDLER: 0
; COMPUTE_PGM_RSRC2:TGID_X_EN: 1
; COMPUTE_PGM_RSRC2:TGID_Y_EN: 0
; COMPUTE_PGM_RSRC2:TGID_Z_EN: 0
; COMPUTE_PGM_RSRC2:TIDIG_COMP_CNT: 0
	.section	.text._ZN7rocprim17ROCPRIM_400000_NS6detail17trampoline_kernelINS0_14default_configENS1_35radix_sort_onesweep_config_selectorIfNS0_10empty_typeEEEZZNS1_29radix_sort_onesweep_iterationIS3_Lb0EN6thrust23THRUST_200600_302600_NS6detail15normal_iteratorINS9_10device_ptrIfEEEESE_PS5_SF_jNS0_19identity_decomposerENS1_16block_id_wrapperIjLb0EEEEE10hipError_tT1_PNSt15iterator_traitsISK_E10value_typeET2_T3_PNSL_ISQ_E10value_typeET4_T5_PSV_SW_PNS1_23onesweep_lookback_stateEbbT6_jjT7_P12ihipStream_tbENKUlT_T0_SK_SP_E_clISE_SE_SF_SF_EEDaS13_S14_SK_SP_EUlS13_E_NS1_11comp_targetILNS1_3genE6ELNS1_11target_archE950ELNS1_3gpuE13ELNS1_3repE0EEENS1_47radix_sort_onesweep_sort_config_static_selectorELNS0_4arch9wavefront6targetE0EEEvSK_,"axG",@progbits,_ZN7rocprim17ROCPRIM_400000_NS6detail17trampoline_kernelINS0_14default_configENS1_35radix_sort_onesweep_config_selectorIfNS0_10empty_typeEEEZZNS1_29radix_sort_onesweep_iterationIS3_Lb0EN6thrust23THRUST_200600_302600_NS6detail15normal_iteratorINS9_10device_ptrIfEEEESE_PS5_SF_jNS0_19identity_decomposerENS1_16block_id_wrapperIjLb0EEEEE10hipError_tT1_PNSt15iterator_traitsISK_E10value_typeET2_T3_PNSL_ISQ_E10value_typeET4_T5_PSV_SW_PNS1_23onesweep_lookback_stateEbbT6_jjT7_P12ihipStream_tbENKUlT_T0_SK_SP_E_clISE_SE_SF_SF_EEDaS13_S14_SK_SP_EUlS13_E_NS1_11comp_targetILNS1_3genE6ELNS1_11target_archE950ELNS1_3gpuE13ELNS1_3repE0EEENS1_47radix_sort_onesweep_sort_config_static_selectorELNS0_4arch9wavefront6targetE0EEEvSK_,comdat
	.protected	_ZN7rocprim17ROCPRIM_400000_NS6detail17trampoline_kernelINS0_14default_configENS1_35radix_sort_onesweep_config_selectorIfNS0_10empty_typeEEEZZNS1_29radix_sort_onesweep_iterationIS3_Lb0EN6thrust23THRUST_200600_302600_NS6detail15normal_iteratorINS9_10device_ptrIfEEEESE_PS5_SF_jNS0_19identity_decomposerENS1_16block_id_wrapperIjLb0EEEEE10hipError_tT1_PNSt15iterator_traitsISK_E10value_typeET2_T3_PNSL_ISQ_E10value_typeET4_T5_PSV_SW_PNS1_23onesweep_lookback_stateEbbT6_jjT7_P12ihipStream_tbENKUlT_T0_SK_SP_E_clISE_SE_SF_SF_EEDaS13_S14_SK_SP_EUlS13_E_NS1_11comp_targetILNS1_3genE6ELNS1_11target_archE950ELNS1_3gpuE13ELNS1_3repE0EEENS1_47radix_sort_onesweep_sort_config_static_selectorELNS0_4arch9wavefront6targetE0EEEvSK_ ; -- Begin function _ZN7rocprim17ROCPRIM_400000_NS6detail17trampoline_kernelINS0_14default_configENS1_35radix_sort_onesweep_config_selectorIfNS0_10empty_typeEEEZZNS1_29radix_sort_onesweep_iterationIS3_Lb0EN6thrust23THRUST_200600_302600_NS6detail15normal_iteratorINS9_10device_ptrIfEEEESE_PS5_SF_jNS0_19identity_decomposerENS1_16block_id_wrapperIjLb0EEEEE10hipError_tT1_PNSt15iterator_traitsISK_E10value_typeET2_T3_PNSL_ISQ_E10value_typeET4_T5_PSV_SW_PNS1_23onesweep_lookback_stateEbbT6_jjT7_P12ihipStream_tbENKUlT_T0_SK_SP_E_clISE_SE_SF_SF_EEDaS13_S14_SK_SP_EUlS13_E_NS1_11comp_targetILNS1_3genE6ELNS1_11target_archE950ELNS1_3gpuE13ELNS1_3repE0EEENS1_47radix_sort_onesweep_sort_config_static_selectorELNS0_4arch9wavefront6targetE0EEEvSK_
	.globl	_ZN7rocprim17ROCPRIM_400000_NS6detail17trampoline_kernelINS0_14default_configENS1_35radix_sort_onesweep_config_selectorIfNS0_10empty_typeEEEZZNS1_29radix_sort_onesweep_iterationIS3_Lb0EN6thrust23THRUST_200600_302600_NS6detail15normal_iteratorINS9_10device_ptrIfEEEESE_PS5_SF_jNS0_19identity_decomposerENS1_16block_id_wrapperIjLb0EEEEE10hipError_tT1_PNSt15iterator_traitsISK_E10value_typeET2_T3_PNSL_ISQ_E10value_typeET4_T5_PSV_SW_PNS1_23onesweep_lookback_stateEbbT6_jjT7_P12ihipStream_tbENKUlT_T0_SK_SP_E_clISE_SE_SF_SF_EEDaS13_S14_SK_SP_EUlS13_E_NS1_11comp_targetILNS1_3genE6ELNS1_11target_archE950ELNS1_3gpuE13ELNS1_3repE0EEENS1_47radix_sort_onesweep_sort_config_static_selectorELNS0_4arch9wavefront6targetE0EEEvSK_
	.p2align	8
	.type	_ZN7rocprim17ROCPRIM_400000_NS6detail17trampoline_kernelINS0_14default_configENS1_35radix_sort_onesweep_config_selectorIfNS0_10empty_typeEEEZZNS1_29radix_sort_onesweep_iterationIS3_Lb0EN6thrust23THRUST_200600_302600_NS6detail15normal_iteratorINS9_10device_ptrIfEEEESE_PS5_SF_jNS0_19identity_decomposerENS1_16block_id_wrapperIjLb0EEEEE10hipError_tT1_PNSt15iterator_traitsISK_E10value_typeET2_T3_PNSL_ISQ_E10value_typeET4_T5_PSV_SW_PNS1_23onesweep_lookback_stateEbbT6_jjT7_P12ihipStream_tbENKUlT_T0_SK_SP_E_clISE_SE_SF_SF_EEDaS13_S14_SK_SP_EUlS13_E_NS1_11comp_targetILNS1_3genE6ELNS1_11target_archE950ELNS1_3gpuE13ELNS1_3repE0EEENS1_47radix_sort_onesweep_sort_config_static_selectorELNS0_4arch9wavefront6targetE0EEEvSK_,@function
_ZN7rocprim17ROCPRIM_400000_NS6detail17trampoline_kernelINS0_14default_configENS1_35radix_sort_onesweep_config_selectorIfNS0_10empty_typeEEEZZNS1_29radix_sort_onesweep_iterationIS3_Lb0EN6thrust23THRUST_200600_302600_NS6detail15normal_iteratorINS9_10device_ptrIfEEEESE_PS5_SF_jNS0_19identity_decomposerENS1_16block_id_wrapperIjLb0EEEEE10hipError_tT1_PNSt15iterator_traitsISK_E10value_typeET2_T3_PNSL_ISQ_E10value_typeET4_T5_PSV_SW_PNS1_23onesweep_lookback_stateEbbT6_jjT7_P12ihipStream_tbENKUlT_T0_SK_SP_E_clISE_SE_SF_SF_EEDaS13_S14_SK_SP_EUlS13_E_NS1_11comp_targetILNS1_3genE6ELNS1_11target_archE950ELNS1_3gpuE13ELNS1_3repE0EEENS1_47radix_sort_onesweep_sort_config_static_selectorELNS0_4arch9wavefront6targetE0EEEvSK_: ; @_ZN7rocprim17ROCPRIM_400000_NS6detail17trampoline_kernelINS0_14default_configENS1_35radix_sort_onesweep_config_selectorIfNS0_10empty_typeEEEZZNS1_29radix_sort_onesweep_iterationIS3_Lb0EN6thrust23THRUST_200600_302600_NS6detail15normal_iteratorINS9_10device_ptrIfEEEESE_PS5_SF_jNS0_19identity_decomposerENS1_16block_id_wrapperIjLb0EEEEE10hipError_tT1_PNSt15iterator_traitsISK_E10value_typeET2_T3_PNSL_ISQ_E10value_typeET4_T5_PSV_SW_PNS1_23onesweep_lookback_stateEbbT6_jjT7_P12ihipStream_tbENKUlT_T0_SK_SP_E_clISE_SE_SF_SF_EEDaS13_S14_SK_SP_EUlS13_E_NS1_11comp_targetILNS1_3genE6ELNS1_11target_archE950ELNS1_3gpuE13ELNS1_3repE0EEENS1_47radix_sort_onesweep_sort_config_static_selectorELNS0_4arch9wavefront6targetE0EEEvSK_
; %bb.0:
	.section	.rodata,"a",@progbits
	.p2align	6, 0x0
	.amdhsa_kernel _ZN7rocprim17ROCPRIM_400000_NS6detail17trampoline_kernelINS0_14default_configENS1_35radix_sort_onesweep_config_selectorIfNS0_10empty_typeEEEZZNS1_29radix_sort_onesweep_iterationIS3_Lb0EN6thrust23THRUST_200600_302600_NS6detail15normal_iteratorINS9_10device_ptrIfEEEESE_PS5_SF_jNS0_19identity_decomposerENS1_16block_id_wrapperIjLb0EEEEE10hipError_tT1_PNSt15iterator_traitsISK_E10value_typeET2_T3_PNSL_ISQ_E10value_typeET4_T5_PSV_SW_PNS1_23onesweep_lookback_stateEbbT6_jjT7_P12ihipStream_tbENKUlT_T0_SK_SP_E_clISE_SE_SF_SF_EEDaS13_S14_SK_SP_EUlS13_E_NS1_11comp_targetILNS1_3genE6ELNS1_11target_archE950ELNS1_3gpuE13ELNS1_3repE0EEENS1_47radix_sort_onesweep_sort_config_static_selectorELNS0_4arch9wavefront6targetE0EEEvSK_
		.amdhsa_group_segment_fixed_size 0
		.amdhsa_private_segment_fixed_size 0
		.amdhsa_kernarg_size 88
		.amdhsa_user_sgpr_count 6
		.amdhsa_user_sgpr_private_segment_buffer 1
		.amdhsa_user_sgpr_dispatch_ptr 0
		.amdhsa_user_sgpr_queue_ptr 0
		.amdhsa_user_sgpr_kernarg_segment_ptr 1
		.amdhsa_user_sgpr_dispatch_id 0
		.amdhsa_user_sgpr_flat_scratch_init 0
		.amdhsa_user_sgpr_private_segment_size 0
		.amdhsa_wavefront_size32 1
		.amdhsa_uses_dynamic_stack 0
		.amdhsa_system_sgpr_private_segment_wavefront_offset 0
		.amdhsa_system_sgpr_workgroup_id_x 1
		.amdhsa_system_sgpr_workgroup_id_y 0
		.amdhsa_system_sgpr_workgroup_id_z 0
		.amdhsa_system_sgpr_workgroup_info 0
		.amdhsa_system_vgpr_workitem_id 0
		.amdhsa_next_free_vgpr 1
		.amdhsa_next_free_sgpr 1
		.amdhsa_reserve_vcc 0
		.amdhsa_reserve_flat_scratch 0
		.amdhsa_float_round_mode_32 0
		.amdhsa_float_round_mode_16_64 0
		.amdhsa_float_denorm_mode_32 3
		.amdhsa_float_denorm_mode_16_64 3
		.amdhsa_dx10_clamp 1
		.amdhsa_ieee_mode 1
		.amdhsa_fp16_overflow 0
		.amdhsa_workgroup_processor_mode 1
		.amdhsa_memory_ordered 1
		.amdhsa_forward_progress 1
		.amdhsa_shared_vgpr_count 0
		.amdhsa_exception_fp_ieee_invalid_op 0
		.amdhsa_exception_fp_denorm_src 0
		.amdhsa_exception_fp_ieee_div_zero 0
		.amdhsa_exception_fp_ieee_overflow 0
		.amdhsa_exception_fp_ieee_underflow 0
		.amdhsa_exception_fp_ieee_inexact 0
		.amdhsa_exception_int_div_zero 0
	.end_amdhsa_kernel
	.section	.text._ZN7rocprim17ROCPRIM_400000_NS6detail17trampoline_kernelINS0_14default_configENS1_35radix_sort_onesweep_config_selectorIfNS0_10empty_typeEEEZZNS1_29radix_sort_onesweep_iterationIS3_Lb0EN6thrust23THRUST_200600_302600_NS6detail15normal_iteratorINS9_10device_ptrIfEEEESE_PS5_SF_jNS0_19identity_decomposerENS1_16block_id_wrapperIjLb0EEEEE10hipError_tT1_PNSt15iterator_traitsISK_E10value_typeET2_T3_PNSL_ISQ_E10value_typeET4_T5_PSV_SW_PNS1_23onesweep_lookback_stateEbbT6_jjT7_P12ihipStream_tbENKUlT_T0_SK_SP_E_clISE_SE_SF_SF_EEDaS13_S14_SK_SP_EUlS13_E_NS1_11comp_targetILNS1_3genE6ELNS1_11target_archE950ELNS1_3gpuE13ELNS1_3repE0EEENS1_47radix_sort_onesweep_sort_config_static_selectorELNS0_4arch9wavefront6targetE0EEEvSK_,"axG",@progbits,_ZN7rocprim17ROCPRIM_400000_NS6detail17trampoline_kernelINS0_14default_configENS1_35radix_sort_onesweep_config_selectorIfNS0_10empty_typeEEEZZNS1_29radix_sort_onesweep_iterationIS3_Lb0EN6thrust23THRUST_200600_302600_NS6detail15normal_iteratorINS9_10device_ptrIfEEEESE_PS5_SF_jNS0_19identity_decomposerENS1_16block_id_wrapperIjLb0EEEEE10hipError_tT1_PNSt15iterator_traitsISK_E10value_typeET2_T3_PNSL_ISQ_E10value_typeET4_T5_PSV_SW_PNS1_23onesweep_lookback_stateEbbT6_jjT7_P12ihipStream_tbENKUlT_T0_SK_SP_E_clISE_SE_SF_SF_EEDaS13_S14_SK_SP_EUlS13_E_NS1_11comp_targetILNS1_3genE6ELNS1_11target_archE950ELNS1_3gpuE13ELNS1_3repE0EEENS1_47radix_sort_onesweep_sort_config_static_selectorELNS0_4arch9wavefront6targetE0EEEvSK_,comdat
.Lfunc_end587:
	.size	_ZN7rocprim17ROCPRIM_400000_NS6detail17trampoline_kernelINS0_14default_configENS1_35radix_sort_onesweep_config_selectorIfNS0_10empty_typeEEEZZNS1_29radix_sort_onesweep_iterationIS3_Lb0EN6thrust23THRUST_200600_302600_NS6detail15normal_iteratorINS9_10device_ptrIfEEEESE_PS5_SF_jNS0_19identity_decomposerENS1_16block_id_wrapperIjLb0EEEEE10hipError_tT1_PNSt15iterator_traitsISK_E10value_typeET2_T3_PNSL_ISQ_E10value_typeET4_T5_PSV_SW_PNS1_23onesweep_lookback_stateEbbT6_jjT7_P12ihipStream_tbENKUlT_T0_SK_SP_E_clISE_SE_SF_SF_EEDaS13_S14_SK_SP_EUlS13_E_NS1_11comp_targetILNS1_3genE6ELNS1_11target_archE950ELNS1_3gpuE13ELNS1_3repE0EEENS1_47radix_sort_onesweep_sort_config_static_selectorELNS0_4arch9wavefront6targetE0EEEvSK_, .Lfunc_end587-_ZN7rocprim17ROCPRIM_400000_NS6detail17trampoline_kernelINS0_14default_configENS1_35radix_sort_onesweep_config_selectorIfNS0_10empty_typeEEEZZNS1_29radix_sort_onesweep_iterationIS3_Lb0EN6thrust23THRUST_200600_302600_NS6detail15normal_iteratorINS9_10device_ptrIfEEEESE_PS5_SF_jNS0_19identity_decomposerENS1_16block_id_wrapperIjLb0EEEEE10hipError_tT1_PNSt15iterator_traitsISK_E10value_typeET2_T3_PNSL_ISQ_E10value_typeET4_T5_PSV_SW_PNS1_23onesweep_lookback_stateEbbT6_jjT7_P12ihipStream_tbENKUlT_T0_SK_SP_E_clISE_SE_SF_SF_EEDaS13_S14_SK_SP_EUlS13_E_NS1_11comp_targetILNS1_3genE6ELNS1_11target_archE950ELNS1_3gpuE13ELNS1_3repE0EEENS1_47radix_sort_onesweep_sort_config_static_selectorELNS0_4arch9wavefront6targetE0EEEvSK_
                                        ; -- End function
	.set _ZN7rocprim17ROCPRIM_400000_NS6detail17trampoline_kernelINS0_14default_configENS1_35radix_sort_onesweep_config_selectorIfNS0_10empty_typeEEEZZNS1_29radix_sort_onesweep_iterationIS3_Lb0EN6thrust23THRUST_200600_302600_NS6detail15normal_iteratorINS9_10device_ptrIfEEEESE_PS5_SF_jNS0_19identity_decomposerENS1_16block_id_wrapperIjLb0EEEEE10hipError_tT1_PNSt15iterator_traitsISK_E10value_typeET2_T3_PNSL_ISQ_E10value_typeET4_T5_PSV_SW_PNS1_23onesweep_lookback_stateEbbT6_jjT7_P12ihipStream_tbENKUlT_T0_SK_SP_E_clISE_SE_SF_SF_EEDaS13_S14_SK_SP_EUlS13_E_NS1_11comp_targetILNS1_3genE6ELNS1_11target_archE950ELNS1_3gpuE13ELNS1_3repE0EEENS1_47radix_sort_onesweep_sort_config_static_selectorELNS0_4arch9wavefront6targetE0EEEvSK_.num_vgpr, 0
	.set _ZN7rocprim17ROCPRIM_400000_NS6detail17trampoline_kernelINS0_14default_configENS1_35radix_sort_onesweep_config_selectorIfNS0_10empty_typeEEEZZNS1_29radix_sort_onesweep_iterationIS3_Lb0EN6thrust23THRUST_200600_302600_NS6detail15normal_iteratorINS9_10device_ptrIfEEEESE_PS5_SF_jNS0_19identity_decomposerENS1_16block_id_wrapperIjLb0EEEEE10hipError_tT1_PNSt15iterator_traitsISK_E10value_typeET2_T3_PNSL_ISQ_E10value_typeET4_T5_PSV_SW_PNS1_23onesweep_lookback_stateEbbT6_jjT7_P12ihipStream_tbENKUlT_T0_SK_SP_E_clISE_SE_SF_SF_EEDaS13_S14_SK_SP_EUlS13_E_NS1_11comp_targetILNS1_3genE6ELNS1_11target_archE950ELNS1_3gpuE13ELNS1_3repE0EEENS1_47radix_sort_onesweep_sort_config_static_selectorELNS0_4arch9wavefront6targetE0EEEvSK_.num_agpr, 0
	.set _ZN7rocprim17ROCPRIM_400000_NS6detail17trampoline_kernelINS0_14default_configENS1_35radix_sort_onesweep_config_selectorIfNS0_10empty_typeEEEZZNS1_29radix_sort_onesweep_iterationIS3_Lb0EN6thrust23THRUST_200600_302600_NS6detail15normal_iteratorINS9_10device_ptrIfEEEESE_PS5_SF_jNS0_19identity_decomposerENS1_16block_id_wrapperIjLb0EEEEE10hipError_tT1_PNSt15iterator_traitsISK_E10value_typeET2_T3_PNSL_ISQ_E10value_typeET4_T5_PSV_SW_PNS1_23onesweep_lookback_stateEbbT6_jjT7_P12ihipStream_tbENKUlT_T0_SK_SP_E_clISE_SE_SF_SF_EEDaS13_S14_SK_SP_EUlS13_E_NS1_11comp_targetILNS1_3genE6ELNS1_11target_archE950ELNS1_3gpuE13ELNS1_3repE0EEENS1_47radix_sort_onesweep_sort_config_static_selectorELNS0_4arch9wavefront6targetE0EEEvSK_.numbered_sgpr, 0
	.set _ZN7rocprim17ROCPRIM_400000_NS6detail17trampoline_kernelINS0_14default_configENS1_35radix_sort_onesweep_config_selectorIfNS0_10empty_typeEEEZZNS1_29radix_sort_onesweep_iterationIS3_Lb0EN6thrust23THRUST_200600_302600_NS6detail15normal_iteratorINS9_10device_ptrIfEEEESE_PS5_SF_jNS0_19identity_decomposerENS1_16block_id_wrapperIjLb0EEEEE10hipError_tT1_PNSt15iterator_traitsISK_E10value_typeET2_T3_PNSL_ISQ_E10value_typeET4_T5_PSV_SW_PNS1_23onesweep_lookback_stateEbbT6_jjT7_P12ihipStream_tbENKUlT_T0_SK_SP_E_clISE_SE_SF_SF_EEDaS13_S14_SK_SP_EUlS13_E_NS1_11comp_targetILNS1_3genE6ELNS1_11target_archE950ELNS1_3gpuE13ELNS1_3repE0EEENS1_47radix_sort_onesweep_sort_config_static_selectorELNS0_4arch9wavefront6targetE0EEEvSK_.num_named_barrier, 0
	.set _ZN7rocprim17ROCPRIM_400000_NS6detail17trampoline_kernelINS0_14default_configENS1_35radix_sort_onesweep_config_selectorIfNS0_10empty_typeEEEZZNS1_29radix_sort_onesweep_iterationIS3_Lb0EN6thrust23THRUST_200600_302600_NS6detail15normal_iteratorINS9_10device_ptrIfEEEESE_PS5_SF_jNS0_19identity_decomposerENS1_16block_id_wrapperIjLb0EEEEE10hipError_tT1_PNSt15iterator_traitsISK_E10value_typeET2_T3_PNSL_ISQ_E10value_typeET4_T5_PSV_SW_PNS1_23onesweep_lookback_stateEbbT6_jjT7_P12ihipStream_tbENKUlT_T0_SK_SP_E_clISE_SE_SF_SF_EEDaS13_S14_SK_SP_EUlS13_E_NS1_11comp_targetILNS1_3genE6ELNS1_11target_archE950ELNS1_3gpuE13ELNS1_3repE0EEENS1_47radix_sort_onesweep_sort_config_static_selectorELNS0_4arch9wavefront6targetE0EEEvSK_.private_seg_size, 0
	.set _ZN7rocprim17ROCPRIM_400000_NS6detail17trampoline_kernelINS0_14default_configENS1_35radix_sort_onesweep_config_selectorIfNS0_10empty_typeEEEZZNS1_29radix_sort_onesweep_iterationIS3_Lb0EN6thrust23THRUST_200600_302600_NS6detail15normal_iteratorINS9_10device_ptrIfEEEESE_PS5_SF_jNS0_19identity_decomposerENS1_16block_id_wrapperIjLb0EEEEE10hipError_tT1_PNSt15iterator_traitsISK_E10value_typeET2_T3_PNSL_ISQ_E10value_typeET4_T5_PSV_SW_PNS1_23onesweep_lookback_stateEbbT6_jjT7_P12ihipStream_tbENKUlT_T0_SK_SP_E_clISE_SE_SF_SF_EEDaS13_S14_SK_SP_EUlS13_E_NS1_11comp_targetILNS1_3genE6ELNS1_11target_archE950ELNS1_3gpuE13ELNS1_3repE0EEENS1_47radix_sort_onesweep_sort_config_static_selectorELNS0_4arch9wavefront6targetE0EEEvSK_.uses_vcc, 0
	.set _ZN7rocprim17ROCPRIM_400000_NS6detail17trampoline_kernelINS0_14default_configENS1_35radix_sort_onesweep_config_selectorIfNS0_10empty_typeEEEZZNS1_29radix_sort_onesweep_iterationIS3_Lb0EN6thrust23THRUST_200600_302600_NS6detail15normal_iteratorINS9_10device_ptrIfEEEESE_PS5_SF_jNS0_19identity_decomposerENS1_16block_id_wrapperIjLb0EEEEE10hipError_tT1_PNSt15iterator_traitsISK_E10value_typeET2_T3_PNSL_ISQ_E10value_typeET4_T5_PSV_SW_PNS1_23onesweep_lookback_stateEbbT6_jjT7_P12ihipStream_tbENKUlT_T0_SK_SP_E_clISE_SE_SF_SF_EEDaS13_S14_SK_SP_EUlS13_E_NS1_11comp_targetILNS1_3genE6ELNS1_11target_archE950ELNS1_3gpuE13ELNS1_3repE0EEENS1_47radix_sort_onesweep_sort_config_static_selectorELNS0_4arch9wavefront6targetE0EEEvSK_.uses_flat_scratch, 0
	.set _ZN7rocprim17ROCPRIM_400000_NS6detail17trampoline_kernelINS0_14default_configENS1_35radix_sort_onesweep_config_selectorIfNS0_10empty_typeEEEZZNS1_29radix_sort_onesweep_iterationIS3_Lb0EN6thrust23THRUST_200600_302600_NS6detail15normal_iteratorINS9_10device_ptrIfEEEESE_PS5_SF_jNS0_19identity_decomposerENS1_16block_id_wrapperIjLb0EEEEE10hipError_tT1_PNSt15iterator_traitsISK_E10value_typeET2_T3_PNSL_ISQ_E10value_typeET4_T5_PSV_SW_PNS1_23onesweep_lookback_stateEbbT6_jjT7_P12ihipStream_tbENKUlT_T0_SK_SP_E_clISE_SE_SF_SF_EEDaS13_S14_SK_SP_EUlS13_E_NS1_11comp_targetILNS1_3genE6ELNS1_11target_archE950ELNS1_3gpuE13ELNS1_3repE0EEENS1_47radix_sort_onesweep_sort_config_static_selectorELNS0_4arch9wavefront6targetE0EEEvSK_.has_dyn_sized_stack, 0
	.set _ZN7rocprim17ROCPRIM_400000_NS6detail17trampoline_kernelINS0_14default_configENS1_35radix_sort_onesweep_config_selectorIfNS0_10empty_typeEEEZZNS1_29radix_sort_onesweep_iterationIS3_Lb0EN6thrust23THRUST_200600_302600_NS6detail15normal_iteratorINS9_10device_ptrIfEEEESE_PS5_SF_jNS0_19identity_decomposerENS1_16block_id_wrapperIjLb0EEEEE10hipError_tT1_PNSt15iterator_traitsISK_E10value_typeET2_T3_PNSL_ISQ_E10value_typeET4_T5_PSV_SW_PNS1_23onesweep_lookback_stateEbbT6_jjT7_P12ihipStream_tbENKUlT_T0_SK_SP_E_clISE_SE_SF_SF_EEDaS13_S14_SK_SP_EUlS13_E_NS1_11comp_targetILNS1_3genE6ELNS1_11target_archE950ELNS1_3gpuE13ELNS1_3repE0EEENS1_47radix_sort_onesweep_sort_config_static_selectorELNS0_4arch9wavefront6targetE0EEEvSK_.has_recursion, 0
	.set _ZN7rocprim17ROCPRIM_400000_NS6detail17trampoline_kernelINS0_14default_configENS1_35radix_sort_onesweep_config_selectorIfNS0_10empty_typeEEEZZNS1_29radix_sort_onesweep_iterationIS3_Lb0EN6thrust23THRUST_200600_302600_NS6detail15normal_iteratorINS9_10device_ptrIfEEEESE_PS5_SF_jNS0_19identity_decomposerENS1_16block_id_wrapperIjLb0EEEEE10hipError_tT1_PNSt15iterator_traitsISK_E10value_typeET2_T3_PNSL_ISQ_E10value_typeET4_T5_PSV_SW_PNS1_23onesweep_lookback_stateEbbT6_jjT7_P12ihipStream_tbENKUlT_T0_SK_SP_E_clISE_SE_SF_SF_EEDaS13_S14_SK_SP_EUlS13_E_NS1_11comp_targetILNS1_3genE6ELNS1_11target_archE950ELNS1_3gpuE13ELNS1_3repE0EEENS1_47radix_sort_onesweep_sort_config_static_selectorELNS0_4arch9wavefront6targetE0EEEvSK_.has_indirect_call, 0
	.section	.AMDGPU.csdata,"",@progbits
; Kernel info:
; codeLenInByte = 0
; TotalNumSgprs: 0
; NumVgprs: 0
; ScratchSize: 0
; MemoryBound: 0
; FloatMode: 240
; IeeeMode: 1
; LDSByteSize: 0 bytes/workgroup (compile time only)
; SGPRBlocks: 0
; VGPRBlocks: 0
; NumSGPRsForWavesPerEU: 1
; NumVGPRsForWavesPerEU: 1
; Occupancy: 16
; WaveLimiterHint : 0
; COMPUTE_PGM_RSRC2:SCRATCH_EN: 0
; COMPUTE_PGM_RSRC2:USER_SGPR: 6
; COMPUTE_PGM_RSRC2:TRAP_HANDLER: 0
; COMPUTE_PGM_RSRC2:TGID_X_EN: 1
; COMPUTE_PGM_RSRC2:TGID_Y_EN: 0
; COMPUTE_PGM_RSRC2:TGID_Z_EN: 0
; COMPUTE_PGM_RSRC2:TIDIG_COMP_CNT: 0
	.section	.text._ZN7rocprim17ROCPRIM_400000_NS6detail17trampoline_kernelINS0_14default_configENS1_35radix_sort_onesweep_config_selectorIfNS0_10empty_typeEEEZZNS1_29radix_sort_onesweep_iterationIS3_Lb0EN6thrust23THRUST_200600_302600_NS6detail15normal_iteratorINS9_10device_ptrIfEEEESE_PS5_SF_jNS0_19identity_decomposerENS1_16block_id_wrapperIjLb0EEEEE10hipError_tT1_PNSt15iterator_traitsISK_E10value_typeET2_T3_PNSL_ISQ_E10value_typeET4_T5_PSV_SW_PNS1_23onesweep_lookback_stateEbbT6_jjT7_P12ihipStream_tbENKUlT_T0_SK_SP_E_clISE_SE_SF_SF_EEDaS13_S14_SK_SP_EUlS13_E_NS1_11comp_targetILNS1_3genE5ELNS1_11target_archE942ELNS1_3gpuE9ELNS1_3repE0EEENS1_47radix_sort_onesweep_sort_config_static_selectorELNS0_4arch9wavefront6targetE0EEEvSK_,"axG",@progbits,_ZN7rocprim17ROCPRIM_400000_NS6detail17trampoline_kernelINS0_14default_configENS1_35radix_sort_onesweep_config_selectorIfNS0_10empty_typeEEEZZNS1_29radix_sort_onesweep_iterationIS3_Lb0EN6thrust23THRUST_200600_302600_NS6detail15normal_iteratorINS9_10device_ptrIfEEEESE_PS5_SF_jNS0_19identity_decomposerENS1_16block_id_wrapperIjLb0EEEEE10hipError_tT1_PNSt15iterator_traitsISK_E10value_typeET2_T3_PNSL_ISQ_E10value_typeET4_T5_PSV_SW_PNS1_23onesweep_lookback_stateEbbT6_jjT7_P12ihipStream_tbENKUlT_T0_SK_SP_E_clISE_SE_SF_SF_EEDaS13_S14_SK_SP_EUlS13_E_NS1_11comp_targetILNS1_3genE5ELNS1_11target_archE942ELNS1_3gpuE9ELNS1_3repE0EEENS1_47radix_sort_onesweep_sort_config_static_selectorELNS0_4arch9wavefront6targetE0EEEvSK_,comdat
	.protected	_ZN7rocprim17ROCPRIM_400000_NS6detail17trampoline_kernelINS0_14default_configENS1_35radix_sort_onesweep_config_selectorIfNS0_10empty_typeEEEZZNS1_29radix_sort_onesweep_iterationIS3_Lb0EN6thrust23THRUST_200600_302600_NS6detail15normal_iteratorINS9_10device_ptrIfEEEESE_PS5_SF_jNS0_19identity_decomposerENS1_16block_id_wrapperIjLb0EEEEE10hipError_tT1_PNSt15iterator_traitsISK_E10value_typeET2_T3_PNSL_ISQ_E10value_typeET4_T5_PSV_SW_PNS1_23onesweep_lookback_stateEbbT6_jjT7_P12ihipStream_tbENKUlT_T0_SK_SP_E_clISE_SE_SF_SF_EEDaS13_S14_SK_SP_EUlS13_E_NS1_11comp_targetILNS1_3genE5ELNS1_11target_archE942ELNS1_3gpuE9ELNS1_3repE0EEENS1_47radix_sort_onesweep_sort_config_static_selectorELNS0_4arch9wavefront6targetE0EEEvSK_ ; -- Begin function _ZN7rocprim17ROCPRIM_400000_NS6detail17trampoline_kernelINS0_14default_configENS1_35radix_sort_onesweep_config_selectorIfNS0_10empty_typeEEEZZNS1_29radix_sort_onesweep_iterationIS3_Lb0EN6thrust23THRUST_200600_302600_NS6detail15normal_iteratorINS9_10device_ptrIfEEEESE_PS5_SF_jNS0_19identity_decomposerENS1_16block_id_wrapperIjLb0EEEEE10hipError_tT1_PNSt15iterator_traitsISK_E10value_typeET2_T3_PNSL_ISQ_E10value_typeET4_T5_PSV_SW_PNS1_23onesweep_lookback_stateEbbT6_jjT7_P12ihipStream_tbENKUlT_T0_SK_SP_E_clISE_SE_SF_SF_EEDaS13_S14_SK_SP_EUlS13_E_NS1_11comp_targetILNS1_3genE5ELNS1_11target_archE942ELNS1_3gpuE9ELNS1_3repE0EEENS1_47radix_sort_onesweep_sort_config_static_selectorELNS0_4arch9wavefront6targetE0EEEvSK_
	.globl	_ZN7rocprim17ROCPRIM_400000_NS6detail17trampoline_kernelINS0_14default_configENS1_35radix_sort_onesweep_config_selectorIfNS0_10empty_typeEEEZZNS1_29radix_sort_onesweep_iterationIS3_Lb0EN6thrust23THRUST_200600_302600_NS6detail15normal_iteratorINS9_10device_ptrIfEEEESE_PS5_SF_jNS0_19identity_decomposerENS1_16block_id_wrapperIjLb0EEEEE10hipError_tT1_PNSt15iterator_traitsISK_E10value_typeET2_T3_PNSL_ISQ_E10value_typeET4_T5_PSV_SW_PNS1_23onesweep_lookback_stateEbbT6_jjT7_P12ihipStream_tbENKUlT_T0_SK_SP_E_clISE_SE_SF_SF_EEDaS13_S14_SK_SP_EUlS13_E_NS1_11comp_targetILNS1_3genE5ELNS1_11target_archE942ELNS1_3gpuE9ELNS1_3repE0EEENS1_47radix_sort_onesweep_sort_config_static_selectorELNS0_4arch9wavefront6targetE0EEEvSK_
	.p2align	8
	.type	_ZN7rocprim17ROCPRIM_400000_NS6detail17trampoline_kernelINS0_14default_configENS1_35radix_sort_onesweep_config_selectorIfNS0_10empty_typeEEEZZNS1_29radix_sort_onesweep_iterationIS3_Lb0EN6thrust23THRUST_200600_302600_NS6detail15normal_iteratorINS9_10device_ptrIfEEEESE_PS5_SF_jNS0_19identity_decomposerENS1_16block_id_wrapperIjLb0EEEEE10hipError_tT1_PNSt15iterator_traitsISK_E10value_typeET2_T3_PNSL_ISQ_E10value_typeET4_T5_PSV_SW_PNS1_23onesweep_lookback_stateEbbT6_jjT7_P12ihipStream_tbENKUlT_T0_SK_SP_E_clISE_SE_SF_SF_EEDaS13_S14_SK_SP_EUlS13_E_NS1_11comp_targetILNS1_3genE5ELNS1_11target_archE942ELNS1_3gpuE9ELNS1_3repE0EEENS1_47radix_sort_onesweep_sort_config_static_selectorELNS0_4arch9wavefront6targetE0EEEvSK_,@function
_ZN7rocprim17ROCPRIM_400000_NS6detail17trampoline_kernelINS0_14default_configENS1_35radix_sort_onesweep_config_selectorIfNS0_10empty_typeEEEZZNS1_29radix_sort_onesweep_iterationIS3_Lb0EN6thrust23THRUST_200600_302600_NS6detail15normal_iteratorINS9_10device_ptrIfEEEESE_PS5_SF_jNS0_19identity_decomposerENS1_16block_id_wrapperIjLb0EEEEE10hipError_tT1_PNSt15iterator_traitsISK_E10value_typeET2_T3_PNSL_ISQ_E10value_typeET4_T5_PSV_SW_PNS1_23onesweep_lookback_stateEbbT6_jjT7_P12ihipStream_tbENKUlT_T0_SK_SP_E_clISE_SE_SF_SF_EEDaS13_S14_SK_SP_EUlS13_E_NS1_11comp_targetILNS1_3genE5ELNS1_11target_archE942ELNS1_3gpuE9ELNS1_3repE0EEENS1_47radix_sort_onesweep_sort_config_static_selectorELNS0_4arch9wavefront6targetE0EEEvSK_: ; @_ZN7rocprim17ROCPRIM_400000_NS6detail17trampoline_kernelINS0_14default_configENS1_35radix_sort_onesweep_config_selectorIfNS0_10empty_typeEEEZZNS1_29radix_sort_onesweep_iterationIS3_Lb0EN6thrust23THRUST_200600_302600_NS6detail15normal_iteratorINS9_10device_ptrIfEEEESE_PS5_SF_jNS0_19identity_decomposerENS1_16block_id_wrapperIjLb0EEEEE10hipError_tT1_PNSt15iterator_traitsISK_E10value_typeET2_T3_PNSL_ISQ_E10value_typeET4_T5_PSV_SW_PNS1_23onesweep_lookback_stateEbbT6_jjT7_P12ihipStream_tbENKUlT_T0_SK_SP_E_clISE_SE_SF_SF_EEDaS13_S14_SK_SP_EUlS13_E_NS1_11comp_targetILNS1_3genE5ELNS1_11target_archE942ELNS1_3gpuE9ELNS1_3repE0EEENS1_47radix_sort_onesweep_sort_config_static_selectorELNS0_4arch9wavefront6targetE0EEEvSK_
; %bb.0:
	.section	.rodata,"a",@progbits
	.p2align	6, 0x0
	.amdhsa_kernel _ZN7rocprim17ROCPRIM_400000_NS6detail17trampoline_kernelINS0_14default_configENS1_35radix_sort_onesweep_config_selectorIfNS0_10empty_typeEEEZZNS1_29radix_sort_onesweep_iterationIS3_Lb0EN6thrust23THRUST_200600_302600_NS6detail15normal_iteratorINS9_10device_ptrIfEEEESE_PS5_SF_jNS0_19identity_decomposerENS1_16block_id_wrapperIjLb0EEEEE10hipError_tT1_PNSt15iterator_traitsISK_E10value_typeET2_T3_PNSL_ISQ_E10value_typeET4_T5_PSV_SW_PNS1_23onesweep_lookback_stateEbbT6_jjT7_P12ihipStream_tbENKUlT_T0_SK_SP_E_clISE_SE_SF_SF_EEDaS13_S14_SK_SP_EUlS13_E_NS1_11comp_targetILNS1_3genE5ELNS1_11target_archE942ELNS1_3gpuE9ELNS1_3repE0EEENS1_47radix_sort_onesweep_sort_config_static_selectorELNS0_4arch9wavefront6targetE0EEEvSK_
		.amdhsa_group_segment_fixed_size 0
		.amdhsa_private_segment_fixed_size 0
		.amdhsa_kernarg_size 88
		.amdhsa_user_sgpr_count 6
		.amdhsa_user_sgpr_private_segment_buffer 1
		.amdhsa_user_sgpr_dispatch_ptr 0
		.amdhsa_user_sgpr_queue_ptr 0
		.amdhsa_user_sgpr_kernarg_segment_ptr 1
		.amdhsa_user_sgpr_dispatch_id 0
		.amdhsa_user_sgpr_flat_scratch_init 0
		.amdhsa_user_sgpr_private_segment_size 0
		.amdhsa_wavefront_size32 1
		.amdhsa_uses_dynamic_stack 0
		.amdhsa_system_sgpr_private_segment_wavefront_offset 0
		.amdhsa_system_sgpr_workgroup_id_x 1
		.amdhsa_system_sgpr_workgroup_id_y 0
		.amdhsa_system_sgpr_workgroup_id_z 0
		.amdhsa_system_sgpr_workgroup_info 0
		.amdhsa_system_vgpr_workitem_id 0
		.amdhsa_next_free_vgpr 1
		.amdhsa_next_free_sgpr 1
		.amdhsa_reserve_vcc 0
		.amdhsa_reserve_flat_scratch 0
		.amdhsa_float_round_mode_32 0
		.amdhsa_float_round_mode_16_64 0
		.amdhsa_float_denorm_mode_32 3
		.amdhsa_float_denorm_mode_16_64 3
		.amdhsa_dx10_clamp 1
		.amdhsa_ieee_mode 1
		.amdhsa_fp16_overflow 0
		.amdhsa_workgroup_processor_mode 1
		.amdhsa_memory_ordered 1
		.amdhsa_forward_progress 1
		.amdhsa_shared_vgpr_count 0
		.amdhsa_exception_fp_ieee_invalid_op 0
		.amdhsa_exception_fp_denorm_src 0
		.amdhsa_exception_fp_ieee_div_zero 0
		.amdhsa_exception_fp_ieee_overflow 0
		.amdhsa_exception_fp_ieee_underflow 0
		.amdhsa_exception_fp_ieee_inexact 0
		.amdhsa_exception_int_div_zero 0
	.end_amdhsa_kernel
	.section	.text._ZN7rocprim17ROCPRIM_400000_NS6detail17trampoline_kernelINS0_14default_configENS1_35radix_sort_onesweep_config_selectorIfNS0_10empty_typeEEEZZNS1_29radix_sort_onesweep_iterationIS3_Lb0EN6thrust23THRUST_200600_302600_NS6detail15normal_iteratorINS9_10device_ptrIfEEEESE_PS5_SF_jNS0_19identity_decomposerENS1_16block_id_wrapperIjLb0EEEEE10hipError_tT1_PNSt15iterator_traitsISK_E10value_typeET2_T3_PNSL_ISQ_E10value_typeET4_T5_PSV_SW_PNS1_23onesweep_lookback_stateEbbT6_jjT7_P12ihipStream_tbENKUlT_T0_SK_SP_E_clISE_SE_SF_SF_EEDaS13_S14_SK_SP_EUlS13_E_NS1_11comp_targetILNS1_3genE5ELNS1_11target_archE942ELNS1_3gpuE9ELNS1_3repE0EEENS1_47radix_sort_onesweep_sort_config_static_selectorELNS0_4arch9wavefront6targetE0EEEvSK_,"axG",@progbits,_ZN7rocprim17ROCPRIM_400000_NS6detail17trampoline_kernelINS0_14default_configENS1_35radix_sort_onesweep_config_selectorIfNS0_10empty_typeEEEZZNS1_29radix_sort_onesweep_iterationIS3_Lb0EN6thrust23THRUST_200600_302600_NS6detail15normal_iteratorINS9_10device_ptrIfEEEESE_PS5_SF_jNS0_19identity_decomposerENS1_16block_id_wrapperIjLb0EEEEE10hipError_tT1_PNSt15iterator_traitsISK_E10value_typeET2_T3_PNSL_ISQ_E10value_typeET4_T5_PSV_SW_PNS1_23onesweep_lookback_stateEbbT6_jjT7_P12ihipStream_tbENKUlT_T0_SK_SP_E_clISE_SE_SF_SF_EEDaS13_S14_SK_SP_EUlS13_E_NS1_11comp_targetILNS1_3genE5ELNS1_11target_archE942ELNS1_3gpuE9ELNS1_3repE0EEENS1_47radix_sort_onesweep_sort_config_static_selectorELNS0_4arch9wavefront6targetE0EEEvSK_,comdat
.Lfunc_end588:
	.size	_ZN7rocprim17ROCPRIM_400000_NS6detail17trampoline_kernelINS0_14default_configENS1_35radix_sort_onesweep_config_selectorIfNS0_10empty_typeEEEZZNS1_29radix_sort_onesweep_iterationIS3_Lb0EN6thrust23THRUST_200600_302600_NS6detail15normal_iteratorINS9_10device_ptrIfEEEESE_PS5_SF_jNS0_19identity_decomposerENS1_16block_id_wrapperIjLb0EEEEE10hipError_tT1_PNSt15iterator_traitsISK_E10value_typeET2_T3_PNSL_ISQ_E10value_typeET4_T5_PSV_SW_PNS1_23onesweep_lookback_stateEbbT6_jjT7_P12ihipStream_tbENKUlT_T0_SK_SP_E_clISE_SE_SF_SF_EEDaS13_S14_SK_SP_EUlS13_E_NS1_11comp_targetILNS1_3genE5ELNS1_11target_archE942ELNS1_3gpuE9ELNS1_3repE0EEENS1_47radix_sort_onesweep_sort_config_static_selectorELNS0_4arch9wavefront6targetE0EEEvSK_, .Lfunc_end588-_ZN7rocprim17ROCPRIM_400000_NS6detail17trampoline_kernelINS0_14default_configENS1_35radix_sort_onesweep_config_selectorIfNS0_10empty_typeEEEZZNS1_29radix_sort_onesweep_iterationIS3_Lb0EN6thrust23THRUST_200600_302600_NS6detail15normal_iteratorINS9_10device_ptrIfEEEESE_PS5_SF_jNS0_19identity_decomposerENS1_16block_id_wrapperIjLb0EEEEE10hipError_tT1_PNSt15iterator_traitsISK_E10value_typeET2_T3_PNSL_ISQ_E10value_typeET4_T5_PSV_SW_PNS1_23onesweep_lookback_stateEbbT6_jjT7_P12ihipStream_tbENKUlT_T0_SK_SP_E_clISE_SE_SF_SF_EEDaS13_S14_SK_SP_EUlS13_E_NS1_11comp_targetILNS1_3genE5ELNS1_11target_archE942ELNS1_3gpuE9ELNS1_3repE0EEENS1_47radix_sort_onesweep_sort_config_static_selectorELNS0_4arch9wavefront6targetE0EEEvSK_
                                        ; -- End function
	.set _ZN7rocprim17ROCPRIM_400000_NS6detail17trampoline_kernelINS0_14default_configENS1_35radix_sort_onesweep_config_selectorIfNS0_10empty_typeEEEZZNS1_29radix_sort_onesweep_iterationIS3_Lb0EN6thrust23THRUST_200600_302600_NS6detail15normal_iteratorINS9_10device_ptrIfEEEESE_PS5_SF_jNS0_19identity_decomposerENS1_16block_id_wrapperIjLb0EEEEE10hipError_tT1_PNSt15iterator_traitsISK_E10value_typeET2_T3_PNSL_ISQ_E10value_typeET4_T5_PSV_SW_PNS1_23onesweep_lookback_stateEbbT6_jjT7_P12ihipStream_tbENKUlT_T0_SK_SP_E_clISE_SE_SF_SF_EEDaS13_S14_SK_SP_EUlS13_E_NS1_11comp_targetILNS1_3genE5ELNS1_11target_archE942ELNS1_3gpuE9ELNS1_3repE0EEENS1_47radix_sort_onesweep_sort_config_static_selectorELNS0_4arch9wavefront6targetE0EEEvSK_.num_vgpr, 0
	.set _ZN7rocprim17ROCPRIM_400000_NS6detail17trampoline_kernelINS0_14default_configENS1_35radix_sort_onesweep_config_selectorIfNS0_10empty_typeEEEZZNS1_29radix_sort_onesweep_iterationIS3_Lb0EN6thrust23THRUST_200600_302600_NS6detail15normal_iteratorINS9_10device_ptrIfEEEESE_PS5_SF_jNS0_19identity_decomposerENS1_16block_id_wrapperIjLb0EEEEE10hipError_tT1_PNSt15iterator_traitsISK_E10value_typeET2_T3_PNSL_ISQ_E10value_typeET4_T5_PSV_SW_PNS1_23onesweep_lookback_stateEbbT6_jjT7_P12ihipStream_tbENKUlT_T0_SK_SP_E_clISE_SE_SF_SF_EEDaS13_S14_SK_SP_EUlS13_E_NS1_11comp_targetILNS1_3genE5ELNS1_11target_archE942ELNS1_3gpuE9ELNS1_3repE0EEENS1_47radix_sort_onesweep_sort_config_static_selectorELNS0_4arch9wavefront6targetE0EEEvSK_.num_agpr, 0
	.set _ZN7rocprim17ROCPRIM_400000_NS6detail17trampoline_kernelINS0_14default_configENS1_35radix_sort_onesweep_config_selectorIfNS0_10empty_typeEEEZZNS1_29radix_sort_onesweep_iterationIS3_Lb0EN6thrust23THRUST_200600_302600_NS6detail15normal_iteratorINS9_10device_ptrIfEEEESE_PS5_SF_jNS0_19identity_decomposerENS1_16block_id_wrapperIjLb0EEEEE10hipError_tT1_PNSt15iterator_traitsISK_E10value_typeET2_T3_PNSL_ISQ_E10value_typeET4_T5_PSV_SW_PNS1_23onesweep_lookback_stateEbbT6_jjT7_P12ihipStream_tbENKUlT_T0_SK_SP_E_clISE_SE_SF_SF_EEDaS13_S14_SK_SP_EUlS13_E_NS1_11comp_targetILNS1_3genE5ELNS1_11target_archE942ELNS1_3gpuE9ELNS1_3repE0EEENS1_47radix_sort_onesweep_sort_config_static_selectorELNS0_4arch9wavefront6targetE0EEEvSK_.numbered_sgpr, 0
	.set _ZN7rocprim17ROCPRIM_400000_NS6detail17trampoline_kernelINS0_14default_configENS1_35radix_sort_onesweep_config_selectorIfNS0_10empty_typeEEEZZNS1_29radix_sort_onesweep_iterationIS3_Lb0EN6thrust23THRUST_200600_302600_NS6detail15normal_iteratorINS9_10device_ptrIfEEEESE_PS5_SF_jNS0_19identity_decomposerENS1_16block_id_wrapperIjLb0EEEEE10hipError_tT1_PNSt15iterator_traitsISK_E10value_typeET2_T3_PNSL_ISQ_E10value_typeET4_T5_PSV_SW_PNS1_23onesweep_lookback_stateEbbT6_jjT7_P12ihipStream_tbENKUlT_T0_SK_SP_E_clISE_SE_SF_SF_EEDaS13_S14_SK_SP_EUlS13_E_NS1_11comp_targetILNS1_3genE5ELNS1_11target_archE942ELNS1_3gpuE9ELNS1_3repE0EEENS1_47radix_sort_onesweep_sort_config_static_selectorELNS0_4arch9wavefront6targetE0EEEvSK_.num_named_barrier, 0
	.set _ZN7rocprim17ROCPRIM_400000_NS6detail17trampoline_kernelINS0_14default_configENS1_35radix_sort_onesweep_config_selectorIfNS0_10empty_typeEEEZZNS1_29radix_sort_onesweep_iterationIS3_Lb0EN6thrust23THRUST_200600_302600_NS6detail15normal_iteratorINS9_10device_ptrIfEEEESE_PS5_SF_jNS0_19identity_decomposerENS1_16block_id_wrapperIjLb0EEEEE10hipError_tT1_PNSt15iterator_traitsISK_E10value_typeET2_T3_PNSL_ISQ_E10value_typeET4_T5_PSV_SW_PNS1_23onesweep_lookback_stateEbbT6_jjT7_P12ihipStream_tbENKUlT_T0_SK_SP_E_clISE_SE_SF_SF_EEDaS13_S14_SK_SP_EUlS13_E_NS1_11comp_targetILNS1_3genE5ELNS1_11target_archE942ELNS1_3gpuE9ELNS1_3repE0EEENS1_47radix_sort_onesweep_sort_config_static_selectorELNS0_4arch9wavefront6targetE0EEEvSK_.private_seg_size, 0
	.set _ZN7rocprim17ROCPRIM_400000_NS6detail17trampoline_kernelINS0_14default_configENS1_35radix_sort_onesweep_config_selectorIfNS0_10empty_typeEEEZZNS1_29radix_sort_onesweep_iterationIS3_Lb0EN6thrust23THRUST_200600_302600_NS6detail15normal_iteratorINS9_10device_ptrIfEEEESE_PS5_SF_jNS0_19identity_decomposerENS1_16block_id_wrapperIjLb0EEEEE10hipError_tT1_PNSt15iterator_traitsISK_E10value_typeET2_T3_PNSL_ISQ_E10value_typeET4_T5_PSV_SW_PNS1_23onesweep_lookback_stateEbbT6_jjT7_P12ihipStream_tbENKUlT_T0_SK_SP_E_clISE_SE_SF_SF_EEDaS13_S14_SK_SP_EUlS13_E_NS1_11comp_targetILNS1_3genE5ELNS1_11target_archE942ELNS1_3gpuE9ELNS1_3repE0EEENS1_47radix_sort_onesweep_sort_config_static_selectorELNS0_4arch9wavefront6targetE0EEEvSK_.uses_vcc, 0
	.set _ZN7rocprim17ROCPRIM_400000_NS6detail17trampoline_kernelINS0_14default_configENS1_35radix_sort_onesweep_config_selectorIfNS0_10empty_typeEEEZZNS1_29radix_sort_onesweep_iterationIS3_Lb0EN6thrust23THRUST_200600_302600_NS6detail15normal_iteratorINS9_10device_ptrIfEEEESE_PS5_SF_jNS0_19identity_decomposerENS1_16block_id_wrapperIjLb0EEEEE10hipError_tT1_PNSt15iterator_traitsISK_E10value_typeET2_T3_PNSL_ISQ_E10value_typeET4_T5_PSV_SW_PNS1_23onesweep_lookback_stateEbbT6_jjT7_P12ihipStream_tbENKUlT_T0_SK_SP_E_clISE_SE_SF_SF_EEDaS13_S14_SK_SP_EUlS13_E_NS1_11comp_targetILNS1_3genE5ELNS1_11target_archE942ELNS1_3gpuE9ELNS1_3repE0EEENS1_47radix_sort_onesweep_sort_config_static_selectorELNS0_4arch9wavefront6targetE0EEEvSK_.uses_flat_scratch, 0
	.set _ZN7rocprim17ROCPRIM_400000_NS6detail17trampoline_kernelINS0_14default_configENS1_35radix_sort_onesweep_config_selectorIfNS0_10empty_typeEEEZZNS1_29radix_sort_onesweep_iterationIS3_Lb0EN6thrust23THRUST_200600_302600_NS6detail15normal_iteratorINS9_10device_ptrIfEEEESE_PS5_SF_jNS0_19identity_decomposerENS1_16block_id_wrapperIjLb0EEEEE10hipError_tT1_PNSt15iterator_traitsISK_E10value_typeET2_T3_PNSL_ISQ_E10value_typeET4_T5_PSV_SW_PNS1_23onesweep_lookback_stateEbbT6_jjT7_P12ihipStream_tbENKUlT_T0_SK_SP_E_clISE_SE_SF_SF_EEDaS13_S14_SK_SP_EUlS13_E_NS1_11comp_targetILNS1_3genE5ELNS1_11target_archE942ELNS1_3gpuE9ELNS1_3repE0EEENS1_47radix_sort_onesweep_sort_config_static_selectorELNS0_4arch9wavefront6targetE0EEEvSK_.has_dyn_sized_stack, 0
	.set _ZN7rocprim17ROCPRIM_400000_NS6detail17trampoline_kernelINS0_14default_configENS1_35radix_sort_onesweep_config_selectorIfNS0_10empty_typeEEEZZNS1_29radix_sort_onesweep_iterationIS3_Lb0EN6thrust23THRUST_200600_302600_NS6detail15normal_iteratorINS9_10device_ptrIfEEEESE_PS5_SF_jNS0_19identity_decomposerENS1_16block_id_wrapperIjLb0EEEEE10hipError_tT1_PNSt15iterator_traitsISK_E10value_typeET2_T3_PNSL_ISQ_E10value_typeET4_T5_PSV_SW_PNS1_23onesweep_lookback_stateEbbT6_jjT7_P12ihipStream_tbENKUlT_T0_SK_SP_E_clISE_SE_SF_SF_EEDaS13_S14_SK_SP_EUlS13_E_NS1_11comp_targetILNS1_3genE5ELNS1_11target_archE942ELNS1_3gpuE9ELNS1_3repE0EEENS1_47radix_sort_onesweep_sort_config_static_selectorELNS0_4arch9wavefront6targetE0EEEvSK_.has_recursion, 0
	.set _ZN7rocprim17ROCPRIM_400000_NS6detail17trampoline_kernelINS0_14default_configENS1_35radix_sort_onesweep_config_selectorIfNS0_10empty_typeEEEZZNS1_29radix_sort_onesweep_iterationIS3_Lb0EN6thrust23THRUST_200600_302600_NS6detail15normal_iteratorINS9_10device_ptrIfEEEESE_PS5_SF_jNS0_19identity_decomposerENS1_16block_id_wrapperIjLb0EEEEE10hipError_tT1_PNSt15iterator_traitsISK_E10value_typeET2_T3_PNSL_ISQ_E10value_typeET4_T5_PSV_SW_PNS1_23onesweep_lookback_stateEbbT6_jjT7_P12ihipStream_tbENKUlT_T0_SK_SP_E_clISE_SE_SF_SF_EEDaS13_S14_SK_SP_EUlS13_E_NS1_11comp_targetILNS1_3genE5ELNS1_11target_archE942ELNS1_3gpuE9ELNS1_3repE0EEENS1_47radix_sort_onesweep_sort_config_static_selectorELNS0_4arch9wavefront6targetE0EEEvSK_.has_indirect_call, 0
	.section	.AMDGPU.csdata,"",@progbits
; Kernel info:
; codeLenInByte = 0
; TotalNumSgprs: 0
; NumVgprs: 0
; ScratchSize: 0
; MemoryBound: 0
; FloatMode: 240
; IeeeMode: 1
; LDSByteSize: 0 bytes/workgroup (compile time only)
; SGPRBlocks: 0
; VGPRBlocks: 0
; NumSGPRsForWavesPerEU: 1
; NumVGPRsForWavesPerEU: 1
; Occupancy: 16
; WaveLimiterHint : 0
; COMPUTE_PGM_RSRC2:SCRATCH_EN: 0
; COMPUTE_PGM_RSRC2:USER_SGPR: 6
; COMPUTE_PGM_RSRC2:TRAP_HANDLER: 0
; COMPUTE_PGM_RSRC2:TGID_X_EN: 1
; COMPUTE_PGM_RSRC2:TGID_Y_EN: 0
; COMPUTE_PGM_RSRC2:TGID_Z_EN: 0
; COMPUTE_PGM_RSRC2:TIDIG_COMP_CNT: 0
	.section	.text._ZN7rocprim17ROCPRIM_400000_NS6detail17trampoline_kernelINS0_14default_configENS1_35radix_sort_onesweep_config_selectorIfNS0_10empty_typeEEEZZNS1_29radix_sort_onesweep_iterationIS3_Lb0EN6thrust23THRUST_200600_302600_NS6detail15normal_iteratorINS9_10device_ptrIfEEEESE_PS5_SF_jNS0_19identity_decomposerENS1_16block_id_wrapperIjLb0EEEEE10hipError_tT1_PNSt15iterator_traitsISK_E10value_typeET2_T3_PNSL_ISQ_E10value_typeET4_T5_PSV_SW_PNS1_23onesweep_lookback_stateEbbT6_jjT7_P12ihipStream_tbENKUlT_T0_SK_SP_E_clISE_SE_SF_SF_EEDaS13_S14_SK_SP_EUlS13_E_NS1_11comp_targetILNS1_3genE2ELNS1_11target_archE906ELNS1_3gpuE6ELNS1_3repE0EEENS1_47radix_sort_onesweep_sort_config_static_selectorELNS0_4arch9wavefront6targetE0EEEvSK_,"axG",@progbits,_ZN7rocprim17ROCPRIM_400000_NS6detail17trampoline_kernelINS0_14default_configENS1_35radix_sort_onesweep_config_selectorIfNS0_10empty_typeEEEZZNS1_29radix_sort_onesweep_iterationIS3_Lb0EN6thrust23THRUST_200600_302600_NS6detail15normal_iteratorINS9_10device_ptrIfEEEESE_PS5_SF_jNS0_19identity_decomposerENS1_16block_id_wrapperIjLb0EEEEE10hipError_tT1_PNSt15iterator_traitsISK_E10value_typeET2_T3_PNSL_ISQ_E10value_typeET4_T5_PSV_SW_PNS1_23onesweep_lookback_stateEbbT6_jjT7_P12ihipStream_tbENKUlT_T0_SK_SP_E_clISE_SE_SF_SF_EEDaS13_S14_SK_SP_EUlS13_E_NS1_11comp_targetILNS1_3genE2ELNS1_11target_archE906ELNS1_3gpuE6ELNS1_3repE0EEENS1_47radix_sort_onesweep_sort_config_static_selectorELNS0_4arch9wavefront6targetE0EEEvSK_,comdat
	.protected	_ZN7rocprim17ROCPRIM_400000_NS6detail17trampoline_kernelINS0_14default_configENS1_35radix_sort_onesweep_config_selectorIfNS0_10empty_typeEEEZZNS1_29radix_sort_onesweep_iterationIS3_Lb0EN6thrust23THRUST_200600_302600_NS6detail15normal_iteratorINS9_10device_ptrIfEEEESE_PS5_SF_jNS0_19identity_decomposerENS1_16block_id_wrapperIjLb0EEEEE10hipError_tT1_PNSt15iterator_traitsISK_E10value_typeET2_T3_PNSL_ISQ_E10value_typeET4_T5_PSV_SW_PNS1_23onesweep_lookback_stateEbbT6_jjT7_P12ihipStream_tbENKUlT_T0_SK_SP_E_clISE_SE_SF_SF_EEDaS13_S14_SK_SP_EUlS13_E_NS1_11comp_targetILNS1_3genE2ELNS1_11target_archE906ELNS1_3gpuE6ELNS1_3repE0EEENS1_47radix_sort_onesweep_sort_config_static_selectorELNS0_4arch9wavefront6targetE0EEEvSK_ ; -- Begin function _ZN7rocprim17ROCPRIM_400000_NS6detail17trampoline_kernelINS0_14default_configENS1_35radix_sort_onesweep_config_selectorIfNS0_10empty_typeEEEZZNS1_29radix_sort_onesweep_iterationIS3_Lb0EN6thrust23THRUST_200600_302600_NS6detail15normal_iteratorINS9_10device_ptrIfEEEESE_PS5_SF_jNS0_19identity_decomposerENS1_16block_id_wrapperIjLb0EEEEE10hipError_tT1_PNSt15iterator_traitsISK_E10value_typeET2_T3_PNSL_ISQ_E10value_typeET4_T5_PSV_SW_PNS1_23onesweep_lookback_stateEbbT6_jjT7_P12ihipStream_tbENKUlT_T0_SK_SP_E_clISE_SE_SF_SF_EEDaS13_S14_SK_SP_EUlS13_E_NS1_11comp_targetILNS1_3genE2ELNS1_11target_archE906ELNS1_3gpuE6ELNS1_3repE0EEENS1_47radix_sort_onesweep_sort_config_static_selectorELNS0_4arch9wavefront6targetE0EEEvSK_
	.globl	_ZN7rocprim17ROCPRIM_400000_NS6detail17trampoline_kernelINS0_14default_configENS1_35radix_sort_onesweep_config_selectorIfNS0_10empty_typeEEEZZNS1_29radix_sort_onesweep_iterationIS3_Lb0EN6thrust23THRUST_200600_302600_NS6detail15normal_iteratorINS9_10device_ptrIfEEEESE_PS5_SF_jNS0_19identity_decomposerENS1_16block_id_wrapperIjLb0EEEEE10hipError_tT1_PNSt15iterator_traitsISK_E10value_typeET2_T3_PNSL_ISQ_E10value_typeET4_T5_PSV_SW_PNS1_23onesweep_lookback_stateEbbT6_jjT7_P12ihipStream_tbENKUlT_T0_SK_SP_E_clISE_SE_SF_SF_EEDaS13_S14_SK_SP_EUlS13_E_NS1_11comp_targetILNS1_3genE2ELNS1_11target_archE906ELNS1_3gpuE6ELNS1_3repE0EEENS1_47radix_sort_onesweep_sort_config_static_selectorELNS0_4arch9wavefront6targetE0EEEvSK_
	.p2align	8
	.type	_ZN7rocprim17ROCPRIM_400000_NS6detail17trampoline_kernelINS0_14default_configENS1_35radix_sort_onesweep_config_selectorIfNS0_10empty_typeEEEZZNS1_29radix_sort_onesweep_iterationIS3_Lb0EN6thrust23THRUST_200600_302600_NS6detail15normal_iteratorINS9_10device_ptrIfEEEESE_PS5_SF_jNS0_19identity_decomposerENS1_16block_id_wrapperIjLb0EEEEE10hipError_tT1_PNSt15iterator_traitsISK_E10value_typeET2_T3_PNSL_ISQ_E10value_typeET4_T5_PSV_SW_PNS1_23onesweep_lookback_stateEbbT6_jjT7_P12ihipStream_tbENKUlT_T0_SK_SP_E_clISE_SE_SF_SF_EEDaS13_S14_SK_SP_EUlS13_E_NS1_11comp_targetILNS1_3genE2ELNS1_11target_archE906ELNS1_3gpuE6ELNS1_3repE0EEENS1_47radix_sort_onesweep_sort_config_static_selectorELNS0_4arch9wavefront6targetE0EEEvSK_,@function
_ZN7rocprim17ROCPRIM_400000_NS6detail17trampoline_kernelINS0_14default_configENS1_35radix_sort_onesweep_config_selectorIfNS0_10empty_typeEEEZZNS1_29radix_sort_onesweep_iterationIS3_Lb0EN6thrust23THRUST_200600_302600_NS6detail15normal_iteratorINS9_10device_ptrIfEEEESE_PS5_SF_jNS0_19identity_decomposerENS1_16block_id_wrapperIjLb0EEEEE10hipError_tT1_PNSt15iterator_traitsISK_E10value_typeET2_T3_PNSL_ISQ_E10value_typeET4_T5_PSV_SW_PNS1_23onesweep_lookback_stateEbbT6_jjT7_P12ihipStream_tbENKUlT_T0_SK_SP_E_clISE_SE_SF_SF_EEDaS13_S14_SK_SP_EUlS13_E_NS1_11comp_targetILNS1_3genE2ELNS1_11target_archE906ELNS1_3gpuE6ELNS1_3repE0EEENS1_47radix_sort_onesweep_sort_config_static_selectorELNS0_4arch9wavefront6targetE0EEEvSK_: ; @_ZN7rocprim17ROCPRIM_400000_NS6detail17trampoline_kernelINS0_14default_configENS1_35radix_sort_onesweep_config_selectorIfNS0_10empty_typeEEEZZNS1_29radix_sort_onesweep_iterationIS3_Lb0EN6thrust23THRUST_200600_302600_NS6detail15normal_iteratorINS9_10device_ptrIfEEEESE_PS5_SF_jNS0_19identity_decomposerENS1_16block_id_wrapperIjLb0EEEEE10hipError_tT1_PNSt15iterator_traitsISK_E10value_typeET2_T3_PNSL_ISQ_E10value_typeET4_T5_PSV_SW_PNS1_23onesweep_lookback_stateEbbT6_jjT7_P12ihipStream_tbENKUlT_T0_SK_SP_E_clISE_SE_SF_SF_EEDaS13_S14_SK_SP_EUlS13_E_NS1_11comp_targetILNS1_3genE2ELNS1_11target_archE906ELNS1_3gpuE6ELNS1_3repE0EEENS1_47radix_sort_onesweep_sort_config_static_selectorELNS0_4arch9wavefront6targetE0EEEvSK_
; %bb.0:
	.section	.rodata,"a",@progbits
	.p2align	6, 0x0
	.amdhsa_kernel _ZN7rocprim17ROCPRIM_400000_NS6detail17trampoline_kernelINS0_14default_configENS1_35radix_sort_onesweep_config_selectorIfNS0_10empty_typeEEEZZNS1_29radix_sort_onesweep_iterationIS3_Lb0EN6thrust23THRUST_200600_302600_NS6detail15normal_iteratorINS9_10device_ptrIfEEEESE_PS5_SF_jNS0_19identity_decomposerENS1_16block_id_wrapperIjLb0EEEEE10hipError_tT1_PNSt15iterator_traitsISK_E10value_typeET2_T3_PNSL_ISQ_E10value_typeET4_T5_PSV_SW_PNS1_23onesweep_lookback_stateEbbT6_jjT7_P12ihipStream_tbENKUlT_T0_SK_SP_E_clISE_SE_SF_SF_EEDaS13_S14_SK_SP_EUlS13_E_NS1_11comp_targetILNS1_3genE2ELNS1_11target_archE906ELNS1_3gpuE6ELNS1_3repE0EEENS1_47radix_sort_onesweep_sort_config_static_selectorELNS0_4arch9wavefront6targetE0EEEvSK_
		.amdhsa_group_segment_fixed_size 0
		.amdhsa_private_segment_fixed_size 0
		.amdhsa_kernarg_size 88
		.amdhsa_user_sgpr_count 6
		.amdhsa_user_sgpr_private_segment_buffer 1
		.amdhsa_user_sgpr_dispatch_ptr 0
		.amdhsa_user_sgpr_queue_ptr 0
		.amdhsa_user_sgpr_kernarg_segment_ptr 1
		.amdhsa_user_sgpr_dispatch_id 0
		.amdhsa_user_sgpr_flat_scratch_init 0
		.amdhsa_user_sgpr_private_segment_size 0
		.amdhsa_wavefront_size32 1
		.amdhsa_uses_dynamic_stack 0
		.amdhsa_system_sgpr_private_segment_wavefront_offset 0
		.amdhsa_system_sgpr_workgroup_id_x 1
		.amdhsa_system_sgpr_workgroup_id_y 0
		.amdhsa_system_sgpr_workgroup_id_z 0
		.amdhsa_system_sgpr_workgroup_info 0
		.amdhsa_system_vgpr_workitem_id 0
		.amdhsa_next_free_vgpr 1
		.amdhsa_next_free_sgpr 1
		.amdhsa_reserve_vcc 0
		.amdhsa_reserve_flat_scratch 0
		.amdhsa_float_round_mode_32 0
		.amdhsa_float_round_mode_16_64 0
		.amdhsa_float_denorm_mode_32 3
		.amdhsa_float_denorm_mode_16_64 3
		.amdhsa_dx10_clamp 1
		.amdhsa_ieee_mode 1
		.amdhsa_fp16_overflow 0
		.amdhsa_workgroup_processor_mode 1
		.amdhsa_memory_ordered 1
		.amdhsa_forward_progress 1
		.amdhsa_shared_vgpr_count 0
		.amdhsa_exception_fp_ieee_invalid_op 0
		.amdhsa_exception_fp_denorm_src 0
		.amdhsa_exception_fp_ieee_div_zero 0
		.amdhsa_exception_fp_ieee_overflow 0
		.amdhsa_exception_fp_ieee_underflow 0
		.amdhsa_exception_fp_ieee_inexact 0
		.amdhsa_exception_int_div_zero 0
	.end_amdhsa_kernel
	.section	.text._ZN7rocprim17ROCPRIM_400000_NS6detail17trampoline_kernelINS0_14default_configENS1_35radix_sort_onesweep_config_selectorIfNS0_10empty_typeEEEZZNS1_29radix_sort_onesweep_iterationIS3_Lb0EN6thrust23THRUST_200600_302600_NS6detail15normal_iteratorINS9_10device_ptrIfEEEESE_PS5_SF_jNS0_19identity_decomposerENS1_16block_id_wrapperIjLb0EEEEE10hipError_tT1_PNSt15iterator_traitsISK_E10value_typeET2_T3_PNSL_ISQ_E10value_typeET4_T5_PSV_SW_PNS1_23onesweep_lookback_stateEbbT6_jjT7_P12ihipStream_tbENKUlT_T0_SK_SP_E_clISE_SE_SF_SF_EEDaS13_S14_SK_SP_EUlS13_E_NS1_11comp_targetILNS1_3genE2ELNS1_11target_archE906ELNS1_3gpuE6ELNS1_3repE0EEENS1_47radix_sort_onesweep_sort_config_static_selectorELNS0_4arch9wavefront6targetE0EEEvSK_,"axG",@progbits,_ZN7rocprim17ROCPRIM_400000_NS6detail17trampoline_kernelINS0_14default_configENS1_35radix_sort_onesweep_config_selectorIfNS0_10empty_typeEEEZZNS1_29radix_sort_onesweep_iterationIS3_Lb0EN6thrust23THRUST_200600_302600_NS6detail15normal_iteratorINS9_10device_ptrIfEEEESE_PS5_SF_jNS0_19identity_decomposerENS1_16block_id_wrapperIjLb0EEEEE10hipError_tT1_PNSt15iterator_traitsISK_E10value_typeET2_T3_PNSL_ISQ_E10value_typeET4_T5_PSV_SW_PNS1_23onesweep_lookback_stateEbbT6_jjT7_P12ihipStream_tbENKUlT_T0_SK_SP_E_clISE_SE_SF_SF_EEDaS13_S14_SK_SP_EUlS13_E_NS1_11comp_targetILNS1_3genE2ELNS1_11target_archE906ELNS1_3gpuE6ELNS1_3repE0EEENS1_47radix_sort_onesweep_sort_config_static_selectorELNS0_4arch9wavefront6targetE0EEEvSK_,comdat
.Lfunc_end589:
	.size	_ZN7rocprim17ROCPRIM_400000_NS6detail17trampoline_kernelINS0_14default_configENS1_35radix_sort_onesweep_config_selectorIfNS0_10empty_typeEEEZZNS1_29radix_sort_onesweep_iterationIS3_Lb0EN6thrust23THRUST_200600_302600_NS6detail15normal_iteratorINS9_10device_ptrIfEEEESE_PS5_SF_jNS0_19identity_decomposerENS1_16block_id_wrapperIjLb0EEEEE10hipError_tT1_PNSt15iterator_traitsISK_E10value_typeET2_T3_PNSL_ISQ_E10value_typeET4_T5_PSV_SW_PNS1_23onesweep_lookback_stateEbbT6_jjT7_P12ihipStream_tbENKUlT_T0_SK_SP_E_clISE_SE_SF_SF_EEDaS13_S14_SK_SP_EUlS13_E_NS1_11comp_targetILNS1_3genE2ELNS1_11target_archE906ELNS1_3gpuE6ELNS1_3repE0EEENS1_47radix_sort_onesweep_sort_config_static_selectorELNS0_4arch9wavefront6targetE0EEEvSK_, .Lfunc_end589-_ZN7rocprim17ROCPRIM_400000_NS6detail17trampoline_kernelINS0_14default_configENS1_35radix_sort_onesweep_config_selectorIfNS0_10empty_typeEEEZZNS1_29radix_sort_onesweep_iterationIS3_Lb0EN6thrust23THRUST_200600_302600_NS6detail15normal_iteratorINS9_10device_ptrIfEEEESE_PS5_SF_jNS0_19identity_decomposerENS1_16block_id_wrapperIjLb0EEEEE10hipError_tT1_PNSt15iterator_traitsISK_E10value_typeET2_T3_PNSL_ISQ_E10value_typeET4_T5_PSV_SW_PNS1_23onesweep_lookback_stateEbbT6_jjT7_P12ihipStream_tbENKUlT_T0_SK_SP_E_clISE_SE_SF_SF_EEDaS13_S14_SK_SP_EUlS13_E_NS1_11comp_targetILNS1_3genE2ELNS1_11target_archE906ELNS1_3gpuE6ELNS1_3repE0EEENS1_47radix_sort_onesweep_sort_config_static_selectorELNS0_4arch9wavefront6targetE0EEEvSK_
                                        ; -- End function
	.set _ZN7rocprim17ROCPRIM_400000_NS6detail17trampoline_kernelINS0_14default_configENS1_35radix_sort_onesweep_config_selectorIfNS0_10empty_typeEEEZZNS1_29radix_sort_onesweep_iterationIS3_Lb0EN6thrust23THRUST_200600_302600_NS6detail15normal_iteratorINS9_10device_ptrIfEEEESE_PS5_SF_jNS0_19identity_decomposerENS1_16block_id_wrapperIjLb0EEEEE10hipError_tT1_PNSt15iterator_traitsISK_E10value_typeET2_T3_PNSL_ISQ_E10value_typeET4_T5_PSV_SW_PNS1_23onesweep_lookback_stateEbbT6_jjT7_P12ihipStream_tbENKUlT_T0_SK_SP_E_clISE_SE_SF_SF_EEDaS13_S14_SK_SP_EUlS13_E_NS1_11comp_targetILNS1_3genE2ELNS1_11target_archE906ELNS1_3gpuE6ELNS1_3repE0EEENS1_47radix_sort_onesweep_sort_config_static_selectorELNS0_4arch9wavefront6targetE0EEEvSK_.num_vgpr, 0
	.set _ZN7rocprim17ROCPRIM_400000_NS6detail17trampoline_kernelINS0_14default_configENS1_35radix_sort_onesweep_config_selectorIfNS0_10empty_typeEEEZZNS1_29radix_sort_onesweep_iterationIS3_Lb0EN6thrust23THRUST_200600_302600_NS6detail15normal_iteratorINS9_10device_ptrIfEEEESE_PS5_SF_jNS0_19identity_decomposerENS1_16block_id_wrapperIjLb0EEEEE10hipError_tT1_PNSt15iterator_traitsISK_E10value_typeET2_T3_PNSL_ISQ_E10value_typeET4_T5_PSV_SW_PNS1_23onesweep_lookback_stateEbbT6_jjT7_P12ihipStream_tbENKUlT_T0_SK_SP_E_clISE_SE_SF_SF_EEDaS13_S14_SK_SP_EUlS13_E_NS1_11comp_targetILNS1_3genE2ELNS1_11target_archE906ELNS1_3gpuE6ELNS1_3repE0EEENS1_47radix_sort_onesweep_sort_config_static_selectorELNS0_4arch9wavefront6targetE0EEEvSK_.num_agpr, 0
	.set _ZN7rocprim17ROCPRIM_400000_NS6detail17trampoline_kernelINS0_14default_configENS1_35radix_sort_onesweep_config_selectorIfNS0_10empty_typeEEEZZNS1_29radix_sort_onesweep_iterationIS3_Lb0EN6thrust23THRUST_200600_302600_NS6detail15normal_iteratorINS9_10device_ptrIfEEEESE_PS5_SF_jNS0_19identity_decomposerENS1_16block_id_wrapperIjLb0EEEEE10hipError_tT1_PNSt15iterator_traitsISK_E10value_typeET2_T3_PNSL_ISQ_E10value_typeET4_T5_PSV_SW_PNS1_23onesweep_lookback_stateEbbT6_jjT7_P12ihipStream_tbENKUlT_T0_SK_SP_E_clISE_SE_SF_SF_EEDaS13_S14_SK_SP_EUlS13_E_NS1_11comp_targetILNS1_3genE2ELNS1_11target_archE906ELNS1_3gpuE6ELNS1_3repE0EEENS1_47radix_sort_onesweep_sort_config_static_selectorELNS0_4arch9wavefront6targetE0EEEvSK_.numbered_sgpr, 0
	.set _ZN7rocprim17ROCPRIM_400000_NS6detail17trampoline_kernelINS0_14default_configENS1_35radix_sort_onesweep_config_selectorIfNS0_10empty_typeEEEZZNS1_29radix_sort_onesweep_iterationIS3_Lb0EN6thrust23THRUST_200600_302600_NS6detail15normal_iteratorINS9_10device_ptrIfEEEESE_PS5_SF_jNS0_19identity_decomposerENS1_16block_id_wrapperIjLb0EEEEE10hipError_tT1_PNSt15iterator_traitsISK_E10value_typeET2_T3_PNSL_ISQ_E10value_typeET4_T5_PSV_SW_PNS1_23onesweep_lookback_stateEbbT6_jjT7_P12ihipStream_tbENKUlT_T0_SK_SP_E_clISE_SE_SF_SF_EEDaS13_S14_SK_SP_EUlS13_E_NS1_11comp_targetILNS1_3genE2ELNS1_11target_archE906ELNS1_3gpuE6ELNS1_3repE0EEENS1_47radix_sort_onesweep_sort_config_static_selectorELNS0_4arch9wavefront6targetE0EEEvSK_.num_named_barrier, 0
	.set _ZN7rocprim17ROCPRIM_400000_NS6detail17trampoline_kernelINS0_14default_configENS1_35radix_sort_onesweep_config_selectorIfNS0_10empty_typeEEEZZNS1_29radix_sort_onesweep_iterationIS3_Lb0EN6thrust23THRUST_200600_302600_NS6detail15normal_iteratorINS9_10device_ptrIfEEEESE_PS5_SF_jNS0_19identity_decomposerENS1_16block_id_wrapperIjLb0EEEEE10hipError_tT1_PNSt15iterator_traitsISK_E10value_typeET2_T3_PNSL_ISQ_E10value_typeET4_T5_PSV_SW_PNS1_23onesweep_lookback_stateEbbT6_jjT7_P12ihipStream_tbENKUlT_T0_SK_SP_E_clISE_SE_SF_SF_EEDaS13_S14_SK_SP_EUlS13_E_NS1_11comp_targetILNS1_3genE2ELNS1_11target_archE906ELNS1_3gpuE6ELNS1_3repE0EEENS1_47radix_sort_onesweep_sort_config_static_selectorELNS0_4arch9wavefront6targetE0EEEvSK_.private_seg_size, 0
	.set _ZN7rocprim17ROCPRIM_400000_NS6detail17trampoline_kernelINS0_14default_configENS1_35radix_sort_onesweep_config_selectorIfNS0_10empty_typeEEEZZNS1_29radix_sort_onesweep_iterationIS3_Lb0EN6thrust23THRUST_200600_302600_NS6detail15normal_iteratorINS9_10device_ptrIfEEEESE_PS5_SF_jNS0_19identity_decomposerENS1_16block_id_wrapperIjLb0EEEEE10hipError_tT1_PNSt15iterator_traitsISK_E10value_typeET2_T3_PNSL_ISQ_E10value_typeET4_T5_PSV_SW_PNS1_23onesweep_lookback_stateEbbT6_jjT7_P12ihipStream_tbENKUlT_T0_SK_SP_E_clISE_SE_SF_SF_EEDaS13_S14_SK_SP_EUlS13_E_NS1_11comp_targetILNS1_3genE2ELNS1_11target_archE906ELNS1_3gpuE6ELNS1_3repE0EEENS1_47radix_sort_onesweep_sort_config_static_selectorELNS0_4arch9wavefront6targetE0EEEvSK_.uses_vcc, 0
	.set _ZN7rocprim17ROCPRIM_400000_NS6detail17trampoline_kernelINS0_14default_configENS1_35radix_sort_onesweep_config_selectorIfNS0_10empty_typeEEEZZNS1_29radix_sort_onesweep_iterationIS3_Lb0EN6thrust23THRUST_200600_302600_NS6detail15normal_iteratorINS9_10device_ptrIfEEEESE_PS5_SF_jNS0_19identity_decomposerENS1_16block_id_wrapperIjLb0EEEEE10hipError_tT1_PNSt15iterator_traitsISK_E10value_typeET2_T3_PNSL_ISQ_E10value_typeET4_T5_PSV_SW_PNS1_23onesweep_lookback_stateEbbT6_jjT7_P12ihipStream_tbENKUlT_T0_SK_SP_E_clISE_SE_SF_SF_EEDaS13_S14_SK_SP_EUlS13_E_NS1_11comp_targetILNS1_3genE2ELNS1_11target_archE906ELNS1_3gpuE6ELNS1_3repE0EEENS1_47radix_sort_onesweep_sort_config_static_selectorELNS0_4arch9wavefront6targetE0EEEvSK_.uses_flat_scratch, 0
	.set _ZN7rocprim17ROCPRIM_400000_NS6detail17trampoline_kernelINS0_14default_configENS1_35radix_sort_onesweep_config_selectorIfNS0_10empty_typeEEEZZNS1_29radix_sort_onesweep_iterationIS3_Lb0EN6thrust23THRUST_200600_302600_NS6detail15normal_iteratorINS9_10device_ptrIfEEEESE_PS5_SF_jNS0_19identity_decomposerENS1_16block_id_wrapperIjLb0EEEEE10hipError_tT1_PNSt15iterator_traitsISK_E10value_typeET2_T3_PNSL_ISQ_E10value_typeET4_T5_PSV_SW_PNS1_23onesweep_lookback_stateEbbT6_jjT7_P12ihipStream_tbENKUlT_T0_SK_SP_E_clISE_SE_SF_SF_EEDaS13_S14_SK_SP_EUlS13_E_NS1_11comp_targetILNS1_3genE2ELNS1_11target_archE906ELNS1_3gpuE6ELNS1_3repE0EEENS1_47radix_sort_onesweep_sort_config_static_selectorELNS0_4arch9wavefront6targetE0EEEvSK_.has_dyn_sized_stack, 0
	.set _ZN7rocprim17ROCPRIM_400000_NS6detail17trampoline_kernelINS0_14default_configENS1_35radix_sort_onesweep_config_selectorIfNS0_10empty_typeEEEZZNS1_29radix_sort_onesweep_iterationIS3_Lb0EN6thrust23THRUST_200600_302600_NS6detail15normal_iteratorINS9_10device_ptrIfEEEESE_PS5_SF_jNS0_19identity_decomposerENS1_16block_id_wrapperIjLb0EEEEE10hipError_tT1_PNSt15iterator_traitsISK_E10value_typeET2_T3_PNSL_ISQ_E10value_typeET4_T5_PSV_SW_PNS1_23onesweep_lookback_stateEbbT6_jjT7_P12ihipStream_tbENKUlT_T0_SK_SP_E_clISE_SE_SF_SF_EEDaS13_S14_SK_SP_EUlS13_E_NS1_11comp_targetILNS1_3genE2ELNS1_11target_archE906ELNS1_3gpuE6ELNS1_3repE0EEENS1_47radix_sort_onesweep_sort_config_static_selectorELNS0_4arch9wavefront6targetE0EEEvSK_.has_recursion, 0
	.set _ZN7rocprim17ROCPRIM_400000_NS6detail17trampoline_kernelINS0_14default_configENS1_35radix_sort_onesweep_config_selectorIfNS0_10empty_typeEEEZZNS1_29radix_sort_onesweep_iterationIS3_Lb0EN6thrust23THRUST_200600_302600_NS6detail15normal_iteratorINS9_10device_ptrIfEEEESE_PS5_SF_jNS0_19identity_decomposerENS1_16block_id_wrapperIjLb0EEEEE10hipError_tT1_PNSt15iterator_traitsISK_E10value_typeET2_T3_PNSL_ISQ_E10value_typeET4_T5_PSV_SW_PNS1_23onesweep_lookback_stateEbbT6_jjT7_P12ihipStream_tbENKUlT_T0_SK_SP_E_clISE_SE_SF_SF_EEDaS13_S14_SK_SP_EUlS13_E_NS1_11comp_targetILNS1_3genE2ELNS1_11target_archE906ELNS1_3gpuE6ELNS1_3repE0EEENS1_47radix_sort_onesweep_sort_config_static_selectorELNS0_4arch9wavefront6targetE0EEEvSK_.has_indirect_call, 0
	.section	.AMDGPU.csdata,"",@progbits
; Kernel info:
; codeLenInByte = 0
; TotalNumSgprs: 0
; NumVgprs: 0
; ScratchSize: 0
; MemoryBound: 0
; FloatMode: 240
; IeeeMode: 1
; LDSByteSize: 0 bytes/workgroup (compile time only)
; SGPRBlocks: 0
; VGPRBlocks: 0
; NumSGPRsForWavesPerEU: 1
; NumVGPRsForWavesPerEU: 1
; Occupancy: 16
; WaveLimiterHint : 0
; COMPUTE_PGM_RSRC2:SCRATCH_EN: 0
; COMPUTE_PGM_RSRC2:USER_SGPR: 6
; COMPUTE_PGM_RSRC2:TRAP_HANDLER: 0
; COMPUTE_PGM_RSRC2:TGID_X_EN: 1
; COMPUTE_PGM_RSRC2:TGID_Y_EN: 0
; COMPUTE_PGM_RSRC2:TGID_Z_EN: 0
; COMPUTE_PGM_RSRC2:TIDIG_COMP_CNT: 0
	.section	.text._ZN7rocprim17ROCPRIM_400000_NS6detail17trampoline_kernelINS0_14default_configENS1_35radix_sort_onesweep_config_selectorIfNS0_10empty_typeEEEZZNS1_29radix_sort_onesweep_iterationIS3_Lb0EN6thrust23THRUST_200600_302600_NS6detail15normal_iteratorINS9_10device_ptrIfEEEESE_PS5_SF_jNS0_19identity_decomposerENS1_16block_id_wrapperIjLb0EEEEE10hipError_tT1_PNSt15iterator_traitsISK_E10value_typeET2_T3_PNSL_ISQ_E10value_typeET4_T5_PSV_SW_PNS1_23onesweep_lookback_stateEbbT6_jjT7_P12ihipStream_tbENKUlT_T0_SK_SP_E_clISE_SE_SF_SF_EEDaS13_S14_SK_SP_EUlS13_E_NS1_11comp_targetILNS1_3genE4ELNS1_11target_archE910ELNS1_3gpuE8ELNS1_3repE0EEENS1_47radix_sort_onesweep_sort_config_static_selectorELNS0_4arch9wavefront6targetE0EEEvSK_,"axG",@progbits,_ZN7rocprim17ROCPRIM_400000_NS6detail17trampoline_kernelINS0_14default_configENS1_35radix_sort_onesweep_config_selectorIfNS0_10empty_typeEEEZZNS1_29radix_sort_onesweep_iterationIS3_Lb0EN6thrust23THRUST_200600_302600_NS6detail15normal_iteratorINS9_10device_ptrIfEEEESE_PS5_SF_jNS0_19identity_decomposerENS1_16block_id_wrapperIjLb0EEEEE10hipError_tT1_PNSt15iterator_traitsISK_E10value_typeET2_T3_PNSL_ISQ_E10value_typeET4_T5_PSV_SW_PNS1_23onesweep_lookback_stateEbbT6_jjT7_P12ihipStream_tbENKUlT_T0_SK_SP_E_clISE_SE_SF_SF_EEDaS13_S14_SK_SP_EUlS13_E_NS1_11comp_targetILNS1_3genE4ELNS1_11target_archE910ELNS1_3gpuE8ELNS1_3repE0EEENS1_47radix_sort_onesweep_sort_config_static_selectorELNS0_4arch9wavefront6targetE0EEEvSK_,comdat
	.protected	_ZN7rocprim17ROCPRIM_400000_NS6detail17trampoline_kernelINS0_14default_configENS1_35radix_sort_onesweep_config_selectorIfNS0_10empty_typeEEEZZNS1_29radix_sort_onesweep_iterationIS3_Lb0EN6thrust23THRUST_200600_302600_NS6detail15normal_iteratorINS9_10device_ptrIfEEEESE_PS5_SF_jNS0_19identity_decomposerENS1_16block_id_wrapperIjLb0EEEEE10hipError_tT1_PNSt15iterator_traitsISK_E10value_typeET2_T3_PNSL_ISQ_E10value_typeET4_T5_PSV_SW_PNS1_23onesweep_lookback_stateEbbT6_jjT7_P12ihipStream_tbENKUlT_T0_SK_SP_E_clISE_SE_SF_SF_EEDaS13_S14_SK_SP_EUlS13_E_NS1_11comp_targetILNS1_3genE4ELNS1_11target_archE910ELNS1_3gpuE8ELNS1_3repE0EEENS1_47radix_sort_onesweep_sort_config_static_selectorELNS0_4arch9wavefront6targetE0EEEvSK_ ; -- Begin function _ZN7rocprim17ROCPRIM_400000_NS6detail17trampoline_kernelINS0_14default_configENS1_35radix_sort_onesweep_config_selectorIfNS0_10empty_typeEEEZZNS1_29radix_sort_onesweep_iterationIS3_Lb0EN6thrust23THRUST_200600_302600_NS6detail15normal_iteratorINS9_10device_ptrIfEEEESE_PS5_SF_jNS0_19identity_decomposerENS1_16block_id_wrapperIjLb0EEEEE10hipError_tT1_PNSt15iterator_traitsISK_E10value_typeET2_T3_PNSL_ISQ_E10value_typeET4_T5_PSV_SW_PNS1_23onesweep_lookback_stateEbbT6_jjT7_P12ihipStream_tbENKUlT_T0_SK_SP_E_clISE_SE_SF_SF_EEDaS13_S14_SK_SP_EUlS13_E_NS1_11comp_targetILNS1_3genE4ELNS1_11target_archE910ELNS1_3gpuE8ELNS1_3repE0EEENS1_47radix_sort_onesweep_sort_config_static_selectorELNS0_4arch9wavefront6targetE0EEEvSK_
	.globl	_ZN7rocprim17ROCPRIM_400000_NS6detail17trampoline_kernelINS0_14default_configENS1_35radix_sort_onesweep_config_selectorIfNS0_10empty_typeEEEZZNS1_29radix_sort_onesweep_iterationIS3_Lb0EN6thrust23THRUST_200600_302600_NS6detail15normal_iteratorINS9_10device_ptrIfEEEESE_PS5_SF_jNS0_19identity_decomposerENS1_16block_id_wrapperIjLb0EEEEE10hipError_tT1_PNSt15iterator_traitsISK_E10value_typeET2_T3_PNSL_ISQ_E10value_typeET4_T5_PSV_SW_PNS1_23onesweep_lookback_stateEbbT6_jjT7_P12ihipStream_tbENKUlT_T0_SK_SP_E_clISE_SE_SF_SF_EEDaS13_S14_SK_SP_EUlS13_E_NS1_11comp_targetILNS1_3genE4ELNS1_11target_archE910ELNS1_3gpuE8ELNS1_3repE0EEENS1_47radix_sort_onesweep_sort_config_static_selectorELNS0_4arch9wavefront6targetE0EEEvSK_
	.p2align	8
	.type	_ZN7rocprim17ROCPRIM_400000_NS6detail17trampoline_kernelINS0_14default_configENS1_35radix_sort_onesweep_config_selectorIfNS0_10empty_typeEEEZZNS1_29radix_sort_onesweep_iterationIS3_Lb0EN6thrust23THRUST_200600_302600_NS6detail15normal_iteratorINS9_10device_ptrIfEEEESE_PS5_SF_jNS0_19identity_decomposerENS1_16block_id_wrapperIjLb0EEEEE10hipError_tT1_PNSt15iterator_traitsISK_E10value_typeET2_T3_PNSL_ISQ_E10value_typeET4_T5_PSV_SW_PNS1_23onesweep_lookback_stateEbbT6_jjT7_P12ihipStream_tbENKUlT_T0_SK_SP_E_clISE_SE_SF_SF_EEDaS13_S14_SK_SP_EUlS13_E_NS1_11comp_targetILNS1_3genE4ELNS1_11target_archE910ELNS1_3gpuE8ELNS1_3repE0EEENS1_47radix_sort_onesweep_sort_config_static_selectorELNS0_4arch9wavefront6targetE0EEEvSK_,@function
_ZN7rocprim17ROCPRIM_400000_NS6detail17trampoline_kernelINS0_14default_configENS1_35radix_sort_onesweep_config_selectorIfNS0_10empty_typeEEEZZNS1_29radix_sort_onesweep_iterationIS3_Lb0EN6thrust23THRUST_200600_302600_NS6detail15normal_iteratorINS9_10device_ptrIfEEEESE_PS5_SF_jNS0_19identity_decomposerENS1_16block_id_wrapperIjLb0EEEEE10hipError_tT1_PNSt15iterator_traitsISK_E10value_typeET2_T3_PNSL_ISQ_E10value_typeET4_T5_PSV_SW_PNS1_23onesweep_lookback_stateEbbT6_jjT7_P12ihipStream_tbENKUlT_T0_SK_SP_E_clISE_SE_SF_SF_EEDaS13_S14_SK_SP_EUlS13_E_NS1_11comp_targetILNS1_3genE4ELNS1_11target_archE910ELNS1_3gpuE8ELNS1_3repE0EEENS1_47radix_sort_onesweep_sort_config_static_selectorELNS0_4arch9wavefront6targetE0EEEvSK_: ; @_ZN7rocprim17ROCPRIM_400000_NS6detail17trampoline_kernelINS0_14default_configENS1_35radix_sort_onesweep_config_selectorIfNS0_10empty_typeEEEZZNS1_29radix_sort_onesweep_iterationIS3_Lb0EN6thrust23THRUST_200600_302600_NS6detail15normal_iteratorINS9_10device_ptrIfEEEESE_PS5_SF_jNS0_19identity_decomposerENS1_16block_id_wrapperIjLb0EEEEE10hipError_tT1_PNSt15iterator_traitsISK_E10value_typeET2_T3_PNSL_ISQ_E10value_typeET4_T5_PSV_SW_PNS1_23onesweep_lookback_stateEbbT6_jjT7_P12ihipStream_tbENKUlT_T0_SK_SP_E_clISE_SE_SF_SF_EEDaS13_S14_SK_SP_EUlS13_E_NS1_11comp_targetILNS1_3genE4ELNS1_11target_archE910ELNS1_3gpuE8ELNS1_3repE0EEENS1_47radix_sort_onesweep_sort_config_static_selectorELNS0_4arch9wavefront6targetE0EEEvSK_
; %bb.0:
	.section	.rodata,"a",@progbits
	.p2align	6, 0x0
	.amdhsa_kernel _ZN7rocprim17ROCPRIM_400000_NS6detail17trampoline_kernelINS0_14default_configENS1_35radix_sort_onesweep_config_selectorIfNS0_10empty_typeEEEZZNS1_29radix_sort_onesweep_iterationIS3_Lb0EN6thrust23THRUST_200600_302600_NS6detail15normal_iteratorINS9_10device_ptrIfEEEESE_PS5_SF_jNS0_19identity_decomposerENS1_16block_id_wrapperIjLb0EEEEE10hipError_tT1_PNSt15iterator_traitsISK_E10value_typeET2_T3_PNSL_ISQ_E10value_typeET4_T5_PSV_SW_PNS1_23onesweep_lookback_stateEbbT6_jjT7_P12ihipStream_tbENKUlT_T0_SK_SP_E_clISE_SE_SF_SF_EEDaS13_S14_SK_SP_EUlS13_E_NS1_11comp_targetILNS1_3genE4ELNS1_11target_archE910ELNS1_3gpuE8ELNS1_3repE0EEENS1_47radix_sort_onesweep_sort_config_static_selectorELNS0_4arch9wavefront6targetE0EEEvSK_
		.amdhsa_group_segment_fixed_size 0
		.amdhsa_private_segment_fixed_size 0
		.amdhsa_kernarg_size 88
		.amdhsa_user_sgpr_count 6
		.amdhsa_user_sgpr_private_segment_buffer 1
		.amdhsa_user_sgpr_dispatch_ptr 0
		.amdhsa_user_sgpr_queue_ptr 0
		.amdhsa_user_sgpr_kernarg_segment_ptr 1
		.amdhsa_user_sgpr_dispatch_id 0
		.amdhsa_user_sgpr_flat_scratch_init 0
		.amdhsa_user_sgpr_private_segment_size 0
		.amdhsa_wavefront_size32 1
		.amdhsa_uses_dynamic_stack 0
		.amdhsa_system_sgpr_private_segment_wavefront_offset 0
		.amdhsa_system_sgpr_workgroup_id_x 1
		.amdhsa_system_sgpr_workgroup_id_y 0
		.amdhsa_system_sgpr_workgroup_id_z 0
		.amdhsa_system_sgpr_workgroup_info 0
		.amdhsa_system_vgpr_workitem_id 0
		.amdhsa_next_free_vgpr 1
		.amdhsa_next_free_sgpr 1
		.amdhsa_reserve_vcc 0
		.amdhsa_reserve_flat_scratch 0
		.amdhsa_float_round_mode_32 0
		.amdhsa_float_round_mode_16_64 0
		.amdhsa_float_denorm_mode_32 3
		.amdhsa_float_denorm_mode_16_64 3
		.amdhsa_dx10_clamp 1
		.amdhsa_ieee_mode 1
		.amdhsa_fp16_overflow 0
		.amdhsa_workgroup_processor_mode 1
		.amdhsa_memory_ordered 1
		.amdhsa_forward_progress 1
		.amdhsa_shared_vgpr_count 0
		.amdhsa_exception_fp_ieee_invalid_op 0
		.amdhsa_exception_fp_denorm_src 0
		.amdhsa_exception_fp_ieee_div_zero 0
		.amdhsa_exception_fp_ieee_overflow 0
		.amdhsa_exception_fp_ieee_underflow 0
		.amdhsa_exception_fp_ieee_inexact 0
		.amdhsa_exception_int_div_zero 0
	.end_amdhsa_kernel
	.section	.text._ZN7rocprim17ROCPRIM_400000_NS6detail17trampoline_kernelINS0_14default_configENS1_35radix_sort_onesweep_config_selectorIfNS0_10empty_typeEEEZZNS1_29radix_sort_onesweep_iterationIS3_Lb0EN6thrust23THRUST_200600_302600_NS6detail15normal_iteratorINS9_10device_ptrIfEEEESE_PS5_SF_jNS0_19identity_decomposerENS1_16block_id_wrapperIjLb0EEEEE10hipError_tT1_PNSt15iterator_traitsISK_E10value_typeET2_T3_PNSL_ISQ_E10value_typeET4_T5_PSV_SW_PNS1_23onesweep_lookback_stateEbbT6_jjT7_P12ihipStream_tbENKUlT_T0_SK_SP_E_clISE_SE_SF_SF_EEDaS13_S14_SK_SP_EUlS13_E_NS1_11comp_targetILNS1_3genE4ELNS1_11target_archE910ELNS1_3gpuE8ELNS1_3repE0EEENS1_47radix_sort_onesweep_sort_config_static_selectorELNS0_4arch9wavefront6targetE0EEEvSK_,"axG",@progbits,_ZN7rocprim17ROCPRIM_400000_NS6detail17trampoline_kernelINS0_14default_configENS1_35radix_sort_onesweep_config_selectorIfNS0_10empty_typeEEEZZNS1_29radix_sort_onesweep_iterationIS3_Lb0EN6thrust23THRUST_200600_302600_NS6detail15normal_iteratorINS9_10device_ptrIfEEEESE_PS5_SF_jNS0_19identity_decomposerENS1_16block_id_wrapperIjLb0EEEEE10hipError_tT1_PNSt15iterator_traitsISK_E10value_typeET2_T3_PNSL_ISQ_E10value_typeET4_T5_PSV_SW_PNS1_23onesweep_lookback_stateEbbT6_jjT7_P12ihipStream_tbENKUlT_T0_SK_SP_E_clISE_SE_SF_SF_EEDaS13_S14_SK_SP_EUlS13_E_NS1_11comp_targetILNS1_3genE4ELNS1_11target_archE910ELNS1_3gpuE8ELNS1_3repE0EEENS1_47radix_sort_onesweep_sort_config_static_selectorELNS0_4arch9wavefront6targetE0EEEvSK_,comdat
.Lfunc_end590:
	.size	_ZN7rocprim17ROCPRIM_400000_NS6detail17trampoline_kernelINS0_14default_configENS1_35radix_sort_onesweep_config_selectorIfNS0_10empty_typeEEEZZNS1_29radix_sort_onesweep_iterationIS3_Lb0EN6thrust23THRUST_200600_302600_NS6detail15normal_iteratorINS9_10device_ptrIfEEEESE_PS5_SF_jNS0_19identity_decomposerENS1_16block_id_wrapperIjLb0EEEEE10hipError_tT1_PNSt15iterator_traitsISK_E10value_typeET2_T3_PNSL_ISQ_E10value_typeET4_T5_PSV_SW_PNS1_23onesweep_lookback_stateEbbT6_jjT7_P12ihipStream_tbENKUlT_T0_SK_SP_E_clISE_SE_SF_SF_EEDaS13_S14_SK_SP_EUlS13_E_NS1_11comp_targetILNS1_3genE4ELNS1_11target_archE910ELNS1_3gpuE8ELNS1_3repE0EEENS1_47radix_sort_onesweep_sort_config_static_selectorELNS0_4arch9wavefront6targetE0EEEvSK_, .Lfunc_end590-_ZN7rocprim17ROCPRIM_400000_NS6detail17trampoline_kernelINS0_14default_configENS1_35radix_sort_onesweep_config_selectorIfNS0_10empty_typeEEEZZNS1_29radix_sort_onesweep_iterationIS3_Lb0EN6thrust23THRUST_200600_302600_NS6detail15normal_iteratorINS9_10device_ptrIfEEEESE_PS5_SF_jNS0_19identity_decomposerENS1_16block_id_wrapperIjLb0EEEEE10hipError_tT1_PNSt15iterator_traitsISK_E10value_typeET2_T3_PNSL_ISQ_E10value_typeET4_T5_PSV_SW_PNS1_23onesweep_lookback_stateEbbT6_jjT7_P12ihipStream_tbENKUlT_T0_SK_SP_E_clISE_SE_SF_SF_EEDaS13_S14_SK_SP_EUlS13_E_NS1_11comp_targetILNS1_3genE4ELNS1_11target_archE910ELNS1_3gpuE8ELNS1_3repE0EEENS1_47radix_sort_onesweep_sort_config_static_selectorELNS0_4arch9wavefront6targetE0EEEvSK_
                                        ; -- End function
	.set _ZN7rocprim17ROCPRIM_400000_NS6detail17trampoline_kernelINS0_14default_configENS1_35radix_sort_onesweep_config_selectorIfNS0_10empty_typeEEEZZNS1_29radix_sort_onesweep_iterationIS3_Lb0EN6thrust23THRUST_200600_302600_NS6detail15normal_iteratorINS9_10device_ptrIfEEEESE_PS5_SF_jNS0_19identity_decomposerENS1_16block_id_wrapperIjLb0EEEEE10hipError_tT1_PNSt15iterator_traitsISK_E10value_typeET2_T3_PNSL_ISQ_E10value_typeET4_T5_PSV_SW_PNS1_23onesweep_lookback_stateEbbT6_jjT7_P12ihipStream_tbENKUlT_T0_SK_SP_E_clISE_SE_SF_SF_EEDaS13_S14_SK_SP_EUlS13_E_NS1_11comp_targetILNS1_3genE4ELNS1_11target_archE910ELNS1_3gpuE8ELNS1_3repE0EEENS1_47radix_sort_onesweep_sort_config_static_selectorELNS0_4arch9wavefront6targetE0EEEvSK_.num_vgpr, 0
	.set _ZN7rocprim17ROCPRIM_400000_NS6detail17trampoline_kernelINS0_14default_configENS1_35radix_sort_onesweep_config_selectorIfNS0_10empty_typeEEEZZNS1_29radix_sort_onesweep_iterationIS3_Lb0EN6thrust23THRUST_200600_302600_NS6detail15normal_iteratorINS9_10device_ptrIfEEEESE_PS5_SF_jNS0_19identity_decomposerENS1_16block_id_wrapperIjLb0EEEEE10hipError_tT1_PNSt15iterator_traitsISK_E10value_typeET2_T3_PNSL_ISQ_E10value_typeET4_T5_PSV_SW_PNS1_23onesweep_lookback_stateEbbT6_jjT7_P12ihipStream_tbENKUlT_T0_SK_SP_E_clISE_SE_SF_SF_EEDaS13_S14_SK_SP_EUlS13_E_NS1_11comp_targetILNS1_3genE4ELNS1_11target_archE910ELNS1_3gpuE8ELNS1_3repE0EEENS1_47radix_sort_onesweep_sort_config_static_selectorELNS0_4arch9wavefront6targetE0EEEvSK_.num_agpr, 0
	.set _ZN7rocprim17ROCPRIM_400000_NS6detail17trampoline_kernelINS0_14default_configENS1_35radix_sort_onesweep_config_selectorIfNS0_10empty_typeEEEZZNS1_29radix_sort_onesweep_iterationIS3_Lb0EN6thrust23THRUST_200600_302600_NS6detail15normal_iteratorINS9_10device_ptrIfEEEESE_PS5_SF_jNS0_19identity_decomposerENS1_16block_id_wrapperIjLb0EEEEE10hipError_tT1_PNSt15iterator_traitsISK_E10value_typeET2_T3_PNSL_ISQ_E10value_typeET4_T5_PSV_SW_PNS1_23onesweep_lookback_stateEbbT6_jjT7_P12ihipStream_tbENKUlT_T0_SK_SP_E_clISE_SE_SF_SF_EEDaS13_S14_SK_SP_EUlS13_E_NS1_11comp_targetILNS1_3genE4ELNS1_11target_archE910ELNS1_3gpuE8ELNS1_3repE0EEENS1_47radix_sort_onesweep_sort_config_static_selectorELNS0_4arch9wavefront6targetE0EEEvSK_.numbered_sgpr, 0
	.set _ZN7rocprim17ROCPRIM_400000_NS6detail17trampoline_kernelINS0_14default_configENS1_35radix_sort_onesweep_config_selectorIfNS0_10empty_typeEEEZZNS1_29radix_sort_onesweep_iterationIS3_Lb0EN6thrust23THRUST_200600_302600_NS6detail15normal_iteratorINS9_10device_ptrIfEEEESE_PS5_SF_jNS0_19identity_decomposerENS1_16block_id_wrapperIjLb0EEEEE10hipError_tT1_PNSt15iterator_traitsISK_E10value_typeET2_T3_PNSL_ISQ_E10value_typeET4_T5_PSV_SW_PNS1_23onesweep_lookback_stateEbbT6_jjT7_P12ihipStream_tbENKUlT_T0_SK_SP_E_clISE_SE_SF_SF_EEDaS13_S14_SK_SP_EUlS13_E_NS1_11comp_targetILNS1_3genE4ELNS1_11target_archE910ELNS1_3gpuE8ELNS1_3repE0EEENS1_47radix_sort_onesweep_sort_config_static_selectorELNS0_4arch9wavefront6targetE0EEEvSK_.num_named_barrier, 0
	.set _ZN7rocprim17ROCPRIM_400000_NS6detail17trampoline_kernelINS0_14default_configENS1_35radix_sort_onesweep_config_selectorIfNS0_10empty_typeEEEZZNS1_29radix_sort_onesweep_iterationIS3_Lb0EN6thrust23THRUST_200600_302600_NS6detail15normal_iteratorINS9_10device_ptrIfEEEESE_PS5_SF_jNS0_19identity_decomposerENS1_16block_id_wrapperIjLb0EEEEE10hipError_tT1_PNSt15iterator_traitsISK_E10value_typeET2_T3_PNSL_ISQ_E10value_typeET4_T5_PSV_SW_PNS1_23onesweep_lookback_stateEbbT6_jjT7_P12ihipStream_tbENKUlT_T0_SK_SP_E_clISE_SE_SF_SF_EEDaS13_S14_SK_SP_EUlS13_E_NS1_11comp_targetILNS1_3genE4ELNS1_11target_archE910ELNS1_3gpuE8ELNS1_3repE0EEENS1_47radix_sort_onesweep_sort_config_static_selectorELNS0_4arch9wavefront6targetE0EEEvSK_.private_seg_size, 0
	.set _ZN7rocprim17ROCPRIM_400000_NS6detail17trampoline_kernelINS0_14default_configENS1_35radix_sort_onesweep_config_selectorIfNS0_10empty_typeEEEZZNS1_29radix_sort_onesweep_iterationIS3_Lb0EN6thrust23THRUST_200600_302600_NS6detail15normal_iteratorINS9_10device_ptrIfEEEESE_PS5_SF_jNS0_19identity_decomposerENS1_16block_id_wrapperIjLb0EEEEE10hipError_tT1_PNSt15iterator_traitsISK_E10value_typeET2_T3_PNSL_ISQ_E10value_typeET4_T5_PSV_SW_PNS1_23onesweep_lookback_stateEbbT6_jjT7_P12ihipStream_tbENKUlT_T0_SK_SP_E_clISE_SE_SF_SF_EEDaS13_S14_SK_SP_EUlS13_E_NS1_11comp_targetILNS1_3genE4ELNS1_11target_archE910ELNS1_3gpuE8ELNS1_3repE0EEENS1_47radix_sort_onesweep_sort_config_static_selectorELNS0_4arch9wavefront6targetE0EEEvSK_.uses_vcc, 0
	.set _ZN7rocprim17ROCPRIM_400000_NS6detail17trampoline_kernelINS0_14default_configENS1_35radix_sort_onesweep_config_selectorIfNS0_10empty_typeEEEZZNS1_29radix_sort_onesweep_iterationIS3_Lb0EN6thrust23THRUST_200600_302600_NS6detail15normal_iteratorINS9_10device_ptrIfEEEESE_PS5_SF_jNS0_19identity_decomposerENS1_16block_id_wrapperIjLb0EEEEE10hipError_tT1_PNSt15iterator_traitsISK_E10value_typeET2_T3_PNSL_ISQ_E10value_typeET4_T5_PSV_SW_PNS1_23onesweep_lookback_stateEbbT6_jjT7_P12ihipStream_tbENKUlT_T0_SK_SP_E_clISE_SE_SF_SF_EEDaS13_S14_SK_SP_EUlS13_E_NS1_11comp_targetILNS1_3genE4ELNS1_11target_archE910ELNS1_3gpuE8ELNS1_3repE0EEENS1_47radix_sort_onesweep_sort_config_static_selectorELNS0_4arch9wavefront6targetE0EEEvSK_.uses_flat_scratch, 0
	.set _ZN7rocprim17ROCPRIM_400000_NS6detail17trampoline_kernelINS0_14default_configENS1_35radix_sort_onesweep_config_selectorIfNS0_10empty_typeEEEZZNS1_29radix_sort_onesweep_iterationIS3_Lb0EN6thrust23THRUST_200600_302600_NS6detail15normal_iteratorINS9_10device_ptrIfEEEESE_PS5_SF_jNS0_19identity_decomposerENS1_16block_id_wrapperIjLb0EEEEE10hipError_tT1_PNSt15iterator_traitsISK_E10value_typeET2_T3_PNSL_ISQ_E10value_typeET4_T5_PSV_SW_PNS1_23onesweep_lookback_stateEbbT6_jjT7_P12ihipStream_tbENKUlT_T0_SK_SP_E_clISE_SE_SF_SF_EEDaS13_S14_SK_SP_EUlS13_E_NS1_11comp_targetILNS1_3genE4ELNS1_11target_archE910ELNS1_3gpuE8ELNS1_3repE0EEENS1_47radix_sort_onesweep_sort_config_static_selectorELNS0_4arch9wavefront6targetE0EEEvSK_.has_dyn_sized_stack, 0
	.set _ZN7rocprim17ROCPRIM_400000_NS6detail17trampoline_kernelINS0_14default_configENS1_35radix_sort_onesweep_config_selectorIfNS0_10empty_typeEEEZZNS1_29radix_sort_onesweep_iterationIS3_Lb0EN6thrust23THRUST_200600_302600_NS6detail15normal_iteratorINS9_10device_ptrIfEEEESE_PS5_SF_jNS0_19identity_decomposerENS1_16block_id_wrapperIjLb0EEEEE10hipError_tT1_PNSt15iterator_traitsISK_E10value_typeET2_T3_PNSL_ISQ_E10value_typeET4_T5_PSV_SW_PNS1_23onesweep_lookback_stateEbbT6_jjT7_P12ihipStream_tbENKUlT_T0_SK_SP_E_clISE_SE_SF_SF_EEDaS13_S14_SK_SP_EUlS13_E_NS1_11comp_targetILNS1_3genE4ELNS1_11target_archE910ELNS1_3gpuE8ELNS1_3repE0EEENS1_47radix_sort_onesweep_sort_config_static_selectorELNS0_4arch9wavefront6targetE0EEEvSK_.has_recursion, 0
	.set _ZN7rocprim17ROCPRIM_400000_NS6detail17trampoline_kernelINS0_14default_configENS1_35radix_sort_onesweep_config_selectorIfNS0_10empty_typeEEEZZNS1_29radix_sort_onesweep_iterationIS3_Lb0EN6thrust23THRUST_200600_302600_NS6detail15normal_iteratorINS9_10device_ptrIfEEEESE_PS5_SF_jNS0_19identity_decomposerENS1_16block_id_wrapperIjLb0EEEEE10hipError_tT1_PNSt15iterator_traitsISK_E10value_typeET2_T3_PNSL_ISQ_E10value_typeET4_T5_PSV_SW_PNS1_23onesweep_lookback_stateEbbT6_jjT7_P12ihipStream_tbENKUlT_T0_SK_SP_E_clISE_SE_SF_SF_EEDaS13_S14_SK_SP_EUlS13_E_NS1_11comp_targetILNS1_3genE4ELNS1_11target_archE910ELNS1_3gpuE8ELNS1_3repE0EEENS1_47radix_sort_onesweep_sort_config_static_selectorELNS0_4arch9wavefront6targetE0EEEvSK_.has_indirect_call, 0
	.section	.AMDGPU.csdata,"",@progbits
; Kernel info:
; codeLenInByte = 0
; TotalNumSgprs: 0
; NumVgprs: 0
; ScratchSize: 0
; MemoryBound: 0
; FloatMode: 240
; IeeeMode: 1
; LDSByteSize: 0 bytes/workgroup (compile time only)
; SGPRBlocks: 0
; VGPRBlocks: 0
; NumSGPRsForWavesPerEU: 1
; NumVGPRsForWavesPerEU: 1
; Occupancy: 16
; WaveLimiterHint : 0
; COMPUTE_PGM_RSRC2:SCRATCH_EN: 0
; COMPUTE_PGM_RSRC2:USER_SGPR: 6
; COMPUTE_PGM_RSRC2:TRAP_HANDLER: 0
; COMPUTE_PGM_RSRC2:TGID_X_EN: 1
; COMPUTE_PGM_RSRC2:TGID_Y_EN: 0
; COMPUTE_PGM_RSRC2:TGID_Z_EN: 0
; COMPUTE_PGM_RSRC2:TIDIG_COMP_CNT: 0
	.section	.text._ZN7rocprim17ROCPRIM_400000_NS6detail17trampoline_kernelINS0_14default_configENS1_35radix_sort_onesweep_config_selectorIfNS0_10empty_typeEEEZZNS1_29radix_sort_onesweep_iterationIS3_Lb0EN6thrust23THRUST_200600_302600_NS6detail15normal_iteratorINS9_10device_ptrIfEEEESE_PS5_SF_jNS0_19identity_decomposerENS1_16block_id_wrapperIjLb0EEEEE10hipError_tT1_PNSt15iterator_traitsISK_E10value_typeET2_T3_PNSL_ISQ_E10value_typeET4_T5_PSV_SW_PNS1_23onesweep_lookback_stateEbbT6_jjT7_P12ihipStream_tbENKUlT_T0_SK_SP_E_clISE_SE_SF_SF_EEDaS13_S14_SK_SP_EUlS13_E_NS1_11comp_targetILNS1_3genE3ELNS1_11target_archE908ELNS1_3gpuE7ELNS1_3repE0EEENS1_47radix_sort_onesweep_sort_config_static_selectorELNS0_4arch9wavefront6targetE0EEEvSK_,"axG",@progbits,_ZN7rocprim17ROCPRIM_400000_NS6detail17trampoline_kernelINS0_14default_configENS1_35radix_sort_onesweep_config_selectorIfNS0_10empty_typeEEEZZNS1_29radix_sort_onesweep_iterationIS3_Lb0EN6thrust23THRUST_200600_302600_NS6detail15normal_iteratorINS9_10device_ptrIfEEEESE_PS5_SF_jNS0_19identity_decomposerENS1_16block_id_wrapperIjLb0EEEEE10hipError_tT1_PNSt15iterator_traitsISK_E10value_typeET2_T3_PNSL_ISQ_E10value_typeET4_T5_PSV_SW_PNS1_23onesweep_lookback_stateEbbT6_jjT7_P12ihipStream_tbENKUlT_T0_SK_SP_E_clISE_SE_SF_SF_EEDaS13_S14_SK_SP_EUlS13_E_NS1_11comp_targetILNS1_3genE3ELNS1_11target_archE908ELNS1_3gpuE7ELNS1_3repE0EEENS1_47radix_sort_onesweep_sort_config_static_selectorELNS0_4arch9wavefront6targetE0EEEvSK_,comdat
	.protected	_ZN7rocprim17ROCPRIM_400000_NS6detail17trampoline_kernelINS0_14default_configENS1_35radix_sort_onesweep_config_selectorIfNS0_10empty_typeEEEZZNS1_29radix_sort_onesweep_iterationIS3_Lb0EN6thrust23THRUST_200600_302600_NS6detail15normal_iteratorINS9_10device_ptrIfEEEESE_PS5_SF_jNS0_19identity_decomposerENS1_16block_id_wrapperIjLb0EEEEE10hipError_tT1_PNSt15iterator_traitsISK_E10value_typeET2_T3_PNSL_ISQ_E10value_typeET4_T5_PSV_SW_PNS1_23onesweep_lookback_stateEbbT6_jjT7_P12ihipStream_tbENKUlT_T0_SK_SP_E_clISE_SE_SF_SF_EEDaS13_S14_SK_SP_EUlS13_E_NS1_11comp_targetILNS1_3genE3ELNS1_11target_archE908ELNS1_3gpuE7ELNS1_3repE0EEENS1_47radix_sort_onesweep_sort_config_static_selectorELNS0_4arch9wavefront6targetE0EEEvSK_ ; -- Begin function _ZN7rocprim17ROCPRIM_400000_NS6detail17trampoline_kernelINS0_14default_configENS1_35radix_sort_onesweep_config_selectorIfNS0_10empty_typeEEEZZNS1_29radix_sort_onesweep_iterationIS3_Lb0EN6thrust23THRUST_200600_302600_NS6detail15normal_iteratorINS9_10device_ptrIfEEEESE_PS5_SF_jNS0_19identity_decomposerENS1_16block_id_wrapperIjLb0EEEEE10hipError_tT1_PNSt15iterator_traitsISK_E10value_typeET2_T3_PNSL_ISQ_E10value_typeET4_T5_PSV_SW_PNS1_23onesweep_lookback_stateEbbT6_jjT7_P12ihipStream_tbENKUlT_T0_SK_SP_E_clISE_SE_SF_SF_EEDaS13_S14_SK_SP_EUlS13_E_NS1_11comp_targetILNS1_3genE3ELNS1_11target_archE908ELNS1_3gpuE7ELNS1_3repE0EEENS1_47radix_sort_onesweep_sort_config_static_selectorELNS0_4arch9wavefront6targetE0EEEvSK_
	.globl	_ZN7rocprim17ROCPRIM_400000_NS6detail17trampoline_kernelINS0_14default_configENS1_35radix_sort_onesweep_config_selectorIfNS0_10empty_typeEEEZZNS1_29radix_sort_onesweep_iterationIS3_Lb0EN6thrust23THRUST_200600_302600_NS6detail15normal_iteratorINS9_10device_ptrIfEEEESE_PS5_SF_jNS0_19identity_decomposerENS1_16block_id_wrapperIjLb0EEEEE10hipError_tT1_PNSt15iterator_traitsISK_E10value_typeET2_T3_PNSL_ISQ_E10value_typeET4_T5_PSV_SW_PNS1_23onesweep_lookback_stateEbbT6_jjT7_P12ihipStream_tbENKUlT_T0_SK_SP_E_clISE_SE_SF_SF_EEDaS13_S14_SK_SP_EUlS13_E_NS1_11comp_targetILNS1_3genE3ELNS1_11target_archE908ELNS1_3gpuE7ELNS1_3repE0EEENS1_47radix_sort_onesweep_sort_config_static_selectorELNS0_4arch9wavefront6targetE0EEEvSK_
	.p2align	8
	.type	_ZN7rocprim17ROCPRIM_400000_NS6detail17trampoline_kernelINS0_14default_configENS1_35radix_sort_onesweep_config_selectorIfNS0_10empty_typeEEEZZNS1_29radix_sort_onesweep_iterationIS3_Lb0EN6thrust23THRUST_200600_302600_NS6detail15normal_iteratorINS9_10device_ptrIfEEEESE_PS5_SF_jNS0_19identity_decomposerENS1_16block_id_wrapperIjLb0EEEEE10hipError_tT1_PNSt15iterator_traitsISK_E10value_typeET2_T3_PNSL_ISQ_E10value_typeET4_T5_PSV_SW_PNS1_23onesweep_lookback_stateEbbT6_jjT7_P12ihipStream_tbENKUlT_T0_SK_SP_E_clISE_SE_SF_SF_EEDaS13_S14_SK_SP_EUlS13_E_NS1_11comp_targetILNS1_3genE3ELNS1_11target_archE908ELNS1_3gpuE7ELNS1_3repE0EEENS1_47radix_sort_onesweep_sort_config_static_selectorELNS0_4arch9wavefront6targetE0EEEvSK_,@function
_ZN7rocprim17ROCPRIM_400000_NS6detail17trampoline_kernelINS0_14default_configENS1_35radix_sort_onesweep_config_selectorIfNS0_10empty_typeEEEZZNS1_29radix_sort_onesweep_iterationIS3_Lb0EN6thrust23THRUST_200600_302600_NS6detail15normal_iteratorINS9_10device_ptrIfEEEESE_PS5_SF_jNS0_19identity_decomposerENS1_16block_id_wrapperIjLb0EEEEE10hipError_tT1_PNSt15iterator_traitsISK_E10value_typeET2_T3_PNSL_ISQ_E10value_typeET4_T5_PSV_SW_PNS1_23onesweep_lookback_stateEbbT6_jjT7_P12ihipStream_tbENKUlT_T0_SK_SP_E_clISE_SE_SF_SF_EEDaS13_S14_SK_SP_EUlS13_E_NS1_11comp_targetILNS1_3genE3ELNS1_11target_archE908ELNS1_3gpuE7ELNS1_3repE0EEENS1_47radix_sort_onesweep_sort_config_static_selectorELNS0_4arch9wavefront6targetE0EEEvSK_: ; @_ZN7rocprim17ROCPRIM_400000_NS6detail17trampoline_kernelINS0_14default_configENS1_35radix_sort_onesweep_config_selectorIfNS0_10empty_typeEEEZZNS1_29radix_sort_onesweep_iterationIS3_Lb0EN6thrust23THRUST_200600_302600_NS6detail15normal_iteratorINS9_10device_ptrIfEEEESE_PS5_SF_jNS0_19identity_decomposerENS1_16block_id_wrapperIjLb0EEEEE10hipError_tT1_PNSt15iterator_traitsISK_E10value_typeET2_T3_PNSL_ISQ_E10value_typeET4_T5_PSV_SW_PNS1_23onesweep_lookback_stateEbbT6_jjT7_P12ihipStream_tbENKUlT_T0_SK_SP_E_clISE_SE_SF_SF_EEDaS13_S14_SK_SP_EUlS13_E_NS1_11comp_targetILNS1_3genE3ELNS1_11target_archE908ELNS1_3gpuE7ELNS1_3repE0EEENS1_47radix_sort_onesweep_sort_config_static_selectorELNS0_4arch9wavefront6targetE0EEEvSK_
; %bb.0:
	.section	.rodata,"a",@progbits
	.p2align	6, 0x0
	.amdhsa_kernel _ZN7rocprim17ROCPRIM_400000_NS6detail17trampoline_kernelINS0_14default_configENS1_35radix_sort_onesweep_config_selectorIfNS0_10empty_typeEEEZZNS1_29radix_sort_onesweep_iterationIS3_Lb0EN6thrust23THRUST_200600_302600_NS6detail15normal_iteratorINS9_10device_ptrIfEEEESE_PS5_SF_jNS0_19identity_decomposerENS1_16block_id_wrapperIjLb0EEEEE10hipError_tT1_PNSt15iterator_traitsISK_E10value_typeET2_T3_PNSL_ISQ_E10value_typeET4_T5_PSV_SW_PNS1_23onesweep_lookback_stateEbbT6_jjT7_P12ihipStream_tbENKUlT_T0_SK_SP_E_clISE_SE_SF_SF_EEDaS13_S14_SK_SP_EUlS13_E_NS1_11comp_targetILNS1_3genE3ELNS1_11target_archE908ELNS1_3gpuE7ELNS1_3repE0EEENS1_47radix_sort_onesweep_sort_config_static_selectorELNS0_4arch9wavefront6targetE0EEEvSK_
		.amdhsa_group_segment_fixed_size 0
		.amdhsa_private_segment_fixed_size 0
		.amdhsa_kernarg_size 88
		.amdhsa_user_sgpr_count 6
		.amdhsa_user_sgpr_private_segment_buffer 1
		.amdhsa_user_sgpr_dispatch_ptr 0
		.amdhsa_user_sgpr_queue_ptr 0
		.amdhsa_user_sgpr_kernarg_segment_ptr 1
		.amdhsa_user_sgpr_dispatch_id 0
		.amdhsa_user_sgpr_flat_scratch_init 0
		.amdhsa_user_sgpr_private_segment_size 0
		.amdhsa_wavefront_size32 1
		.amdhsa_uses_dynamic_stack 0
		.amdhsa_system_sgpr_private_segment_wavefront_offset 0
		.amdhsa_system_sgpr_workgroup_id_x 1
		.amdhsa_system_sgpr_workgroup_id_y 0
		.amdhsa_system_sgpr_workgroup_id_z 0
		.amdhsa_system_sgpr_workgroup_info 0
		.amdhsa_system_vgpr_workitem_id 0
		.amdhsa_next_free_vgpr 1
		.amdhsa_next_free_sgpr 1
		.amdhsa_reserve_vcc 0
		.amdhsa_reserve_flat_scratch 0
		.amdhsa_float_round_mode_32 0
		.amdhsa_float_round_mode_16_64 0
		.amdhsa_float_denorm_mode_32 3
		.amdhsa_float_denorm_mode_16_64 3
		.amdhsa_dx10_clamp 1
		.amdhsa_ieee_mode 1
		.amdhsa_fp16_overflow 0
		.amdhsa_workgroup_processor_mode 1
		.amdhsa_memory_ordered 1
		.amdhsa_forward_progress 1
		.amdhsa_shared_vgpr_count 0
		.amdhsa_exception_fp_ieee_invalid_op 0
		.amdhsa_exception_fp_denorm_src 0
		.amdhsa_exception_fp_ieee_div_zero 0
		.amdhsa_exception_fp_ieee_overflow 0
		.amdhsa_exception_fp_ieee_underflow 0
		.amdhsa_exception_fp_ieee_inexact 0
		.amdhsa_exception_int_div_zero 0
	.end_amdhsa_kernel
	.section	.text._ZN7rocprim17ROCPRIM_400000_NS6detail17trampoline_kernelINS0_14default_configENS1_35radix_sort_onesweep_config_selectorIfNS0_10empty_typeEEEZZNS1_29radix_sort_onesweep_iterationIS3_Lb0EN6thrust23THRUST_200600_302600_NS6detail15normal_iteratorINS9_10device_ptrIfEEEESE_PS5_SF_jNS0_19identity_decomposerENS1_16block_id_wrapperIjLb0EEEEE10hipError_tT1_PNSt15iterator_traitsISK_E10value_typeET2_T3_PNSL_ISQ_E10value_typeET4_T5_PSV_SW_PNS1_23onesweep_lookback_stateEbbT6_jjT7_P12ihipStream_tbENKUlT_T0_SK_SP_E_clISE_SE_SF_SF_EEDaS13_S14_SK_SP_EUlS13_E_NS1_11comp_targetILNS1_3genE3ELNS1_11target_archE908ELNS1_3gpuE7ELNS1_3repE0EEENS1_47radix_sort_onesweep_sort_config_static_selectorELNS0_4arch9wavefront6targetE0EEEvSK_,"axG",@progbits,_ZN7rocprim17ROCPRIM_400000_NS6detail17trampoline_kernelINS0_14default_configENS1_35radix_sort_onesweep_config_selectorIfNS0_10empty_typeEEEZZNS1_29radix_sort_onesweep_iterationIS3_Lb0EN6thrust23THRUST_200600_302600_NS6detail15normal_iteratorINS9_10device_ptrIfEEEESE_PS5_SF_jNS0_19identity_decomposerENS1_16block_id_wrapperIjLb0EEEEE10hipError_tT1_PNSt15iterator_traitsISK_E10value_typeET2_T3_PNSL_ISQ_E10value_typeET4_T5_PSV_SW_PNS1_23onesweep_lookback_stateEbbT6_jjT7_P12ihipStream_tbENKUlT_T0_SK_SP_E_clISE_SE_SF_SF_EEDaS13_S14_SK_SP_EUlS13_E_NS1_11comp_targetILNS1_3genE3ELNS1_11target_archE908ELNS1_3gpuE7ELNS1_3repE0EEENS1_47radix_sort_onesweep_sort_config_static_selectorELNS0_4arch9wavefront6targetE0EEEvSK_,comdat
.Lfunc_end591:
	.size	_ZN7rocprim17ROCPRIM_400000_NS6detail17trampoline_kernelINS0_14default_configENS1_35radix_sort_onesweep_config_selectorIfNS0_10empty_typeEEEZZNS1_29radix_sort_onesweep_iterationIS3_Lb0EN6thrust23THRUST_200600_302600_NS6detail15normal_iteratorINS9_10device_ptrIfEEEESE_PS5_SF_jNS0_19identity_decomposerENS1_16block_id_wrapperIjLb0EEEEE10hipError_tT1_PNSt15iterator_traitsISK_E10value_typeET2_T3_PNSL_ISQ_E10value_typeET4_T5_PSV_SW_PNS1_23onesweep_lookback_stateEbbT6_jjT7_P12ihipStream_tbENKUlT_T0_SK_SP_E_clISE_SE_SF_SF_EEDaS13_S14_SK_SP_EUlS13_E_NS1_11comp_targetILNS1_3genE3ELNS1_11target_archE908ELNS1_3gpuE7ELNS1_3repE0EEENS1_47radix_sort_onesweep_sort_config_static_selectorELNS0_4arch9wavefront6targetE0EEEvSK_, .Lfunc_end591-_ZN7rocprim17ROCPRIM_400000_NS6detail17trampoline_kernelINS0_14default_configENS1_35radix_sort_onesweep_config_selectorIfNS0_10empty_typeEEEZZNS1_29radix_sort_onesweep_iterationIS3_Lb0EN6thrust23THRUST_200600_302600_NS6detail15normal_iteratorINS9_10device_ptrIfEEEESE_PS5_SF_jNS0_19identity_decomposerENS1_16block_id_wrapperIjLb0EEEEE10hipError_tT1_PNSt15iterator_traitsISK_E10value_typeET2_T3_PNSL_ISQ_E10value_typeET4_T5_PSV_SW_PNS1_23onesweep_lookback_stateEbbT6_jjT7_P12ihipStream_tbENKUlT_T0_SK_SP_E_clISE_SE_SF_SF_EEDaS13_S14_SK_SP_EUlS13_E_NS1_11comp_targetILNS1_3genE3ELNS1_11target_archE908ELNS1_3gpuE7ELNS1_3repE0EEENS1_47radix_sort_onesweep_sort_config_static_selectorELNS0_4arch9wavefront6targetE0EEEvSK_
                                        ; -- End function
	.set _ZN7rocprim17ROCPRIM_400000_NS6detail17trampoline_kernelINS0_14default_configENS1_35radix_sort_onesweep_config_selectorIfNS0_10empty_typeEEEZZNS1_29radix_sort_onesweep_iterationIS3_Lb0EN6thrust23THRUST_200600_302600_NS6detail15normal_iteratorINS9_10device_ptrIfEEEESE_PS5_SF_jNS0_19identity_decomposerENS1_16block_id_wrapperIjLb0EEEEE10hipError_tT1_PNSt15iterator_traitsISK_E10value_typeET2_T3_PNSL_ISQ_E10value_typeET4_T5_PSV_SW_PNS1_23onesweep_lookback_stateEbbT6_jjT7_P12ihipStream_tbENKUlT_T0_SK_SP_E_clISE_SE_SF_SF_EEDaS13_S14_SK_SP_EUlS13_E_NS1_11comp_targetILNS1_3genE3ELNS1_11target_archE908ELNS1_3gpuE7ELNS1_3repE0EEENS1_47radix_sort_onesweep_sort_config_static_selectorELNS0_4arch9wavefront6targetE0EEEvSK_.num_vgpr, 0
	.set _ZN7rocprim17ROCPRIM_400000_NS6detail17trampoline_kernelINS0_14default_configENS1_35radix_sort_onesweep_config_selectorIfNS0_10empty_typeEEEZZNS1_29radix_sort_onesweep_iterationIS3_Lb0EN6thrust23THRUST_200600_302600_NS6detail15normal_iteratorINS9_10device_ptrIfEEEESE_PS5_SF_jNS0_19identity_decomposerENS1_16block_id_wrapperIjLb0EEEEE10hipError_tT1_PNSt15iterator_traitsISK_E10value_typeET2_T3_PNSL_ISQ_E10value_typeET4_T5_PSV_SW_PNS1_23onesweep_lookback_stateEbbT6_jjT7_P12ihipStream_tbENKUlT_T0_SK_SP_E_clISE_SE_SF_SF_EEDaS13_S14_SK_SP_EUlS13_E_NS1_11comp_targetILNS1_3genE3ELNS1_11target_archE908ELNS1_3gpuE7ELNS1_3repE0EEENS1_47radix_sort_onesweep_sort_config_static_selectorELNS0_4arch9wavefront6targetE0EEEvSK_.num_agpr, 0
	.set _ZN7rocprim17ROCPRIM_400000_NS6detail17trampoline_kernelINS0_14default_configENS1_35radix_sort_onesweep_config_selectorIfNS0_10empty_typeEEEZZNS1_29radix_sort_onesweep_iterationIS3_Lb0EN6thrust23THRUST_200600_302600_NS6detail15normal_iteratorINS9_10device_ptrIfEEEESE_PS5_SF_jNS0_19identity_decomposerENS1_16block_id_wrapperIjLb0EEEEE10hipError_tT1_PNSt15iterator_traitsISK_E10value_typeET2_T3_PNSL_ISQ_E10value_typeET4_T5_PSV_SW_PNS1_23onesweep_lookback_stateEbbT6_jjT7_P12ihipStream_tbENKUlT_T0_SK_SP_E_clISE_SE_SF_SF_EEDaS13_S14_SK_SP_EUlS13_E_NS1_11comp_targetILNS1_3genE3ELNS1_11target_archE908ELNS1_3gpuE7ELNS1_3repE0EEENS1_47radix_sort_onesweep_sort_config_static_selectorELNS0_4arch9wavefront6targetE0EEEvSK_.numbered_sgpr, 0
	.set _ZN7rocprim17ROCPRIM_400000_NS6detail17trampoline_kernelINS0_14default_configENS1_35radix_sort_onesweep_config_selectorIfNS0_10empty_typeEEEZZNS1_29radix_sort_onesweep_iterationIS3_Lb0EN6thrust23THRUST_200600_302600_NS6detail15normal_iteratorINS9_10device_ptrIfEEEESE_PS5_SF_jNS0_19identity_decomposerENS1_16block_id_wrapperIjLb0EEEEE10hipError_tT1_PNSt15iterator_traitsISK_E10value_typeET2_T3_PNSL_ISQ_E10value_typeET4_T5_PSV_SW_PNS1_23onesweep_lookback_stateEbbT6_jjT7_P12ihipStream_tbENKUlT_T0_SK_SP_E_clISE_SE_SF_SF_EEDaS13_S14_SK_SP_EUlS13_E_NS1_11comp_targetILNS1_3genE3ELNS1_11target_archE908ELNS1_3gpuE7ELNS1_3repE0EEENS1_47radix_sort_onesweep_sort_config_static_selectorELNS0_4arch9wavefront6targetE0EEEvSK_.num_named_barrier, 0
	.set _ZN7rocprim17ROCPRIM_400000_NS6detail17trampoline_kernelINS0_14default_configENS1_35radix_sort_onesweep_config_selectorIfNS0_10empty_typeEEEZZNS1_29radix_sort_onesweep_iterationIS3_Lb0EN6thrust23THRUST_200600_302600_NS6detail15normal_iteratorINS9_10device_ptrIfEEEESE_PS5_SF_jNS0_19identity_decomposerENS1_16block_id_wrapperIjLb0EEEEE10hipError_tT1_PNSt15iterator_traitsISK_E10value_typeET2_T3_PNSL_ISQ_E10value_typeET4_T5_PSV_SW_PNS1_23onesweep_lookback_stateEbbT6_jjT7_P12ihipStream_tbENKUlT_T0_SK_SP_E_clISE_SE_SF_SF_EEDaS13_S14_SK_SP_EUlS13_E_NS1_11comp_targetILNS1_3genE3ELNS1_11target_archE908ELNS1_3gpuE7ELNS1_3repE0EEENS1_47radix_sort_onesweep_sort_config_static_selectorELNS0_4arch9wavefront6targetE0EEEvSK_.private_seg_size, 0
	.set _ZN7rocprim17ROCPRIM_400000_NS6detail17trampoline_kernelINS0_14default_configENS1_35radix_sort_onesweep_config_selectorIfNS0_10empty_typeEEEZZNS1_29radix_sort_onesweep_iterationIS3_Lb0EN6thrust23THRUST_200600_302600_NS6detail15normal_iteratorINS9_10device_ptrIfEEEESE_PS5_SF_jNS0_19identity_decomposerENS1_16block_id_wrapperIjLb0EEEEE10hipError_tT1_PNSt15iterator_traitsISK_E10value_typeET2_T3_PNSL_ISQ_E10value_typeET4_T5_PSV_SW_PNS1_23onesweep_lookback_stateEbbT6_jjT7_P12ihipStream_tbENKUlT_T0_SK_SP_E_clISE_SE_SF_SF_EEDaS13_S14_SK_SP_EUlS13_E_NS1_11comp_targetILNS1_3genE3ELNS1_11target_archE908ELNS1_3gpuE7ELNS1_3repE0EEENS1_47radix_sort_onesweep_sort_config_static_selectorELNS0_4arch9wavefront6targetE0EEEvSK_.uses_vcc, 0
	.set _ZN7rocprim17ROCPRIM_400000_NS6detail17trampoline_kernelINS0_14default_configENS1_35radix_sort_onesweep_config_selectorIfNS0_10empty_typeEEEZZNS1_29radix_sort_onesweep_iterationIS3_Lb0EN6thrust23THRUST_200600_302600_NS6detail15normal_iteratorINS9_10device_ptrIfEEEESE_PS5_SF_jNS0_19identity_decomposerENS1_16block_id_wrapperIjLb0EEEEE10hipError_tT1_PNSt15iterator_traitsISK_E10value_typeET2_T3_PNSL_ISQ_E10value_typeET4_T5_PSV_SW_PNS1_23onesweep_lookback_stateEbbT6_jjT7_P12ihipStream_tbENKUlT_T0_SK_SP_E_clISE_SE_SF_SF_EEDaS13_S14_SK_SP_EUlS13_E_NS1_11comp_targetILNS1_3genE3ELNS1_11target_archE908ELNS1_3gpuE7ELNS1_3repE0EEENS1_47radix_sort_onesweep_sort_config_static_selectorELNS0_4arch9wavefront6targetE0EEEvSK_.uses_flat_scratch, 0
	.set _ZN7rocprim17ROCPRIM_400000_NS6detail17trampoline_kernelINS0_14default_configENS1_35radix_sort_onesweep_config_selectorIfNS0_10empty_typeEEEZZNS1_29radix_sort_onesweep_iterationIS3_Lb0EN6thrust23THRUST_200600_302600_NS6detail15normal_iteratorINS9_10device_ptrIfEEEESE_PS5_SF_jNS0_19identity_decomposerENS1_16block_id_wrapperIjLb0EEEEE10hipError_tT1_PNSt15iterator_traitsISK_E10value_typeET2_T3_PNSL_ISQ_E10value_typeET4_T5_PSV_SW_PNS1_23onesweep_lookback_stateEbbT6_jjT7_P12ihipStream_tbENKUlT_T0_SK_SP_E_clISE_SE_SF_SF_EEDaS13_S14_SK_SP_EUlS13_E_NS1_11comp_targetILNS1_3genE3ELNS1_11target_archE908ELNS1_3gpuE7ELNS1_3repE0EEENS1_47radix_sort_onesweep_sort_config_static_selectorELNS0_4arch9wavefront6targetE0EEEvSK_.has_dyn_sized_stack, 0
	.set _ZN7rocprim17ROCPRIM_400000_NS6detail17trampoline_kernelINS0_14default_configENS1_35radix_sort_onesweep_config_selectorIfNS0_10empty_typeEEEZZNS1_29radix_sort_onesweep_iterationIS3_Lb0EN6thrust23THRUST_200600_302600_NS6detail15normal_iteratorINS9_10device_ptrIfEEEESE_PS5_SF_jNS0_19identity_decomposerENS1_16block_id_wrapperIjLb0EEEEE10hipError_tT1_PNSt15iterator_traitsISK_E10value_typeET2_T3_PNSL_ISQ_E10value_typeET4_T5_PSV_SW_PNS1_23onesweep_lookback_stateEbbT6_jjT7_P12ihipStream_tbENKUlT_T0_SK_SP_E_clISE_SE_SF_SF_EEDaS13_S14_SK_SP_EUlS13_E_NS1_11comp_targetILNS1_3genE3ELNS1_11target_archE908ELNS1_3gpuE7ELNS1_3repE0EEENS1_47radix_sort_onesweep_sort_config_static_selectorELNS0_4arch9wavefront6targetE0EEEvSK_.has_recursion, 0
	.set _ZN7rocprim17ROCPRIM_400000_NS6detail17trampoline_kernelINS0_14default_configENS1_35radix_sort_onesweep_config_selectorIfNS0_10empty_typeEEEZZNS1_29radix_sort_onesweep_iterationIS3_Lb0EN6thrust23THRUST_200600_302600_NS6detail15normal_iteratorINS9_10device_ptrIfEEEESE_PS5_SF_jNS0_19identity_decomposerENS1_16block_id_wrapperIjLb0EEEEE10hipError_tT1_PNSt15iterator_traitsISK_E10value_typeET2_T3_PNSL_ISQ_E10value_typeET4_T5_PSV_SW_PNS1_23onesweep_lookback_stateEbbT6_jjT7_P12ihipStream_tbENKUlT_T0_SK_SP_E_clISE_SE_SF_SF_EEDaS13_S14_SK_SP_EUlS13_E_NS1_11comp_targetILNS1_3genE3ELNS1_11target_archE908ELNS1_3gpuE7ELNS1_3repE0EEENS1_47radix_sort_onesweep_sort_config_static_selectorELNS0_4arch9wavefront6targetE0EEEvSK_.has_indirect_call, 0
	.section	.AMDGPU.csdata,"",@progbits
; Kernel info:
; codeLenInByte = 0
; TotalNumSgprs: 0
; NumVgprs: 0
; ScratchSize: 0
; MemoryBound: 0
; FloatMode: 240
; IeeeMode: 1
; LDSByteSize: 0 bytes/workgroup (compile time only)
; SGPRBlocks: 0
; VGPRBlocks: 0
; NumSGPRsForWavesPerEU: 1
; NumVGPRsForWavesPerEU: 1
; Occupancy: 16
; WaveLimiterHint : 0
; COMPUTE_PGM_RSRC2:SCRATCH_EN: 0
; COMPUTE_PGM_RSRC2:USER_SGPR: 6
; COMPUTE_PGM_RSRC2:TRAP_HANDLER: 0
; COMPUTE_PGM_RSRC2:TGID_X_EN: 1
; COMPUTE_PGM_RSRC2:TGID_Y_EN: 0
; COMPUTE_PGM_RSRC2:TGID_Z_EN: 0
; COMPUTE_PGM_RSRC2:TIDIG_COMP_CNT: 0
	.section	.text._ZN7rocprim17ROCPRIM_400000_NS6detail17trampoline_kernelINS0_14default_configENS1_35radix_sort_onesweep_config_selectorIfNS0_10empty_typeEEEZZNS1_29radix_sort_onesweep_iterationIS3_Lb0EN6thrust23THRUST_200600_302600_NS6detail15normal_iteratorINS9_10device_ptrIfEEEESE_PS5_SF_jNS0_19identity_decomposerENS1_16block_id_wrapperIjLb0EEEEE10hipError_tT1_PNSt15iterator_traitsISK_E10value_typeET2_T3_PNSL_ISQ_E10value_typeET4_T5_PSV_SW_PNS1_23onesweep_lookback_stateEbbT6_jjT7_P12ihipStream_tbENKUlT_T0_SK_SP_E_clISE_SE_SF_SF_EEDaS13_S14_SK_SP_EUlS13_E_NS1_11comp_targetILNS1_3genE10ELNS1_11target_archE1201ELNS1_3gpuE5ELNS1_3repE0EEENS1_47radix_sort_onesweep_sort_config_static_selectorELNS0_4arch9wavefront6targetE0EEEvSK_,"axG",@progbits,_ZN7rocprim17ROCPRIM_400000_NS6detail17trampoline_kernelINS0_14default_configENS1_35radix_sort_onesweep_config_selectorIfNS0_10empty_typeEEEZZNS1_29radix_sort_onesweep_iterationIS3_Lb0EN6thrust23THRUST_200600_302600_NS6detail15normal_iteratorINS9_10device_ptrIfEEEESE_PS5_SF_jNS0_19identity_decomposerENS1_16block_id_wrapperIjLb0EEEEE10hipError_tT1_PNSt15iterator_traitsISK_E10value_typeET2_T3_PNSL_ISQ_E10value_typeET4_T5_PSV_SW_PNS1_23onesweep_lookback_stateEbbT6_jjT7_P12ihipStream_tbENKUlT_T0_SK_SP_E_clISE_SE_SF_SF_EEDaS13_S14_SK_SP_EUlS13_E_NS1_11comp_targetILNS1_3genE10ELNS1_11target_archE1201ELNS1_3gpuE5ELNS1_3repE0EEENS1_47radix_sort_onesweep_sort_config_static_selectorELNS0_4arch9wavefront6targetE0EEEvSK_,comdat
	.protected	_ZN7rocprim17ROCPRIM_400000_NS6detail17trampoline_kernelINS0_14default_configENS1_35radix_sort_onesweep_config_selectorIfNS0_10empty_typeEEEZZNS1_29radix_sort_onesweep_iterationIS3_Lb0EN6thrust23THRUST_200600_302600_NS6detail15normal_iteratorINS9_10device_ptrIfEEEESE_PS5_SF_jNS0_19identity_decomposerENS1_16block_id_wrapperIjLb0EEEEE10hipError_tT1_PNSt15iterator_traitsISK_E10value_typeET2_T3_PNSL_ISQ_E10value_typeET4_T5_PSV_SW_PNS1_23onesweep_lookback_stateEbbT6_jjT7_P12ihipStream_tbENKUlT_T0_SK_SP_E_clISE_SE_SF_SF_EEDaS13_S14_SK_SP_EUlS13_E_NS1_11comp_targetILNS1_3genE10ELNS1_11target_archE1201ELNS1_3gpuE5ELNS1_3repE0EEENS1_47radix_sort_onesweep_sort_config_static_selectorELNS0_4arch9wavefront6targetE0EEEvSK_ ; -- Begin function _ZN7rocprim17ROCPRIM_400000_NS6detail17trampoline_kernelINS0_14default_configENS1_35radix_sort_onesweep_config_selectorIfNS0_10empty_typeEEEZZNS1_29radix_sort_onesweep_iterationIS3_Lb0EN6thrust23THRUST_200600_302600_NS6detail15normal_iteratorINS9_10device_ptrIfEEEESE_PS5_SF_jNS0_19identity_decomposerENS1_16block_id_wrapperIjLb0EEEEE10hipError_tT1_PNSt15iterator_traitsISK_E10value_typeET2_T3_PNSL_ISQ_E10value_typeET4_T5_PSV_SW_PNS1_23onesweep_lookback_stateEbbT6_jjT7_P12ihipStream_tbENKUlT_T0_SK_SP_E_clISE_SE_SF_SF_EEDaS13_S14_SK_SP_EUlS13_E_NS1_11comp_targetILNS1_3genE10ELNS1_11target_archE1201ELNS1_3gpuE5ELNS1_3repE0EEENS1_47radix_sort_onesweep_sort_config_static_selectorELNS0_4arch9wavefront6targetE0EEEvSK_
	.globl	_ZN7rocprim17ROCPRIM_400000_NS6detail17trampoline_kernelINS0_14default_configENS1_35radix_sort_onesweep_config_selectorIfNS0_10empty_typeEEEZZNS1_29radix_sort_onesweep_iterationIS3_Lb0EN6thrust23THRUST_200600_302600_NS6detail15normal_iteratorINS9_10device_ptrIfEEEESE_PS5_SF_jNS0_19identity_decomposerENS1_16block_id_wrapperIjLb0EEEEE10hipError_tT1_PNSt15iterator_traitsISK_E10value_typeET2_T3_PNSL_ISQ_E10value_typeET4_T5_PSV_SW_PNS1_23onesweep_lookback_stateEbbT6_jjT7_P12ihipStream_tbENKUlT_T0_SK_SP_E_clISE_SE_SF_SF_EEDaS13_S14_SK_SP_EUlS13_E_NS1_11comp_targetILNS1_3genE10ELNS1_11target_archE1201ELNS1_3gpuE5ELNS1_3repE0EEENS1_47radix_sort_onesweep_sort_config_static_selectorELNS0_4arch9wavefront6targetE0EEEvSK_
	.p2align	8
	.type	_ZN7rocprim17ROCPRIM_400000_NS6detail17trampoline_kernelINS0_14default_configENS1_35radix_sort_onesweep_config_selectorIfNS0_10empty_typeEEEZZNS1_29radix_sort_onesweep_iterationIS3_Lb0EN6thrust23THRUST_200600_302600_NS6detail15normal_iteratorINS9_10device_ptrIfEEEESE_PS5_SF_jNS0_19identity_decomposerENS1_16block_id_wrapperIjLb0EEEEE10hipError_tT1_PNSt15iterator_traitsISK_E10value_typeET2_T3_PNSL_ISQ_E10value_typeET4_T5_PSV_SW_PNS1_23onesweep_lookback_stateEbbT6_jjT7_P12ihipStream_tbENKUlT_T0_SK_SP_E_clISE_SE_SF_SF_EEDaS13_S14_SK_SP_EUlS13_E_NS1_11comp_targetILNS1_3genE10ELNS1_11target_archE1201ELNS1_3gpuE5ELNS1_3repE0EEENS1_47radix_sort_onesweep_sort_config_static_selectorELNS0_4arch9wavefront6targetE0EEEvSK_,@function
_ZN7rocprim17ROCPRIM_400000_NS6detail17trampoline_kernelINS0_14default_configENS1_35radix_sort_onesweep_config_selectorIfNS0_10empty_typeEEEZZNS1_29radix_sort_onesweep_iterationIS3_Lb0EN6thrust23THRUST_200600_302600_NS6detail15normal_iteratorINS9_10device_ptrIfEEEESE_PS5_SF_jNS0_19identity_decomposerENS1_16block_id_wrapperIjLb0EEEEE10hipError_tT1_PNSt15iterator_traitsISK_E10value_typeET2_T3_PNSL_ISQ_E10value_typeET4_T5_PSV_SW_PNS1_23onesweep_lookback_stateEbbT6_jjT7_P12ihipStream_tbENKUlT_T0_SK_SP_E_clISE_SE_SF_SF_EEDaS13_S14_SK_SP_EUlS13_E_NS1_11comp_targetILNS1_3genE10ELNS1_11target_archE1201ELNS1_3gpuE5ELNS1_3repE0EEENS1_47radix_sort_onesweep_sort_config_static_selectorELNS0_4arch9wavefront6targetE0EEEvSK_: ; @_ZN7rocprim17ROCPRIM_400000_NS6detail17trampoline_kernelINS0_14default_configENS1_35radix_sort_onesweep_config_selectorIfNS0_10empty_typeEEEZZNS1_29radix_sort_onesweep_iterationIS3_Lb0EN6thrust23THRUST_200600_302600_NS6detail15normal_iteratorINS9_10device_ptrIfEEEESE_PS5_SF_jNS0_19identity_decomposerENS1_16block_id_wrapperIjLb0EEEEE10hipError_tT1_PNSt15iterator_traitsISK_E10value_typeET2_T3_PNSL_ISQ_E10value_typeET4_T5_PSV_SW_PNS1_23onesweep_lookback_stateEbbT6_jjT7_P12ihipStream_tbENKUlT_T0_SK_SP_E_clISE_SE_SF_SF_EEDaS13_S14_SK_SP_EUlS13_E_NS1_11comp_targetILNS1_3genE10ELNS1_11target_archE1201ELNS1_3gpuE5ELNS1_3repE0EEENS1_47radix_sort_onesweep_sort_config_static_selectorELNS0_4arch9wavefront6targetE0EEEvSK_
; %bb.0:
	.section	.rodata,"a",@progbits
	.p2align	6, 0x0
	.amdhsa_kernel _ZN7rocprim17ROCPRIM_400000_NS6detail17trampoline_kernelINS0_14default_configENS1_35radix_sort_onesweep_config_selectorIfNS0_10empty_typeEEEZZNS1_29radix_sort_onesweep_iterationIS3_Lb0EN6thrust23THRUST_200600_302600_NS6detail15normal_iteratorINS9_10device_ptrIfEEEESE_PS5_SF_jNS0_19identity_decomposerENS1_16block_id_wrapperIjLb0EEEEE10hipError_tT1_PNSt15iterator_traitsISK_E10value_typeET2_T3_PNSL_ISQ_E10value_typeET4_T5_PSV_SW_PNS1_23onesweep_lookback_stateEbbT6_jjT7_P12ihipStream_tbENKUlT_T0_SK_SP_E_clISE_SE_SF_SF_EEDaS13_S14_SK_SP_EUlS13_E_NS1_11comp_targetILNS1_3genE10ELNS1_11target_archE1201ELNS1_3gpuE5ELNS1_3repE0EEENS1_47radix_sort_onesweep_sort_config_static_selectorELNS0_4arch9wavefront6targetE0EEEvSK_
		.amdhsa_group_segment_fixed_size 0
		.amdhsa_private_segment_fixed_size 0
		.amdhsa_kernarg_size 88
		.amdhsa_user_sgpr_count 6
		.amdhsa_user_sgpr_private_segment_buffer 1
		.amdhsa_user_sgpr_dispatch_ptr 0
		.amdhsa_user_sgpr_queue_ptr 0
		.amdhsa_user_sgpr_kernarg_segment_ptr 1
		.amdhsa_user_sgpr_dispatch_id 0
		.amdhsa_user_sgpr_flat_scratch_init 0
		.amdhsa_user_sgpr_private_segment_size 0
		.amdhsa_wavefront_size32 1
		.amdhsa_uses_dynamic_stack 0
		.amdhsa_system_sgpr_private_segment_wavefront_offset 0
		.amdhsa_system_sgpr_workgroup_id_x 1
		.amdhsa_system_sgpr_workgroup_id_y 0
		.amdhsa_system_sgpr_workgroup_id_z 0
		.amdhsa_system_sgpr_workgroup_info 0
		.amdhsa_system_vgpr_workitem_id 0
		.amdhsa_next_free_vgpr 1
		.amdhsa_next_free_sgpr 1
		.amdhsa_reserve_vcc 0
		.amdhsa_reserve_flat_scratch 0
		.amdhsa_float_round_mode_32 0
		.amdhsa_float_round_mode_16_64 0
		.amdhsa_float_denorm_mode_32 3
		.amdhsa_float_denorm_mode_16_64 3
		.amdhsa_dx10_clamp 1
		.amdhsa_ieee_mode 1
		.amdhsa_fp16_overflow 0
		.amdhsa_workgroup_processor_mode 1
		.amdhsa_memory_ordered 1
		.amdhsa_forward_progress 1
		.amdhsa_shared_vgpr_count 0
		.amdhsa_exception_fp_ieee_invalid_op 0
		.amdhsa_exception_fp_denorm_src 0
		.amdhsa_exception_fp_ieee_div_zero 0
		.amdhsa_exception_fp_ieee_overflow 0
		.amdhsa_exception_fp_ieee_underflow 0
		.amdhsa_exception_fp_ieee_inexact 0
		.amdhsa_exception_int_div_zero 0
	.end_amdhsa_kernel
	.section	.text._ZN7rocprim17ROCPRIM_400000_NS6detail17trampoline_kernelINS0_14default_configENS1_35radix_sort_onesweep_config_selectorIfNS0_10empty_typeEEEZZNS1_29radix_sort_onesweep_iterationIS3_Lb0EN6thrust23THRUST_200600_302600_NS6detail15normal_iteratorINS9_10device_ptrIfEEEESE_PS5_SF_jNS0_19identity_decomposerENS1_16block_id_wrapperIjLb0EEEEE10hipError_tT1_PNSt15iterator_traitsISK_E10value_typeET2_T3_PNSL_ISQ_E10value_typeET4_T5_PSV_SW_PNS1_23onesweep_lookback_stateEbbT6_jjT7_P12ihipStream_tbENKUlT_T0_SK_SP_E_clISE_SE_SF_SF_EEDaS13_S14_SK_SP_EUlS13_E_NS1_11comp_targetILNS1_3genE10ELNS1_11target_archE1201ELNS1_3gpuE5ELNS1_3repE0EEENS1_47radix_sort_onesweep_sort_config_static_selectorELNS0_4arch9wavefront6targetE0EEEvSK_,"axG",@progbits,_ZN7rocprim17ROCPRIM_400000_NS6detail17trampoline_kernelINS0_14default_configENS1_35radix_sort_onesweep_config_selectorIfNS0_10empty_typeEEEZZNS1_29radix_sort_onesweep_iterationIS3_Lb0EN6thrust23THRUST_200600_302600_NS6detail15normal_iteratorINS9_10device_ptrIfEEEESE_PS5_SF_jNS0_19identity_decomposerENS1_16block_id_wrapperIjLb0EEEEE10hipError_tT1_PNSt15iterator_traitsISK_E10value_typeET2_T3_PNSL_ISQ_E10value_typeET4_T5_PSV_SW_PNS1_23onesweep_lookback_stateEbbT6_jjT7_P12ihipStream_tbENKUlT_T0_SK_SP_E_clISE_SE_SF_SF_EEDaS13_S14_SK_SP_EUlS13_E_NS1_11comp_targetILNS1_3genE10ELNS1_11target_archE1201ELNS1_3gpuE5ELNS1_3repE0EEENS1_47radix_sort_onesweep_sort_config_static_selectorELNS0_4arch9wavefront6targetE0EEEvSK_,comdat
.Lfunc_end592:
	.size	_ZN7rocprim17ROCPRIM_400000_NS6detail17trampoline_kernelINS0_14default_configENS1_35radix_sort_onesweep_config_selectorIfNS0_10empty_typeEEEZZNS1_29radix_sort_onesweep_iterationIS3_Lb0EN6thrust23THRUST_200600_302600_NS6detail15normal_iteratorINS9_10device_ptrIfEEEESE_PS5_SF_jNS0_19identity_decomposerENS1_16block_id_wrapperIjLb0EEEEE10hipError_tT1_PNSt15iterator_traitsISK_E10value_typeET2_T3_PNSL_ISQ_E10value_typeET4_T5_PSV_SW_PNS1_23onesweep_lookback_stateEbbT6_jjT7_P12ihipStream_tbENKUlT_T0_SK_SP_E_clISE_SE_SF_SF_EEDaS13_S14_SK_SP_EUlS13_E_NS1_11comp_targetILNS1_3genE10ELNS1_11target_archE1201ELNS1_3gpuE5ELNS1_3repE0EEENS1_47radix_sort_onesweep_sort_config_static_selectorELNS0_4arch9wavefront6targetE0EEEvSK_, .Lfunc_end592-_ZN7rocprim17ROCPRIM_400000_NS6detail17trampoline_kernelINS0_14default_configENS1_35radix_sort_onesweep_config_selectorIfNS0_10empty_typeEEEZZNS1_29radix_sort_onesweep_iterationIS3_Lb0EN6thrust23THRUST_200600_302600_NS6detail15normal_iteratorINS9_10device_ptrIfEEEESE_PS5_SF_jNS0_19identity_decomposerENS1_16block_id_wrapperIjLb0EEEEE10hipError_tT1_PNSt15iterator_traitsISK_E10value_typeET2_T3_PNSL_ISQ_E10value_typeET4_T5_PSV_SW_PNS1_23onesweep_lookback_stateEbbT6_jjT7_P12ihipStream_tbENKUlT_T0_SK_SP_E_clISE_SE_SF_SF_EEDaS13_S14_SK_SP_EUlS13_E_NS1_11comp_targetILNS1_3genE10ELNS1_11target_archE1201ELNS1_3gpuE5ELNS1_3repE0EEENS1_47radix_sort_onesweep_sort_config_static_selectorELNS0_4arch9wavefront6targetE0EEEvSK_
                                        ; -- End function
	.set _ZN7rocprim17ROCPRIM_400000_NS6detail17trampoline_kernelINS0_14default_configENS1_35radix_sort_onesweep_config_selectorIfNS0_10empty_typeEEEZZNS1_29radix_sort_onesweep_iterationIS3_Lb0EN6thrust23THRUST_200600_302600_NS6detail15normal_iteratorINS9_10device_ptrIfEEEESE_PS5_SF_jNS0_19identity_decomposerENS1_16block_id_wrapperIjLb0EEEEE10hipError_tT1_PNSt15iterator_traitsISK_E10value_typeET2_T3_PNSL_ISQ_E10value_typeET4_T5_PSV_SW_PNS1_23onesweep_lookback_stateEbbT6_jjT7_P12ihipStream_tbENKUlT_T0_SK_SP_E_clISE_SE_SF_SF_EEDaS13_S14_SK_SP_EUlS13_E_NS1_11comp_targetILNS1_3genE10ELNS1_11target_archE1201ELNS1_3gpuE5ELNS1_3repE0EEENS1_47radix_sort_onesweep_sort_config_static_selectorELNS0_4arch9wavefront6targetE0EEEvSK_.num_vgpr, 0
	.set _ZN7rocprim17ROCPRIM_400000_NS6detail17trampoline_kernelINS0_14default_configENS1_35radix_sort_onesweep_config_selectorIfNS0_10empty_typeEEEZZNS1_29radix_sort_onesweep_iterationIS3_Lb0EN6thrust23THRUST_200600_302600_NS6detail15normal_iteratorINS9_10device_ptrIfEEEESE_PS5_SF_jNS0_19identity_decomposerENS1_16block_id_wrapperIjLb0EEEEE10hipError_tT1_PNSt15iterator_traitsISK_E10value_typeET2_T3_PNSL_ISQ_E10value_typeET4_T5_PSV_SW_PNS1_23onesweep_lookback_stateEbbT6_jjT7_P12ihipStream_tbENKUlT_T0_SK_SP_E_clISE_SE_SF_SF_EEDaS13_S14_SK_SP_EUlS13_E_NS1_11comp_targetILNS1_3genE10ELNS1_11target_archE1201ELNS1_3gpuE5ELNS1_3repE0EEENS1_47radix_sort_onesweep_sort_config_static_selectorELNS0_4arch9wavefront6targetE0EEEvSK_.num_agpr, 0
	.set _ZN7rocprim17ROCPRIM_400000_NS6detail17trampoline_kernelINS0_14default_configENS1_35radix_sort_onesweep_config_selectorIfNS0_10empty_typeEEEZZNS1_29radix_sort_onesweep_iterationIS3_Lb0EN6thrust23THRUST_200600_302600_NS6detail15normal_iteratorINS9_10device_ptrIfEEEESE_PS5_SF_jNS0_19identity_decomposerENS1_16block_id_wrapperIjLb0EEEEE10hipError_tT1_PNSt15iterator_traitsISK_E10value_typeET2_T3_PNSL_ISQ_E10value_typeET4_T5_PSV_SW_PNS1_23onesweep_lookback_stateEbbT6_jjT7_P12ihipStream_tbENKUlT_T0_SK_SP_E_clISE_SE_SF_SF_EEDaS13_S14_SK_SP_EUlS13_E_NS1_11comp_targetILNS1_3genE10ELNS1_11target_archE1201ELNS1_3gpuE5ELNS1_3repE0EEENS1_47radix_sort_onesweep_sort_config_static_selectorELNS0_4arch9wavefront6targetE0EEEvSK_.numbered_sgpr, 0
	.set _ZN7rocprim17ROCPRIM_400000_NS6detail17trampoline_kernelINS0_14default_configENS1_35radix_sort_onesweep_config_selectorIfNS0_10empty_typeEEEZZNS1_29radix_sort_onesweep_iterationIS3_Lb0EN6thrust23THRUST_200600_302600_NS6detail15normal_iteratorINS9_10device_ptrIfEEEESE_PS5_SF_jNS0_19identity_decomposerENS1_16block_id_wrapperIjLb0EEEEE10hipError_tT1_PNSt15iterator_traitsISK_E10value_typeET2_T3_PNSL_ISQ_E10value_typeET4_T5_PSV_SW_PNS1_23onesweep_lookback_stateEbbT6_jjT7_P12ihipStream_tbENKUlT_T0_SK_SP_E_clISE_SE_SF_SF_EEDaS13_S14_SK_SP_EUlS13_E_NS1_11comp_targetILNS1_3genE10ELNS1_11target_archE1201ELNS1_3gpuE5ELNS1_3repE0EEENS1_47radix_sort_onesweep_sort_config_static_selectorELNS0_4arch9wavefront6targetE0EEEvSK_.num_named_barrier, 0
	.set _ZN7rocprim17ROCPRIM_400000_NS6detail17trampoline_kernelINS0_14default_configENS1_35radix_sort_onesweep_config_selectorIfNS0_10empty_typeEEEZZNS1_29radix_sort_onesweep_iterationIS3_Lb0EN6thrust23THRUST_200600_302600_NS6detail15normal_iteratorINS9_10device_ptrIfEEEESE_PS5_SF_jNS0_19identity_decomposerENS1_16block_id_wrapperIjLb0EEEEE10hipError_tT1_PNSt15iterator_traitsISK_E10value_typeET2_T3_PNSL_ISQ_E10value_typeET4_T5_PSV_SW_PNS1_23onesweep_lookback_stateEbbT6_jjT7_P12ihipStream_tbENKUlT_T0_SK_SP_E_clISE_SE_SF_SF_EEDaS13_S14_SK_SP_EUlS13_E_NS1_11comp_targetILNS1_3genE10ELNS1_11target_archE1201ELNS1_3gpuE5ELNS1_3repE0EEENS1_47radix_sort_onesweep_sort_config_static_selectorELNS0_4arch9wavefront6targetE0EEEvSK_.private_seg_size, 0
	.set _ZN7rocprim17ROCPRIM_400000_NS6detail17trampoline_kernelINS0_14default_configENS1_35radix_sort_onesweep_config_selectorIfNS0_10empty_typeEEEZZNS1_29radix_sort_onesweep_iterationIS3_Lb0EN6thrust23THRUST_200600_302600_NS6detail15normal_iteratorINS9_10device_ptrIfEEEESE_PS5_SF_jNS0_19identity_decomposerENS1_16block_id_wrapperIjLb0EEEEE10hipError_tT1_PNSt15iterator_traitsISK_E10value_typeET2_T3_PNSL_ISQ_E10value_typeET4_T5_PSV_SW_PNS1_23onesweep_lookback_stateEbbT6_jjT7_P12ihipStream_tbENKUlT_T0_SK_SP_E_clISE_SE_SF_SF_EEDaS13_S14_SK_SP_EUlS13_E_NS1_11comp_targetILNS1_3genE10ELNS1_11target_archE1201ELNS1_3gpuE5ELNS1_3repE0EEENS1_47radix_sort_onesweep_sort_config_static_selectorELNS0_4arch9wavefront6targetE0EEEvSK_.uses_vcc, 0
	.set _ZN7rocprim17ROCPRIM_400000_NS6detail17trampoline_kernelINS0_14default_configENS1_35radix_sort_onesweep_config_selectorIfNS0_10empty_typeEEEZZNS1_29radix_sort_onesweep_iterationIS3_Lb0EN6thrust23THRUST_200600_302600_NS6detail15normal_iteratorINS9_10device_ptrIfEEEESE_PS5_SF_jNS0_19identity_decomposerENS1_16block_id_wrapperIjLb0EEEEE10hipError_tT1_PNSt15iterator_traitsISK_E10value_typeET2_T3_PNSL_ISQ_E10value_typeET4_T5_PSV_SW_PNS1_23onesweep_lookback_stateEbbT6_jjT7_P12ihipStream_tbENKUlT_T0_SK_SP_E_clISE_SE_SF_SF_EEDaS13_S14_SK_SP_EUlS13_E_NS1_11comp_targetILNS1_3genE10ELNS1_11target_archE1201ELNS1_3gpuE5ELNS1_3repE0EEENS1_47radix_sort_onesweep_sort_config_static_selectorELNS0_4arch9wavefront6targetE0EEEvSK_.uses_flat_scratch, 0
	.set _ZN7rocprim17ROCPRIM_400000_NS6detail17trampoline_kernelINS0_14default_configENS1_35radix_sort_onesweep_config_selectorIfNS0_10empty_typeEEEZZNS1_29radix_sort_onesweep_iterationIS3_Lb0EN6thrust23THRUST_200600_302600_NS6detail15normal_iteratorINS9_10device_ptrIfEEEESE_PS5_SF_jNS0_19identity_decomposerENS1_16block_id_wrapperIjLb0EEEEE10hipError_tT1_PNSt15iterator_traitsISK_E10value_typeET2_T3_PNSL_ISQ_E10value_typeET4_T5_PSV_SW_PNS1_23onesweep_lookback_stateEbbT6_jjT7_P12ihipStream_tbENKUlT_T0_SK_SP_E_clISE_SE_SF_SF_EEDaS13_S14_SK_SP_EUlS13_E_NS1_11comp_targetILNS1_3genE10ELNS1_11target_archE1201ELNS1_3gpuE5ELNS1_3repE0EEENS1_47radix_sort_onesweep_sort_config_static_selectorELNS0_4arch9wavefront6targetE0EEEvSK_.has_dyn_sized_stack, 0
	.set _ZN7rocprim17ROCPRIM_400000_NS6detail17trampoline_kernelINS0_14default_configENS1_35radix_sort_onesweep_config_selectorIfNS0_10empty_typeEEEZZNS1_29radix_sort_onesweep_iterationIS3_Lb0EN6thrust23THRUST_200600_302600_NS6detail15normal_iteratorINS9_10device_ptrIfEEEESE_PS5_SF_jNS0_19identity_decomposerENS1_16block_id_wrapperIjLb0EEEEE10hipError_tT1_PNSt15iterator_traitsISK_E10value_typeET2_T3_PNSL_ISQ_E10value_typeET4_T5_PSV_SW_PNS1_23onesweep_lookback_stateEbbT6_jjT7_P12ihipStream_tbENKUlT_T0_SK_SP_E_clISE_SE_SF_SF_EEDaS13_S14_SK_SP_EUlS13_E_NS1_11comp_targetILNS1_3genE10ELNS1_11target_archE1201ELNS1_3gpuE5ELNS1_3repE0EEENS1_47radix_sort_onesweep_sort_config_static_selectorELNS0_4arch9wavefront6targetE0EEEvSK_.has_recursion, 0
	.set _ZN7rocprim17ROCPRIM_400000_NS6detail17trampoline_kernelINS0_14default_configENS1_35radix_sort_onesweep_config_selectorIfNS0_10empty_typeEEEZZNS1_29radix_sort_onesweep_iterationIS3_Lb0EN6thrust23THRUST_200600_302600_NS6detail15normal_iteratorINS9_10device_ptrIfEEEESE_PS5_SF_jNS0_19identity_decomposerENS1_16block_id_wrapperIjLb0EEEEE10hipError_tT1_PNSt15iterator_traitsISK_E10value_typeET2_T3_PNSL_ISQ_E10value_typeET4_T5_PSV_SW_PNS1_23onesweep_lookback_stateEbbT6_jjT7_P12ihipStream_tbENKUlT_T0_SK_SP_E_clISE_SE_SF_SF_EEDaS13_S14_SK_SP_EUlS13_E_NS1_11comp_targetILNS1_3genE10ELNS1_11target_archE1201ELNS1_3gpuE5ELNS1_3repE0EEENS1_47radix_sort_onesweep_sort_config_static_selectorELNS0_4arch9wavefront6targetE0EEEvSK_.has_indirect_call, 0
	.section	.AMDGPU.csdata,"",@progbits
; Kernel info:
; codeLenInByte = 0
; TotalNumSgprs: 0
; NumVgprs: 0
; ScratchSize: 0
; MemoryBound: 0
; FloatMode: 240
; IeeeMode: 1
; LDSByteSize: 0 bytes/workgroup (compile time only)
; SGPRBlocks: 0
; VGPRBlocks: 0
; NumSGPRsForWavesPerEU: 1
; NumVGPRsForWavesPerEU: 1
; Occupancy: 16
; WaveLimiterHint : 0
; COMPUTE_PGM_RSRC2:SCRATCH_EN: 0
; COMPUTE_PGM_RSRC2:USER_SGPR: 6
; COMPUTE_PGM_RSRC2:TRAP_HANDLER: 0
; COMPUTE_PGM_RSRC2:TGID_X_EN: 1
; COMPUTE_PGM_RSRC2:TGID_Y_EN: 0
; COMPUTE_PGM_RSRC2:TGID_Z_EN: 0
; COMPUTE_PGM_RSRC2:TIDIG_COMP_CNT: 0
	.section	.text._ZN7rocprim17ROCPRIM_400000_NS6detail17trampoline_kernelINS0_14default_configENS1_35radix_sort_onesweep_config_selectorIfNS0_10empty_typeEEEZZNS1_29radix_sort_onesweep_iterationIS3_Lb0EN6thrust23THRUST_200600_302600_NS6detail15normal_iteratorINS9_10device_ptrIfEEEESE_PS5_SF_jNS0_19identity_decomposerENS1_16block_id_wrapperIjLb0EEEEE10hipError_tT1_PNSt15iterator_traitsISK_E10value_typeET2_T3_PNSL_ISQ_E10value_typeET4_T5_PSV_SW_PNS1_23onesweep_lookback_stateEbbT6_jjT7_P12ihipStream_tbENKUlT_T0_SK_SP_E_clISE_SE_SF_SF_EEDaS13_S14_SK_SP_EUlS13_E_NS1_11comp_targetILNS1_3genE9ELNS1_11target_archE1100ELNS1_3gpuE3ELNS1_3repE0EEENS1_47radix_sort_onesweep_sort_config_static_selectorELNS0_4arch9wavefront6targetE0EEEvSK_,"axG",@progbits,_ZN7rocprim17ROCPRIM_400000_NS6detail17trampoline_kernelINS0_14default_configENS1_35radix_sort_onesweep_config_selectorIfNS0_10empty_typeEEEZZNS1_29radix_sort_onesweep_iterationIS3_Lb0EN6thrust23THRUST_200600_302600_NS6detail15normal_iteratorINS9_10device_ptrIfEEEESE_PS5_SF_jNS0_19identity_decomposerENS1_16block_id_wrapperIjLb0EEEEE10hipError_tT1_PNSt15iterator_traitsISK_E10value_typeET2_T3_PNSL_ISQ_E10value_typeET4_T5_PSV_SW_PNS1_23onesweep_lookback_stateEbbT6_jjT7_P12ihipStream_tbENKUlT_T0_SK_SP_E_clISE_SE_SF_SF_EEDaS13_S14_SK_SP_EUlS13_E_NS1_11comp_targetILNS1_3genE9ELNS1_11target_archE1100ELNS1_3gpuE3ELNS1_3repE0EEENS1_47radix_sort_onesweep_sort_config_static_selectorELNS0_4arch9wavefront6targetE0EEEvSK_,comdat
	.protected	_ZN7rocprim17ROCPRIM_400000_NS6detail17trampoline_kernelINS0_14default_configENS1_35radix_sort_onesweep_config_selectorIfNS0_10empty_typeEEEZZNS1_29radix_sort_onesweep_iterationIS3_Lb0EN6thrust23THRUST_200600_302600_NS6detail15normal_iteratorINS9_10device_ptrIfEEEESE_PS5_SF_jNS0_19identity_decomposerENS1_16block_id_wrapperIjLb0EEEEE10hipError_tT1_PNSt15iterator_traitsISK_E10value_typeET2_T3_PNSL_ISQ_E10value_typeET4_T5_PSV_SW_PNS1_23onesweep_lookback_stateEbbT6_jjT7_P12ihipStream_tbENKUlT_T0_SK_SP_E_clISE_SE_SF_SF_EEDaS13_S14_SK_SP_EUlS13_E_NS1_11comp_targetILNS1_3genE9ELNS1_11target_archE1100ELNS1_3gpuE3ELNS1_3repE0EEENS1_47radix_sort_onesweep_sort_config_static_selectorELNS0_4arch9wavefront6targetE0EEEvSK_ ; -- Begin function _ZN7rocprim17ROCPRIM_400000_NS6detail17trampoline_kernelINS0_14default_configENS1_35radix_sort_onesweep_config_selectorIfNS0_10empty_typeEEEZZNS1_29radix_sort_onesweep_iterationIS3_Lb0EN6thrust23THRUST_200600_302600_NS6detail15normal_iteratorINS9_10device_ptrIfEEEESE_PS5_SF_jNS0_19identity_decomposerENS1_16block_id_wrapperIjLb0EEEEE10hipError_tT1_PNSt15iterator_traitsISK_E10value_typeET2_T3_PNSL_ISQ_E10value_typeET4_T5_PSV_SW_PNS1_23onesweep_lookback_stateEbbT6_jjT7_P12ihipStream_tbENKUlT_T0_SK_SP_E_clISE_SE_SF_SF_EEDaS13_S14_SK_SP_EUlS13_E_NS1_11comp_targetILNS1_3genE9ELNS1_11target_archE1100ELNS1_3gpuE3ELNS1_3repE0EEENS1_47radix_sort_onesweep_sort_config_static_selectorELNS0_4arch9wavefront6targetE0EEEvSK_
	.globl	_ZN7rocprim17ROCPRIM_400000_NS6detail17trampoline_kernelINS0_14default_configENS1_35radix_sort_onesweep_config_selectorIfNS0_10empty_typeEEEZZNS1_29radix_sort_onesweep_iterationIS3_Lb0EN6thrust23THRUST_200600_302600_NS6detail15normal_iteratorINS9_10device_ptrIfEEEESE_PS5_SF_jNS0_19identity_decomposerENS1_16block_id_wrapperIjLb0EEEEE10hipError_tT1_PNSt15iterator_traitsISK_E10value_typeET2_T3_PNSL_ISQ_E10value_typeET4_T5_PSV_SW_PNS1_23onesweep_lookback_stateEbbT6_jjT7_P12ihipStream_tbENKUlT_T0_SK_SP_E_clISE_SE_SF_SF_EEDaS13_S14_SK_SP_EUlS13_E_NS1_11comp_targetILNS1_3genE9ELNS1_11target_archE1100ELNS1_3gpuE3ELNS1_3repE0EEENS1_47radix_sort_onesweep_sort_config_static_selectorELNS0_4arch9wavefront6targetE0EEEvSK_
	.p2align	8
	.type	_ZN7rocprim17ROCPRIM_400000_NS6detail17trampoline_kernelINS0_14default_configENS1_35radix_sort_onesweep_config_selectorIfNS0_10empty_typeEEEZZNS1_29radix_sort_onesweep_iterationIS3_Lb0EN6thrust23THRUST_200600_302600_NS6detail15normal_iteratorINS9_10device_ptrIfEEEESE_PS5_SF_jNS0_19identity_decomposerENS1_16block_id_wrapperIjLb0EEEEE10hipError_tT1_PNSt15iterator_traitsISK_E10value_typeET2_T3_PNSL_ISQ_E10value_typeET4_T5_PSV_SW_PNS1_23onesweep_lookback_stateEbbT6_jjT7_P12ihipStream_tbENKUlT_T0_SK_SP_E_clISE_SE_SF_SF_EEDaS13_S14_SK_SP_EUlS13_E_NS1_11comp_targetILNS1_3genE9ELNS1_11target_archE1100ELNS1_3gpuE3ELNS1_3repE0EEENS1_47radix_sort_onesweep_sort_config_static_selectorELNS0_4arch9wavefront6targetE0EEEvSK_,@function
_ZN7rocprim17ROCPRIM_400000_NS6detail17trampoline_kernelINS0_14default_configENS1_35radix_sort_onesweep_config_selectorIfNS0_10empty_typeEEEZZNS1_29radix_sort_onesweep_iterationIS3_Lb0EN6thrust23THRUST_200600_302600_NS6detail15normal_iteratorINS9_10device_ptrIfEEEESE_PS5_SF_jNS0_19identity_decomposerENS1_16block_id_wrapperIjLb0EEEEE10hipError_tT1_PNSt15iterator_traitsISK_E10value_typeET2_T3_PNSL_ISQ_E10value_typeET4_T5_PSV_SW_PNS1_23onesweep_lookback_stateEbbT6_jjT7_P12ihipStream_tbENKUlT_T0_SK_SP_E_clISE_SE_SF_SF_EEDaS13_S14_SK_SP_EUlS13_E_NS1_11comp_targetILNS1_3genE9ELNS1_11target_archE1100ELNS1_3gpuE3ELNS1_3repE0EEENS1_47radix_sort_onesweep_sort_config_static_selectorELNS0_4arch9wavefront6targetE0EEEvSK_: ; @_ZN7rocprim17ROCPRIM_400000_NS6detail17trampoline_kernelINS0_14default_configENS1_35radix_sort_onesweep_config_selectorIfNS0_10empty_typeEEEZZNS1_29radix_sort_onesweep_iterationIS3_Lb0EN6thrust23THRUST_200600_302600_NS6detail15normal_iteratorINS9_10device_ptrIfEEEESE_PS5_SF_jNS0_19identity_decomposerENS1_16block_id_wrapperIjLb0EEEEE10hipError_tT1_PNSt15iterator_traitsISK_E10value_typeET2_T3_PNSL_ISQ_E10value_typeET4_T5_PSV_SW_PNS1_23onesweep_lookback_stateEbbT6_jjT7_P12ihipStream_tbENKUlT_T0_SK_SP_E_clISE_SE_SF_SF_EEDaS13_S14_SK_SP_EUlS13_E_NS1_11comp_targetILNS1_3genE9ELNS1_11target_archE1100ELNS1_3gpuE3ELNS1_3repE0EEENS1_47radix_sort_onesweep_sort_config_static_selectorELNS0_4arch9wavefront6targetE0EEEvSK_
; %bb.0:
	.section	.rodata,"a",@progbits
	.p2align	6, 0x0
	.amdhsa_kernel _ZN7rocprim17ROCPRIM_400000_NS6detail17trampoline_kernelINS0_14default_configENS1_35radix_sort_onesweep_config_selectorIfNS0_10empty_typeEEEZZNS1_29radix_sort_onesweep_iterationIS3_Lb0EN6thrust23THRUST_200600_302600_NS6detail15normal_iteratorINS9_10device_ptrIfEEEESE_PS5_SF_jNS0_19identity_decomposerENS1_16block_id_wrapperIjLb0EEEEE10hipError_tT1_PNSt15iterator_traitsISK_E10value_typeET2_T3_PNSL_ISQ_E10value_typeET4_T5_PSV_SW_PNS1_23onesweep_lookback_stateEbbT6_jjT7_P12ihipStream_tbENKUlT_T0_SK_SP_E_clISE_SE_SF_SF_EEDaS13_S14_SK_SP_EUlS13_E_NS1_11comp_targetILNS1_3genE9ELNS1_11target_archE1100ELNS1_3gpuE3ELNS1_3repE0EEENS1_47radix_sort_onesweep_sort_config_static_selectorELNS0_4arch9wavefront6targetE0EEEvSK_
		.amdhsa_group_segment_fixed_size 0
		.amdhsa_private_segment_fixed_size 0
		.amdhsa_kernarg_size 88
		.amdhsa_user_sgpr_count 6
		.amdhsa_user_sgpr_private_segment_buffer 1
		.amdhsa_user_sgpr_dispatch_ptr 0
		.amdhsa_user_sgpr_queue_ptr 0
		.amdhsa_user_sgpr_kernarg_segment_ptr 1
		.amdhsa_user_sgpr_dispatch_id 0
		.amdhsa_user_sgpr_flat_scratch_init 0
		.amdhsa_user_sgpr_private_segment_size 0
		.amdhsa_wavefront_size32 1
		.amdhsa_uses_dynamic_stack 0
		.amdhsa_system_sgpr_private_segment_wavefront_offset 0
		.amdhsa_system_sgpr_workgroup_id_x 1
		.amdhsa_system_sgpr_workgroup_id_y 0
		.amdhsa_system_sgpr_workgroup_id_z 0
		.amdhsa_system_sgpr_workgroup_info 0
		.amdhsa_system_vgpr_workitem_id 0
		.amdhsa_next_free_vgpr 1
		.amdhsa_next_free_sgpr 1
		.amdhsa_reserve_vcc 0
		.amdhsa_reserve_flat_scratch 0
		.amdhsa_float_round_mode_32 0
		.amdhsa_float_round_mode_16_64 0
		.amdhsa_float_denorm_mode_32 3
		.amdhsa_float_denorm_mode_16_64 3
		.amdhsa_dx10_clamp 1
		.amdhsa_ieee_mode 1
		.amdhsa_fp16_overflow 0
		.amdhsa_workgroup_processor_mode 1
		.amdhsa_memory_ordered 1
		.amdhsa_forward_progress 1
		.amdhsa_shared_vgpr_count 0
		.amdhsa_exception_fp_ieee_invalid_op 0
		.amdhsa_exception_fp_denorm_src 0
		.amdhsa_exception_fp_ieee_div_zero 0
		.amdhsa_exception_fp_ieee_overflow 0
		.amdhsa_exception_fp_ieee_underflow 0
		.amdhsa_exception_fp_ieee_inexact 0
		.amdhsa_exception_int_div_zero 0
	.end_amdhsa_kernel
	.section	.text._ZN7rocprim17ROCPRIM_400000_NS6detail17trampoline_kernelINS0_14default_configENS1_35radix_sort_onesweep_config_selectorIfNS0_10empty_typeEEEZZNS1_29radix_sort_onesweep_iterationIS3_Lb0EN6thrust23THRUST_200600_302600_NS6detail15normal_iteratorINS9_10device_ptrIfEEEESE_PS5_SF_jNS0_19identity_decomposerENS1_16block_id_wrapperIjLb0EEEEE10hipError_tT1_PNSt15iterator_traitsISK_E10value_typeET2_T3_PNSL_ISQ_E10value_typeET4_T5_PSV_SW_PNS1_23onesweep_lookback_stateEbbT6_jjT7_P12ihipStream_tbENKUlT_T0_SK_SP_E_clISE_SE_SF_SF_EEDaS13_S14_SK_SP_EUlS13_E_NS1_11comp_targetILNS1_3genE9ELNS1_11target_archE1100ELNS1_3gpuE3ELNS1_3repE0EEENS1_47radix_sort_onesweep_sort_config_static_selectorELNS0_4arch9wavefront6targetE0EEEvSK_,"axG",@progbits,_ZN7rocprim17ROCPRIM_400000_NS6detail17trampoline_kernelINS0_14default_configENS1_35radix_sort_onesweep_config_selectorIfNS0_10empty_typeEEEZZNS1_29radix_sort_onesweep_iterationIS3_Lb0EN6thrust23THRUST_200600_302600_NS6detail15normal_iteratorINS9_10device_ptrIfEEEESE_PS5_SF_jNS0_19identity_decomposerENS1_16block_id_wrapperIjLb0EEEEE10hipError_tT1_PNSt15iterator_traitsISK_E10value_typeET2_T3_PNSL_ISQ_E10value_typeET4_T5_PSV_SW_PNS1_23onesweep_lookback_stateEbbT6_jjT7_P12ihipStream_tbENKUlT_T0_SK_SP_E_clISE_SE_SF_SF_EEDaS13_S14_SK_SP_EUlS13_E_NS1_11comp_targetILNS1_3genE9ELNS1_11target_archE1100ELNS1_3gpuE3ELNS1_3repE0EEENS1_47radix_sort_onesweep_sort_config_static_selectorELNS0_4arch9wavefront6targetE0EEEvSK_,comdat
.Lfunc_end593:
	.size	_ZN7rocprim17ROCPRIM_400000_NS6detail17trampoline_kernelINS0_14default_configENS1_35radix_sort_onesweep_config_selectorIfNS0_10empty_typeEEEZZNS1_29radix_sort_onesweep_iterationIS3_Lb0EN6thrust23THRUST_200600_302600_NS6detail15normal_iteratorINS9_10device_ptrIfEEEESE_PS5_SF_jNS0_19identity_decomposerENS1_16block_id_wrapperIjLb0EEEEE10hipError_tT1_PNSt15iterator_traitsISK_E10value_typeET2_T3_PNSL_ISQ_E10value_typeET4_T5_PSV_SW_PNS1_23onesweep_lookback_stateEbbT6_jjT7_P12ihipStream_tbENKUlT_T0_SK_SP_E_clISE_SE_SF_SF_EEDaS13_S14_SK_SP_EUlS13_E_NS1_11comp_targetILNS1_3genE9ELNS1_11target_archE1100ELNS1_3gpuE3ELNS1_3repE0EEENS1_47radix_sort_onesweep_sort_config_static_selectorELNS0_4arch9wavefront6targetE0EEEvSK_, .Lfunc_end593-_ZN7rocprim17ROCPRIM_400000_NS6detail17trampoline_kernelINS0_14default_configENS1_35radix_sort_onesweep_config_selectorIfNS0_10empty_typeEEEZZNS1_29radix_sort_onesweep_iterationIS3_Lb0EN6thrust23THRUST_200600_302600_NS6detail15normal_iteratorINS9_10device_ptrIfEEEESE_PS5_SF_jNS0_19identity_decomposerENS1_16block_id_wrapperIjLb0EEEEE10hipError_tT1_PNSt15iterator_traitsISK_E10value_typeET2_T3_PNSL_ISQ_E10value_typeET4_T5_PSV_SW_PNS1_23onesweep_lookback_stateEbbT6_jjT7_P12ihipStream_tbENKUlT_T0_SK_SP_E_clISE_SE_SF_SF_EEDaS13_S14_SK_SP_EUlS13_E_NS1_11comp_targetILNS1_3genE9ELNS1_11target_archE1100ELNS1_3gpuE3ELNS1_3repE0EEENS1_47radix_sort_onesweep_sort_config_static_selectorELNS0_4arch9wavefront6targetE0EEEvSK_
                                        ; -- End function
	.set _ZN7rocprim17ROCPRIM_400000_NS6detail17trampoline_kernelINS0_14default_configENS1_35radix_sort_onesweep_config_selectorIfNS0_10empty_typeEEEZZNS1_29radix_sort_onesweep_iterationIS3_Lb0EN6thrust23THRUST_200600_302600_NS6detail15normal_iteratorINS9_10device_ptrIfEEEESE_PS5_SF_jNS0_19identity_decomposerENS1_16block_id_wrapperIjLb0EEEEE10hipError_tT1_PNSt15iterator_traitsISK_E10value_typeET2_T3_PNSL_ISQ_E10value_typeET4_T5_PSV_SW_PNS1_23onesweep_lookback_stateEbbT6_jjT7_P12ihipStream_tbENKUlT_T0_SK_SP_E_clISE_SE_SF_SF_EEDaS13_S14_SK_SP_EUlS13_E_NS1_11comp_targetILNS1_3genE9ELNS1_11target_archE1100ELNS1_3gpuE3ELNS1_3repE0EEENS1_47radix_sort_onesweep_sort_config_static_selectorELNS0_4arch9wavefront6targetE0EEEvSK_.num_vgpr, 0
	.set _ZN7rocprim17ROCPRIM_400000_NS6detail17trampoline_kernelINS0_14default_configENS1_35radix_sort_onesweep_config_selectorIfNS0_10empty_typeEEEZZNS1_29radix_sort_onesweep_iterationIS3_Lb0EN6thrust23THRUST_200600_302600_NS6detail15normal_iteratorINS9_10device_ptrIfEEEESE_PS5_SF_jNS0_19identity_decomposerENS1_16block_id_wrapperIjLb0EEEEE10hipError_tT1_PNSt15iterator_traitsISK_E10value_typeET2_T3_PNSL_ISQ_E10value_typeET4_T5_PSV_SW_PNS1_23onesweep_lookback_stateEbbT6_jjT7_P12ihipStream_tbENKUlT_T0_SK_SP_E_clISE_SE_SF_SF_EEDaS13_S14_SK_SP_EUlS13_E_NS1_11comp_targetILNS1_3genE9ELNS1_11target_archE1100ELNS1_3gpuE3ELNS1_3repE0EEENS1_47radix_sort_onesweep_sort_config_static_selectorELNS0_4arch9wavefront6targetE0EEEvSK_.num_agpr, 0
	.set _ZN7rocprim17ROCPRIM_400000_NS6detail17trampoline_kernelINS0_14default_configENS1_35radix_sort_onesweep_config_selectorIfNS0_10empty_typeEEEZZNS1_29radix_sort_onesweep_iterationIS3_Lb0EN6thrust23THRUST_200600_302600_NS6detail15normal_iteratorINS9_10device_ptrIfEEEESE_PS5_SF_jNS0_19identity_decomposerENS1_16block_id_wrapperIjLb0EEEEE10hipError_tT1_PNSt15iterator_traitsISK_E10value_typeET2_T3_PNSL_ISQ_E10value_typeET4_T5_PSV_SW_PNS1_23onesweep_lookback_stateEbbT6_jjT7_P12ihipStream_tbENKUlT_T0_SK_SP_E_clISE_SE_SF_SF_EEDaS13_S14_SK_SP_EUlS13_E_NS1_11comp_targetILNS1_3genE9ELNS1_11target_archE1100ELNS1_3gpuE3ELNS1_3repE0EEENS1_47radix_sort_onesweep_sort_config_static_selectorELNS0_4arch9wavefront6targetE0EEEvSK_.numbered_sgpr, 0
	.set _ZN7rocprim17ROCPRIM_400000_NS6detail17trampoline_kernelINS0_14default_configENS1_35radix_sort_onesweep_config_selectorIfNS0_10empty_typeEEEZZNS1_29radix_sort_onesweep_iterationIS3_Lb0EN6thrust23THRUST_200600_302600_NS6detail15normal_iteratorINS9_10device_ptrIfEEEESE_PS5_SF_jNS0_19identity_decomposerENS1_16block_id_wrapperIjLb0EEEEE10hipError_tT1_PNSt15iterator_traitsISK_E10value_typeET2_T3_PNSL_ISQ_E10value_typeET4_T5_PSV_SW_PNS1_23onesweep_lookback_stateEbbT6_jjT7_P12ihipStream_tbENKUlT_T0_SK_SP_E_clISE_SE_SF_SF_EEDaS13_S14_SK_SP_EUlS13_E_NS1_11comp_targetILNS1_3genE9ELNS1_11target_archE1100ELNS1_3gpuE3ELNS1_3repE0EEENS1_47radix_sort_onesweep_sort_config_static_selectorELNS0_4arch9wavefront6targetE0EEEvSK_.num_named_barrier, 0
	.set _ZN7rocprim17ROCPRIM_400000_NS6detail17trampoline_kernelINS0_14default_configENS1_35radix_sort_onesweep_config_selectorIfNS0_10empty_typeEEEZZNS1_29radix_sort_onesweep_iterationIS3_Lb0EN6thrust23THRUST_200600_302600_NS6detail15normal_iteratorINS9_10device_ptrIfEEEESE_PS5_SF_jNS0_19identity_decomposerENS1_16block_id_wrapperIjLb0EEEEE10hipError_tT1_PNSt15iterator_traitsISK_E10value_typeET2_T3_PNSL_ISQ_E10value_typeET4_T5_PSV_SW_PNS1_23onesweep_lookback_stateEbbT6_jjT7_P12ihipStream_tbENKUlT_T0_SK_SP_E_clISE_SE_SF_SF_EEDaS13_S14_SK_SP_EUlS13_E_NS1_11comp_targetILNS1_3genE9ELNS1_11target_archE1100ELNS1_3gpuE3ELNS1_3repE0EEENS1_47radix_sort_onesweep_sort_config_static_selectorELNS0_4arch9wavefront6targetE0EEEvSK_.private_seg_size, 0
	.set _ZN7rocprim17ROCPRIM_400000_NS6detail17trampoline_kernelINS0_14default_configENS1_35radix_sort_onesweep_config_selectorIfNS0_10empty_typeEEEZZNS1_29radix_sort_onesweep_iterationIS3_Lb0EN6thrust23THRUST_200600_302600_NS6detail15normal_iteratorINS9_10device_ptrIfEEEESE_PS5_SF_jNS0_19identity_decomposerENS1_16block_id_wrapperIjLb0EEEEE10hipError_tT1_PNSt15iterator_traitsISK_E10value_typeET2_T3_PNSL_ISQ_E10value_typeET4_T5_PSV_SW_PNS1_23onesweep_lookback_stateEbbT6_jjT7_P12ihipStream_tbENKUlT_T0_SK_SP_E_clISE_SE_SF_SF_EEDaS13_S14_SK_SP_EUlS13_E_NS1_11comp_targetILNS1_3genE9ELNS1_11target_archE1100ELNS1_3gpuE3ELNS1_3repE0EEENS1_47radix_sort_onesweep_sort_config_static_selectorELNS0_4arch9wavefront6targetE0EEEvSK_.uses_vcc, 0
	.set _ZN7rocprim17ROCPRIM_400000_NS6detail17trampoline_kernelINS0_14default_configENS1_35radix_sort_onesweep_config_selectorIfNS0_10empty_typeEEEZZNS1_29radix_sort_onesweep_iterationIS3_Lb0EN6thrust23THRUST_200600_302600_NS6detail15normal_iteratorINS9_10device_ptrIfEEEESE_PS5_SF_jNS0_19identity_decomposerENS1_16block_id_wrapperIjLb0EEEEE10hipError_tT1_PNSt15iterator_traitsISK_E10value_typeET2_T3_PNSL_ISQ_E10value_typeET4_T5_PSV_SW_PNS1_23onesweep_lookback_stateEbbT6_jjT7_P12ihipStream_tbENKUlT_T0_SK_SP_E_clISE_SE_SF_SF_EEDaS13_S14_SK_SP_EUlS13_E_NS1_11comp_targetILNS1_3genE9ELNS1_11target_archE1100ELNS1_3gpuE3ELNS1_3repE0EEENS1_47radix_sort_onesweep_sort_config_static_selectorELNS0_4arch9wavefront6targetE0EEEvSK_.uses_flat_scratch, 0
	.set _ZN7rocprim17ROCPRIM_400000_NS6detail17trampoline_kernelINS0_14default_configENS1_35radix_sort_onesweep_config_selectorIfNS0_10empty_typeEEEZZNS1_29radix_sort_onesweep_iterationIS3_Lb0EN6thrust23THRUST_200600_302600_NS6detail15normal_iteratorINS9_10device_ptrIfEEEESE_PS5_SF_jNS0_19identity_decomposerENS1_16block_id_wrapperIjLb0EEEEE10hipError_tT1_PNSt15iterator_traitsISK_E10value_typeET2_T3_PNSL_ISQ_E10value_typeET4_T5_PSV_SW_PNS1_23onesweep_lookback_stateEbbT6_jjT7_P12ihipStream_tbENKUlT_T0_SK_SP_E_clISE_SE_SF_SF_EEDaS13_S14_SK_SP_EUlS13_E_NS1_11comp_targetILNS1_3genE9ELNS1_11target_archE1100ELNS1_3gpuE3ELNS1_3repE0EEENS1_47radix_sort_onesweep_sort_config_static_selectorELNS0_4arch9wavefront6targetE0EEEvSK_.has_dyn_sized_stack, 0
	.set _ZN7rocprim17ROCPRIM_400000_NS6detail17trampoline_kernelINS0_14default_configENS1_35radix_sort_onesweep_config_selectorIfNS0_10empty_typeEEEZZNS1_29radix_sort_onesweep_iterationIS3_Lb0EN6thrust23THRUST_200600_302600_NS6detail15normal_iteratorINS9_10device_ptrIfEEEESE_PS5_SF_jNS0_19identity_decomposerENS1_16block_id_wrapperIjLb0EEEEE10hipError_tT1_PNSt15iterator_traitsISK_E10value_typeET2_T3_PNSL_ISQ_E10value_typeET4_T5_PSV_SW_PNS1_23onesweep_lookback_stateEbbT6_jjT7_P12ihipStream_tbENKUlT_T0_SK_SP_E_clISE_SE_SF_SF_EEDaS13_S14_SK_SP_EUlS13_E_NS1_11comp_targetILNS1_3genE9ELNS1_11target_archE1100ELNS1_3gpuE3ELNS1_3repE0EEENS1_47radix_sort_onesweep_sort_config_static_selectorELNS0_4arch9wavefront6targetE0EEEvSK_.has_recursion, 0
	.set _ZN7rocprim17ROCPRIM_400000_NS6detail17trampoline_kernelINS0_14default_configENS1_35radix_sort_onesweep_config_selectorIfNS0_10empty_typeEEEZZNS1_29radix_sort_onesweep_iterationIS3_Lb0EN6thrust23THRUST_200600_302600_NS6detail15normal_iteratorINS9_10device_ptrIfEEEESE_PS5_SF_jNS0_19identity_decomposerENS1_16block_id_wrapperIjLb0EEEEE10hipError_tT1_PNSt15iterator_traitsISK_E10value_typeET2_T3_PNSL_ISQ_E10value_typeET4_T5_PSV_SW_PNS1_23onesweep_lookback_stateEbbT6_jjT7_P12ihipStream_tbENKUlT_T0_SK_SP_E_clISE_SE_SF_SF_EEDaS13_S14_SK_SP_EUlS13_E_NS1_11comp_targetILNS1_3genE9ELNS1_11target_archE1100ELNS1_3gpuE3ELNS1_3repE0EEENS1_47radix_sort_onesweep_sort_config_static_selectorELNS0_4arch9wavefront6targetE0EEEvSK_.has_indirect_call, 0
	.section	.AMDGPU.csdata,"",@progbits
; Kernel info:
; codeLenInByte = 0
; TotalNumSgprs: 0
; NumVgprs: 0
; ScratchSize: 0
; MemoryBound: 0
; FloatMode: 240
; IeeeMode: 1
; LDSByteSize: 0 bytes/workgroup (compile time only)
; SGPRBlocks: 0
; VGPRBlocks: 0
; NumSGPRsForWavesPerEU: 1
; NumVGPRsForWavesPerEU: 1
; Occupancy: 16
; WaveLimiterHint : 0
; COMPUTE_PGM_RSRC2:SCRATCH_EN: 0
; COMPUTE_PGM_RSRC2:USER_SGPR: 6
; COMPUTE_PGM_RSRC2:TRAP_HANDLER: 0
; COMPUTE_PGM_RSRC2:TGID_X_EN: 1
; COMPUTE_PGM_RSRC2:TGID_Y_EN: 0
; COMPUTE_PGM_RSRC2:TGID_Z_EN: 0
; COMPUTE_PGM_RSRC2:TIDIG_COMP_CNT: 0
	.section	.text._ZN7rocprim17ROCPRIM_400000_NS6detail17trampoline_kernelINS0_14default_configENS1_35radix_sort_onesweep_config_selectorIfNS0_10empty_typeEEEZZNS1_29radix_sort_onesweep_iterationIS3_Lb0EN6thrust23THRUST_200600_302600_NS6detail15normal_iteratorINS9_10device_ptrIfEEEESE_PS5_SF_jNS0_19identity_decomposerENS1_16block_id_wrapperIjLb0EEEEE10hipError_tT1_PNSt15iterator_traitsISK_E10value_typeET2_T3_PNSL_ISQ_E10value_typeET4_T5_PSV_SW_PNS1_23onesweep_lookback_stateEbbT6_jjT7_P12ihipStream_tbENKUlT_T0_SK_SP_E_clISE_SE_SF_SF_EEDaS13_S14_SK_SP_EUlS13_E_NS1_11comp_targetILNS1_3genE8ELNS1_11target_archE1030ELNS1_3gpuE2ELNS1_3repE0EEENS1_47radix_sort_onesweep_sort_config_static_selectorELNS0_4arch9wavefront6targetE0EEEvSK_,"axG",@progbits,_ZN7rocprim17ROCPRIM_400000_NS6detail17trampoline_kernelINS0_14default_configENS1_35radix_sort_onesweep_config_selectorIfNS0_10empty_typeEEEZZNS1_29radix_sort_onesweep_iterationIS3_Lb0EN6thrust23THRUST_200600_302600_NS6detail15normal_iteratorINS9_10device_ptrIfEEEESE_PS5_SF_jNS0_19identity_decomposerENS1_16block_id_wrapperIjLb0EEEEE10hipError_tT1_PNSt15iterator_traitsISK_E10value_typeET2_T3_PNSL_ISQ_E10value_typeET4_T5_PSV_SW_PNS1_23onesweep_lookback_stateEbbT6_jjT7_P12ihipStream_tbENKUlT_T0_SK_SP_E_clISE_SE_SF_SF_EEDaS13_S14_SK_SP_EUlS13_E_NS1_11comp_targetILNS1_3genE8ELNS1_11target_archE1030ELNS1_3gpuE2ELNS1_3repE0EEENS1_47radix_sort_onesweep_sort_config_static_selectorELNS0_4arch9wavefront6targetE0EEEvSK_,comdat
	.protected	_ZN7rocprim17ROCPRIM_400000_NS6detail17trampoline_kernelINS0_14default_configENS1_35radix_sort_onesweep_config_selectorIfNS0_10empty_typeEEEZZNS1_29radix_sort_onesweep_iterationIS3_Lb0EN6thrust23THRUST_200600_302600_NS6detail15normal_iteratorINS9_10device_ptrIfEEEESE_PS5_SF_jNS0_19identity_decomposerENS1_16block_id_wrapperIjLb0EEEEE10hipError_tT1_PNSt15iterator_traitsISK_E10value_typeET2_T3_PNSL_ISQ_E10value_typeET4_T5_PSV_SW_PNS1_23onesweep_lookback_stateEbbT6_jjT7_P12ihipStream_tbENKUlT_T0_SK_SP_E_clISE_SE_SF_SF_EEDaS13_S14_SK_SP_EUlS13_E_NS1_11comp_targetILNS1_3genE8ELNS1_11target_archE1030ELNS1_3gpuE2ELNS1_3repE0EEENS1_47radix_sort_onesweep_sort_config_static_selectorELNS0_4arch9wavefront6targetE0EEEvSK_ ; -- Begin function _ZN7rocprim17ROCPRIM_400000_NS6detail17trampoline_kernelINS0_14default_configENS1_35radix_sort_onesweep_config_selectorIfNS0_10empty_typeEEEZZNS1_29radix_sort_onesweep_iterationIS3_Lb0EN6thrust23THRUST_200600_302600_NS6detail15normal_iteratorINS9_10device_ptrIfEEEESE_PS5_SF_jNS0_19identity_decomposerENS1_16block_id_wrapperIjLb0EEEEE10hipError_tT1_PNSt15iterator_traitsISK_E10value_typeET2_T3_PNSL_ISQ_E10value_typeET4_T5_PSV_SW_PNS1_23onesweep_lookback_stateEbbT6_jjT7_P12ihipStream_tbENKUlT_T0_SK_SP_E_clISE_SE_SF_SF_EEDaS13_S14_SK_SP_EUlS13_E_NS1_11comp_targetILNS1_3genE8ELNS1_11target_archE1030ELNS1_3gpuE2ELNS1_3repE0EEENS1_47radix_sort_onesweep_sort_config_static_selectorELNS0_4arch9wavefront6targetE0EEEvSK_
	.globl	_ZN7rocprim17ROCPRIM_400000_NS6detail17trampoline_kernelINS0_14default_configENS1_35radix_sort_onesweep_config_selectorIfNS0_10empty_typeEEEZZNS1_29radix_sort_onesweep_iterationIS3_Lb0EN6thrust23THRUST_200600_302600_NS6detail15normal_iteratorINS9_10device_ptrIfEEEESE_PS5_SF_jNS0_19identity_decomposerENS1_16block_id_wrapperIjLb0EEEEE10hipError_tT1_PNSt15iterator_traitsISK_E10value_typeET2_T3_PNSL_ISQ_E10value_typeET4_T5_PSV_SW_PNS1_23onesweep_lookback_stateEbbT6_jjT7_P12ihipStream_tbENKUlT_T0_SK_SP_E_clISE_SE_SF_SF_EEDaS13_S14_SK_SP_EUlS13_E_NS1_11comp_targetILNS1_3genE8ELNS1_11target_archE1030ELNS1_3gpuE2ELNS1_3repE0EEENS1_47radix_sort_onesweep_sort_config_static_selectorELNS0_4arch9wavefront6targetE0EEEvSK_
	.p2align	8
	.type	_ZN7rocprim17ROCPRIM_400000_NS6detail17trampoline_kernelINS0_14default_configENS1_35radix_sort_onesweep_config_selectorIfNS0_10empty_typeEEEZZNS1_29radix_sort_onesweep_iterationIS3_Lb0EN6thrust23THRUST_200600_302600_NS6detail15normal_iteratorINS9_10device_ptrIfEEEESE_PS5_SF_jNS0_19identity_decomposerENS1_16block_id_wrapperIjLb0EEEEE10hipError_tT1_PNSt15iterator_traitsISK_E10value_typeET2_T3_PNSL_ISQ_E10value_typeET4_T5_PSV_SW_PNS1_23onesweep_lookback_stateEbbT6_jjT7_P12ihipStream_tbENKUlT_T0_SK_SP_E_clISE_SE_SF_SF_EEDaS13_S14_SK_SP_EUlS13_E_NS1_11comp_targetILNS1_3genE8ELNS1_11target_archE1030ELNS1_3gpuE2ELNS1_3repE0EEENS1_47radix_sort_onesweep_sort_config_static_selectorELNS0_4arch9wavefront6targetE0EEEvSK_,@function
_ZN7rocprim17ROCPRIM_400000_NS6detail17trampoline_kernelINS0_14default_configENS1_35radix_sort_onesweep_config_selectorIfNS0_10empty_typeEEEZZNS1_29radix_sort_onesweep_iterationIS3_Lb0EN6thrust23THRUST_200600_302600_NS6detail15normal_iteratorINS9_10device_ptrIfEEEESE_PS5_SF_jNS0_19identity_decomposerENS1_16block_id_wrapperIjLb0EEEEE10hipError_tT1_PNSt15iterator_traitsISK_E10value_typeET2_T3_PNSL_ISQ_E10value_typeET4_T5_PSV_SW_PNS1_23onesweep_lookback_stateEbbT6_jjT7_P12ihipStream_tbENKUlT_T0_SK_SP_E_clISE_SE_SF_SF_EEDaS13_S14_SK_SP_EUlS13_E_NS1_11comp_targetILNS1_3genE8ELNS1_11target_archE1030ELNS1_3gpuE2ELNS1_3repE0EEENS1_47radix_sort_onesweep_sort_config_static_selectorELNS0_4arch9wavefront6targetE0EEEvSK_: ; @_ZN7rocprim17ROCPRIM_400000_NS6detail17trampoline_kernelINS0_14default_configENS1_35radix_sort_onesweep_config_selectorIfNS0_10empty_typeEEEZZNS1_29radix_sort_onesweep_iterationIS3_Lb0EN6thrust23THRUST_200600_302600_NS6detail15normal_iteratorINS9_10device_ptrIfEEEESE_PS5_SF_jNS0_19identity_decomposerENS1_16block_id_wrapperIjLb0EEEEE10hipError_tT1_PNSt15iterator_traitsISK_E10value_typeET2_T3_PNSL_ISQ_E10value_typeET4_T5_PSV_SW_PNS1_23onesweep_lookback_stateEbbT6_jjT7_P12ihipStream_tbENKUlT_T0_SK_SP_E_clISE_SE_SF_SF_EEDaS13_S14_SK_SP_EUlS13_E_NS1_11comp_targetILNS1_3genE8ELNS1_11target_archE1030ELNS1_3gpuE2ELNS1_3repE0EEENS1_47radix_sort_onesweep_sort_config_static_selectorELNS0_4arch9wavefront6targetE0EEEvSK_
; %bb.0:
	s_clause 0x3
	s_load_dwordx4 s[20:23], s[4:5], 0x44
	s_load_dwordx2 s[10:11], s[4:5], 0x38
	s_load_dwordx4 s[16:19], s[4:5], 0x0
	s_load_dwordx4 s[12:15], s[4:5], 0x28
	v_mbcnt_lo_u32_b32 v11, -1, 0
	v_and_b32_e32 v12, 0x3e0, v0
	s_mov_b32 s0, -1
	s_mul_i32 s24, s6, 0x1800
	s_waitcnt lgkmcnt(0)
	s_cmp_ge_u32 s6, s22
	s_cbranch_scc0 .LBB594_60
; %bb.1:
	s_load_dword s9, s[4:5], 0x20
	s_mov_b32 s25, 0
	s_mul_i32 s2, s22, 0xffffe800
	v_mul_u32_u24_e32 v4, 6, v12
	v_lshlrev_b32_e32 v8, 2, v11
	s_lshl_b64 s[0:1], s[24:25], 2
	v_bfrev_b32_e32 v3, -2
	v_lshlrev_b32_e32 v9, 2, v4
	v_or_b32_e32 v13, v11, v4
	v_mov_b32_e32 v4, v3
	v_mov_b32_e32 v5, v3
	;; [unrolled: 1-line block ×4, first 2 shown]
	s_waitcnt lgkmcnt(0)
	s_add_i32 s9, s9, s2
	s_add_u32 s0, s16, s0
	s_addc_u32 s1, s17, s1
	v_add_co_u32 v8, s0, s0, v8
	v_add_co_ci_u32_e64 v10, null, s1, 0, s0
	v_add_co_u32 v9, s0, v8, v9
	v_add_co_ci_u32_e64 v10, null, 0, v10, s0
	v_mov_b32_e32 v8, v3
	s_mov_b32 s0, exec_lo
	v_cmpx_gt_u32_e64 s9, v13
	s_cbranch_execz .LBB594_3
; %bb.2:
	global_load_dword v14, v[9:10], off
	v_mov_b32_e32 v15, v3
	v_mov_b32_e32 v16, v3
	;; [unrolled: 1-line block ×5, first 2 shown]
	s_waitcnt vmcnt(0)
	v_mov_b32_e32 v3, v14
	v_mov_b32_e32 v4, v15
	;; [unrolled: 1-line block ×6, first 2 shown]
.LBB594_3:
	s_or_b32 exec_lo, exec_lo, s0
	v_or_b32_e32 v14, 32, v13
	s_mov_b32 s0, exec_lo
	v_cmpx_gt_u32_e64 s9, v14
	s_cbranch_execz .LBB594_5
; %bb.4:
	global_load_dword v4, v[9:10], off offset:128
.LBB594_5:
	s_or_b32 exec_lo, exec_lo, s0
	v_add_nc_u32_e32 v14, 64, v13
	s_mov_b32 s0, exec_lo
	v_cmpx_gt_u32_e64 s9, v14
	s_cbranch_execz .LBB594_7
; %bb.6:
	global_load_dword v5, v[9:10], off offset:256
.LBB594_7:
	s_or_b32 exec_lo, exec_lo, s0
	v_add_nc_u32_e32 v14, 0x60, v13
	;; [unrolled: 8-line block ×4, first 2 shown]
	s_mov_b32 s0, exec_lo
	v_cmpx_gt_u32_e64 s9, v13
	s_cbranch_execz .LBB594_13
; %bb.12:
	global_load_dword v8, v[9:10], off offset:640
.LBB594_13:
	s_or_b32 exec_lo, exec_lo, s0
	s_clause 0x1
	s_load_dword s0, s[4:5], 0x64
	s_load_dword s22, s[4:5], 0x58
	s_add_u32 s1, s4, 0x58
	s_addc_u32 s2, s5, 0
	v_mov_b32_e32 v10, 0
	v_cmp_lt_i32_e32 vcc_lo, -1, v3
	v_cndmask_b32_e64 v13, -1, 0x80000000, vcc_lo
	v_xor_b32_e32 v13, v13, v3
	v_cmp_ne_u32_e32 vcc_lo, 0x7fffffff, v13
	s_waitcnt lgkmcnt(0)
	s_lshr_b32 s3, s0, 16
	s_cmp_lt_u32 s6, s22
	s_cselect_b32 s0, 12, 18
	v_cndmask_b32_e32 v3, 0x80000000, v13, vcc_lo
	s_add_u32 s0, s1, s0
	s_addc_u32 s1, s2, 0
	global_load_ushort v9, v10, s[0:1]
	v_lshrrev_b32_e32 v3, s20, v3
	s_lshl_b32 s0, -1, s21
	s_not_b32 s23, s0
	v_and_b32_e32 v3, s23, v3
	v_and_b32_e32 v14, 1, v3
	v_lshlrev_b32_e32 v15, 30, v3
	v_lshlrev_b32_e32 v16, 29, v3
	;; [unrolled: 1-line block ×4, first 2 shown]
	v_add_co_u32 v14, s0, v14, -1
	v_cndmask_b32_e64 v17, 0, 1, s0
	v_not_b32_e32 v21, v15
	v_cmp_gt_i32_e64 s0, 0, v15
	v_not_b32_e32 v15, v16
	v_lshlrev_b32_e32 v20, 26, v3
	v_cmp_ne_u32_e32 vcc_lo, 0, v17
	v_ashrrev_i32_e32 v21, 31, v21
	v_lshlrev_b32_e32 v17, 25, v3
	v_ashrrev_i32_e32 v15, 31, v15
	v_xor_b32_e32 v14, vcc_lo, v14
	v_cmp_gt_i32_e32 vcc_lo, 0, v16
	v_not_b32_e32 v16, v18
	v_xor_b32_e32 v21, s0, v21
	v_cmp_gt_i32_e64 s0, 0, v18
	v_and_b32_e32 v14, exec_lo, v14
	v_not_b32_e32 v18, v19
	v_ashrrev_i32_e32 v16, 31, v16
	v_xor_b32_e32 v15, vcc_lo, v15
	v_cmp_gt_i32_e32 vcc_lo, 0, v19
	v_and_b32_e32 v14, v14, v21
	v_not_b32_e32 v19, v20
	v_ashrrev_i32_e32 v18, 31, v18
	v_xor_b32_e32 v16, s0, v16
	v_cmp_gt_i32_e64 s0, 0, v20
	v_and_b32_e32 v14, v14, v15
	v_not_b32_e32 v15, v17
	v_ashrrev_i32_e32 v19, 31, v19
	v_xor_b32_e32 v18, vcc_lo, v18
	v_cmp_gt_i32_e32 vcc_lo, 0, v17
	v_and_b32_e32 v14, v14, v16
	v_lshlrev_b32_e32 v16, 24, v3
	v_ashrrev_i32_e32 v15, 31, v15
	v_xor_b32_e32 v17, s0, v19
	v_and_b32_e32 v14, v14, v18
	v_not_b32_e32 v18, v16
	v_xor_b32_e32 v15, vcc_lo, v15
	v_cmp_gt_i32_e32 vcc_lo, 0, v16
	v_mul_u32_u24_e32 v16, 36, v0
	v_and_b32_e32 v14, v14, v17
	v_mad_u32_u24 v17, v2, s3, v1
	v_ashrrev_i32_e32 v18, 31, v18
	ds_write2_b32 v16, v10, v10 offset0:32 offset1:33
	v_and_b32_e32 v19, v14, v15
	ds_write2_b32 v16, v10, v10 offset0:34 offset1:35
	ds_write2_b32 v16, v10, v10 offset0:36 offset1:37
	;; [unrolled: 1-line block ×3, first 2 shown]
	ds_write_b32 v16, v10 offset:160
	s_waitcnt vmcnt(0) lgkmcnt(0)
	s_barrier
	buffer_gl0_inv
	; wave barrier
	v_mad_u64_u32 v[14:15], null, v17, v9, v[0:1]
	v_xor_b32_e32 v9, vcc_lo, v18
	v_mul_lo_u32 v17, 0x84, v3
	v_and_b32_e32 v9, v19, v9
	v_lshrrev_b32_e32 v14, 3, v14
	v_mbcnt_lo_u32_b32 v15, v9, 0
	v_and_b32_e32 v3, 0x1ffffffc, v14
	v_cmp_ne_u32_e64 s0, 0, v9
	v_cmp_eq_u32_e32 vcc_lo, 0, v15
	v_add_nc_u32_e32 v17, v3, v17
	s_and_b32 s1, s0, vcc_lo
	s_and_saveexec_b32 s0, s1
; %bb.14:
	v_bcnt_u32_b32 v9, v9, 0
	ds_write_b32 v17, v9 offset:128
; %bb.15:
	s_or_b32 exec_lo, exec_lo, s0
	v_cmp_lt_i32_e32 vcc_lo, -1, v4
	; wave barrier
	v_cndmask_b32_e64 v9, -1, 0x80000000, vcc_lo
	v_xor_b32_e32 v14, v9, v4
	v_cmp_ne_u32_e32 vcc_lo, 0x7fffffff, v14
	v_cndmask_b32_e32 v4, 0x80000000, v14, vcc_lo
	v_lshrrev_b32_e32 v4, s20, v4
	v_and_b32_e32 v4, s23, v4
	v_and_b32_e32 v10, 1, v4
	v_lshlrev_b32_e32 v18, 30, v4
	v_lshlrev_b32_e32 v19, 29, v4
	;; [unrolled: 1-line block ×4, first 2 shown]
	v_add_co_u32 v10, s0, v10, -1
	v_cndmask_b32_e64 v21, 0, 1, s0
	v_not_b32_e32 v25, v18
	v_cmp_gt_i32_e64 s0, 0, v18
	v_not_b32_e32 v18, v19
	v_lshlrev_b32_e32 v23, 26, v4
	v_cmp_ne_u32_e32 vcc_lo, 0, v21
	v_ashrrev_i32_e32 v21, 31, v25
	v_lshlrev_b32_e32 v24, 25, v4
	v_ashrrev_i32_e32 v18, 31, v18
	v_mul_lo_u32 v9, 0x84, v4
	v_xor_b32_e32 v10, vcc_lo, v10
	v_cmp_gt_i32_e32 vcc_lo, 0, v19
	v_not_b32_e32 v19, v20
	v_xor_b32_e32 v21, s0, v21
	v_cmp_gt_i32_e64 s0, 0, v20
	v_and_b32_e32 v10, exec_lo, v10
	v_not_b32_e32 v20, v22
	v_ashrrev_i32_e32 v19, 31, v19
	v_xor_b32_e32 v18, vcc_lo, v18
	v_cmp_gt_i32_e32 vcc_lo, 0, v22
	v_and_b32_e32 v10, v10, v21
	v_not_b32_e32 v21, v23
	v_ashrrev_i32_e32 v20, 31, v20
	v_xor_b32_e32 v19, s0, v19
	v_lshlrev_b32_e32 v4, 24, v4
	v_and_b32_e32 v10, v10, v18
	v_cmp_gt_i32_e64 s0, 0, v23
	v_not_b32_e32 v18, v24
	v_ashrrev_i32_e32 v21, 31, v21
	v_xor_b32_e32 v20, vcc_lo, v20
	v_and_b32_e32 v10, v10, v19
	v_cmp_gt_i32_e32 vcc_lo, 0, v24
	v_not_b32_e32 v19, v4
	v_ashrrev_i32_e32 v18, 31, v18
	v_xor_b32_e32 v21, s0, v21
	v_and_b32_e32 v10, v10, v20
	v_cmp_gt_i32_e64 s0, 0, v4
	v_ashrrev_i32_e32 v4, 31, v19
	v_xor_b32_e32 v18, vcc_lo, v18
	v_and_b32_e32 v10, v10, v21
	v_add_nc_u32_e32 v21, v3, v9
	v_xor_b32_e32 v4, s0, v4
	v_and_b32_e32 v9, v10, v18
	ds_read_b32 v19, v21 offset:128
	; wave barrier
	v_and_b32_e32 v4, v9, v4
	v_mbcnt_lo_u32_b32 v20, v4, 0
	v_cmp_ne_u32_e64 s0, 0, v4
	v_cmp_eq_u32_e32 vcc_lo, 0, v20
	s_and_b32 s1, s0, vcc_lo
	s_and_saveexec_b32 s0, s1
	s_cbranch_execz .LBB594_17
; %bb.16:
	s_waitcnt lgkmcnt(0)
	v_bcnt_u32_b32 v4, v4, v19
	ds_write_b32 v21, v4 offset:128
.LBB594_17:
	s_or_b32 exec_lo, exec_lo, s0
	v_cmp_lt_i32_e32 vcc_lo, -1, v5
	; wave barrier
	v_cndmask_b32_e64 v4, -1, 0x80000000, vcc_lo
	v_xor_b32_e32 v18, v4, v5
	v_cmp_ne_u32_e32 vcc_lo, 0x7fffffff, v18
	v_cndmask_b32_e32 v4, 0x80000000, v18, vcc_lo
	v_lshrrev_b32_e32 v4, s20, v4
	v_and_b32_e32 v4, s23, v4
	v_and_b32_e32 v9, 1, v4
	v_lshlrev_b32_e32 v10, 30, v4
	v_lshlrev_b32_e32 v22, 29, v4
	;; [unrolled: 1-line block ×4, first 2 shown]
	v_add_co_u32 v9, s0, v9, -1
	v_cndmask_b32_e64 v24, 0, 1, s0
	v_not_b32_e32 v28, v10
	v_cmp_gt_i32_e64 s0, 0, v10
	v_not_b32_e32 v10, v22
	v_lshlrev_b32_e32 v26, 26, v4
	v_cmp_ne_u32_e32 vcc_lo, 0, v24
	v_ashrrev_i32_e32 v24, 31, v28
	v_lshlrev_b32_e32 v27, 25, v4
	v_ashrrev_i32_e32 v10, 31, v10
	v_mul_lo_u32 v5, 0x84, v4
	v_xor_b32_e32 v9, vcc_lo, v9
	v_cmp_gt_i32_e32 vcc_lo, 0, v22
	v_not_b32_e32 v22, v23
	v_xor_b32_e32 v24, s0, v24
	v_cmp_gt_i32_e64 s0, 0, v23
	v_and_b32_e32 v9, exec_lo, v9
	v_not_b32_e32 v23, v25
	v_ashrrev_i32_e32 v22, 31, v22
	v_xor_b32_e32 v10, vcc_lo, v10
	v_cmp_gt_i32_e32 vcc_lo, 0, v25
	v_and_b32_e32 v9, v9, v24
	v_not_b32_e32 v24, v26
	v_ashrrev_i32_e32 v23, 31, v23
	v_xor_b32_e32 v22, s0, v22
	v_lshlrev_b32_e32 v4, 24, v4
	v_and_b32_e32 v9, v9, v10
	v_cmp_gt_i32_e64 s0, 0, v26
	v_not_b32_e32 v10, v27
	v_ashrrev_i32_e32 v24, 31, v24
	v_xor_b32_e32 v23, vcc_lo, v23
	v_and_b32_e32 v9, v9, v22
	v_cmp_gt_i32_e32 vcc_lo, 0, v27
	v_not_b32_e32 v22, v4
	v_ashrrev_i32_e32 v10, 31, v10
	v_xor_b32_e32 v24, s0, v24
	v_and_b32_e32 v9, v9, v23
	v_cmp_gt_i32_e64 s0, 0, v4
	v_ashrrev_i32_e32 v4, 31, v22
	v_xor_b32_e32 v10, vcc_lo, v10
	v_add_nc_u32_e32 v25, v3, v5
	v_and_b32_e32 v9, v9, v24
	v_xor_b32_e32 v4, s0, v4
	ds_read_b32 v23, v25 offset:128
	v_and_b32_e32 v5, v9, v10
	; wave barrier
	v_and_b32_e32 v4, v5, v4
	v_mbcnt_lo_u32_b32 v24, v4, 0
	v_cmp_ne_u32_e64 s0, 0, v4
	v_cmp_eq_u32_e32 vcc_lo, 0, v24
	s_and_b32 s1, s0, vcc_lo
	s_and_saveexec_b32 s0, s1
	s_cbranch_execz .LBB594_19
; %bb.18:
	s_waitcnt lgkmcnt(0)
	v_bcnt_u32_b32 v4, v4, v23
	ds_write_b32 v25, v4 offset:128
.LBB594_19:
	s_or_b32 exec_lo, exec_lo, s0
	v_cmp_lt_i32_e32 vcc_lo, -1, v6
	; wave barrier
	v_cndmask_b32_e64 v4, -1, 0x80000000, vcc_lo
	v_xor_b32_e32 v22, v4, v6
	v_cmp_ne_u32_e32 vcc_lo, 0x7fffffff, v22
	v_cndmask_b32_e32 v4, 0x80000000, v22, vcc_lo
	v_lshrrev_b32_e32 v4, s20, v4
	v_and_b32_e32 v4, s23, v4
	v_and_b32_e32 v6, 1, v4
	v_lshlrev_b32_e32 v9, 30, v4
	v_lshlrev_b32_e32 v10, 29, v4
	;; [unrolled: 1-line block ×4, first 2 shown]
	v_add_co_u32 v6, s0, v6, -1
	v_cndmask_b32_e64 v27, 0, 1, s0
	v_not_b32_e32 v31, v9
	v_cmp_gt_i32_e64 s0, 0, v9
	v_not_b32_e32 v9, v10
	v_lshlrev_b32_e32 v29, 26, v4
	v_cmp_ne_u32_e32 vcc_lo, 0, v27
	v_ashrrev_i32_e32 v27, 31, v31
	v_lshlrev_b32_e32 v30, 25, v4
	v_ashrrev_i32_e32 v9, 31, v9
	v_mul_lo_u32 v5, 0x84, v4
	v_xor_b32_e32 v6, vcc_lo, v6
	v_cmp_gt_i32_e32 vcc_lo, 0, v10
	v_not_b32_e32 v10, v26
	v_xor_b32_e32 v27, s0, v27
	v_cmp_gt_i32_e64 s0, 0, v26
	v_and_b32_e32 v6, exec_lo, v6
	v_not_b32_e32 v26, v28
	v_ashrrev_i32_e32 v10, 31, v10
	v_xor_b32_e32 v9, vcc_lo, v9
	v_cmp_gt_i32_e32 vcc_lo, 0, v28
	v_and_b32_e32 v6, v6, v27
	v_not_b32_e32 v27, v29
	v_ashrrev_i32_e32 v26, 31, v26
	v_xor_b32_e32 v10, s0, v10
	v_lshlrev_b32_e32 v4, 24, v4
	v_and_b32_e32 v6, v6, v9
	v_cmp_gt_i32_e64 s0, 0, v29
	v_not_b32_e32 v9, v30
	v_ashrrev_i32_e32 v27, 31, v27
	v_xor_b32_e32 v26, vcc_lo, v26
	v_and_b32_e32 v6, v6, v10
	v_cmp_gt_i32_e32 vcc_lo, 0, v30
	v_not_b32_e32 v10, v4
	v_ashrrev_i32_e32 v9, 31, v9
	v_xor_b32_e32 v27, s0, v27
	v_and_b32_e32 v6, v6, v26
	v_cmp_gt_i32_e64 s0, 0, v4
	v_ashrrev_i32_e32 v4, 31, v10
	v_xor_b32_e32 v9, vcc_lo, v9
	v_add_nc_u32_e32 v29, v3, v5
	v_and_b32_e32 v6, v6, v27
	v_xor_b32_e32 v4, s0, v4
	ds_read_b32 v26, v29 offset:128
	v_and_b32_e32 v5, v6, v9
	; wave barrier
	v_and_b32_e32 v4, v5, v4
	v_mbcnt_lo_u32_b32 v28, v4, 0
	v_cmp_ne_u32_e64 s0, 0, v4
	v_cmp_eq_u32_e32 vcc_lo, 0, v28
	s_and_b32 s1, s0, vcc_lo
	s_and_saveexec_b32 s0, s1
	s_cbranch_execz .LBB594_21
; %bb.20:
	s_waitcnt lgkmcnt(0)
	v_bcnt_u32_b32 v4, v4, v26
	ds_write_b32 v29, v4 offset:128
.LBB594_21:
	s_or_b32 exec_lo, exec_lo, s0
	v_cmp_lt_i32_e32 vcc_lo, -1, v7
	; wave barrier
	v_cndmask_b32_e64 v4, -1, 0x80000000, vcc_lo
	v_xor_b32_e32 v27, v4, v7
	v_cmp_ne_u32_e32 vcc_lo, 0x7fffffff, v27
	v_cndmask_b32_e32 v4, 0x80000000, v27, vcc_lo
	v_lshrrev_b32_e32 v4, s20, v4
	v_and_b32_e32 v4, s23, v4
	v_and_b32_e32 v6, 1, v4
	v_lshlrev_b32_e32 v7, 30, v4
	v_lshlrev_b32_e32 v9, 29, v4
	;; [unrolled: 1-line block ×4, first 2 shown]
	v_add_co_u32 v6, s0, v6, -1
	v_cndmask_b32_e64 v30, 0, 1, s0
	v_not_b32_e32 v34, v7
	v_cmp_gt_i32_e64 s0, 0, v7
	v_not_b32_e32 v7, v9
	v_lshlrev_b32_e32 v32, 26, v4
	v_cmp_ne_u32_e32 vcc_lo, 0, v30
	v_ashrrev_i32_e32 v30, 31, v34
	v_lshlrev_b32_e32 v33, 25, v4
	v_ashrrev_i32_e32 v7, 31, v7
	v_mul_lo_u32 v5, 0x84, v4
	v_xor_b32_e32 v6, vcc_lo, v6
	v_cmp_gt_i32_e32 vcc_lo, 0, v9
	v_not_b32_e32 v9, v10
	v_xor_b32_e32 v30, s0, v30
	v_cmp_gt_i32_e64 s0, 0, v10
	v_and_b32_e32 v6, exec_lo, v6
	v_not_b32_e32 v10, v31
	v_ashrrev_i32_e32 v9, 31, v9
	v_xor_b32_e32 v7, vcc_lo, v7
	v_cmp_gt_i32_e32 vcc_lo, 0, v31
	v_and_b32_e32 v6, v6, v30
	v_not_b32_e32 v30, v32
	v_ashrrev_i32_e32 v10, 31, v10
	v_xor_b32_e32 v9, s0, v9
	v_lshlrev_b32_e32 v4, 24, v4
	v_and_b32_e32 v6, v6, v7
	v_cmp_gt_i32_e64 s0, 0, v32
	v_not_b32_e32 v7, v33
	v_ashrrev_i32_e32 v30, 31, v30
	v_xor_b32_e32 v10, vcc_lo, v10
	v_and_b32_e32 v6, v6, v9
	v_cmp_gt_i32_e32 vcc_lo, 0, v33
	v_not_b32_e32 v9, v4
	v_ashrrev_i32_e32 v7, 31, v7
	v_xor_b32_e32 v30, s0, v30
	v_and_b32_e32 v6, v6, v10
	v_cmp_gt_i32_e64 s0, 0, v4
	v_ashrrev_i32_e32 v4, 31, v9
	v_xor_b32_e32 v7, vcc_lo, v7
	v_add_nc_u32_e32 v33, v3, v5
	v_and_b32_e32 v6, v6, v30
	v_xor_b32_e32 v4, s0, v4
	ds_read_b32 v30, v33 offset:128
	v_and_b32_e32 v5, v6, v7
	; wave barrier
	v_and_b32_e32 v4, v5, v4
	v_mbcnt_lo_u32_b32 v31, v4, 0
	v_cmp_ne_u32_e64 s0, 0, v4
	v_cmp_eq_u32_e32 vcc_lo, 0, v31
	s_and_b32 s1, s0, vcc_lo
	s_and_saveexec_b32 s0, s1
	s_cbranch_execz .LBB594_23
; %bb.22:
	s_waitcnt lgkmcnt(0)
	v_bcnt_u32_b32 v4, v4, v30
	ds_write_b32 v33, v4 offset:128
.LBB594_23:
	s_or_b32 exec_lo, exec_lo, s0
	v_cmp_lt_i32_e32 vcc_lo, -1, v8
	; wave barrier
	v_cndmask_b32_e64 v4, -1, 0x80000000, vcc_lo
	v_xor_b32_e32 v32, v4, v8
	v_cmp_ne_u32_e32 vcc_lo, 0x7fffffff, v32
	v_cndmask_b32_e32 v4, 0x80000000, v32, vcc_lo
	v_lshrrev_b32_e32 v4, s20, v4
	v_and_b32_e32 v4, s23, v4
	v_and_b32_e32 v6, 1, v4
	v_lshlrev_b32_e32 v7, 30, v4
	v_lshlrev_b32_e32 v8, 29, v4
	;; [unrolled: 1-line block ×4, first 2 shown]
	v_add_co_u32 v6, s0, v6, -1
	v_cndmask_b32_e64 v10, 0, 1, s0
	v_not_b32_e32 v37, v7
	v_cmp_gt_i32_e64 s0, 0, v7
	v_not_b32_e32 v7, v8
	v_lshlrev_b32_e32 v35, 26, v4
	v_cmp_ne_u32_e32 vcc_lo, 0, v10
	v_ashrrev_i32_e32 v10, 31, v37
	v_lshlrev_b32_e32 v36, 25, v4
	v_ashrrev_i32_e32 v7, 31, v7
	v_mul_lo_u32 v5, 0x84, v4
	v_xor_b32_e32 v6, vcc_lo, v6
	v_cmp_gt_i32_e32 vcc_lo, 0, v8
	v_not_b32_e32 v8, v9
	v_xor_b32_e32 v10, s0, v10
	v_cmp_gt_i32_e64 s0, 0, v9
	v_and_b32_e32 v6, exec_lo, v6
	v_not_b32_e32 v9, v34
	v_ashrrev_i32_e32 v8, 31, v8
	v_xor_b32_e32 v7, vcc_lo, v7
	v_cmp_gt_i32_e32 vcc_lo, 0, v34
	v_and_b32_e32 v6, v6, v10
	v_not_b32_e32 v10, v35
	v_ashrrev_i32_e32 v9, 31, v9
	v_xor_b32_e32 v8, s0, v8
	v_lshlrev_b32_e32 v4, 24, v4
	v_and_b32_e32 v6, v6, v7
	v_cmp_gt_i32_e64 s0, 0, v35
	v_not_b32_e32 v7, v36
	v_ashrrev_i32_e32 v10, 31, v10
	v_xor_b32_e32 v9, vcc_lo, v9
	v_and_b32_e32 v6, v6, v8
	v_cmp_gt_i32_e32 vcc_lo, 0, v36
	v_not_b32_e32 v8, v4
	v_ashrrev_i32_e32 v7, 31, v7
	v_xor_b32_e32 v10, s0, v10
	v_and_b32_e32 v6, v6, v9
	v_cmp_gt_i32_e64 s0, 0, v4
	v_ashrrev_i32_e32 v4, 31, v8
	v_xor_b32_e32 v7, vcc_lo, v7
	v_add_nc_u32_e32 v36, v3, v5
	v_and_b32_e32 v6, v6, v10
	v_xor_b32_e32 v3, s0, v4
	ds_read_b32 v34, v36 offset:128
	v_and_b32_e32 v4, v6, v7
	; wave barrier
	v_and_b32_e32 v3, v4, v3
	v_mbcnt_lo_u32_b32 v35, v3, 0
	v_cmp_ne_u32_e64 s0, 0, v3
	v_cmp_eq_u32_e32 vcc_lo, 0, v35
	s_and_b32 s1, s0, vcc_lo
	s_and_saveexec_b32 s0, s1
	s_cbranch_execz .LBB594_25
; %bb.24:
	s_waitcnt lgkmcnt(0)
	v_bcnt_u32_b32 v3, v3, v34
	ds_write_b32 v36, v3 offset:128
.LBB594_25:
	s_or_b32 exec_lo, exec_lo, s0
	; wave barrier
	s_waitcnt lgkmcnt(0)
	s_barrier
	buffer_gl0_inv
	ds_read2_b32 v[9:10], v16 offset0:32 offset1:33
	ds_read2_b32 v[7:8], v16 offset0:34 offset1:35
	;; [unrolled: 1-line block ×4, first 2 shown]
	ds_read_b32 v37, v16 offset:160
	v_and_b32_e32 v40, 16, v11
	v_and_b32_e32 v41, 31, v0
	s_mov_b32 s8, exec_lo
	v_cmp_eq_u32_e64 s3, 0, v40
	s_waitcnt lgkmcnt(3)
	v_add3_u32 v38, v10, v9, v7
	s_waitcnt lgkmcnt(2)
	v_add3_u32 v38, v38, v8, v5
	;; [unrolled: 2-line block ×4, first 2 shown]
	v_and_b32_e32 v38, 15, v11
	v_mov_b32_dpp v39, v37 row_shr:1 row_mask:0xf bank_mask:0xf
	v_cmp_eq_u32_e32 vcc_lo, 0, v38
	v_cmp_lt_u32_e64 s0, 1, v38
	v_cmp_lt_u32_e64 s1, 3, v38
	;; [unrolled: 1-line block ×3, first 2 shown]
	v_cndmask_b32_e64 v39, v39, 0, vcc_lo
	v_add_nc_u32_e32 v37, v39, v37
	v_mov_b32_dpp v39, v37 row_shr:2 row_mask:0xf bank_mask:0xf
	v_cndmask_b32_e64 v39, 0, v39, s0
	v_add_nc_u32_e32 v37, v37, v39
	v_mov_b32_dpp v39, v37 row_shr:4 row_mask:0xf bank_mask:0xf
	v_cndmask_b32_e64 v39, 0, v39, s1
	;; [unrolled: 3-line block ×3, first 2 shown]
	v_bfe_i32 v39, v11, 4, 1
	v_add_nc_u32_e32 v37, v37, v38
	ds_swizzle_b32 v38, v37 offset:swizzle(BROADCAST,32,15)
	s_waitcnt lgkmcnt(0)
	v_and_b32_e32 v39, v39, v38
	v_lshrrev_b32_e32 v38, 5, v0
	v_add_nc_u32_e32 v37, v37, v39
	v_cmpx_eq_u32_e32 31, v41
; %bb.26:
	v_lshlrev_b32_e32 v39, 2, v38
	ds_write_b32 v39, v37
; %bb.27:
	s_or_b32 exec_lo, exec_lo, s8
	v_cmp_lt_u32_e64 s7, 31, v0
	s_mov_b32 s25, exec_lo
	s_waitcnt lgkmcnt(0)
	s_barrier
	buffer_gl0_inv
	v_cmpx_gt_u32_e32 32, v0
	s_cbranch_execz .LBB594_29
; %bb.28:
	v_lshlrev_b32_e32 v39, 2, v0
	ds_read_b32 v40, v39
	s_waitcnt lgkmcnt(0)
	v_mov_b32_dpp v41, v40 row_shr:1 row_mask:0xf bank_mask:0xf
	v_cndmask_b32_e64 v41, v41, 0, vcc_lo
	v_add_nc_u32_e32 v40, v41, v40
	v_mov_b32_dpp v41, v40 row_shr:2 row_mask:0xf bank_mask:0xf
	v_cndmask_b32_e64 v41, 0, v41, s0
	v_add_nc_u32_e32 v40, v40, v41
	v_mov_b32_dpp v41, v40 row_shr:4 row_mask:0xf bank_mask:0xf
	v_cndmask_b32_e64 v41, 0, v41, s1
	;; [unrolled: 3-line block ×3, first 2 shown]
	v_add_nc_u32_e32 v40, v40, v41
	ds_swizzle_b32 v41, v40 offset:swizzle(BROADCAST,32,15)
	s_waitcnt lgkmcnt(0)
	v_cndmask_b32_e64 v41, v41, 0, s3
	v_add_nc_u32_e32 v40, v40, v41
	ds_write_b32 v39, v40
.LBB594_29:
	s_or_b32 exec_lo, exec_lo, s25
	v_mov_b32_e32 v39, 0
	s_waitcnt lgkmcnt(0)
	s_barrier
	buffer_gl0_inv
	s_and_saveexec_b32 s0, s7
; %bb.30:
	v_lshl_add_u32 v38, v38, 2, -4
	ds_read_b32 v39, v38
; %bb.31:
	s_or_b32 exec_lo, exec_lo, s0
	v_sub_co_u32 v38, vcc_lo, v11, 1
	s_waitcnt lgkmcnt(0)
	v_add_nc_u32_e32 v37, v39, v37
	v_cmp_gt_i32_e64 s0, 0, v38
	v_cndmask_b32_e64 v38, v38, v11, s0
	v_cmp_gt_u32_e64 s0, 0x100, v0
	v_lshlrev_b32_e32 v38, 2, v38
	ds_bpermute_b32 v37, v38, v37
	s_waitcnt lgkmcnt(0)
	v_cndmask_b32_e32 v37, v37, v39, vcc_lo
	v_cmp_ne_u32_e32 vcc_lo, 0, v0
	v_cndmask_b32_e32 v37, 0, v37, vcc_lo
	v_cmp_lt_u32_e32 vcc_lo, 0xff, v0
	v_add_nc_u32_e32 v9, v37, v9
	v_add_nc_u32_e32 v10, v9, v10
	;; [unrolled: 1-line block ×8, first 2 shown]
	ds_write2_b32 v16, v37, v9 offset0:32 offset1:33
	ds_write2_b32 v16, v10, v7 offset0:34 offset1:35
	;; [unrolled: 1-line block ×4, first 2 shown]
	ds_write_b32 v16, v4 offset:160
	s_waitcnt lgkmcnt(0)
	s_barrier
	buffer_gl0_inv
	ds_read_b32 v7, v17 offset:128
	ds_read_b32 v8, v21 offset:128
	;; [unrolled: 1-line block ×6, first 2 shown]
                                        ; implicit-def: $vgpr9
                                        ; implicit-def: $vgpr10
	s_and_saveexec_b32 s2, s0
	s_cbranch_execz .LBB594_35
; %bb.32:
	v_mul_u32_u24_e32 v9, 0x84, v0
	v_add_nc_u32_e32 v16, 1, v0
	v_mov_b32_e32 v10, 0x1800
	s_mov_b32 s3, exec_lo
	ds_read_b32 v9, v9 offset:128
	v_cmpx_ne_u32_e32 0x100, v16
; %bb.33:
	v_mul_u32_u24_e32 v10, 0x84, v16
	ds_read_b32 v10, v10 offset:128
; %bb.34:
	s_or_b32 exec_lo, exec_lo, s3
	s_waitcnt lgkmcnt(0)
	v_sub_nc_u32_e32 v10, v10, v9
.LBB594_35:
	s_or_b32 exec_lo, exec_lo, s2
	v_lshlrev_b32_e32 v15, 2, v15
	s_waitcnt lgkmcnt(4)
	v_lshlrev_b32_e32 v8, 2, v8
	v_lshlrev_b32_e32 v16, 2, v20
	;; [unrolled: 1-line block ×3, first 2 shown]
	s_waitcnt lgkmcnt(0)
	v_lshl_add_u32 v7, v7, 2, v15
	s_barrier
	buffer_gl0_inv
	v_lshlrev_b32_e32 v6, 2, v6
	v_add3_u32 v8, v8, v16, v17
	ds_write_b32 v7, v13 offset:1024
	v_lshlrev_b32_e32 v7, 2, v24
	v_lshlrev_b32_e32 v13, 2, v23
	;; [unrolled: 1-line block ×11, first 2 shown]
	v_add3_u32 v6, v6, v7, v13
	v_add3_u32 v7, v4, v17, v19
	v_mov_b32_e32 v4, 0
	v_lshlrev_b32_e32 v13, 2, v0
	v_add3_u32 v5, v5, v15, v16
	v_add3_u32 v3, v3, v20, v21
	ds_write_b32 v8, v14 offset:1024
	ds_write_b32 v6, v18 offset:1024
	ds_write_b32 v5, v22 offset:1024
	ds_write_b32 v7, v27 offset:1024
	ds_write_b32 v3, v32 offset:1024
	s_and_saveexec_b32 s1, s0
	s_cbranch_execz .LBB594_45
; %bb.36:
	v_lshl_add_u32 v3, s6, 8, v0
	v_mov_b32_e32 v14, 0
	s_mov_b32 s2, 0
	s_mov_b32 s3, s6
	v_lshlrev_b64 v[5:6], 2, v[3:4]
	v_or_b32_e32 v3, 2.0, v10
	v_add_co_u32 v5, s0, s10, v5
	v_add_co_ci_u32_e64 v6, null, s11, v6, s0
                                        ; implicit-def: $sgpr0
	global_store_dword v[5:6], v3, off
	s_branch .LBB594_39
	.p2align	6
.LBB594_37:                             ;   in Loop: Header=BB594_39 Depth=1
	s_or_b32 exec_lo, exec_lo, s8
.LBB594_38:                             ;   in Loop: Header=BB594_39 Depth=1
	s_or_b32 exec_lo, exec_lo, s7
	v_and_b32_e32 v7, 0x3fffffff, v3
	v_cmp_gt_i32_e64 s0, -2.0, v3
	v_add_nc_u32_e32 v14, v7, v14
	s_and_b32 s7, exec_lo, s0
	s_or_b32 s2, s7, s2
	s_andn2_b32 exec_lo, exec_lo, s2
	s_cbranch_execz .LBB594_44
.LBB594_39:                             ; =>This Loop Header: Depth=1
                                        ;     Child Loop BB594_42 Depth 2
	s_or_b32 s0, s0, exec_lo
	s_cmp_eq_u32 s3, 0
	s_cbranch_scc1 .LBB594_43
; %bb.40:                               ;   in Loop: Header=BB594_39 Depth=1
	s_add_i32 s3, s3, -1
	s_mov_b32 s7, exec_lo
	v_lshl_or_b32 v3, s3, 8, v0
	v_lshlrev_b64 v[7:8], 2, v[3:4]
	v_add_co_u32 v7, s0, s10, v7
	v_add_co_ci_u32_e64 v8, null, s11, v8, s0
	global_load_dword v3, v[7:8], off glc dlc
	s_waitcnt vmcnt(0)
	v_cmpx_gt_u32_e32 2.0, v3
	s_cbranch_execz .LBB594_38
; %bb.41:                               ;   in Loop: Header=BB594_39 Depth=1
	s_mov_b32 s8, 0
.LBB594_42:                             ;   Parent Loop BB594_39 Depth=1
                                        ; =>  This Inner Loop Header: Depth=2
	global_load_dword v3, v[7:8], off glc dlc
	s_waitcnt vmcnt(0)
	v_cmp_lt_u32_e64 s0, 0x3fffffff, v3
	s_or_b32 s8, s0, s8
	s_andn2_b32 exec_lo, exec_lo, s8
	s_cbranch_execnz .LBB594_42
	s_branch .LBB594_37
.LBB594_43:                             ;   in Loop: Header=BB594_39 Depth=1
                                        ; implicit-def: $sgpr3
	s_and_b32 s7, exec_lo, s0
	s_or_b32 s2, s7, s2
	s_andn2_b32 exec_lo, exec_lo, s2
	s_cbranch_execnz .LBB594_39
.LBB594_44:
	s_or_b32 exec_lo, exec_lo, s2
	v_add_nc_u32_e32 v3, v14, v10
	v_sub_nc_u32_e32 v4, v14, v9
	v_or_b32_e32 v3, 0x80000000, v3
	global_store_dword v[5:6], v3, off
	global_load_dword v3, v13, s[12:13]
	s_waitcnt vmcnt(0)
	v_add_nc_u32_e32 v3, v4, v3
	ds_write_b32 v13, v3
.LBB594_45:
	s_or_b32 exec_lo, exec_lo, s1
	s_mov_b32 s1, exec_lo
	s_waitcnt lgkmcnt(0)
	s_waitcnt_vscnt null, 0x0
	s_barrier
	buffer_gl0_inv
	v_cmpx_gt_u32_e64 s9, v0
	s_cbranch_execz .LBB594_47
; %bb.46:
	ds_read_b32 v5, v13 offset:1024
	v_mov_b32_e32 v4, 0
	s_waitcnt lgkmcnt(0)
	v_cmp_ne_u32_e64 s0, 0x7fffffff, v5
	v_cndmask_b32_e64 v3, 0x80000000, v5, s0
	v_cmp_lt_i32_e64 s0, -1, v5
	v_lshrrev_b32_e32 v3, s20, v3
	v_cndmask_b32_e64 v6, 0x80000000, -1, s0
	v_and_b32_e32 v3, s23, v3
	v_xor_b32_e32 v5, v6, v5
	v_lshlrev_b32_e32 v3, 2, v3
	ds_read_b32 v3, v3
	s_waitcnt lgkmcnt(0)
	v_add_nc_u32_e32 v3, v3, v0
	v_lshlrev_b64 v[3:4], 2, v[3:4]
	v_add_co_u32 v3, s0, s18, v3
	v_add_co_ci_u32_e64 v4, null, s19, v4, s0
	global_store_dword v[3:4], v5, off
.LBB594_47:
	s_or_b32 exec_lo, exec_lo, s1
	v_or_b32_e32 v3, 0x400, v0
	s_mov_b32 s1, exec_lo
	v_cmpx_gt_u32_e64 s9, v3
	s_cbranch_execz .LBB594_49
; %bb.48:
	ds_read_b32 v5, v13 offset:5120
	s_waitcnt lgkmcnt(0)
	v_cmp_ne_u32_e64 s0, 0x7fffffff, v5
	v_cndmask_b32_e64 v4, 0x80000000, v5, s0
	v_cmp_lt_i32_e64 s0, -1, v5
	v_lshrrev_b32_e32 v4, s20, v4
	v_and_b32_e32 v4, s23, v4
	v_lshlrev_b32_e32 v4, 2, v4
	ds_read_b32 v6, v4
	v_mov_b32_e32 v4, 0
	s_waitcnt lgkmcnt(0)
	v_add_nc_u32_e32 v3, v6, v3
	v_cndmask_b32_e64 v6, 0x80000000, -1, s0
	v_lshlrev_b64 v[3:4], 2, v[3:4]
	v_xor_b32_e32 v5, v6, v5
	v_add_co_u32 v3, s0, s18, v3
	v_add_co_ci_u32_e64 v4, null, s19, v4, s0
	global_store_dword v[3:4], v5, off
.LBB594_49:
	s_or_b32 exec_lo, exec_lo, s1
	v_or_b32_e32 v3, 0x800, v0
	s_mov_b32 s1, exec_lo
	v_cmpx_gt_u32_e64 s9, v3
	s_cbranch_execz .LBB594_51
; %bb.50:
	ds_read_b32 v5, v13 offset:9216
	s_waitcnt lgkmcnt(0)
	v_cmp_ne_u32_e64 s0, 0x7fffffff, v5
	v_cndmask_b32_e64 v4, 0x80000000, v5, s0
	v_cmp_lt_i32_e64 s0, -1, v5
	v_lshrrev_b32_e32 v4, s20, v4
	v_and_b32_e32 v4, s23, v4
	v_lshlrev_b32_e32 v4, 2, v4
	ds_read_b32 v6, v4
	v_mov_b32_e32 v4, 0
	s_waitcnt lgkmcnt(0)
	v_add_nc_u32_e32 v3, v6, v3
	v_cndmask_b32_e64 v6, 0x80000000, -1, s0
	v_lshlrev_b64 v[3:4], 2, v[3:4]
	v_xor_b32_e32 v5, v6, v5
	v_add_co_u32 v3, s0, s18, v3
	v_add_co_ci_u32_e64 v4, null, s19, v4, s0
	global_store_dword v[3:4], v5, off
.LBB594_51:
	s_or_b32 exec_lo, exec_lo, s1
	v_or_b32_e32 v3, 0xc00, v0
	s_mov_b32 s1, exec_lo
	v_cmpx_gt_u32_e64 s9, v3
	s_cbranch_execz .LBB594_53
; %bb.52:
	ds_read_b32 v5, v13 offset:13312
	s_waitcnt lgkmcnt(0)
	v_cmp_ne_u32_e64 s0, 0x7fffffff, v5
	v_cndmask_b32_e64 v4, 0x80000000, v5, s0
	v_cmp_lt_i32_e64 s0, -1, v5
	v_lshrrev_b32_e32 v4, s20, v4
	v_and_b32_e32 v4, s23, v4
	v_lshlrev_b32_e32 v4, 2, v4
	ds_read_b32 v6, v4
	v_mov_b32_e32 v4, 0
	s_waitcnt lgkmcnt(0)
	v_add_nc_u32_e32 v3, v6, v3
	v_cndmask_b32_e64 v6, 0x80000000, -1, s0
	v_lshlrev_b64 v[3:4], 2, v[3:4]
	v_xor_b32_e32 v5, v6, v5
	v_add_co_u32 v3, s0, s18, v3
	v_add_co_ci_u32_e64 v4, null, s19, v4, s0
	global_store_dword v[3:4], v5, off
.LBB594_53:
	s_or_b32 exec_lo, exec_lo, s1
	v_or_b32_e32 v3, 0x1000, v0
	s_mov_b32 s1, exec_lo
	v_cmpx_gt_u32_e64 s9, v3
	s_cbranch_execz .LBB594_55
; %bb.54:
	ds_read_b32 v5, v13 offset:17408
	s_waitcnt lgkmcnt(0)
	v_cmp_ne_u32_e64 s0, 0x7fffffff, v5
	v_cndmask_b32_e64 v4, 0x80000000, v5, s0
	v_cmp_lt_i32_e64 s0, -1, v5
	v_lshrrev_b32_e32 v4, s20, v4
	v_and_b32_e32 v4, s23, v4
	v_lshlrev_b32_e32 v4, 2, v4
	ds_read_b32 v6, v4
	v_mov_b32_e32 v4, 0
	s_waitcnt lgkmcnt(0)
	v_add_nc_u32_e32 v3, v6, v3
	v_cndmask_b32_e64 v6, 0x80000000, -1, s0
	v_lshlrev_b64 v[3:4], 2, v[3:4]
	v_xor_b32_e32 v5, v6, v5
	v_add_co_u32 v3, s0, s18, v3
	v_add_co_ci_u32_e64 v4, null, s19, v4, s0
	global_store_dword v[3:4], v5, off
.LBB594_55:
	s_or_b32 exec_lo, exec_lo, s1
	v_or_b32_e32 v3, 0x1400, v0
	s_mov_b32 s1, exec_lo
	v_cmpx_gt_u32_e64 s9, v3
	s_cbranch_execz .LBB594_57
; %bb.56:
	ds_read_b32 v5, v13 offset:21504
	s_waitcnt lgkmcnt(0)
	v_cmp_ne_u32_e64 s0, 0x7fffffff, v5
	v_cndmask_b32_e64 v4, 0x80000000, v5, s0
	v_cmp_lt_i32_e64 s0, -1, v5
	v_lshrrev_b32_e32 v4, s20, v4
	v_and_b32_e32 v4, s23, v4
	v_lshlrev_b32_e32 v4, 2, v4
	ds_read_b32 v6, v4
	v_mov_b32_e32 v4, 0
	s_waitcnt lgkmcnt(0)
	v_add_nc_u32_e32 v3, v6, v3
	v_cndmask_b32_e64 v6, 0x80000000, -1, s0
	v_lshlrev_b64 v[3:4], 2, v[3:4]
	v_xor_b32_e32 v5, v6, v5
	v_add_co_u32 v3, s0, s18, v3
	v_add_co_ci_u32_e64 v4, null, s19, v4, s0
	global_store_dword v[3:4], v5, off
.LBB594_57:
	s_or_b32 exec_lo, exec_lo, s1
	s_add_i32 s22, s22, -1
	s_cmp_eq_u32 s6, s22
	s_cselect_b32 s0, -1, 0
	s_xor_b32 s1, vcc_lo, -1
	s_and_b32 s1, s1, s0
	s_and_saveexec_b32 s0, s1
	s_cbranch_execz .LBB594_59
; %bb.58:
	ds_read_b32 v3, v13
	s_waitcnt lgkmcnt(0)
	v_add3_u32 v3, v9, v10, v3
	global_store_dword v13, v3, s[14:15]
.LBB594_59:
	s_or_b32 exec_lo, exec_lo, s0
	s_mov_b32 s0, 0
.LBB594_60:
	s_and_b32 vcc_lo, exec_lo, s0
	s_cbranch_vccz .LBB594_95
; %bb.61:
	s_mov_b32 s25, 0
	v_mul_u32_u24_e32 v3, 6, v12
	v_lshlrev_b32_e32 v4, 2, v11
	s_lshl_b64 s[0:1], s[24:25], 2
	v_mov_b32_e32 v14, 0
	s_add_u32 s0, s16, s0
	s_addc_u32 s1, s17, s1
	v_lshlrev_b32_e32 v3, 2, v3
	v_add_co_u32 v4, s0, s0, v4
	v_add_co_ci_u32_e64 v5, null, s1, 0, s0
	s_add_u32 s1, s4, 0x58
	v_add_co_u32 v8, vcc_lo, v4, v3
	v_add_co_ci_u32_e64 v9, null, 0, v5, vcc_lo
	s_addc_u32 s2, s5, 0
	global_load_dword v10, v[8:9], off
	s_clause 0x1
	s_load_dword s0, s[4:5], 0x64
	s_load_dword s7, s[4:5], 0x58
	s_waitcnt lgkmcnt(0)
	s_lshr_b32 s3, s0, 16
	s_cmp_lt_u32 s6, s7
	v_mad_u32_u24 v1, v2, s3, v1
	s_cselect_b32 s0, 12, 18
	s_add_u32 s0, s1, s0
	s_addc_u32 s1, s2, 0
	global_load_ushort v12, v14, s[0:1]
	s_clause 0x4
	global_load_dword v7, v[8:9], off offset:128
	global_load_dword v6, v[8:9], off offset:256
	;; [unrolled: 1-line block ×5, first 2 shown]
	s_lshl_b32 s0, -1, s21
	s_not_b32 s8, s0
	s_waitcnt vmcnt(6)
	v_cmp_lt_i32_e32 vcc_lo, -1, v10
	v_cndmask_b32_e64 v8, -1, 0x80000000, vcc_lo
	v_xor_b32_e32 v9, v8, v10
	v_cmp_ne_u32_e32 vcc_lo, 0x7fffffff, v9
	v_cndmask_b32_e32 v8, 0x80000000, v9, vcc_lo
	s_waitcnt vmcnt(5)
	v_mad_u64_u32 v[1:2], null, v1, v12, v[0:1]
	v_lshrrev_b32_e32 v8, s20, v8
	v_and_b32_e32 v8, s8, v8
	v_lshrrev_b32_e32 v1, 3, v1
	v_and_b32_e32 v10, 1, v8
	v_lshlrev_b32_e32 v13, 30, v8
	v_lshlrev_b32_e32 v15, 29, v8
	;; [unrolled: 1-line block ×4, first 2 shown]
	v_add_co_u32 v10, s0, v10, -1
	v_cndmask_b32_e64 v17, 0, 1, s0
	v_not_b32_e32 v21, v13
	v_cmp_gt_i32_e64 s0, 0, v13
	v_not_b32_e32 v13, v15
	v_lshlrev_b32_e32 v19, 26, v8
	v_cmp_ne_u32_e32 vcc_lo, 0, v17
	v_ashrrev_i32_e32 v21, 31, v21
	v_lshlrev_b32_e32 v20, 25, v8
	v_ashrrev_i32_e32 v13, 31, v13
	v_lshlrev_b32_e32 v17, 24, v8
	v_xor_b32_e32 v10, vcc_lo, v10
	v_cmp_gt_i32_e32 vcc_lo, 0, v15
	v_not_b32_e32 v15, v16
	v_xor_b32_e32 v21, s0, v21
	v_cmp_gt_i32_e64 s0, 0, v16
	v_and_b32_e32 v10, exec_lo, v10
	v_not_b32_e32 v16, v18
	v_ashrrev_i32_e32 v15, 31, v15
	v_xor_b32_e32 v13, vcc_lo, v13
	v_cmp_gt_i32_e32 vcc_lo, 0, v18
	v_and_b32_e32 v10, v10, v21
	v_not_b32_e32 v18, v19
	v_ashrrev_i32_e32 v16, 31, v16
	v_xor_b32_e32 v15, s0, v15
	v_cmp_gt_i32_e64 s0, 0, v19
	v_and_b32_e32 v10, v10, v13
	v_not_b32_e32 v13, v20
	v_ashrrev_i32_e32 v18, 31, v18
	v_xor_b32_e32 v16, vcc_lo, v16
	v_cmp_gt_i32_e32 vcc_lo, 0, v20
	v_and_b32_e32 v10, v10, v15
	v_not_b32_e32 v15, v17
	v_ashrrev_i32_e32 v13, 31, v13
	v_xor_b32_e32 v18, s0, v18
	v_cmp_gt_i32_e64 s0, 0, v17
	v_and_b32_e32 v10, v10, v16
	v_ashrrev_i32_e32 v15, 31, v15
	v_xor_b32_e32 v16, vcc_lo, v13
	v_mul_lo_u32 v8, 0x84, v8
	v_mul_u32_u24_e32 v13, 36, v0
	v_and_b32_e32 v10, v10, v18
	v_xor_b32_e32 v2, s0, v15
	v_and_b32_e32 v1, 0x1ffffffc, v1
	ds_write2_b32 v13, v14, v14 offset0:32 offset1:33
	v_and_b32_e32 v10, v10, v16
	ds_write2_b32 v13, v14, v14 offset0:34 offset1:35
	ds_write2_b32 v13, v14, v14 offset0:36 offset1:37
	;; [unrolled: 1-line block ×3, first 2 shown]
	ds_write_b32 v13, v14 offset:160
	v_add_nc_u32_e32 v14, v1, v8
	s_waitcnt vmcnt(0) lgkmcnt(0)
	s_waitcnt_vscnt null, 0x0
	v_and_b32_e32 v2, v10, v2
	s_barrier
	buffer_gl0_inv
	; wave barrier
	v_mbcnt_lo_u32_b32 v12, v2, 0
	v_cmp_ne_u32_e64 s0, 0, v2
	v_cmp_eq_u32_e32 vcc_lo, 0, v12
	s_and_b32 s1, s0, vcc_lo
	s_and_saveexec_b32 s0, s1
; %bb.62:
	v_bcnt_u32_b32 v2, v2, 0
	ds_write_b32 v14, v2 offset:128
; %bb.63:
	s_or_b32 exec_lo, exec_lo, s0
	v_cmp_lt_i32_e32 vcc_lo, -1, v7
	; wave barrier
	v_cndmask_b32_e64 v2, -1, 0x80000000, vcc_lo
	v_xor_b32_e32 v10, v2, v7
	v_cmp_ne_u32_e32 vcc_lo, 0x7fffffff, v10
	v_cndmask_b32_e32 v2, 0x80000000, v10, vcc_lo
	v_lshrrev_b32_e32 v2, s20, v2
	v_and_b32_e32 v2, s8, v2
	v_and_b32_e32 v8, 1, v2
	v_lshlrev_b32_e32 v15, 30, v2
	v_lshlrev_b32_e32 v16, 29, v2
	;; [unrolled: 1-line block ×4, first 2 shown]
	v_add_co_u32 v8, s0, v8, -1
	v_cndmask_b32_e64 v18, 0, 1, s0
	v_not_b32_e32 v22, v15
	v_cmp_gt_i32_e64 s0, 0, v15
	v_not_b32_e32 v15, v16
	v_lshlrev_b32_e32 v20, 26, v2
	v_cmp_ne_u32_e32 vcc_lo, 0, v18
	v_ashrrev_i32_e32 v18, 31, v22
	v_lshlrev_b32_e32 v21, 25, v2
	v_ashrrev_i32_e32 v15, 31, v15
	v_mul_lo_u32 v7, 0x84, v2
	v_xor_b32_e32 v8, vcc_lo, v8
	v_cmp_gt_i32_e32 vcc_lo, 0, v16
	v_not_b32_e32 v16, v17
	v_xor_b32_e32 v18, s0, v18
	v_cmp_gt_i32_e64 s0, 0, v17
	v_and_b32_e32 v8, exec_lo, v8
	v_not_b32_e32 v17, v19
	v_ashrrev_i32_e32 v16, 31, v16
	v_xor_b32_e32 v15, vcc_lo, v15
	v_cmp_gt_i32_e32 vcc_lo, 0, v19
	v_and_b32_e32 v8, v8, v18
	v_not_b32_e32 v18, v20
	v_ashrrev_i32_e32 v17, 31, v17
	v_xor_b32_e32 v16, s0, v16
	v_lshlrev_b32_e32 v2, 24, v2
	v_and_b32_e32 v8, v8, v15
	v_cmp_gt_i32_e64 s0, 0, v20
	v_not_b32_e32 v15, v21
	v_ashrrev_i32_e32 v18, 31, v18
	v_xor_b32_e32 v17, vcc_lo, v17
	v_and_b32_e32 v8, v8, v16
	v_cmp_gt_i32_e32 vcc_lo, 0, v21
	v_not_b32_e32 v16, v2
	v_ashrrev_i32_e32 v15, 31, v15
	v_xor_b32_e32 v18, s0, v18
	v_and_b32_e32 v8, v8, v17
	v_cmp_gt_i32_e64 s0, 0, v2
	v_ashrrev_i32_e32 v2, 31, v16
	v_xor_b32_e32 v15, vcc_lo, v15
	v_and_b32_e32 v8, v8, v18
	v_add_nc_u32_e32 v18, v1, v7
	v_xor_b32_e32 v2, s0, v2
	v_and_b32_e32 v7, v8, v15
	ds_read_b32 v16, v18 offset:128
	; wave barrier
	v_and_b32_e32 v2, v7, v2
	v_mbcnt_lo_u32_b32 v17, v2, 0
	v_cmp_ne_u32_e64 s0, 0, v2
	v_cmp_eq_u32_e32 vcc_lo, 0, v17
	s_and_b32 s1, s0, vcc_lo
	s_and_saveexec_b32 s0, s1
	s_cbranch_execz .LBB594_65
; %bb.64:
	s_waitcnt lgkmcnt(0)
	v_bcnt_u32_b32 v2, v2, v16
	ds_write_b32 v18, v2 offset:128
.LBB594_65:
	s_or_b32 exec_lo, exec_lo, s0
	v_cmp_lt_i32_e32 vcc_lo, -1, v6
	; wave barrier
	v_cndmask_b32_e64 v2, -1, 0x80000000, vcc_lo
	v_xor_b32_e32 v15, v2, v6
	v_cmp_ne_u32_e32 vcc_lo, 0x7fffffff, v15
	v_cndmask_b32_e32 v2, 0x80000000, v15, vcc_lo
	v_lshrrev_b32_e32 v2, s20, v2
	v_and_b32_e32 v2, s8, v2
	v_and_b32_e32 v7, 1, v2
	v_lshlrev_b32_e32 v8, 30, v2
	v_lshlrev_b32_e32 v19, 29, v2
	v_lshlrev_b32_e32 v20, 28, v2
	v_lshlrev_b32_e32 v22, 27, v2
	v_add_co_u32 v7, s0, v7, -1
	v_cndmask_b32_e64 v21, 0, 1, s0
	v_not_b32_e32 v25, v8
	v_cmp_gt_i32_e64 s0, 0, v8
	v_not_b32_e32 v8, v19
	v_lshlrev_b32_e32 v23, 26, v2
	v_cmp_ne_u32_e32 vcc_lo, 0, v21
	v_ashrrev_i32_e32 v21, 31, v25
	v_lshlrev_b32_e32 v24, 25, v2
	v_ashrrev_i32_e32 v8, 31, v8
	v_mul_lo_u32 v6, 0x84, v2
	v_xor_b32_e32 v7, vcc_lo, v7
	v_cmp_gt_i32_e32 vcc_lo, 0, v19
	v_not_b32_e32 v19, v20
	v_xor_b32_e32 v21, s0, v21
	v_cmp_gt_i32_e64 s0, 0, v20
	v_and_b32_e32 v7, exec_lo, v7
	v_not_b32_e32 v20, v22
	v_ashrrev_i32_e32 v19, 31, v19
	v_xor_b32_e32 v8, vcc_lo, v8
	v_cmp_gt_i32_e32 vcc_lo, 0, v22
	v_and_b32_e32 v7, v7, v21
	v_not_b32_e32 v21, v23
	v_ashrrev_i32_e32 v20, 31, v20
	v_xor_b32_e32 v19, s0, v19
	v_lshlrev_b32_e32 v2, 24, v2
	v_and_b32_e32 v7, v7, v8
	v_cmp_gt_i32_e64 s0, 0, v23
	v_not_b32_e32 v8, v24
	v_ashrrev_i32_e32 v21, 31, v21
	v_xor_b32_e32 v20, vcc_lo, v20
	v_and_b32_e32 v7, v7, v19
	v_cmp_gt_i32_e32 vcc_lo, 0, v24
	v_not_b32_e32 v19, v2
	v_ashrrev_i32_e32 v8, 31, v8
	v_xor_b32_e32 v21, s0, v21
	v_and_b32_e32 v7, v7, v20
	v_cmp_gt_i32_e64 s0, 0, v2
	v_ashrrev_i32_e32 v2, 31, v19
	v_xor_b32_e32 v8, vcc_lo, v8
	v_add_nc_u32_e32 v22, v1, v6
	v_and_b32_e32 v7, v7, v21
	v_xor_b32_e32 v2, s0, v2
	ds_read_b32 v19, v22 offset:128
	v_and_b32_e32 v6, v7, v8
	; wave barrier
	v_and_b32_e32 v2, v6, v2
	v_mbcnt_lo_u32_b32 v21, v2, 0
	v_cmp_ne_u32_e64 s0, 0, v2
	v_cmp_eq_u32_e32 vcc_lo, 0, v21
	s_and_b32 s1, s0, vcc_lo
	s_and_saveexec_b32 s0, s1
	s_cbranch_execz .LBB594_67
; %bb.66:
	s_waitcnt lgkmcnt(0)
	v_bcnt_u32_b32 v2, v2, v19
	ds_write_b32 v22, v2 offset:128
.LBB594_67:
	s_or_b32 exec_lo, exec_lo, s0
	v_cmp_lt_i32_e32 vcc_lo, -1, v5
	; wave barrier
	v_cndmask_b32_e64 v2, -1, 0x80000000, vcc_lo
	v_xor_b32_e32 v20, v2, v5
	v_cmp_ne_u32_e32 vcc_lo, 0x7fffffff, v20
	v_cndmask_b32_e32 v2, 0x80000000, v20, vcc_lo
	v_lshrrev_b32_e32 v2, s20, v2
	v_and_b32_e32 v2, s8, v2
	v_and_b32_e32 v6, 1, v2
	v_lshlrev_b32_e32 v7, 30, v2
	v_lshlrev_b32_e32 v8, 29, v2
	;; [unrolled: 1-line block ×4, first 2 shown]
	v_add_co_u32 v6, s0, v6, -1
	v_cndmask_b32_e64 v24, 0, 1, s0
	v_not_b32_e32 v28, v7
	v_cmp_gt_i32_e64 s0, 0, v7
	v_not_b32_e32 v7, v8
	v_lshlrev_b32_e32 v26, 26, v2
	v_cmp_ne_u32_e32 vcc_lo, 0, v24
	v_ashrrev_i32_e32 v24, 31, v28
	v_lshlrev_b32_e32 v27, 25, v2
	v_ashrrev_i32_e32 v7, 31, v7
	v_mul_lo_u32 v5, 0x84, v2
	v_xor_b32_e32 v6, vcc_lo, v6
	v_cmp_gt_i32_e32 vcc_lo, 0, v8
	v_not_b32_e32 v8, v23
	v_xor_b32_e32 v24, s0, v24
	v_cmp_gt_i32_e64 s0, 0, v23
	v_and_b32_e32 v6, exec_lo, v6
	v_not_b32_e32 v23, v25
	v_ashrrev_i32_e32 v8, 31, v8
	v_xor_b32_e32 v7, vcc_lo, v7
	v_cmp_gt_i32_e32 vcc_lo, 0, v25
	v_and_b32_e32 v6, v6, v24
	v_not_b32_e32 v24, v26
	v_ashrrev_i32_e32 v23, 31, v23
	v_xor_b32_e32 v8, s0, v8
	v_lshlrev_b32_e32 v2, 24, v2
	v_and_b32_e32 v6, v6, v7
	v_cmp_gt_i32_e64 s0, 0, v26
	v_not_b32_e32 v7, v27
	v_ashrrev_i32_e32 v24, 31, v24
	v_xor_b32_e32 v23, vcc_lo, v23
	v_and_b32_e32 v6, v6, v8
	v_cmp_gt_i32_e32 vcc_lo, 0, v27
	v_not_b32_e32 v8, v2
	v_ashrrev_i32_e32 v7, 31, v7
	v_xor_b32_e32 v24, s0, v24
	v_and_b32_e32 v6, v6, v23
	v_cmp_gt_i32_e64 s0, 0, v2
	v_ashrrev_i32_e32 v2, 31, v8
	v_xor_b32_e32 v7, vcc_lo, v7
	v_add_nc_u32_e32 v27, v1, v5
	v_and_b32_e32 v6, v6, v24
	v_xor_b32_e32 v2, s0, v2
	ds_read_b32 v24, v27 offset:128
	v_and_b32_e32 v5, v6, v7
	; wave barrier
	v_and_b32_e32 v2, v5, v2
	v_mbcnt_lo_u32_b32 v26, v2, 0
	v_cmp_ne_u32_e64 s0, 0, v2
	v_cmp_eq_u32_e32 vcc_lo, 0, v26
	s_and_b32 s1, s0, vcc_lo
	s_and_saveexec_b32 s0, s1
	s_cbranch_execz .LBB594_69
; %bb.68:
	s_waitcnt lgkmcnt(0)
	v_bcnt_u32_b32 v2, v2, v24
	ds_write_b32 v27, v2 offset:128
.LBB594_69:
	s_or_b32 exec_lo, exec_lo, s0
	v_cmp_lt_i32_e32 vcc_lo, -1, v4
	; wave barrier
	v_cndmask_b32_e64 v2, -1, 0x80000000, vcc_lo
	v_xor_b32_e32 v25, v2, v4
	v_cmp_ne_u32_e32 vcc_lo, 0x7fffffff, v25
	v_cndmask_b32_e32 v2, 0x80000000, v25, vcc_lo
	v_lshrrev_b32_e32 v2, s20, v2
	v_and_b32_e32 v2, s8, v2
	v_and_b32_e32 v5, 1, v2
	v_lshlrev_b32_e32 v6, 30, v2
	v_lshlrev_b32_e32 v7, 29, v2
	;; [unrolled: 1-line block ×4, first 2 shown]
	v_add_co_u32 v5, s0, v5, -1
	v_cndmask_b32_e64 v23, 0, 1, s0
	v_not_b32_e32 v31, v6
	v_cmp_gt_i32_e64 s0, 0, v6
	v_not_b32_e32 v6, v7
	v_lshlrev_b32_e32 v29, 26, v2
	v_cmp_ne_u32_e32 vcc_lo, 0, v23
	v_ashrrev_i32_e32 v23, 31, v31
	v_lshlrev_b32_e32 v30, 25, v2
	v_ashrrev_i32_e32 v6, 31, v6
	v_mul_lo_u32 v4, 0x84, v2
	v_xor_b32_e32 v5, vcc_lo, v5
	v_cmp_gt_i32_e32 vcc_lo, 0, v7
	v_not_b32_e32 v7, v8
	v_xor_b32_e32 v23, s0, v23
	v_cmp_gt_i32_e64 s0, 0, v8
	v_and_b32_e32 v5, exec_lo, v5
	v_not_b32_e32 v8, v28
	v_ashrrev_i32_e32 v7, 31, v7
	v_xor_b32_e32 v6, vcc_lo, v6
	v_cmp_gt_i32_e32 vcc_lo, 0, v28
	v_and_b32_e32 v5, v5, v23
	v_not_b32_e32 v23, v29
	v_ashrrev_i32_e32 v8, 31, v8
	v_xor_b32_e32 v7, s0, v7
	v_lshlrev_b32_e32 v2, 24, v2
	v_and_b32_e32 v5, v5, v6
	v_cmp_gt_i32_e64 s0, 0, v29
	v_not_b32_e32 v6, v30
	v_ashrrev_i32_e32 v23, 31, v23
	v_xor_b32_e32 v8, vcc_lo, v8
	v_and_b32_e32 v5, v5, v7
	v_cmp_gt_i32_e32 vcc_lo, 0, v30
	v_not_b32_e32 v7, v2
	v_ashrrev_i32_e32 v6, 31, v6
	v_xor_b32_e32 v23, s0, v23
	v_and_b32_e32 v5, v5, v8
	v_cmp_gt_i32_e64 s0, 0, v2
	v_ashrrev_i32_e32 v2, 31, v7
	v_xor_b32_e32 v6, vcc_lo, v6
	v_add_nc_u32_e32 v31, v1, v4
	v_and_b32_e32 v5, v5, v23
	v_xor_b32_e32 v2, s0, v2
	ds_read_b32 v28, v31 offset:128
	v_and_b32_e32 v4, v5, v6
	; wave barrier
	v_and_b32_e32 v2, v4, v2
	v_mbcnt_lo_u32_b32 v29, v2, 0
	v_cmp_ne_u32_e64 s0, 0, v2
	v_cmp_eq_u32_e32 vcc_lo, 0, v29
	s_and_b32 s1, s0, vcc_lo
	s_and_saveexec_b32 s0, s1
	s_cbranch_execz .LBB594_71
; %bb.70:
	s_waitcnt lgkmcnt(0)
	v_bcnt_u32_b32 v2, v2, v28
	ds_write_b32 v31, v2 offset:128
.LBB594_71:
	s_or_b32 exec_lo, exec_lo, s0
	v_cmp_lt_i32_e32 vcc_lo, -1, v3
	; wave barrier
	v_cndmask_b32_e64 v2, -1, 0x80000000, vcc_lo
	v_xor_b32_e32 v30, v2, v3
	v_cmp_ne_u32_e32 vcc_lo, 0x7fffffff, v30
	v_cndmask_b32_e32 v2, 0x80000000, v30, vcc_lo
	v_lshrrev_b32_e32 v2, s20, v2
	v_and_b32_e32 v2, s8, v2
	v_and_b32_e32 v4, 1, v2
	v_lshlrev_b32_e32 v5, 30, v2
	v_lshlrev_b32_e32 v6, 29, v2
	;; [unrolled: 1-line block ×4, first 2 shown]
	v_add_co_u32 v4, s0, v4, -1
	v_cndmask_b32_e64 v8, 0, 1, s0
	v_not_b32_e32 v34, v5
	v_cmp_gt_i32_e64 s0, 0, v5
	v_not_b32_e32 v5, v6
	v_lshlrev_b32_e32 v32, 26, v2
	v_cmp_ne_u32_e32 vcc_lo, 0, v8
	v_ashrrev_i32_e32 v8, 31, v34
	v_lshlrev_b32_e32 v33, 25, v2
	v_ashrrev_i32_e32 v5, 31, v5
	v_mul_lo_u32 v3, 0x84, v2
	v_xor_b32_e32 v4, vcc_lo, v4
	v_cmp_gt_i32_e32 vcc_lo, 0, v6
	v_not_b32_e32 v6, v7
	v_xor_b32_e32 v8, s0, v8
	v_cmp_gt_i32_e64 s0, 0, v7
	v_and_b32_e32 v4, exec_lo, v4
	v_not_b32_e32 v7, v23
	v_ashrrev_i32_e32 v6, 31, v6
	v_xor_b32_e32 v5, vcc_lo, v5
	v_cmp_gt_i32_e32 vcc_lo, 0, v23
	v_and_b32_e32 v4, v4, v8
	v_not_b32_e32 v8, v32
	v_ashrrev_i32_e32 v7, 31, v7
	v_xor_b32_e32 v6, s0, v6
	v_lshlrev_b32_e32 v2, 24, v2
	v_and_b32_e32 v4, v4, v5
	v_cmp_gt_i32_e64 s0, 0, v32
	v_not_b32_e32 v5, v33
	v_ashrrev_i32_e32 v8, 31, v8
	v_xor_b32_e32 v7, vcc_lo, v7
	v_and_b32_e32 v4, v4, v6
	v_cmp_gt_i32_e32 vcc_lo, 0, v33
	v_not_b32_e32 v6, v2
	v_ashrrev_i32_e32 v5, 31, v5
	v_xor_b32_e32 v8, s0, v8
	v_and_b32_e32 v4, v4, v7
	v_cmp_gt_i32_e64 s0, 0, v2
	v_ashrrev_i32_e32 v2, 31, v6
	v_xor_b32_e32 v5, vcc_lo, v5
	v_add_nc_u32_e32 v34, v1, v3
	v_and_b32_e32 v4, v4, v8
	v_xor_b32_e32 v1, s0, v2
	ds_read_b32 v32, v34 offset:128
	v_and_b32_e32 v2, v4, v5
	; wave barrier
	v_and_b32_e32 v1, v2, v1
	v_mbcnt_lo_u32_b32 v33, v1, 0
	v_cmp_ne_u32_e64 s0, 0, v1
	v_cmp_eq_u32_e32 vcc_lo, 0, v33
	s_and_b32 s1, s0, vcc_lo
	s_and_saveexec_b32 s0, s1
	s_cbranch_execz .LBB594_73
; %bb.72:
	s_waitcnt lgkmcnt(0)
	v_bcnt_u32_b32 v1, v1, v32
	ds_write_b32 v34, v1 offset:128
.LBB594_73:
	s_or_b32 exec_lo, exec_lo, s0
	; wave barrier
	s_waitcnt lgkmcnt(0)
	s_barrier
	buffer_gl0_inv
	ds_read2_b32 v[7:8], v13 offset0:32 offset1:33
	ds_read2_b32 v[5:6], v13 offset0:34 offset1:35
	;; [unrolled: 1-line block ×4, first 2 shown]
	ds_read_b32 v23, v13 offset:160
	v_and_b32_e32 v37, 16, v11
	v_and_b32_e32 v38, 31, v0
	s_mov_b32 s5, exec_lo
	v_cmp_eq_u32_e64 s3, 0, v37
	s_waitcnt lgkmcnt(3)
	v_add3_u32 v35, v8, v7, v5
	s_waitcnt lgkmcnt(2)
	v_add3_u32 v35, v35, v6, v3
	s_waitcnt lgkmcnt(1)
	v_add3_u32 v35, v35, v4, v1
	s_waitcnt lgkmcnt(0)
	v_add3_u32 v23, v35, v2, v23
	v_and_b32_e32 v35, 15, v11
	v_mov_b32_dpp v36, v23 row_shr:1 row_mask:0xf bank_mask:0xf
	v_cmp_eq_u32_e32 vcc_lo, 0, v35
	v_cmp_lt_u32_e64 s0, 1, v35
	v_cmp_lt_u32_e64 s1, 3, v35
	;; [unrolled: 1-line block ×3, first 2 shown]
	v_cndmask_b32_e64 v36, v36, 0, vcc_lo
	v_add_nc_u32_e32 v23, v36, v23
	v_mov_b32_dpp v36, v23 row_shr:2 row_mask:0xf bank_mask:0xf
	v_cndmask_b32_e64 v36, 0, v36, s0
	v_add_nc_u32_e32 v23, v23, v36
	v_mov_b32_dpp v36, v23 row_shr:4 row_mask:0xf bank_mask:0xf
	v_cndmask_b32_e64 v36, 0, v36, s1
	;; [unrolled: 3-line block ×3, first 2 shown]
	v_bfe_i32 v36, v11, 4, 1
	v_add_nc_u32_e32 v23, v23, v35
	ds_swizzle_b32 v35, v23 offset:swizzle(BROADCAST,32,15)
	s_waitcnt lgkmcnt(0)
	v_and_b32_e32 v35, v36, v35
	v_lshrrev_b32_e32 v36, 5, v0
	v_add_nc_u32_e32 v35, v23, v35
	v_cmpx_eq_u32_e32 31, v38
; %bb.74:
	v_lshlrev_b32_e32 v23, 2, v36
	ds_write_b32 v23, v35
; %bb.75:
	s_or_b32 exec_lo, exec_lo, s5
	v_cmp_lt_u32_e64 s4, 31, v0
	v_lshlrev_b32_e32 v23, 2, v0
	s_mov_b32 s9, exec_lo
	s_waitcnt lgkmcnt(0)
	s_barrier
	buffer_gl0_inv
	v_cmpx_gt_u32_e32 32, v0
	s_cbranch_execz .LBB594_77
; %bb.76:
	ds_read_b32 v37, v23
	s_waitcnt lgkmcnt(0)
	v_mov_b32_dpp v38, v37 row_shr:1 row_mask:0xf bank_mask:0xf
	v_cndmask_b32_e64 v38, v38, 0, vcc_lo
	v_add_nc_u32_e32 v37, v38, v37
	v_mov_b32_dpp v38, v37 row_shr:2 row_mask:0xf bank_mask:0xf
	v_cndmask_b32_e64 v38, 0, v38, s0
	v_add_nc_u32_e32 v37, v37, v38
	v_mov_b32_dpp v38, v37 row_shr:4 row_mask:0xf bank_mask:0xf
	v_cndmask_b32_e64 v38, 0, v38, s1
	;; [unrolled: 3-line block ×3, first 2 shown]
	v_add_nc_u32_e32 v37, v37, v38
	ds_swizzle_b32 v38, v37 offset:swizzle(BROADCAST,32,15)
	s_waitcnt lgkmcnt(0)
	v_cndmask_b32_e64 v38, v38, 0, s3
	v_add_nc_u32_e32 v37, v37, v38
	ds_write_b32 v23, v37
.LBB594_77:
	s_or_b32 exec_lo, exec_lo, s9
	v_mov_b32_e32 v37, 0
	s_waitcnt lgkmcnt(0)
	s_barrier
	buffer_gl0_inv
	s_and_saveexec_b32 s0, s4
; %bb.78:
	v_lshl_add_u32 v36, v36, 2, -4
	ds_read_b32 v37, v36
; %bb.79:
	s_or_b32 exec_lo, exec_lo, s0
	v_sub_co_u32 v36, vcc_lo, v11, 1
	s_waitcnt lgkmcnt(0)
	v_add_nc_u32_e32 v35, v37, v35
	v_cmp_gt_i32_e64 s0, 0, v36
	v_cndmask_b32_e64 v11, v36, v11, s0
	v_cmp_gt_u32_e64 s0, 0x100, v0
	v_lshlrev_b32_e32 v11, 2, v11
	ds_bpermute_b32 v11, v11, v35
	s_waitcnt lgkmcnt(0)
	v_cndmask_b32_e32 v11, v11, v37, vcc_lo
	v_cmp_ne_u32_e32 vcc_lo, 0, v0
	v_cndmask_b32_e32 v11, 0, v11, vcc_lo
	v_cmp_lt_u32_e32 vcc_lo, 0xff, v0
	v_add_nc_u32_e32 v7, v11, v7
	v_add_nc_u32_e32 v8, v7, v8
	;; [unrolled: 1-line block ×8, first 2 shown]
	ds_write2_b32 v13, v11, v7 offset0:32 offset1:33
	ds_write2_b32 v13, v8, v5 offset0:34 offset1:35
	;; [unrolled: 1-line block ×4, first 2 shown]
	ds_write_b32 v13, v2 offset:160
	s_waitcnt lgkmcnt(0)
	s_barrier
	buffer_gl0_inv
	ds_read_b32 v5, v14 offset:128
	ds_read_b32 v6, v18 offset:128
	;; [unrolled: 1-line block ×6, first 2 shown]
                                        ; implicit-def: $vgpr7
                                        ; implicit-def: $vgpr8
	s_and_saveexec_b32 s2, s0
	s_cbranch_execz .LBB594_83
; %bb.80:
	v_mul_u32_u24_e32 v7, 0x84, v0
	v_add_nc_u32_e32 v11, 1, v0
	v_mov_b32_e32 v8, 0x1800
	s_mov_b32 s3, exec_lo
	ds_read_b32 v7, v7 offset:128
	v_cmpx_ne_u32_e32 0x100, v11
; %bb.81:
	v_mul_u32_u24_e32 v8, 0x84, v11
	ds_read_b32 v8, v8 offset:128
; %bb.82:
	s_or_b32 exec_lo, exec_lo, s3
	s_waitcnt lgkmcnt(0)
	v_sub_nc_u32_e32 v8, v8, v7
.LBB594_83:
	s_or_b32 exec_lo, exec_lo, s2
	v_lshlrev_b32_e32 v11, 2, v12
	s_waitcnt lgkmcnt(4)
	v_lshlrev_b32_e32 v6, 2, v6
	v_lshlrev_b32_e32 v12, 2, v17
	;; [unrolled: 1-line block ×3, first 2 shown]
	s_waitcnt lgkmcnt(0)
	v_lshl_add_u32 v5, v5, 2, v11
	s_barrier
	buffer_gl0_inv
	v_lshlrev_b32_e32 v4, 2, v4
	v_add3_u32 v6, v6, v12, v13
	ds_write_b32 v5, v9 offset:1024
	v_lshlrev_b32_e32 v5, 2, v21
	v_lshlrev_b32_e32 v9, 2, v19
	;; [unrolled: 1-line block ×11, first 2 shown]
	v_add3_u32 v4, v4, v5, v9
	v_add3_u32 v5, v2, v13, v14
	v_mov_b32_e32 v2, 0
	v_add3_u32 v3, v3, v11, v12
	v_add3_u32 v1, v1, v16, v17
	ds_write_b32 v6, v10 offset:1024
	ds_write_b32 v4, v15 offset:1024
	;; [unrolled: 1-line block ×5, first 2 shown]
	s_and_saveexec_b32 s1, s0
	s_cbranch_execz .LBB594_93
; %bb.84:
	v_lshl_add_u32 v1, s6, 8, v0
	v_mov_b32_e32 v9, 0
	s_mov_b32 s2, 0
	s_mov_b32 s3, s6
	v_lshlrev_b64 v[3:4], 2, v[1:2]
	v_or_b32_e32 v1, 2.0, v8
	v_add_co_u32 v3, s0, s10, v3
	v_add_co_ci_u32_e64 v4, null, s11, v4, s0
                                        ; implicit-def: $sgpr0
	global_store_dword v[3:4], v1, off
	s_branch .LBB594_87
	.p2align	6
.LBB594_85:                             ;   in Loop: Header=BB594_87 Depth=1
	s_or_b32 exec_lo, exec_lo, s5
.LBB594_86:                             ;   in Loop: Header=BB594_87 Depth=1
	s_or_b32 exec_lo, exec_lo, s4
	v_and_b32_e32 v5, 0x3fffffff, v1
	v_cmp_gt_i32_e64 s0, -2.0, v1
	v_add_nc_u32_e32 v9, v5, v9
	s_and_b32 s4, exec_lo, s0
	s_or_b32 s2, s4, s2
	s_andn2_b32 exec_lo, exec_lo, s2
	s_cbranch_execz .LBB594_92
.LBB594_87:                             ; =>This Loop Header: Depth=1
                                        ;     Child Loop BB594_90 Depth 2
	s_or_b32 s0, s0, exec_lo
	s_cmp_eq_u32 s3, 0
	s_cbranch_scc1 .LBB594_91
; %bb.88:                               ;   in Loop: Header=BB594_87 Depth=1
	s_add_i32 s3, s3, -1
	s_mov_b32 s4, exec_lo
	v_lshl_or_b32 v1, s3, 8, v0
	v_lshlrev_b64 v[5:6], 2, v[1:2]
	v_add_co_u32 v5, s0, s10, v5
	v_add_co_ci_u32_e64 v6, null, s11, v6, s0
	global_load_dword v1, v[5:6], off glc dlc
	s_waitcnt vmcnt(0)
	v_cmpx_gt_u32_e32 2.0, v1
	s_cbranch_execz .LBB594_86
; %bb.89:                               ;   in Loop: Header=BB594_87 Depth=1
	s_mov_b32 s5, 0
.LBB594_90:                             ;   Parent Loop BB594_87 Depth=1
                                        ; =>  This Inner Loop Header: Depth=2
	global_load_dword v1, v[5:6], off glc dlc
	s_waitcnt vmcnt(0)
	v_cmp_lt_u32_e64 s0, 0x3fffffff, v1
	s_or_b32 s5, s0, s5
	s_andn2_b32 exec_lo, exec_lo, s5
	s_cbranch_execnz .LBB594_90
	s_branch .LBB594_85
.LBB594_91:                             ;   in Loop: Header=BB594_87 Depth=1
                                        ; implicit-def: $sgpr3
	s_and_b32 s4, exec_lo, s0
	s_or_b32 s2, s4, s2
	s_andn2_b32 exec_lo, exec_lo, s2
	s_cbranch_execnz .LBB594_87
.LBB594_92:
	s_or_b32 exec_lo, exec_lo, s2
	v_add_nc_u32_e32 v1, v9, v8
	v_sub_nc_u32_e32 v2, v9, v7
	v_or_b32_e32 v1, 0x80000000, v1
	global_store_dword v[3:4], v1, off
	global_load_dword v1, v23, s[12:13]
	s_waitcnt vmcnt(0)
	v_add_nc_u32_e32 v1, v2, v1
	ds_write_b32 v23, v1
.LBB594_93:
	s_or_b32 exec_lo, exec_lo, s1
	s_waitcnt lgkmcnt(0)
	s_waitcnt_vscnt null, 0x0
	s_barrier
	buffer_gl0_inv
	ds_read2st64_b32 v[1:2], v23 offset0:4 offset1:20
	ds_read2st64_b32 v[3:4], v23 offset0:36 offset1:52
	;; [unrolled: 1-line block ×3, first 2 shown]
	v_mov_b32_e32 v10, 0
	s_add_i32 s7, s7, -1
	s_cmp_eq_u32 s6, s7
	s_waitcnt lgkmcnt(2)
	v_cmp_ne_u32_e64 s0, 0x7fffffff, v1
	v_cndmask_b32_e64 v9, 0x80000000, v1, s0
	v_cmp_lt_i32_e64 s0, -1, v1
	v_lshrrev_b32_e32 v9, s20, v9
	v_cndmask_b32_e64 v11, 0x80000000, -1, s0
	v_cmp_ne_u32_e64 s0, 0x7fffffff, v2
	v_and_b32_e32 v9, s8, v9
	v_xor_b32_e32 v24, v11, v1
	v_cndmask_b32_e64 v12, 0x80000000, v2, s0
	v_cmp_lt_i32_e64 s0, -1, v2
	v_lshlrev_b32_e32 v9, 2, v9
	v_lshrrev_b32_e32 v12, s20, v12
	v_cndmask_b32_e64 v13, 0x80000000, -1, s0
	s_waitcnt lgkmcnt(1)
	v_cmp_ne_u32_e64 s0, 0x7fffffff, v3
	ds_read_b32 v9, v9
	v_and_b32_e32 v12, s8, v12
	v_cndmask_b32_e64 v14, 0x80000000, v3, s0
	v_cmp_ne_u32_e64 s0, 0x7fffffff, v4
	v_lshlrev_b32_e32 v12, 2, v12
	v_lshrrev_b32_e32 v14, s20, v14
	v_cndmask_b32_e64 v15, 0x80000000, v4, s0
	s_waitcnt lgkmcnt(1)
	v_cmp_ne_u32_e64 s0, 0x7fffffff, v5
	ds_read_b32 v18, v12
	v_and_b32_e32 v14, s8, v14
	v_lshrrev_b32_e32 v15, s20, v15
	v_cndmask_b32_e64 v16, 0x80000000, v5, s0
	v_cmp_ne_u32_e64 s0, 0x7fffffff, v6
	v_lshlrev_b32_e32 v12, 2, v14
	v_and_b32_e32 v15, s8, v15
	v_lshrrev_b32_e32 v16, s20, v16
	v_cndmask_b32_e64 v17, 0x80000000, v6, s0
	v_cmp_lt_i32_e64 s0, -1, v3
	ds_read_b32 v19, v12
	v_lshlrev_b32_e32 v15, 2, v15
	v_and_b32_e32 v16, s8, v16
	v_lshrrev_b32_e32 v17, s20, v17
	v_cndmask_b32_e64 v14, 0x80000000, -1, s0
	v_cmp_lt_i32_e64 s0, -1, v4
	s_waitcnt lgkmcnt(2)
	v_add_nc_u32_e32 v9, v9, v0
	v_lshlrev_b32_e32 v16, 2, v16
	v_and_b32_e32 v17, s8, v17
	v_xor_b32_e32 v25, v14, v3
	v_lshlrev_b32_e32 v12, 2, v17
	ds_read_b32 v15, v15
	ds_read_b32 v16, v16
	;; [unrolled: 1-line block ×3, first 2 shown]
	v_cndmask_b32_e64 v17, 0x80000000, -1, s0
	v_cmp_lt_i32_e64 s0, -1, v5
	v_lshlrev_b64 v[11:12], 2, v[9:10]
	s_waitcnt lgkmcnt(4)
	v_add3_u32 v9, v18, v0, 0x400
	v_xor_b32_e32 v18, v13, v2
	v_xor_b32_e32 v17, v17, v4
	v_cndmask_b32_e64 v21, 0x80000000, -1, s0
	v_cmp_lt_i32_e64 s0, -1, v6
	v_lshlrev_b64 v[1:2], 2, v[9:10]
	s_waitcnt lgkmcnt(3)
	v_add3_u32 v9, v19, v0, 0x800
	v_xor_b32_e32 v5, v21, v5
	v_cndmask_b32_e64 v22, 0x80000000, -1, s0
	v_add_co_u32 v3, s0, s18, v11
	v_add_co_ci_u32_e64 v4, null, s19, v12, s0
	v_lshlrev_b64 v[11:12], 2, v[9:10]
	s_waitcnt lgkmcnt(2)
	v_add3_u32 v9, v15, v0, 0xc00
	v_add_co_u32 v1, s0, s18, v1
	v_add_co_ci_u32_e64 v2, null, s19, v2, s0
	v_lshlrev_b64 v[13:14], 2, v[9:10]
	s_waitcnt lgkmcnt(1)
	v_add3_u32 v9, v16, v0, 0x1000
	;; [unrolled: 5-line block ×3, first 2 shown]
	global_store_dword v[3:4], v24, off
	global_store_dword v[1:2], v18, off
	;; [unrolled: 1-line block ×3, first 2 shown]
	v_add_co_u32 v13, s0, s18, v13
	v_add_co_ci_u32_e64 v14, null, s19, v14, s0
	v_lshlrev_b64 v[0:1], 2, v[9:10]
	v_add_co_u32 v2, s0, s18, v15
	v_add_co_ci_u32_e64 v3, null, s19, v16, s0
	v_xor_b32_e32 v4, v22, v6
	v_add_co_u32 v0, s0, s18, v0
	v_add_co_ci_u32_e64 v1, null, s19, v1, s0
	s_cselect_b32 s0, -1, 0
	s_xor_b32 s1, vcc_lo, -1
	global_store_dword v[13:14], v17, off
	s_and_b32 s0, s1, s0
	global_store_dword v[2:3], v5, off
	global_store_dword v[0:1], v4, off
	s_and_saveexec_b32 s1, s0
	s_cbranch_execz .LBB594_95
; %bb.94:
	ds_read_b32 v0, v23
	s_waitcnt lgkmcnt(0)
	v_add3_u32 v0, v7, v8, v0
	global_store_dword v23, v0, s[14:15]
.LBB594_95:
	s_endpgm
	.section	.rodata,"a",@progbits
	.p2align	6, 0x0
	.amdhsa_kernel _ZN7rocprim17ROCPRIM_400000_NS6detail17trampoline_kernelINS0_14default_configENS1_35radix_sort_onesweep_config_selectorIfNS0_10empty_typeEEEZZNS1_29radix_sort_onesweep_iterationIS3_Lb0EN6thrust23THRUST_200600_302600_NS6detail15normal_iteratorINS9_10device_ptrIfEEEESE_PS5_SF_jNS0_19identity_decomposerENS1_16block_id_wrapperIjLb0EEEEE10hipError_tT1_PNSt15iterator_traitsISK_E10value_typeET2_T3_PNSL_ISQ_E10value_typeET4_T5_PSV_SW_PNS1_23onesweep_lookback_stateEbbT6_jjT7_P12ihipStream_tbENKUlT_T0_SK_SP_E_clISE_SE_SF_SF_EEDaS13_S14_SK_SP_EUlS13_E_NS1_11comp_targetILNS1_3genE8ELNS1_11target_archE1030ELNS1_3gpuE2ELNS1_3repE0EEENS1_47radix_sort_onesweep_sort_config_static_selectorELNS0_4arch9wavefront6targetE0EEEvSK_
		.amdhsa_group_segment_fixed_size 37000
		.amdhsa_private_segment_fixed_size 0
		.amdhsa_kernarg_size 344
		.amdhsa_user_sgpr_count 6
		.amdhsa_user_sgpr_private_segment_buffer 1
		.amdhsa_user_sgpr_dispatch_ptr 0
		.amdhsa_user_sgpr_queue_ptr 0
		.amdhsa_user_sgpr_kernarg_segment_ptr 1
		.amdhsa_user_sgpr_dispatch_id 0
		.amdhsa_user_sgpr_flat_scratch_init 0
		.amdhsa_user_sgpr_private_segment_size 0
		.amdhsa_wavefront_size32 1
		.amdhsa_uses_dynamic_stack 0
		.amdhsa_system_sgpr_private_segment_wavefront_offset 0
		.amdhsa_system_sgpr_workgroup_id_x 1
		.amdhsa_system_sgpr_workgroup_id_y 0
		.amdhsa_system_sgpr_workgroup_id_z 0
		.amdhsa_system_sgpr_workgroup_info 0
		.amdhsa_system_vgpr_workitem_id 2
		.amdhsa_next_free_vgpr 42
		.amdhsa_next_free_sgpr 26
		.amdhsa_reserve_vcc 1
		.amdhsa_reserve_flat_scratch 0
		.amdhsa_float_round_mode_32 0
		.amdhsa_float_round_mode_16_64 0
		.amdhsa_float_denorm_mode_32 3
		.amdhsa_float_denorm_mode_16_64 3
		.amdhsa_dx10_clamp 1
		.amdhsa_ieee_mode 1
		.amdhsa_fp16_overflow 0
		.amdhsa_workgroup_processor_mode 1
		.amdhsa_memory_ordered 1
		.amdhsa_forward_progress 1
		.amdhsa_shared_vgpr_count 0
		.amdhsa_exception_fp_ieee_invalid_op 0
		.amdhsa_exception_fp_denorm_src 0
		.amdhsa_exception_fp_ieee_div_zero 0
		.amdhsa_exception_fp_ieee_overflow 0
		.amdhsa_exception_fp_ieee_underflow 0
		.amdhsa_exception_fp_ieee_inexact 0
		.amdhsa_exception_int_div_zero 0
	.end_amdhsa_kernel
	.section	.text._ZN7rocprim17ROCPRIM_400000_NS6detail17trampoline_kernelINS0_14default_configENS1_35radix_sort_onesweep_config_selectorIfNS0_10empty_typeEEEZZNS1_29radix_sort_onesweep_iterationIS3_Lb0EN6thrust23THRUST_200600_302600_NS6detail15normal_iteratorINS9_10device_ptrIfEEEESE_PS5_SF_jNS0_19identity_decomposerENS1_16block_id_wrapperIjLb0EEEEE10hipError_tT1_PNSt15iterator_traitsISK_E10value_typeET2_T3_PNSL_ISQ_E10value_typeET4_T5_PSV_SW_PNS1_23onesweep_lookback_stateEbbT6_jjT7_P12ihipStream_tbENKUlT_T0_SK_SP_E_clISE_SE_SF_SF_EEDaS13_S14_SK_SP_EUlS13_E_NS1_11comp_targetILNS1_3genE8ELNS1_11target_archE1030ELNS1_3gpuE2ELNS1_3repE0EEENS1_47radix_sort_onesweep_sort_config_static_selectorELNS0_4arch9wavefront6targetE0EEEvSK_,"axG",@progbits,_ZN7rocprim17ROCPRIM_400000_NS6detail17trampoline_kernelINS0_14default_configENS1_35radix_sort_onesweep_config_selectorIfNS0_10empty_typeEEEZZNS1_29radix_sort_onesweep_iterationIS3_Lb0EN6thrust23THRUST_200600_302600_NS6detail15normal_iteratorINS9_10device_ptrIfEEEESE_PS5_SF_jNS0_19identity_decomposerENS1_16block_id_wrapperIjLb0EEEEE10hipError_tT1_PNSt15iterator_traitsISK_E10value_typeET2_T3_PNSL_ISQ_E10value_typeET4_T5_PSV_SW_PNS1_23onesweep_lookback_stateEbbT6_jjT7_P12ihipStream_tbENKUlT_T0_SK_SP_E_clISE_SE_SF_SF_EEDaS13_S14_SK_SP_EUlS13_E_NS1_11comp_targetILNS1_3genE8ELNS1_11target_archE1030ELNS1_3gpuE2ELNS1_3repE0EEENS1_47radix_sort_onesweep_sort_config_static_selectorELNS0_4arch9wavefront6targetE0EEEvSK_,comdat
.Lfunc_end594:
	.size	_ZN7rocprim17ROCPRIM_400000_NS6detail17trampoline_kernelINS0_14default_configENS1_35radix_sort_onesweep_config_selectorIfNS0_10empty_typeEEEZZNS1_29radix_sort_onesweep_iterationIS3_Lb0EN6thrust23THRUST_200600_302600_NS6detail15normal_iteratorINS9_10device_ptrIfEEEESE_PS5_SF_jNS0_19identity_decomposerENS1_16block_id_wrapperIjLb0EEEEE10hipError_tT1_PNSt15iterator_traitsISK_E10value_typeET2_T3_PNSL_ISQ_E10value_typeET4_T5_PSV_SW_PNS1_23onesweep_lookback_stateEbbT6_jjT7_P12ihipStream_tbENKUlT_T0_SK_SP_E_clISE_SE_SF_SF_EEDaS13_S14_SK_SP_EUlS13_E_NS1_11comp_targetILNS1_3genE8ELNS1_11target_archE1030ELNS1_3gpuE2ELNS1_3repE0EEENS1_47radix_sort_onesweep_sort_config_static_selectorELNS0_4arch9wavefront6targetE0EEEvSK_, .Lfunc_end594-_ZN7rocprim17ROCPRIM_400000_NS6detail17trampoline_kernelINS0_14default_configENS1_35radix_sort_onesweep_config_selectorIfNS0_10empty_typeEEEZZNS1_29radix_sort_onesweep_iterationIS3_Lb0EN6thrust23THRUST_200600_302600_NS6detail15normal_iteratorINS9_10device_ptrIfEEEESE_PS5_SF_jNS0_19identity_decomposerENS1_16block_id_wrapperIjLb0EEEEE10hipError_tT1_PNSt15iterator_traitsISK_E10value_typeET2_T3_PNSL_ISQ_E10value_typeET4_T5_PSV_SW_PNS1_23onesweep_lookback_stateEbbT6_jjT7_P12ihipStream_tbENKUlT_T0_SK_SP_E_clISE_SE_SF_SF_EEDaS13_S14_SK_SP_EUlS13_E_NS1_11comp_targetILNS1_3genE8ELNS1_11target_archE1030ELNS1_3gpuE2ELNS1_3repE0EEENS1_47radix_sort_onesweep_sort_config_static_selectorELNS0_4arch9wavefront6targetE0EEEvSK_
                                        ; -- End function
	.set _ZN7rocprim17ROCPRIM_400000_NS6detail17trampoline_kernelINS0_14default_configENS1_35radix_sort_onesweep_config_selectorIfNS0_10empty_typeEEEZZNS1_29radix_sort_onesweep_iterationIS3_Lb0EN6thrust23THRUST_200600_302600_NS6detail15normal_iteratorINS9_10device_ptrIfEEEESE_PS5_SF_jNS0_19identity_decomposerENS1_16block_id_wrapperIjLb0EEEEE10hipError_tT1_PNSt15iterator_traitsISK_E10value_typeET2_T3_PNSL_ISQ_E10value_typeET4_T5_PSV_SW_PNS1_23onesweep_lookback_stateEbbT6_jjT7_P12ihipStream_tbENKUlT_T0_SK_SP_E_clISE_SE_SF_SF_EEDaS13_S14_SK_SP_EUlS13_E_NS1_11comp_targetILNS1_3genE8ELNS1_11target_archE1030ELNS1_3gpuE2ELNS1_3repE0EEENS1_47radix_sort_onesweep_sort_config_static_selectorELNS0_4arch9wavefront6targetE0EEEvSK_.num_vgpr, 42
	.set _ZN7rocprim17ROCPRIM_400000_NS6detail17trampoline_kernelINS0_14default_configENS1_35radix_sort_onesweep_config_selectorIfNS0_10empty_typeEEEZZNS1_29radix_sort_onesweep_iterationIS3_Lb0EN6thrust23THRUST_200600_302600_NS6detail15normal_iteratorINS9_10device_ptrIfEEEESE_PS5_SF_jNS0_19identity_decomposerENS1_16block_id_wrapperIjLb0EEEEE10hipError_tT1_PNSt15iterator_traitsISK_E10value_typeET2_T3_PNSL_ISQ_E10value_typeET4_T5_PSV_SW_PNS1_23onesweep_lookback_stateEbbT6_jjT7_P12ihipStream_tbENKUlT_T0_SK_SP_E_clISE_SE_SF_SF_EEDaS13_S14_SK_SP_EUlS13_E_NS1_11comp_targetILNS1_3genE8ELNS1_11target_archE1030ELNS1_3gpuE2ELNS1_3repE0EEENS1_47radix_sort_onesweep_sort_config_static_selectorELNS0_4arch9wavefront6targetE0EEEvSK_.num_agpr, 0
	.set _ZN7rocprim17ROCPRIM_400000_NS6detail17trampoline_kernelINS0_14default_configENS1_35radix_sort_onesweep_config_selectorIfNS0_10empty_typeEEEZZNS1_29radix_sort_onesweep_iterationIS3_Lb0EN6thrust23THRUST_200600_302600_NS6detail15normal_iteratorINS9_10device_ptrIfEEEESE_PS5_SF_jNS0_19identity_decomposerENS1_16block_id_wrapperIjLb0EEEEE10hipError_tT1_PNSt15iterator_traitsISK_E10value_typeET2_T3_PNSL_ISQ_E10value_typeET4_T5_PSV_SW_PNS1_23onesweep_lookback_stateEbbT6_jjT7_P12ihipStream_tbENKUlT_T0_SK_SP_E_clISE_SE_SF_SF_EEDaS13_S14_SK_SP_EUlS13_E_NS1_11comp_targetILNS1_3genE8ELNS1_11target_archE1030ELNS1_3gpuE2ELNS1_3repE0EEENS1_47radix_sort_onesweep_sort_config_static_selectorELNS0_4arch9wavefront6targetE0EEEvSK_.numbered_sgpr, 26
	.set _ZN7rocprim17ROCPRIM_400000_NS6detail17trampoline_kernelINS0_14default_configENS1_35radix_sort_onesweep_config_selectorIfNS0_10empty_typeEEEZZNS1_29radix_sort_onesweep_iterationIS3_Lb0EN6thrust23THRUST_200600_302600_NS6detail15normal_iteratorINS9_10device_ptrIfEEEESE_PS5_SF_jNS0_19identity_decomposerENS1_16block_id_wrapperIjLb0EEEEE10hipError_tT1_PNSt15iterator_traitsISK_E10value_typeET2_T3_PNSL_ISQ_E10value_typeET4_T5_PSV_SW_PNS1_23onesweep_lookback_stateEbbT6_jjT7_P12ihipStream_tbENKUlT_T0_SK_SP_E_clISE_SE_SF_SF_EEDaS13_S14_SK_SP_EUlS13_E_NS1_11comp_targetILNS1_3genE8ELNS1_11target_archE1030ELNS1_3gpuE2ELNS1_3repE0EEENS1_47radix_sort_onesweep_sort_config_static_selectorELNS0_4arch9wavefront6targetE0EEEvSK_.num_named_barrier, 0
	.set _ZN7rocprim17ROCPRIM_400000_NS6detail17trampoline_kernelINS0_14default_configENS1_35radix_sort_onesweep_config_selectorIfNS0_10empty_typeEEEZZNS1_29radix_sort_onesweep_iterationIS3_Lb0EN6thrust23THRUST_200600_302600_NS6detail15normal_iteratorINS9_10device_ptrIfEEEESE_PS5_SF_jNS0_19identity_decomposerENS1_16block_id_wrapperIjLb0EEEEE10hipError_tT1_PNSt15iterator_traitsISK_E10value_typeET2_T3_PNSL_ISQ_E10value_typeET4_T5_PSV_SW_PNS1_23onesweep_lookback_stateEbbT6_jjT7_P12ihipStream_tbENKUlT_T0_SK_SP_E_clISE_SE_SF_SF_EEDaS13_S14_SK_SP_EUlS13_E_NS1_11comp_targetILNS1_3genE8ELNS1_11target_archE1030ELNS1_3gpuE2ELNS1_3repE0EEENS1_47radix_sort_onesweep_sort_config_static_selectorELNS0_4arch9wavefront6targetE0EEEvSK_.private_seg_size, 0
	.set _ZN7rocprim17ROCPRIM_400000_NS6detail17trampoline_kernelINS0_14default_configENS1_35radix_sort_onesweep_config_selectorIfNS0_10empty_typeEEEZZNS1_29radix_sort_onesweep_iterationIS3_Lb0EN6thrust23THRUST_200600_302600_NS6detail15normal_iteratorINS9_10device_ptrIfEEEESE_PS5_SF_jNS0_19identity_decomposerENS1_16block_id_wrapperIjLb0EEEEE10hipError_tT1_PNSt15iterator_traitsISK_E10value_typeET2_T3_PNSL_ISQ_E10value_typeET4_T5_PSV_SW_PNS1_23onesweep_lookback_stateEbbT6_jjT7_P12ihipStream_tbENKUlT_T0_SK_SP_E_clISE_SE_SF_SF_EEDaS13_S14_SK_SP_EUlS13_E_NS1_11comp_targetILNS1_3genE8ELNS1_11target_archE1030ELNS1_3gpuE2ELNS1_3repE0EEENS1_47radix_sort_onesweep_sort_config_static_selectorELNS0_4arch9wavefront6targetE0EEEvSK_.uses_vcc, 1
	.set _ZN7rocprim17ROCPRIM_400000_NS6detail17trampoline_kernelINS0_14default_configENS1_35radix_sort_onesweep_config_selectorIfNS0_10empty_typeEEEZZNS1_29radix_sort_onesweep_iterationIS3_Lb0EN6thrust23THRUST_200600_302600_NS6detail15normal_iteratorINS9_10device_ptrIfEEEESE_PS5_SF_jNS0_19identity_decomposerENS1_16block_id_wrapperIjLb0EEEEE10hipError_tT1_PNSt15iterator_traitsISK_E10value_typeET2_T3_PNSL_ISQ_E10value_typeET4_T5_PSV_SW_PNS1_23onesweep_lookback_stateEbbT6_jjT7_P12ihipStream_tbENKUlT_T0_SK_SP_E_clISE_SE_SF_SF_EEDaS13_S14_SK_SP_EUlS13_E_NS1_11comp_targetILNS1_3genE8ELNS1_11target_archE1030ELNS1_3gpuE2ELNS1_3repE0EEENS1_47radix_sort_onesweep_sort_config_static_selectorELNS0_4arch9wavefront6targetE0EEEvSK_.uses_flat_scratch, 0
	.set _ZN7rocprim17ROCPRIM_400000_NS6detail17trampoline_kernelINS0_14default_configENS1_35radix_sort_onesweep_config_selectorIfNS0_10empty_typeEEEZZNS1_29radix_sort_onesweep_iterationIS3_Lb0EN6thrust23THRUST_200600_302600_NS6detail15normal_iteratorINS9_10device_ptrIfEEEESE_PS5_SF_jNS0_19identity_decomposerENS1_16block_id_wrapperIjLb0EEEEE10hipError_tT1_PNSt15iterator_traitsISK_E10value_typeET2_T3_PNSL_ISQ_E10value_typeET4_T5_PSV_SW_PNS1_23onesweep_lookback_stateEbbT6_jjT7_P12ihipStream_tbENKUlT_T0_SK_SP_E_clISE_SE_SF_SF_EEDaS13_S14_SK_SP_EUlS13_E_NS1_11comp_targetILNS1_3genE8ELNS1_11target_archE1030ELNS1_3gpuE2ELNS1_3repE0EEENS1_47radix_sort_onesweep_sort_config_static_selectorELNS0_4arch9wavefront6targetE0EEEvSK_.has_dyn_sized_stack, 0
	.set _ZN7rocprim17ROCPRIM_400000_NS6detail17trampoline_kernelINS0_14default_configENS1_35radix_sort_onesweep_config_selectorIfNS0_10empty_typeEEEZZNS1_29radix_sort_onesweep_iterationIS3_Lb0EN6thrust23THRUST_200600_302600_NS6detail15normal_iteratorINS9_10device_ptrIfEEEESE_PS5_SF_jNS0_19identity_decomposerENS1_16block_id_wrapperIjLb0EEEEE10hipError_tT1_PNSt15iterator_traitsISK_E10value_typeET2_T3_PNSL_ISQ_E10value_typeET4_T5_PSV_SW_PNS1_23onesweep_lookback_stateEbbT6_jjT7_P12ihipStream_tbENKUlT_T0_SK_SP_E_clISE_SE_SF_SF_EEDaS13_S14_SK_SP_EUlS13_E_NS1_11comp_targetILNS1_3genE8ELNS1_11target_archE1030ELNS1_3gpuE2ELNS1_3repE0EEENS1_47radix_sort_onesweep_sort_config_static_selectorELNS0_4arch9wavefront6targetE0EEEvSK_.has_recursion, 0
	.set _ZN7rocprim17ROCPRIM_400000_NS6detail17trampoline_kernelINS0_14default_configENS1_35radix_sort_onesweep_config_selectorIfNS0_10empty_typeEEEZZNS1_29radix_sort_onesweep_iterationIS3_Lb0EN6thrust23THRUST_200600_302600_NS6detail15normal_iteratorINS9_10device_ptrIfEEEESE_PS5_SF_jNS0_19identity_decomposerENS1_16block_id_wrapperIjLb0EEEEE10hipError_tT1_PNSt15iterator_traitsISK_E10value_typeET2_T3_PNSL_ISQ_E10value_typeET4_T5_PSV_SW_PNS1_23onesweep_lookback_stateEbbT6_jjT7_P12ihipStream_tbENKUlT_T0_SK_SP_E_clISE_SE_SF_SF_EEDaS13_S14_SK_SP_EUlS13_E_NS1_11comp_targetILNS1_3genE8ELNS1_11target_archE1030ELNS1_3gpuE2ELNS1_3repE0EEENS1_47radix_sort_onesweep_sort_config_static_selectorELNS0_4arch9wavefront6targetE0EEEvSK_.has_indirect_call, 0
	.section	.AMDGPU.csdata,"",@progbits
; Kernel info:
; codeLenInByte = 9360
; TotalNumSgprs: 28
; NumVgprs: 42
; ScratchSize: 0
; MemoryBound: 0
; FloatMode: 240
; IeeeMode: 1
; LDSByteSize: 37000 bytes/workgroup (compile time only)
; SGPRBlocks: 0
; VGPRBlocks: 5
; NumSGPRsForWavesPerEU: 28
; NumVGPRsForWavesPerEU: 42
; Occupancy: 16
; WaveLimiterHint : 1
; COMPUTE_PGM_RSRC2:SCRATCH_EN: 0
; COMPUTE_PGM_RSRC2:USER_SGPR: 6
; COMPUTE_PGM_RSRC2:TRAP_HANDLER: 0
; COMPUTE_PGM_RSRC2:TGID_X_EN: 1
; COMPUTE_PGM_RSRC2:TGID_Y_EN: 0
; COMPUTE_PGM_RSRC2:TGID_Z_EN: 0
; COMPUTE_PGM_RSRC2:TIDIG_COMP_CNT: 2
	.section	.text._ZN7rocprim17ROCPRIM_400000_NS6detail17trampoline_kernelINS0_14default_configENS1_35radix_sort_onesweep_config_selectorIfNS0_10empty_typeEEEZZNS1_29radix_sort_onesweep_iterationIS3_Lb0EN6thrust23THRUST_200600_302600_NS6detail15normal_iteratorINS9_10device_ptrIfEEEESE_PS5_SF_jNS0_19identity_decomposerENS1_16block_id_wrapperIjLb0EEEEE10hipError_tT1_PNSt15iterator_traitsISK_E10value_typeET2_T3_PNSL_ISQ_E10value_typeET4_T5_PSV_SW_PNS1_23onesweep_lookback_stateEbbT6_jjT7_P12ihipStream_tbENKUlT_T0_SK_SP_E_clISE_PfSF_SF_EEDaS13_S14_SK_SP_EUlS13_E_NS1_11comp_targetILNS1_3genE0ELNS1_11target_archE4294967295ELNS1_3gpuE0ELNS1_3repE0EEENS1_47radix_sort_onesweep_sort_config_static_selectorELNS0_4arch9wavefront6targetE0EEEvSK_,"axG",@progbits,_ZN7rocprim17ROCPRIM_400000_NS6detail17trampoline_kernelINS0_14default_configENS1_35radix_sort_onesweep_config_selectorIfNS0_10empty_typeEEEZZNS1_29radix_sort_onesweep_iterationIS3_Lb0EN6thrust23THRUST_200600_302600_NS6detail15normal_iteratorINS9_10device_ptrIfEEEESE_PS5_SF_jNS0_19identity_decomposerENS1_16block_id_wrapperIjLb0EEEEE10hipError_tT1_PNSt15iterator_traitsISK_E10value_typeET2_T3_PNSL_ISQ_E10value_typeET4_T5_PSV_SW_PNS1_23onesweep_lookback_stateEbbT6_jjT7_P12ihipStream_tbENKUlT_T0_SK_SP_E_clISE_PfSF_SF_EEDaS13_S14_SK_SP_EUlS13_E_NS1_11comp_targetILNS1_3genE0ELNS1_11target_archE4294967295ELNS1_3gpuE0ELNS1_3repE0EEENS1_47radix_sort_onesweep_sort_config_static_selectorELNS0_4arch9wavefront6targetE0EEEvSK_,comdat
	.protected	_ZN7rocprim17ROCPRIM_400000_NS6detail17trampoline_kernelINS0_14default_configENS1_35radix_sort_onesweep_config_selectorIfNS0_10empty_typeEEEZZNS1_29radix_sort_onesweep_iterationIS3_Lb0EN6thrust23THRUST_200600_302600_NS6detail15normal_iteratorINS9_10device_ptrIfEEEESE_PS5_SF_jNS0_19identity_decomposerENS1_16block_id_wrapperIjLb0EEEEE10hipError_tT1_PNSt15iterator_traitsISK_E10value_typeET2_T3_PNSL_ISQ_E10value_typeET4_T5_PSV_SW_PNS1_23onesweep_lookback_stateEbbT6_jjT7_P12ihipStream_tbENKUlT_T0_SK_SP_E_clISE_PfSF_SF_EEDaS13_S14_SK_SP_EUlS13_E_NS1_11comp_targetILNS1_3genE0ELNS1_11target_archE4294967295ELNS1_3gpuE0ELNS1_3repE0EEENS1_47radix_sort_onesweep_sort_config_static_selectorELNS0_4arch9wavefront6targetE0EEEvSK_ ; -- Begin function _ZN7rocprim17ROCPRIM_400000_NS6detail17trampoline_kernelINS0_14default_configENS1_35radix_sort_onesweep_config_selectorIfNS0_10empty_typeEEEZZNS1_29radix_sort_onesweep_iterationIS3_Lb0EN6thrust23THRUST_200600_302600_NS6detail15normal_iteratorINS9_10device_ptrIfEEEESE_PS5_SF_jNS0_19identity_decomposerENS1_16block_id_wrapperIjLb0EEEEE10hipError_tT1_PNSt15iterator_traitsISK_E10value_typeET2_T3_PNSL_ISQ_E10value_typeET4_T5_PSV_SW_PNS1_23onesweep_lookback_stateEbbT6_jjT7_P12ihipStream_tbENKUlT_T0_SK_SP_E_clISE_PfSF_SF_EEDaS13_S14_SK_SP_EUlS13_E_NS1_11comp_targetILNS1_3genE0ELNS1_11target_archE4294967295ELNS1_3gpuE0ELNS1_3repE0EEENS1_47radix_sort_onesweep_sort_config_static_selectorELNS0_4arch9wavefront6targetE0EEEvSK_
	.globl	_ZN7rocprim17ROCPRIM_400000_NS6detail17trampoline_kernelINS0_14default_configENS1_35radix_sort_onesweep_config_selectorIfNS0_10empty_typeEEEZZNS1_29radix_sort_onesweep_iterationIS3_Lb0EN6thrust23THRUST_200600_302600_NS6detail15normal_iteratorINS9_10device_ptrIfEEEESE_PS5_SF_jNS0_19identity_decomposerENS1_16block_id_wrapperIjLb0EEEEE10hipError_tT1_PNSt15iterator_traitsISK_E10value_typeET2_T3_PNSL_ISQ_E10value_typeET4_T5_PSV_SW_PNS1_23onesweep_lookback_stateEbbT6_jjT7_P12ihipStream_tbENKUlT_T0_SK_SP_E_clISE_PfSF_SF_EEDaS13_S14_SK_SP_EUlS13_E_NS1_11comp_targetILNS1_3genE0ELNS1_11target_archE4294967295ELNS1_3gpuE0ELNS1_3repE0EEENS1_47radix_sort_onesweep_sort_config_static_selectorELNS0_4arch9wavefront6targetE0EEEvSK_
	.p2align	8
	.type	_ZN7rocprim17ROCPRIM_400000_NS6detail17trampoline_kernelINS0_14default_configENS1_35radix_sort_onesweep_config_selectorIfNS0_10empty_typeEEEZZNS1_29radix_sort_onesweep_iterationIS3_Lb0EN6thrust23THRUST_200600_302600_NS6detail15normal_iteratorINS9_10device_ptrIfEEEESE_PS5_SF_jNS0_19identity_decomposerENS1_16block_id_wrapperIjLb0EEEEE10hipError_tT1_PNSt15iterator_traitsISK_E10value_typeET2_T3_PNSL_ISQ_E10value_typeET4_T5_PSV_SW_PNS1_23onesweep_lookback_stateEbbT6_jjT7_P12ihipStream_tbENKUlT_T0_SK_SP_E_clISE_PfSF_SF_EEDaS13_S14_SK_SP_EUlS13_E_NS1_11comp_targetILNS1_3genE0ELNS1_11target_archE4294967295ELNS1_3gpuE0ELNS1_3repE0EEENS1_47radix_sort_onesweep_sort_config_static_selectorELNS0_4arch9wavefront6targetE0EEEvSK_,@function
_ZN7rocprim17ROCPRIM_400000_NS6detail17trampoline_kernelINS0_14default_configENS1_35radix_sort_onesweep_config_selectorIfNS0_10empty_typeEEEZZNS1_29radix_sort_onesweep_iterationIS3_Lb0EN6thrust23THRUST_200600_302600_NS6detail15normal_iteratorINS9_10device_ptrIfEEEESE_PS5_SF_jNS0_19identity_decomposerENS1_16block_id_wrapperIjLb0EEEEE10hipError_tT1_PNSt15iterator_traitsISK_E10value_typeET2_T3_PNSL_ISQ_E10value_typeET4_T5_PSV_SW_PNS1_23onesweep_lookback_stateEbbT6_jjT7_P12ihipStream_tbENKUlT_T0_SK_SP_E_clISE_PfSF_SF_EEDaS13_S14_SK_SP_EUlS13_E_NS1_11comp_targetILNS1_3genE0ELNS1_11target_archE4294967295ELNS1_3gpuE0ELNS1_3repE0EEENS1_47radix_sort_onesweep_sort_config_static_selectorELNS0_4arch9wavefront6targetE0EEEvSK_: ; @_ZN7rocprim17ROCPRIM_400000_NS6detail17trampoline_kernelINS0_14default_configENS1_35radix_sort_onesweep_config_selectorIfNS0_10empty_typeEEEZZNS1_29radix_sort_onesweep_iterationIS3_Lb0EN6thrust23THRUST_200600_302600_NS6detail15normal_iteratorINS9_10device_ptrIfEEEESE_PS5_SF_jNS0_19identity_decomposerENS1_16block_id_wrapperIjLb0EEEEE10hipError_tT1_PNSt15iterator_traitsISK_E10value_typeET2_T3_PNSL_ISQ_E10value_typeET4_T5_PSV_SW_PNS1_23onesweep_lookback_stateEbbT6_jjT7_P12ihipStream_tbENKUlT_T0_SK_SP_E_clISE_PfSF_SF_EEDaS13_S14_SK_SP_EUlS13_E_NS1_11comp_targetILNS1_3genE0ELNS1_11target_archE4294967295ELNS1_3gpuE0ELNS1_3repE0EEENS1_47radix_sort_onesweep_sort_config_static_selectorELNS0_4arch9wavefront6targetE0EEEvSK_
; %bb.0:
	.section	.rodata,"a",@progbits
	.p2align	6, 0x0
	.amdhsa_kernel _ZN7rocprim17ROCPRIM_400000_NS6detail17trampoline_kernelINS0_14default_configENS1_35radix_sort_onesweep_config_selectorIfNS0_10empty_typeEEEZZNS1_29radix_sort_onesweep_iterationIS3_Lb0EN6thrust23THRUST_200600_302600_NS6detail15normal_iteratorINS9_10device_ptrIfEEEESE_PS5_SF_jNS0_19identity_decomposerENS1_16block_id_wrapperIjLb0EEEEE10hipError_tT1_PNSt15iterator_traitsISK_E10value_typeET2_T3_PNSL_ISQ_E10value_typeET4_T5_PSV_SW_PNS1_23onesweep_lookback_stateEbbT6_jjT7_P12ihipStream_tbENKUlT_T0_SK_SP_E_clISE_PfSF_SF_EEDaS13_S14_SK_SP_EUlS13_E_NS1_11comp_targetILNS1_3genE0ELNS1_11target_archE4294967295ELNS1_3gpuE0ELNS1_3repE0EEENS1_47radix_sort_onesweep_sort_config_static_selectorELNS0_4arch9wavefront6targetE0EEEvSK_
		.amdhsa_group_segment_fixed_size 0
		.amdhsa_private_segment_fixed_size 0
		.amdhsa_kernarg_size 88
		.amdhsa_user_sgpr_count 6
		.amdhsa_user_sgpr_private_segment_buffer 1
		.amdhsa_user_sgpr_dispatch_ptr 0
		.amdhsa_user_sgpr_queue_ptr 0
		.amdhsa_user_sgpr_kernarg_segment_ptr 1
		.amdhsa_user_sgpr_dispatch_id 0
		.amdhsa_user_sgpr_flat_scratch_init 0
		.amdhsa_user_sgpr_private_segment_size 0
		.amdhsa_wavefront_size32 1
		.amdhsa_uses_dynamic_stack 0
		.amdhsa_system_sgpr_private_segment_wavefront_offset 0
		.amdhsa_system_sgpr_workgroup_id_x 1
		.amdhsa_system_sgpr_workgroup_id_y 0
		.amdhsa_system_sgpr_workgroup_id_z 0
		.amdhsa_system_sgpr_workgroup_info 0
		.amdhsa_system_vgpr_workitem_id 0
		.amdhsa_next_free_vgpr 1
		.amdhsa_next_free_sgpr 1
		.amdhsa_reserve_vcc 0
		.amdhsa_reserve_flat_scratch 0
		.amdhsa_float_round_mode_32 0
		.amdhsa_float_round_mode_16_64 0
		.amdhsa_float_denorm_mode_32 3
		.amdhsa_float_denorm_mode_16_64 3
		.amdhsa_dx10_clamp 1
		.amdhsa_ieee_mode 1
		.amdhsa_fp16_overflow 0
		.amdhsa_workgroup_processor_mode 1
		.amdhsa_memory_ordered 1
		.amdhsa_forward_progress 1
		.amdhsa_shared_vgpr_count 0
		.amdhsa_exception_fp_ieee_invalid_op 0
		.amdhsa_exception_fp_denorm_src 0
		.amdhsa_exception_fp_ieee_div_zero 0
		.amdhsa_exception_fp_ieee_overflow 0
		.amdhsa_exception_fp_ieee_underflow 0
		.amdhsa_exception_fp_ieee_inexact 0
		.amdhsa_exception_int_div_zero 0
	.end_amdhsa_kernel
	.section	.text._ZN7rocprim17ROCPRIM_400000_NS6detail17trampoline_kernelINS0_14default_configENS1_35radix_sort_onesweep_config_selectorIfNS0_10empty_typeEEEZZNS1_29radix_sort_onesweep_iterationIS3_Lb0EN6thrust23THRUST_200600_302600_NS6detail15normal_iteratorINS9_10device_ptrIfEEEESE_PS5_SF_jNS0_19identity_decomposerENS1_16block_id_wrapperIjLb0EEEEE10hipError_tT1_PNSt15iterator_traitsISK_E10value_typeET2_T3_PNSL_ISQ_E10value_typeET4_T5_PSV_SW_PNS1_23onesweep_lookback_stateEbbT6_jjT7_P12ihipStream_tbENKUlT_T0_SK_SP_E_clISE_PfSF_SF_EEDaS13_S14_SK_SP_EUlS13_E_NS1_11comp_targetILNS1_3genE0ELNS1_11target_archE4294967295ELNS1_3gpuE0ELNS1_3repE0EEENS1_47radix_sort_onesweep_sort_config_static_selectorELNS0_4arch9wavefront6targetE0EEEvSK_,"axG",@progbits,_ZN7rocprim17ROCPRIM_400000_NS6detail17trampoline_kernelINS0_14default_configENS1_35radix_sort_onesweep_config_selectorIfNS0_10empty_typeEEEZZNS1_29radix_sort_onesweep_iterationIS3_Lb0EN6thrust23THRUST_200600_302600_NS6detail15normal_iteratorINS9_10device_ptrIfEEEESE_PS5_SF_jNS0_19identity_decomposerENS1_16block_id_wrapperIjLb0EEEEE10hipError_tT1_PNSt15iterator_traitsISK_E10value_typeET2_T3_PNSL_ISQ_E10value_typeET4_T5_PSV_SW_PNS1_23onesweep_lookback_stateEbbT6_jjT7_P12ihipStream_tbENKUlT_T0_SK_SP_E_clISE_PfSF_SF_EEDaS13_S14_SK_SP_EUlS13_E_NS1_11comp_targetILNS1_3genE0ELNS1_11target_archE4294967295ELNS1_3gpuE0ELNS1_3repE0EEENS1_47radix_sort_onesweep_sort_config_static_selectorELNS0_4arch9wavefront6targetE0EEEvSK_,comdat
.Lfunc_end595:
	.size	_ZN7rocprim17ROCPRIM_400000_NS6detail17trampoline_kernelINS0_14default_configENS1_35radix_sort_onesweep_config_selectorIfNS0_10empty_typeEEEZZNS1_29radix_sort_onesweep_iterationIS3_Lb0EN6thrust23THRUST_200600_302600_NS6detail15normal_iteratorINS9_10device_ptrIfEEEESE_PS5_SF_jNS0_19identity_decomposerENS1_16block_id_wrapperIjLb0EEEEE10hipError_tT1_PNSt15iterator_traitsISK_E10value_typeET2_T3_PNSL_ISQ_E10value_typeET4_T5_PSV_SW_PNS1_23onesweep_lookback_stateEbbT6_jjT7_P12ihipStream_tbENKUlT_T0_SK_SP_E_clISE_PfSF_SF_EEDaS13_S14_SK_SP_EUlS13_E_NS1_11comp_targetILNS1_3genE0ELNS1_11target_archE4294967295ELNS1_3gpuE0ELNS1_3repE0EEENS1_47radix_sort_onesweep_sort_config_static_selectorELNS0_4arch9wavefront6targetE0EEEvSK_, .Lfunc_end595-_ZN7rocprim17ROCPRIM_400000_NS6detail17trampoline_kernelINS0_14default_configENS1_35radix_sort_onesweep_config_selectorIfNS0_10empty_typeEEEZZNS1_29radix_sort_onesweep_iterationIS3_Lb0EN6thrust23THRUST_200600_302600_NS6detail15normal_iteratorINS9_10device_ptrIfEEEESE_PS5_SF_jNS0_19identity_decomposerENS1_16block_id_wrapperIjLb0EEEEE10hipError_tT1_PNSt15iterator_traitsISK_E10value_typeET2_T3_PNSL_ISQ_E10value_typeET4_T5_PSV_SW_PNS1_23onesweep_lookback_stateEbbT6_jjT7_P12ihipStream_tbENKUlT_T0_SK_SP_E_clISE_PfSF_SF_EEDaS13_S14_SK_SP_EUlS13_E_NS1_11comp_targetILNS1_3genE0ELNS1_11target_archE4294967295ELNS1_3gpuE0ELNS1_3repE0EEENS1_47radix_sort_onesweep_sort_config_static_selectorELNS0_4arch9wavefront6targetE0EEEvSK_
                                        ; -- End function
	.set _ZN7rocprim17ROCPRIM_400000_NS6detail17trampoline_kernelINS0_14default_configENS1_35radix_sort_onesweep_config_selectorIfNS0_10empty_typeEEEZZNS1_29radix_sort_onesweep_iterationIS3_Lb0EN6thrust23THRUST_200600_302600_NS6detail15normal_iteratorINS9_10device_ptrIfEEEESE_PS5_SF_jNS0_19identity_decomposerENS1_16block_id_wrapperIjLb0EEEEE10hipError_tT1_PNSt15iterator_traitsISK_E10value_typeET2_T3_PNSL_ISQ_E10value_typeET4_T5_PSV_SW_PNS1_23onesweep_lookback_stateEbbT6_jjT7_P12ihipStream_tbENKUlT_T0_SK_SP_E_clISE_PfSF_SF_EEDaS13_S14_SK_SP_EUlS13_E_NS1_11comp_targetILNS1_3genE0ELNS1_11target_archE4294967295ELNS1_3gpuE0ELNS1_3repE0EEENS1_47radix_sort_onesweep_sort_config_static_selectorELNS0_4arch9wavefront6targetE0EEEvSK_.num_vgpr, 0
	.set _ZN7rocprim17ROCPRIM_400000_NS6detail17trampoline_kernelINS0_14default_configENS1_35radix_sort_onesweep_config_selectorIfNS0_10empty_typeEEEZZNS1_29radix_sort_onesweep_iterationIS3_Lb0EN6thrust23THRUST_200600_302600_NS6detail15normal_iteratorINS9_10device_ptrIfEEEESE_PS5_SF_jNS0_19identity_decomposerENS1_16block_id_wrapperIjLb0EEEEE10hipError_tT1_PNSt15iterator_traitsISK_E10value_typeET2_T3_PNSL_ISQ_E10value_typeET4_T5_PSV_SW_PNS1_23onesweep_lookback_stateEbbT6_jjT7_P12ihipStream_tbENKUlT_T0_SK_SP_E_clISE_PfSF_SF_EEDaS13_S14_SK_SP_EUlS13_E_NS1_11comp_targetILNS1_3genE0ELNS1_11target_archE4294967295ELNS1_3gpuE0ELNS1_3repE0EEENS1_47radix_sort_onesweep_sort_config_static_selectorELNS0_4arch9wavefront6targetE0EEEvSK_.num_agpr, 0
	.set _ZN7rocprim17ROCPRIM_400000_NS6detail17trampoline_kernelINS0_14default_configENS1_35radix_sort_onesweep_config_selectorIfNS0_10empty_typeEEEZZNS1_29radix_sort_onesweep_iterationIS3_Lb0EN6thrust23THRUST_200600_302600_NS6detail15normal_iteratorINS9_10device_ptrIfEEEESE_PS5_SF_jNS0_19identity_decomposerENS1_16block_id_wrapperIjLb0EEEEE10hipError_tT1_PNSt15iterator_traitsISK_E10value_typeET2_T3_PNSL_ISQ_E10value_typeET4_T5_PSV_SW_PNS1_23onesweep_lookback_stateEbbT6_jjT7_P12ihipStream_tbENKUlT_T0_SK_SP_E_clISE_PfSF_SF_EEDaS13_S14_SK_SP_EUlS13_E_NS1_11comp_targetILNS1_3genE0ELNS1_11target_archE4294967295ELNS1_3gpuE0ELNS1_3repE0EEENS1_47radix_sort_onesweep_sort_config_static_selectorELNS0_4arch9wavefront6targetE0EEEvSK_.numbered_sgpr, 0
	.set _ZN7rocprim17ROCPRIM_400000_NS6detail17trampoline_kernelINS0_14default_configENS1_35radix_sort_onesweep_config_selectorIfNS0_10empty_typeEEEZZNS1_29radix_sort_onesweep_iterationIS3_Lb0EN6thrust23THRUST_200600_302600_NS6detail15normal_iteratorINS9_10device_ptrIfEEEESE_PS5_SF_jNS0_19identity_decomposerENS1_16block_id_wrapperIjLb0EEEEE10hipError_tT1_PNSt15iterator_traitsISK_E10value_typeET2_T3_PNSL_ISQ_E10value_typeET4_T5_PSV_SW_PNS1_23onesweep_lookback_stateEbbT6_jjT7_P12ihipStream_tbENKUlT_T0_SK_SP_E_clISE_PfSF_SF_EEDaS13_S14_SK_SP_EUlS13_E_NS1_11comp_targetILNS1_3genE0ELNS1_11target_archE4294967295ELNS1_3gpuE0ELNS1_3repE0EEENS1_47radix_sort_onesweep_sort_config_static_selectorELNS0_4arch9wavefront6targetE0EEEvSK_.num_named_barrier, 0
	.set _ZN7rocprim17ROCPRIM_400000_NS6detail17trampoline_kernelINS0_14default_configENS1_35radix_sort_onesweep_config_selectorIfNS0_10empty_typeEEEZZNS1_29radix_sort_onesweep_iterationIS3_Lb0EN6thrust23THRUST_200600_302600_NS6detail15normal_iteratorINS9_10device_ptrIfEEEESE_PS5_SF_jNS0_19identity_decomposerENS1_16block_id_wrapperIjLb0EEEEE10hipError_tT1_PNSt15iterator_traitsISK_E10value_typeET2_T3_PNSL_ISQ_E10value_typeET4_T5_PSV_SW_PNS1_23onesweep_lookback_stateEbbT6_jjT7_P12ihipStream_tbENKUlT_T0_SK_SP_E_clISE_PfSF_SF_EEDaS13_S14_SK_SP_EUlS13_E_NS1_11comp_targetILNS1_3genE0ELNS1_11target_archE4294967295ELNS1_3gpuE0ELNS1_3repE0EEENS1_47radix_sort_onesweep_sort_config_static_selectorELNS0_4arch9wavefront6targetE0EEEvSK_.private_seg_size, 0
	.set _ZN7rocprim17ROCPRIM_400000_NS6detail17trampoline_kernelINS0_14default_configENS1_35radix_sort_onesweep_config_selectorIfNS0_10empty_typeEEEZZNS1_29radix_sort_onesweep_iterationIS3_Lb0EN6thrust23THRUST_200600_302600_NS6detail15normal_iteratorINS9_10device_ptrIfEEEESE_PS5_SF_jNS0_19identity_decomposerENS1_16block_id_wrapperIjLb0EEEEE10hipError_tT1_PNSt15iterator_traitsISK_E10value_typeET2_T3_PNSL_ISQ_E10value_typeET4_T5_PSV_SW_PNS1_23onesweep_lookback_stateEbbT6_jjT7_P12ihipStream_tbENKUlT_T0_SK_SP_E_clISE_PfSF_SF_EEDaS13_S14_SK_SP_EUlS13_E_NS1_11comp_targetILNS1_3genE0ELNS1_11target_archE4294967295ELNS1_3gpuE0ELNS1_3repE0EEENS1_47radix_sort_onesweep_sort_config_static_selectorELNS0_4arch9wavefront6targetE0EEEvSK_.uses_vcc, 0
	.set _ZN7rocprim17ROCPRIM_400000_NS6detail17trampoline_kernelINS0_14default_configENS1_35radix_sort_onesweep_config_selectorIfNS0_10empty_typeEEEZZNS1_29radix_sort_onesweep_iterationIS3_Lb0EN6thrust23THRUST_200600_302600_NS6detail15normal_iteratorINS9_10device_ptrIfEEEESE_PS5_SF_jNS0_19identity_decomposerENS1_16block_id_wrapperIjLb0EEEEE10hipError_tT1_PNSt15iterator_traitsISK_E10value_typeET2_T3_PNSL_ISQ_E10value_typeET4_T5_PSV_SW_PNS1_23onesweep_lookback_stateEbbT6_jjT7_P12ihipStream_tbENKUlT_T0_SK_SP_E_clISE_PfSF_SF_EEDaS13_S14_SK_SP_EUlS13_E_NS1_11comp_targetILNS1_3genE0ELNS1_11target_archE4294967295ELNS1_3gpuE0ELNS1_3repE0EEENS1_47radix_sort_onesweep_sort_config_static_selectorELNS0_4arch9wavefront6targetE0EEEvSK_.uses_flat_scratch, 0
	.set _ZN7rocprim17ROCPRIM_400000_NS6detail17trampoline_kernelINS0_14default_configENS1_35radix_sort_onesweep_config_selectorIfNS0_10empty_typeEEEZZNS1_29radix_sort_onesweep_iterationIS3_Lb0EN6thrust23THRUST_200600_302600_NS6detail15normal_iteratorINS9_10device_ptrIfEEEESE_PS5_SF_jNS0_19identity_decomposerENS1_16block_id_wrapperIjLb0EEEEE10hipError_tT1_PNSt15iterator_traitsISK_E10value_typeET2_T3_PNSL_ISQ_E10value_typeET4_T5_PSV_SW_PNS1_23onesweep_lookback_stateEbbT6_jjT7_P12ihipStream_tbENKUlT_T0_SK_SP_E_clISE_PfSF_SF_EEDaS13_S14_SK_SP_EUlS13_E_NS1_11comp_targetILNS1_3genE0ELNS1_11target_archE4294967295ELNS1_3gpuE0ELNS1_3repE0EEENS1_47radix_sort_onesweep_sort_config_static_selectorELNS0_4arch9wavefront6targetE0EEEvSK_.has_dyn_sized_stack, 0
	.set _ZN7rocprim17ROCPRIM_400000_NS6detail17trampoline_kernelINS0_14default_configENS1_35radix_sort_onesweep_config_selectorIfNS0_10empty_typeEEEZZNS1_29radix_sort_onesweep_iterationIS3_Lb0EN6thrust23THRUST_200600_302600_NS6detail15normal_iteratorINS9_10device_ptrIfEEEESE_PS5_SF_jNS0_19identity_decomposerENS1_16block_id_wrapperIjLb0EEEEE10hipError_tT1_PNSt15iterator_traitsISK_E10value_typeET2_T3_PNSL_ISQ_E10value_typeET4_T5_PSV_SW_PNS1_23onesweep_lookback_stateEbbT6_jjT7_P12ihipStream_tbENKUlT_T0_SK_SP_E_clISE_PfSF_SF_EEDaS13_S14_SK_SP_EUlS13_E_NS1_11comp_targetILNS1_3genE0ELNS1_11target_archE4294967295ELNS1_3gpuE0ELNS1_3repE0EEENS1_47radix_sort_onesweep_sort_config_static_selectorELNS0_4arch9wavefront6targetE0EEEvSK_.has_recursion, 0
	.set _ZN7rocprim17ROCPRIM_400000_NS6detail17trampoline_kernelINS0_14default_configENS1_35radix_sort_onesweep_config_selectorIfNS0_10empty_typeEEEZZNS1_29radix_sort_onesweep_iterationIS3_Lb0EN6thrust23THRUST_200600_302600_NS6detail15normal_iteratorINS9_10device_ptrIfEEEESE_PS5_SF_jNS0_19identity_decomposerENS1_16block_id_wrapperIjLb0EEEEE10hipError_tT1_PNSt15iterator_traitsISK_E10value_typeET2_T3_PNSL_ISQ_E10value_typeET4_T5_PSV_SW_PNS1_23onesweep_lookback_stateEbbT6_jjT7_P12ihipStream_tbENKUlT_T0_SK_SP_E_clISE_PfSF_SF_EEDaS13_S14_SK_SP_EUlS13_E_NS1_11comp_targetILNS1_3genE0ELNS1_11target_archE4294967295ELNS1_3gpuE0ELNS1_3repE0EEENS1_47radix_sort_onesweep_sort_config_static_selectorELNS0_4arch9wavefront6targetE0EEEvSK_.has_indirect_call, 0
	.section	.AMDGPU.csdata,"",@progbits
; Kernel info:
; codeLenInByte = 0
; TotalNumSgprs: 0
; NumVgprs: 0
; ScratchSize: 0
; MemoryBound: 0
; FloatMode: 240
; IeeeMode: 1
; LDSByteSize: 0 bytes/workgroup (compile time only)
; SGPRBlocks: 0
; VGPRBlocks: 0
; NumSGPRsForWavesPerEU: 1
; NumVGPRsForWavesPerEU: 1
; Occupancy: 16
; WaveLimiterHint : 0
; COMPUTE_PGM_RSRC2:SCRATCH_EN: 0
; COMPUTE_PGM_RSRC2:USER_SGPR: 6
; COMPUTE_PGM_RSRC2:TRAP_HANDLER: 0
; COMPUTE_PGM_RSRC2:TGID_X_EN: 1
; COMPUTE_PGM_RSRC2:TGID_Y_EN: 0
; COMPUTE_PGM_RSRC2:TGID_Z_EN: 0
; COMPUTE_PGM_RSRC2:TIDIG_COMP_CNT: 0
	.section	.text._ZN7rocprim17ROCPRIM_400000_NS6detail17trampoline_kernelINS0_14default_configENS1_35radix_sort_onesweep_config_selectorIfNS0_10empty_typeEEEZZNS1_29radix_sort_onesweep_iterationIS3_Lb0EN6thrust23THRUST_200600_302600_NS6detail15normal_iteratorINS9_10device_ptrIfEEEESE_PS5_SF_jNS0_19identity_decomposerENS1_16block_id_wrapperIjLb0EEEEE10hipError_tT1_PNSt15iterator_traitsISK_E10value_typeET2_T3_PNSL_ISQ_E10value_typeET4_T5_PSV_SW_PNS1_23onesweep_lookback_stateEbbT6_jjT7_P12ihipStream_tbENKUlT_T0_SK_SP_E_clISE_PfSF_SF_EEDaS13_S14_SK_SP_EUlS13_E_NS1_11comp_targetILNS1_3genE6ELNS1_11target_archE950ELNS1_3gpuE13ELNS1_3repE0EEENS1_47radix_sort_onesweep_sort_config_static_selectorELNS0_4arch9wavefront6targetE0EEEvSK_,"axG",@progbits,_ZN7rocprim17ROCPRIM_400000_NS6detail17trampoline_kernelINS0_14default_configENS1_35radix_sort_onesweep_config_selectorIfNS0_10empty_typeEEEZZNS1_29radix_sort_onesweep_iterationIS3_Lb0EN6thrust23THRUST_200600_302600_NS6detail15normal_iteratorINS9_10device_ptrIfEEEESE_PS5_SF_jNS0_19identity_decomposerENS1_16block_id_wrapperIjLb0EEEEE10hipError_tT1_PNSt15iterator_traitsISK_E10value_typeET2_T3_PNSL_ISQ_E10value_typeET4_T5_PSV_SW_PNS1_23onesweep_lookback_stateEbbT6_jjT7_P12ihipStream_tbENKUlT_T0_SK_SP_E_clISE_PfSF_SF_EEDaS13_S14_SK_SP_EUlS13_E_NS1_11comp_targetILNS1_3genE6ELNS1_11target_archE950ELNS1_3gpuE13ELNS1_3repE0EEENS1_47radix_sort_onesweep_sort_config_static_selectorELNS0_4arch9wavefront6targetE0EEEvSK_,comdat
	.protected	_ZN7rocprim17ROCPRIM_400000_NS6detail17trampoline_kernelINS0_14default_configENS1_35radix_sort_onesweep_config_selectorIfNS0_10empty_typeEEEZZNS1_29radix_sort_onesweep_iterationIS3_Lb0EN6thrust23THRUST_200600_302600_NS6detail15normal_iteratorINS9_10device_ptrIfEEEESE_PS5_SF_jNS0_19identity_decomposerENS1_16block_id_wrapperIjLb0EEEEE10hipError_tT1_PNSt15iterator_traitsISK_E10value_typeET2_T3_PNSL_ISQ_E10value_typeET4_T5_PSV_SW_PNS1_23onesweep_lookback_stateEbbT6_jjT7_P12ihipStream_tbENKUlT_T0_SK_SP_E_clISE_PfSF_SF_EEDaS13_S14_SK_SP_EUlS13_E_NS1_11comp_targetILNS1_3genE6ELNS1_11target_archE950ELNS1_3gpuE13ELNS1_3repE0EEENS1_47radix_sort_onesweep_sort_config_static_selectorELNS0_4arch9wavefront6targetE0EEEvSK_ ; -- Begin function _ZN7rocprim17ROCPRIM_400000_NS6detail17trampoline_kernelINS0_14default_configENS1_35radix_sort_onesweep_config_selectorIfNS0_10empty_typeEEEZZNS1_29radix_sort_onesweep_iterationIS3_Lb0EN6thrust23THRUST_200600_302600_NS6detail15normal_iteratorINS9_10device_ptrIfEEEESE_PS5_SF_jNS0_19identity_decomposerENS1_16block_id_wrapperIjLb0EEEEE10hipError_tT1_PNSt15iterator_traitsISK_E10value_typeET2_T3_PNSL_ISQ_E10value_typeET4_T5_PSV_SW_PNS1_23onesweep_lookback_stateEbbT6_jjT7_P12ihipStream_tbENKUlT_T0_SK_SP_E_clISE_PfSF_SF_EEDaS13_S14_SK_SP_EUlS13_E_NS1_11comp_targetILNS1_3genE6ELNS1_11target_archE950ELNS1_3gpuE13ELNS1_3repE0EEENS1_47radix_sort_onesweep_sort_config_static_selectorELNS0_4arch9wavefront6targetE0EEEvSK_
	.globl	_ZN7rocprim17ROCPRIM_400000_NS6detail17trampoline_kernelINS0_14default_configENS1_35radix_sort_onesweep_config_selectorIfNS0_10empty_typeEEEZZNS1_29radix_sort_onesweep_iterationIS3_Lb0EN6thrust23THRUST_200600_302600_NS6detail15normal_iteratorINS9_10device_ptrIfEEEESE_PS5_SF_jNS0_19identity_decomposerENS1_16block_id_wrapperIjLb0EEEEE10hipError_tT1_PNSt15iterator_traitsISK_E10value_typeET2_T3_PNSL_ISQ_E10value_typeET4_T5_PSV_SW_PNS1_23onesweep_lookback_stateEbbT6_jjT7_P12ihipStream_tbENKUlT_T0_SK_SP_E_clISE_PfSF_SF_EEDaS13_S14_SK_SP_EUlS13_E_NS1_11comp_targetILNS1_3genE6ELNS1_11target_archE950ELNS1_3gpuE13ELNS1_3repE0EEENS1_47radix_sort_onesweep_sort_config_static_selectorELNS0_4arch9wavefront6targetE0EEEvSK_
	.p2align	8
	.type	_ZN7rocprim17ROCPRIM_400000_NS6detail17trampoline_kernelINS0_14default_configENS1_35radix_sort_onesweep_config_selectorIfNS0_10empty_typeEEEZZNS1_29radix_sort_onesweep_iterationIS3_Lb0EN6thrust23THRUST_200600_302600_NS6detail15normal_iteratorINS9_10device_ptrIfEEEESE_PS5_SF_jNS0_19identity_decomposerENS1_16block_id_wrapperIjLb0EEEEE10hipError_tT1_PNSt15iterator_traitsISK_E10value_typeET2_T3_PNSL_ISQ_E10value_typeET4_T5_PSV_SW_PNS1_23onesweep_lookback_stateEbbT6_jjT7_P12ihipStream_tbENKUlT_T0_SK_SP_E_clISE_PfSF_SF_EEDaS13_S14_SK_SP_EUlS13_E_NS1_11comp_targetILNS1_3genE6ELNS1_11target_archE950ELNS1_3gpuE13ELNS1_3repE0EEENS1_47radix_sort_onesweep_sort_config_static_selectorELNS0_4arch9wavefront6targetE0EEEvSK_,@function
_ZN7rocprim17ROCPRIM_400000_NS6detail17trampoline_kernelINS0_14default_configENS1_35radix_sort_onesweep_config_selectorIfNS0_10empty_typeEEEZZNS1_29radix_sort_onesweep_iterationIS3_Lb0EN6thrust23THRUST_200600_302600_NS6detail15normal_iteratorINS9_10device_ptrIfEEEESE_PS5_SF_jNS0_19identity_decomposerENS1_16block_id_wrapperIjLb0EEEEE10hipError_tT1_PNSt15iterator_traitsISK_E10value_typeET2_T3_PNSL_ISQ_E10value_typeET4_T5_PSV_SW_PNS1_23onesweep_lookback_stateEbbT6_jjT7_P12ihipStream_tbENKUlT_T0_SK_SP_E_clISE_PfSF_SF_EEDaS13_S14_SK_SP_EUlS13_E_NS1_11comp_targetILNS1_3genE6ELNS1_11target_archE950ELNS1_3gpuE13ELNS1_3repE0EEENS1_47radix_sort_onesweep_sort_config_static_selectorELNS0_4arch9wavefront6targetE0EEEvSK_: ; @_ZN7rocprim17ROCPRIM_400000_NS6detail17trampoline_kernelINS0_14default_configENS1_35radix_sort_onesweep_config_selectorIfNS0_10empty_typeEEEZZNS1_29radix_sort_onesweep_iterationIS3_Lb0EN6thrust23THRUST_200600_302600_NS6detail15normal_iteratorINS9_10device_ptrIfEEEESE_PS5_SF_jNS0_19identity_decomposerENS1_16block_id_wrapperIjLb0EEEEE10hipError_tT1_PNSt15iterator_traitsISK_E10value_typeET2_T3_PNSL_ISQ_E10value_typeET4_T5_PSV_SW_PNS1_23onesweep_lookback_stateEbbT6_jjT7_P12ihipStream_tbENKUlT_T0_SK_SP_E_clISE_PfSF_SF_EEDaS13_S14_SK_SP_EUlS13_E_NS1_11comp_targetILNS1_3genE6ELNS1_11target_archE950ELNS1_3gpuE13ELNS1_3repE0EEENS1_47radix_sort_onesweep_sort_config_static_selectorELNS0_4arch9wavefront6targetE0EEEvSK_
; %bb.0:
	.section	.rodata,"a",@progbits
	.p2align	6, 0x0
	.amdhsa_kernel _ZN7rocprim17ROCPRIM_400000_NS6detail17trampoline_kernelINS0_14default_configENS1_35radix_sort_onesweep_config_selectorIfNS0_10empty_typeEEEZZNS1_29radix_sort_onesweep_iterationIS3_Lb0EN6thrust23THRUST_200600_302600_NS6detail15normal_iteratorINS9_10device_ptrIfEEEESE_PS5_SF_jNS0_19identity_decomposerENS1_16block_id_wrapperIjLb0EEEEE10hipError_tT1_PNSt15iterator_traitsISK_E10value_typeET2_T3_PNSL_ISQ_E10value_typeET4_T5_PSV_SW_PNS1_23onesweep_lookback_stateEbbT6_jjT7_P12ihipStream_tbENKUlT_T0_SK_SP_E_clISE_PfSF_SF_EEDaS13_S14_SK_SP_EUlS13_E_NS1_11comp_targetILNS1_3genE6ELNS1_11target_archE950ELNS1_3gpuE13ELNS1_3repE0EEENS1_47radix_sort_onesweep_sort_config_static_selectorELNS0_4arch9wavefront6targetE0EEEvSK_
		.amdhsa_group_segment_fixed_size 0
		.amdhsa_private_segment_fixed_size 0
		.amdhsa_kernarg_size 88
		.amdhsa_user_sgpr_count 6
		.amdhsa_user_sgpr_private_segment_buffer 1
		.amdhsa_user_sgpr_dispatch_ptr 0
		.amdhsa_user_sgpr_queue_ptr 0
		.amdhsa_user_sgpr_kernarg_segment_ptr 1
		.amdhsa_user_sgpr_dispatch_id 0
		.amdhsa_user_sgpr_flat_scratch_init 0
		.amdhsa_user_sgpr_private_segment_size 0
		.amdhsa_wavefront_size32 1
		.amdhsa_uses_dynamic_stack 0
		.amdhsa_system_sgpr_private_segment_wavefront_offset 0
		.amdhsa_system_sgpr_workgroup_id_x 1
		.amdhsa_system_sgpr_workgroup_id_y 0
		.amdhsa_system_sgpr_workgroup_id_z 0
		.amdhsa_system_sgpr_workgroup_info 0
		.amdhsa_system_vgpr_workitem_id 0
		.amdhsa_next_free_vgpr 1
		.amdhsa_next_free_sgpr 1
		.amdhsa_reserve_vcc 0
		.amdhsa_reserve_flat_scratch 0
		.amdhsa_float_round_mode_32 0
		.amdhsa_float_round_mode_16_64 0
		.amdhsa_float_denorm_mode_32 3
		.amdhsa_float_denorm_mode_16_64 3
		.amdhsa_dx10_clamp 1
		.amdhsa_ieee_mode 1
		.amdhsa_fp16_overflow 0
		.amdhsa_workgroup_processor_mode 1
		.amdhsa_memory_ordered 1
		.amdhsa_forward_progress 1
		.amdhsa_shared_vgpr_count 0
		.amdhsa_exception_fp_ieee_invalid_op 0
		.amdhsa_exception_fp_denorm_src 0
		.amdhsa_exception_fp_ieee_div_zero 0
		.amdhsa_exception_fp_ieee_overflow 0
		.amdhsa_exception_fp_ieee_underflow 0
		.amdhsa_exception_fp_ieee_inexact 0
		.amdhsa_exception_int_div_zero 0
	.end_amdhsa_kernel
	.section	.text._ZN7rocprim17ROCPRIM_400000_NS6detail17trampoline_kernelINS0_14default_configENS1_35radix_sort_onesweep_config_selectorIfNS0_10empty_typeEEEZZNS1_29radix_sort_onesweep_iterationIS3_Lb0EN6thrust23THRUST_200600_302600_NS6detail15normal_iteratorINS9_10device_ptrIfEEEESE_PS5_SF_jNS0_19identity_decomposerENS1_16block_id_wrapperIjLb0EEEEE10hipError_tT1_PNSt15iterator_traitsISK_E10value_typeET2_T3_PNSL_ISQ_E10value_typeET4_T5_PSV_SW_PNS1_23onesweep_lookback_stateEbbT6_jjT7_P12ihipStream_tbENKUlT_T0_SK_SP_E_clISE_PfSF_SF_EEDaS13_S14_SK_SP_EUlS13_E_NS1_11comp_targetILNS1_3genE6ELNS1_11target_archE950ELNS1_3gpuE13ELNS1_3repE0EEENS1_47radix_sort_onesweep_sort_config_static_selectorELNS0_4arch9wavefront6targetE0EEEvSK_,"axG",@progbits,_ZN7rocprim17ROCPRIM_400000_NS6detail17trampoline_kernelINS0_14default_configENS1_35radix_sort_onesweep_config_selectorIfNS0_10empty_typeEEEZZNS1_29radix_sort_onesweep_iterationIS3_Lb0EN6thrust23THRUST_200600_302600_NS6detail15normal_iteratorINS9_10device_ptrIfEEEESE_PS5_SF_jNS0_19identity_decomposerENS1_16block_id_wrapperIjLb0EEEEE10hipError_tT1_PNSt15iterator_traitsISK_E10value_typeET2_T3_PNSL_ISQ_E10value_typeET4_T5_PSV_SW_PNS1_23onesweep_lookback_stateEbbT6_jjT7_P12ihipStream_tbENKUlT_T0_SK_SP_E_clISE_PfSF_SF_EEDaS13_S14_SK_SP_EUlS13_E_NS1_11comp_targetILNS1_3genE6ELNS1_11target_archE950ELNS1_3gpuE13ELNS1_3repE0EEENS1_47radix_sort_onesweep_sort_config_static_selectorELNS0_4arch9wavefront6targetE0EEEvSK_,comdat
.Lfunc_end596:
	.size	_ZN7rocprim17ROCPRIM_400000_NS6detail17trampoline_kernelINS0_14default_configENS1_35radix_sort_onesweep_config_selectorIfNS0_10empty_typeEEEZZNS1_29radix_sort_onesweep_iterationIS3_Lb0EN6thrust23THRUST_200600_302600_NS6detail15normal_iteratorINS9_10device_ptrIfEEEESE_PS5_SF_jNS0_19identity_decomposerENS1_16block_id_wrapperIjLb0EEEEE10hipError_tT1_PNSt15iterator_traitsISK_E10value_typeET2_T3_PNSL_ISQ_E10value_typeET4_T5_PSV_SW_PNS1_23onesweep_lookback_stateEbbT6_jjT7_P12ihipStream_tbENKUlT_T0_SK_SP_E_clISE_PfSF_SF_EEDaS13_S14_SK_SP_EUlS13_E_NS1_11comp_targetILNS1_3genE6ELNS1_11target_archE950ELNS1_3gpuE13ELNS1_3repE0EEENS1_47radix_sort_onesweep_sort_config_static_selectorELNS0_4arch9wavefront6targetE0EEEvSK_, .Lfunc_end596-_ZN7rocprim17ROCPRIM_400000_NS6detail17trampoline_kernelINS0_14default_configENS1_35radix_sort_onesweep_config_selectorIfNS0_10empty_typeEEEZZNS1_29radix_sort_onesweep_iterationIS3_Lb0EN6thrust23THRUST_200600_302600_NS6detail15normal_iteratorINS9_10device_ptrIfEEEESE_PS5_SF_jNS0_19identity_decomposerENS1_16block_id_wrapperIjLb0EEEEE10hipError_tT1_PNSt15iterator_traitsISK_E10value_typeET2_T3_PNSL_ISQ_E10value_typeET4_T5_PSV_SW_PNS1_23onesweep_lookback_stateEbbT6_jjT7_P12ihipStream_tbENKUlT_T0_SK_SP_E_clISE_PfSF_SF_EEDaS13_S14_SK_SP_EUlS13_E_NS1_11comp_targetILNS1_3genE6ELNS1_11target_archE950ELNS1_3gpuE13ELNS1_3repE0EEENS1_47radix_sort_onesweep_sort_config_static_selectorELNS0_4arch9wavefront6targetE0EEEvSK_
                                        ; -- End function
	.set _ZN7rocprim17ROCPRIM_400000_NS6detail17trampoline_kernelINS0_14default_configENS1_35radix_sort_onesweep_config_selectorIfNS0_10empty_typeEEEZZNS1_29radix_sort_onesweep_iterationIS3_Lb0EN6thrust23THRUST_200600_302600_NS6detail15normal_iteratorINS9_10device_ptrIfEEEESE_PS5_SF_jNS0_19identity_decomposerENS1_16block_id_wrapperIjLb0EEEEE10hipError_tT1_PNSt15iterator_traitsISK_E10value_typeET2_T3_PNSL_ISQ_E10value_typeET4_T5_PSV_SW_PNS1_23onesweep_lookback_stateEbbT6_jjT7_P12ihipStream_tbENKUlT_T0_SK_SP_E_clISE_PfSF_SF_EEDaS13_S14_SK_SP_EUlS13_E_NS1_11comp_targetILNS1_3genE6ELNS1_11target_archE950ELNS1_3gpuE13ELNS1_3repE0EEENS1_47radix_sort_onesweep_sort_config_static_selectorELNS0_4arch9wavefront6targetE0EEEvSK_.num_vgpr, 0
	.set _ZN7rocprim17ROCPRIM_400000_NS6detail17trampoline_kernelINS0_14default_configENS1_35radix_sort_onesweep_config_selectorIfNS0_10empty_typeEEEZZNS1_29radix_sort_onesweep_iterationIS3_Lb0EN6thrust23THRUST_200600_302600_NS6detail15normal_iteratorINS9_10device_ptrIfEEEESE_PS5_SF_jNS0_19identity_decomposerENS1_16block_id_wrapperIjLb0EEEEE10hipError_tT1_PNSt15iterator_traitsISK_E10value_typeET2_T3_PNSL_ISQ_E10value_typeET4_T5_PSV_SW_PNS1_23onesweep_lookback_stateEbbT6_jjT7_P12ihipStream_tbENKUlT_T0_SK_SP_E_clISE_PfSF_SF_EEDaS13_S14_SK_SP_EUlS13_E_NS1_11comp_targetILNS1_3genE6ELNS1_11target_archE950ELNS1_3gpuE13ELNS1_3repE0EEENS1_47radix_sort_onesweep_sort_config_static_selectorELNS0_4arch9wavefront6targetE0EEEvSK_.num_agpr, 0
	.set _ZN7rocprim17ROCPRIM_400000_NS6detail17trampoline_kernelINS0_14default_configENS1_35radix_sort_onesweep_config_selectorIfNS0_10empty_typeEEEZZNS1_29radix_sort_onesweep_iterationIS3_Lb0EN6thrust23THRUST_200600_302600_NS6detail15normal_iteratorINS9_10device_ptrIfEEEESE_PS5_SF_jNS0_19identity_decomposerENS1_16block_id_wrapperIjLb0EEEEE10hipError_tT1_PNSt15iterator_traitsISK_E10value_typeET2_T3_PNSL_ISQ_E10value_typeET4_T5_PSV_SW_PNS1_23onesweep_lookback_stateEbbT6_jjT7_P12ihipStream_tbENKUlT_T0_SK_SP_E_clISE_PfSF_SF_EEDaS13_S14_SK_SP_EUlS13_E_NS1_11comp_targetILNS1_3genE6ELNS1_11target_archE950ELNS1_3gpuE13ELNS1_3repE0EEENS1_47radix_sort_onesweep_sort_config_static_selectorELNS0_4arch9wavefront6targetE0EEEvSK_.numbered_sgpr, 0
	.set _ZN7rocprim17ROCPRIM_400000_NS6detail17trampoline_kernelINS0_14default_configENS1_35radix_sort_onesweep_config_selectorIfNS0_10empty_typeEEEZZNS1_29radix_sort_onesweep_iterationIS3_Lb0EN6thrust23THRUST_200600_302600_NS6detail15normal_iteratorINS9_10device_ptrIfEEEESE_PS5_SF_jNS0_19identity_decomposerENS1_16block_id_wrapperIjLb0EEEEE10hipError_tT1_PNSt15iterator_traitsISK_E10value_typeET2_T3_PNSL_ISQ_E10value_typeET4_T5_PSV_SW_PNS1_23onesweep_lookback_stateEbbT6_jjT7_P12ihipStream_tbENKUlT_T0_SK_SP_E_clISE_PfSF_SF_EEDaS13_S14_SK_SP_EUlS13_E_NS1_11comp_targetILNS1_3genE6ELNS1_11target_archE950ELNS1_3gpuE13ELNS1_3repE0EEENS1_47radix_sort_onesweep_sort_config_static_selectorELNS0_4arch9wavefront6targetE0EEEvSK_.num_named_barrier, 0
	.set _ZN7rocprim17ROCPRIM_400000_NS6detail17trampoline_kernelINS0_14default_configENS1_35radix_sort_onesweep_config_selectorIfNS0_10empty_typeEEEZZNS1_29radix_sort_onesweep_iterationIS3_Lb0EN6thrust23THRUST_200600_302600_NS6detail15normal_iteratorINS9_10device_ptrIfEEEESE_PS5_SF_jNS0_19identity_decomposerENS1_16block_id_wrapperIjLb0EEEEE10hipError_tT1_PNSt15iterator_traitsISK_E10value_typeET2_T3_PNSL_ISQ_E10value_typeET4_T5_PSV_SW_PNS1_23onesweep_lookback_stateEbbT6_jjT7_P12ihipStream_tbENKUlT_T0_SK_SP_E_clISE_PfSF_SF_EEDaS13_S14_SK_SP_EUlS13_E_NS1_11comp_targetILNS1_3genE6ELNS1_11target_archE950ELNS1_3gpuE13ELNS1_3repE0EEENS1_47radix_sort_onesweep_sort_config_static_selectorELNS0_4arch9wavefront6targetE0EEEvSK_.private_seg_size, 0
	.set _ZN7rocprim17ROCPRIM_400000_NS6detail17trampoline_kernelINS0_14default_configENS1_35radix_sort_onesweep_config_selectorIfNS0_10empty_typeEEEZZNS1_29radix_sort_onesweep_iterationIS3_Lb0EN6thrust23THRUST_200600_302600_NS6detail15normal_iteratorINS9_10device_ptrIfEEEESE_PS5_SF_jNS0_19identity_decomposerENS1_16block_id_wrapperIjLb0EEEEE10hipError_tT1_PNSt15iterator_traitsISK_E10value_typeET2_T3_PNSL_ISQ_E10value_typeET4_T5_PSV_SW_PNS1_23onesweep_lookback_stateEbbT6_jjT7_P12ihipStream_tbENKUlT_T0_SK_SP_E_clISE_PfSF_SF_EEDaS13_S14_SK_SP_EUlS13_E_NS1_11comp_targetILNS1_3genE6ELNS1_11target_archE950ELNS1_3gpuE13ELNS1_3repE0EEENS1_47radix_sort_onesweep_sort_config_static_selectorELNS0_4arch9wavefront6targetE0EEEvSK_.uses_vcc, 0
	.set _ZN7rocprim17ROCPRIM_400000_NS6detail17trampoline_kernelINS0_14default_configENS1_35radix_sort_onesweep_config_selectorIfNS0_10empty_typeEEEZZNS1_29radix_sort_onesweep_iterationIS3_Lb0EN6thrust23THRUST_200600_302600_NS6detail15normal_iteratorINS9_10device_ptrIfEEEESE_PS5_SF_jNS0_19identity_decomposerENS1_16block_id_wrapperIjLb0EEEEE10hipError_tT1_PNSt15iterator_traitsISK_E10value_typeET2_T3_PNSL_ISQ_E10value_typeET4_T5_PSV_SW_PNS1_23onesweep_lookback_stateEbbT6_jjT7_P12ihipStream_tbENKUlT_T0_SK_SP_E_clISE_PfSF_SF_EEDaS13_S14_SK_SP_EUlS13_E_NS1_11comp_targetILNS1_3genE6ELNS1_11target_archE950ELNS1_3gpuE13ELNS1_3repE0EEENS1_47radix_sort_onesweep_sort_config_static_selectorELNS0_4arch9wavefront6targetE0EEEvSK_.uses_flat_scratch, 0
	.set _ZN7rocprim17ROCPRIM_400000_NS6detail17trampoline_kernelINS0_14default_configENS1_35radix_sort_onesweep_config_selectorIfNS0_10empty_typeEEEZZNS1_29radix_sort_onesweep_iterationIS3_Lb0EN6thrust23THRUST_200600_302600_NS6detail15normal_iteratorINS9_10device_ptrIfEEEESE_PS5_SF_jNS0_19identity_decomposerENS1_16block_id_wrapperIjLb0EEEEE10hipError_tT1_PNSt15iterator_traitsISK_E10value_typeET2_T3_PNSL_ISQ_E10value_typeET4_T5_PSV_SW_PNS1_23onesweep_lookback_stateEbbT6_jjT7_P12ihipStream_tbENKUlT_T0_SK_SP_E_clISE_PfSF_SF_EEDaS13_S14_SK_SP_EUlS13_E_NS1_11comp_targetILNS1_3genE6ELNS1_11target_archE950ELNS1_3gpuE13ELNS1_3repE0EEENS1_47radix_sort_onesweep_sort_config_static_selectorELNS0_4arch9wavefront6targetE0EEEvSK_.has_dyn_sized_stack, 0
	.set _ZN7rocprim17ROCPRIM_400000_NS6detail17trampoline_kernelINS0_14default_configENS1_35radix_sort_onesweep_config_selectorIfNS0_10empty_typeEEEZZNS1_29radix_sort_onesweep_iterationIS3_Lb0EN6thrust23THRUST_200600_302600_NS6detail15normal_iteratorINS9_10device_ptrIfEEEESE_PS5_SF_jNS0_19identity_decomposerENS1_16block_id_wrapperIjLb0EEEEE10hipError_tT1_PNSt15iterator_traitsISK_E10value_typeET2_T3_PNSL_ISQ_E10value_typeET4_T5_PSV_SW_PNS1_23onesweep_lookback_stateEbbT6_jjT7_P12ihipStream_tbENKUlT_T0_SK_SP_E_clISE_PfSF_SF_EEDaS13_S14_SK_SP_EUlS13_E_NS1_11comp_targetILNS1_3genE6ELNS1_11target_archE950ELNS1_3gpuE13ELNS1_3repE0EEENS1_47radix_sort_onesweep_sort_config_static_selectorELNS0_4arch9wavefront6targetE0EEEvSK_.has_recursion, 0
	.set _ZN7rocprim17ROCPRIM_400000_NS6detail17trampoline_kernelINS0_14default_configENS1_35radix_sort_onesweep_config_selectorIfNS0_10empty_typeEEEZZNS1_29radix_sort_onesweep_iterationIS3_Lb0EN6thrust23THRUST_200600_302600_NS6detail15normal_iteratorINS9_10device_ptrIfEEEESE_PS5_SF_jNS0_19identity_decomposerENS1_16block_id_wrapperIjLb0EEEEE10hipError_tT1_PNSt15iterator_traitsISK_E10value_typeET2_T3_PNSL_ISQ_E10value_typeET4_T5_PSV_SW_PNS1_23onesweep_lookback_stateEbbT6_jjT7_P12ihipStream_tbENKUlT_T0_SK_SP_E_clISE_PfSF_SF_EEDaS13_S14_SK_SP_EUlS13_E_NS1_11comp_targetILNS1_3genE6ELNS1_11target_archE950ELNS1_3gpuE13ELNS1_3repE0EEENS1_47radix_sort_onesweep_sort_config_static_selectorELNS0_4arch9wavefront6targetE0EEEvSK_.has_indirect_call, 0
	.section	.AMDGPU.csdata,"",@progbits
; Kernel info:
; codeLenInByte = 0
; TotalNumSgprs: 0
; NumVgprs: 0
; ScratchSize: 0
; MemoryBound: 0
; FloatMode: 240
; IeeeMode: 1
; LDSByteSize: 0 bytes/workgroup (compile time only)
; SGPRBlocks: 0
; VGPRBlocks: 0
; NumSGPRsForWavesPerEU: 1
; NumVGPRsForWavesPerEU: 1
; Occupancy: 16
; WaveLimiterHint : 0
; COMPUTE_PGM_RSRC2:SCRATCH_EN: 0
; COMPUTE_PGM_RSRC2:USER_SGPR: 6
; COMPUTE_PGM_RSRC2:TRAP_HANDLER: 0
; COMPUTE_PGM_RSRC2:TGID_X_EN: 1
; COMPUTE_PGM_RSRC2:TGID_Y_EN: 0
; COMPUTE_PGM_RSRC2:TGID_Z_EN: 0
; COMPUTE_PGM_RSRC2:TIDIG_COMP_CNT: 0
	.section	.text._ZN7rocprim17ROCPRIM_400000_NS6detail17trampoline_kernelINS0_14default_configENS1_35radix_sort_onesweep_config_selectorIfNS0_10empty_typeEEEZZNS1_29radix_sort_onesweep_iterationIS3_Lb0EN6thrust23THRUST_200600_302600_NS6detail15normal_iteratorINS9_10device_ptrIfEEEESE_PS5_SF_jNS0_19identity_decomposerENS1_16block_id_wrapperIjLb0EEEEE10hipError_tT1_PNSt15iterator_traitsISK_E10value_typeET2_T3_PNSL_ISQ_E10value_typeET4_T5_PSV_SW_PNS1_23onesweep_lookback_stateEbbT6_jjT7_P12ihipStream_tbENKUlT_T0_SK_SP_E_clISE_PfSF_SF_EEDaS13_S14_SK_SP_EUlS13_E_NS1_11comp_targetILNS1_3genE5ELNS1_11target_archE942ELNS1_3gpuE9ELNS1_3repE0EEENS1_47radix_sort_onesweep_sort_config_static_selectorELNS0_4arch9wavefront6targetE0EEEvSK_,"axG",@progbits,_ZN7rocprim17ROCPRIM_400000_NS6detail17trampoline_kernelINS0_14default_configENS1_35radix_sort_onesweep_config_selectorIfNS0_10empty_typeEEEZZNS1_29radix_sort_onesweep_iterationIS3_Lb0EN6thrust23THRUST_200600_302600_NS6detail15normal_iteratorINS9_10device_ptrIfEEEESE_PS5_SF_jNS0_19identity_decomposerENS1_16block_id_wrapperIjLb0EEEEE10hipError_tT1_PNSt15iterator_traitsISK_E10value_typeET2_T3_PNSL_ISQ_E10value_typeET4_T5_PSV_SW_PNS1_23onesweep_lookback_stateEbbT6_jjT7_P12ihipStream_tbENKUlT_T0_SK_SP_E_clISE_PfSF_SF_EEDaS13_S14_SK_SP_EUlS13_E_NS1_11comp_targetILNS1_3genE5ELNS1_11target_archE942ELNS1_3gpuE9ELNS1_3repE0EEENS1_47radix_sort_onesweep_sort_config_static_selectorELNS0_4arch9wavefront6targetE0EEEvSK_,comdat
	.protected	_ZN7rocprim17ROCPRIM_400000_NS6detail17trampoline_kernelINS0_14default_configENS1_35radix_sort_onesweep_config_selectorIfNS0_10empty_typeEEEZZNS1_29radix_sort_onesweep_iterationIS3_Lb0EN6thrust23THRUST_200600_302600_NS6detail15normal_iteratorINS9_10device_ptrIfEEEESE_PS5_SF_jNS0_19identity_decomposerENS1_16block_id_wrapperIjLb0EEEEE10hipError_tT1_PNSt15iterator_traitsISK_E10value_typeET2_T3_PNSL_ISQ_E10value_typeET4_T5_PSV_SW_PNS1_23onesweep_lookback_stateEbbT6_jjT7_P12ihipStream_tbENKUlT_T0_SK_SP_E_clISE_PfSF_SF_EEDaS13_S14_SK_SP_EUlS13_E_NS1_11comp_targetILNS1_3genE5ELNS1_11target_archE942ELNS1_3gpuE9ELNS1_3repE0EEENS1_47radix_sort_onesweep_sort_config_static_selectorELNS0_4arch9wavefront6targetE0EEEvSK_ ; -- Begin function _ZN7rocprim17ROCPRIM_400000_NS6detail17trampoline_kernelINS0_14default_configENS1_35radix_sort_onesweep_config_selectorIfNS0_10empty_typeEEEZZNS1_29radix_sort_onesweep_iterationIS3_Lb0EN6thrust23THRUST_200600_302600_NS6detail15normal_iteratorINS9_10device_ptrIfEEEESE_PS5_SF_jNS0_19identity_decomposerENS1_16block_id_wrapperIjLb0EEEEE10hipError_tT1_PNSt15iterator_traitsISK_E10value_typeET2_T3_PNSL_ISQ_E10value_typeET4_T5_PSV_SW_PNS1_23onesweep_lookback_stateEbbT6_jjT7_P12ihipStream_tbENKUlT_T0_SK_SP_E_clISE_PfSF_SF_EEDaS13_S14_SK_SP_EUlS13_E_NS1_11comp_targetILNS1_3genE5ELNS1_11target_archE942ELNS1_3gpuE9ELNS1_3repE0EEENS1_47radix_sort_onesweep_sort_config_static_selectorELNS0_4arch9wavefront6targetE0EEEvSK_
	.globl	_ZN7rocprim17ROCPRIM_400000_NS6detail17trampoline_kernelINS0_14default_configENS1_35radix_sort_onesweep_config_selectorIfNS0_10empty_typeEEEZZNS1_29radix_sort_onesweep_iterationIS3_Lb0EN6thrust23THRUST_200600_302600_NS6detail15normal_iteratorINS9_10device_ptrIfEEEESE_PS5_SF_jNS0_19identity_decomposerENS1_16block_id_wrapperIjLb0EEEEE10hipError_tT1_PNSt15iterator_traitsISK_E10value_typeET2_T3_PNSL_ISQ_E10value_typeET4_T5_PSV_SW_PNS1_23onesweep_lookback_stateEbbT6_jjT7_P12ihipStream_tbENKUlT_T0_SK_SP_E_clISE_PfSF_SF_EEDaS13_S14_SK_SP_EUlS13_E_NS1_11comp_targetILNS1_3genE5ELNS1_11target_archE942ELNS1_3gpuE9ELNS1_3repE0EEENS1_47radix_sort_onesweep_sort_config_static_selectorELNS0_4arch9wavefront6targetE0EEEvSK_
	.p2align	8
	.type	_ZN7rocprim17ROCPRIM_400000_NS6detail17trampoline_kernelINS0_14default_configENS1_35radix_sort_onesweep_config_selectorIfNS0_10empty_typeEEEZZNS1_29radix_sort_onesweep_iterationIS3_Lb0EN6thrust23THRUST_200600_302600_NS6detail15normal_iteratorINS9_10device_ptrIfEEEESE_PS5_SF_jNS0_19identity_decomposerENS1_16block_id_wrapperIjLb0EEEEE10hipError_tT1_PNSt15iterator_traitsISK_E10value_typeET2_T3_PNSL_ISQ_E10value_typeET4_T5_PSV_SW_PNS1_23onesweep_lookback_stateEbbT6_jjT7_P12ihipStream_tbENKUlT_T0_SK_SP_E_clISE_PfSF_SF_EEDaS13_S14_SK_SP_EUlS13_E_NS1_11comp_targetILNS1_3genE5ELNS1_11target_archE942ELNS1_3gpuE9ELNS1_3repE0EEENS1_47radix_sort_onesweep_sort_config_static_selectorELNS0_4arch9wavefront6targetE0EEEvSK_,@function
_ZN7rocprim17ROCPRIM_400000_NS6detail17trampoline_kernelINS0_14default_configENS1_35radix_sort_onesweep_config_selectorIfNS0_10empty_typeEEEZZNS1_29radix_sort_onesweep_iterationIS3_Lb0EN6thrust23THRUST_200600_302600_NS6detail15normal_iteratorINS9_10device_ptrIfEEEESE_PS5_SF_jNS0_19identity_decomposerENS1_16block_id_wrapperIjLb0EEEEE10hipError_tT1_PNSt15iterator_traitsISK_E10value_typeET2_T3_PNSL_ISQ_E10value_typeET4_T5_PSV_SW_PNS1_23onesweep_lookback_stateEbbT6_jjT7_P12ihipStream_tbENKUlT_T0_SK_SP_E_clISE_PfSF_SF_EEDaS13_S14_SK_SP_EUlS13_E_NS1_11comp_targetILNS1_3genE5ELNS1_11target_archE942ELNS1_3gpuE9ELNS1_3repE0EEENS1_47radix_sort_onesweep_sort_config_static_selectorELNS0_4arch9wavefront6targetE0EEEvSK_: ; @_ZN7rocprim17ROCPRIM_400000_NS6detail17trampoline_kernelINS0_14default_configENS1_35radix_sort_onesweep_config_selectorIfNS0_10empty_typeEEEZZNS1_29radix_sort_onesweep_iterationIS3_Lb0EN6thrust23THRUST_200600_302600_NS6detail15normal_iteratorINS9_10device_ptrIfEEEESE_PS5_SF_jNS0_19identity_decomposerENS1_16block_id_wrapperIjLb0EEEEE10hipError_tT1_PNSt15iterator_traitsISK_E10value_typeET2_T3_PNSL_ISQ_E10value_typeET4_T5_PSV_SW_PNS1_23onesweep_lookback_stateEbbT6_jjT7_P12ihipStream_tbENKUlT_T0_SK_SP_E_clISE_PfSF_SF_EEDaS13_S14_SK_SP_EUlS13_E_NS1_11comp_targetILNS1_3genE5ELNS1_11target_archE942ELNS1_3gpuE9ELNS1_3repE0EEENS1_47radix_sort_onesweep_sort_config_static_selectorELNS0_4arch9wavefront6targetE0EEEvSK_
; %bb.0:
	.section	.rodata,"a",@progbits
	.p2align	6, 0x0
	.amdhsa_kernel _ZN7rocprim17ROCPRIM_400000_NS6detail17trampoline_kernelINS0_14default_configENS1_35radix_sort_onesweep_config_selectorIfNS0_10empty_typeEEEZZNS1_29radix_sort_onesweep_iterationIS3_Lb0EN6thrust23THRUST_200600_302600_NS6detail15normal_iteratorINS9_10device_ptrIfEEEESE_PS5_SF_jNS0_19identity_decomposerENS1_16block_id_wrapperIjLb0EEEEE10hipError_tT1_PNSt15iterator_traitsISK_E10value_typeET2_T3_PNSL_ISQ_E10value_typeET4_T5_PSV_SW_PNS1_23onesweep_lookback_stateEbbT6_jjT7_P12ihipStream_tbENKUlT_T0_SK_SP_E_clISE_PfSF_SF_EEDaS13_S14_SK_SP_EUlS13_E_NS1_11comp_targetILNS1_3genE5ELNS1_11target_archE942ELNS1_3gpuE9ELNS1_3repE0EEENS1_47radix_sort_onesweep_sort_config_static_selectorELNS0_4arch9wavefront6targetE0EEEvSK_
		.amdhsa_group_segment_fixed_size 0
		.amdhsa_private_segment_fixed_size 0
		.amdhsa_kernarg_size 88
		.amdhsa_user_sgpr_count 6
		.amdhsa_user_sgpr_private_segment_buffer 1
		.amdhsa_user_sgpr_dispatch_ptr 0
		.amdhsa_user_sgpr_queue_ptr 0
		.amdhsa_user_sgpr_kernarg_segment_ptr 1
		.amdhsa_user_sgpr_dispatch_id 0
		.amdhsa_user_sgpr_flat_scratch_init 0
		.amdhsa_user_sgpr_private_segment_size 0
		.amdhsa_wavefront_size32 1
		.amdhsa_uses_dynamic_stack 0
		.amdhsa_system_sgpr_private_segment_wavefront_offset 0
		.amdhsa_system_sgpr_workgroup_id_x 1
		.amdhsa_system_sgpr_workgroup_id_y 0
		.amdhsa_system_sgpr_workgroup_id_z 0
		.amdhsa_system_sgpr_workgroup_info 0
		.amdhsa_system_vgpr_workitem_id 0
		.amdhsa_next_free_vgpr 1
		.amdhsa_next_free_sgpr 1
		.amdhsa_reserve_vcc 0
		.amdhsa_reserve_flat_scratch 0
		.amdhsa_float_round_mode_32 0
		.amdhsa_float_round_mode_16_64 0
		.amdhsa_float_denorm_mode_32 3
		.amdhsa_float_denorm_mode_16_64 3
		.amdhsa_dx10_clamp 1
		.amdhsa_ieee_mode 1
		.amdhsa_fp16_overflow 0
		.amdhsa_workgroup_processor_mode 1
		.amdhsa_memory_ordered 1
		.amdhsa_forward_progress 1
		.amdhsa_shared_vgpr_count 0
		.amdhsa_exception_fp_ieee_invalid_op 0
		.amdhsa_exception_fp_denorm_src 0
		.amdhsa_exception_fp_ieee_div_zero 0
		.amdhsa_exception_fp_ieee_overflow 0
		.amdhsa_exception_fp_ieee_underflow 0
		.amdhsa_exception_fp_ieee_inexact 0
		.amdhsa_exception_int_div_zero 0
	.end_amdhsa_kernel
	.section	.text._ZN7rocprim17ROCPRIM_400000_NS6detail17trampoline_kernelINS0_14default_configENS1_35radix_sort_onesweep_config_selectorIfNS0_10empty_typeEEEZZNS1_29radix_sort_onesweep_iterationIS3_Lb0EN6thrust23THRUST_200600_302600_NS6detail15normal_iteratorINS9_10device_ptrIfEEEESE_PS5_SF_jNS0_19identity_decomposerENS1_16block_id_wrapperIjLb0EEEEE10hipError_tT1_PNSt15iterator_traitsISK_E10value_typeET2_T3_PNSL_ISQ_E10value_typeET4_T5_PSV_SW_PNS1_23onesweep_lookback_stateEbbT6_jjT7_P12ihipStream_tbENKUlT_T0_SK_SP_E_clISE_PfSF_SF_EEDaS13_S14_SK_SP_EUlS13_E_NS1_11comp_targetILNS1_3genE5ELNS1_11target_archE942ELNS1_3gpuE9ELNS1_3repE0EEENS1_47radix_sort_onesweep_sort_config_static_selectorELNS0_4arch9wavefront6targetE0EEEvSK_,"axG",@progbits,_ZN7rocprim17ROCPRIM_400000_NS6detail17trampoline_kernelINS0_14default_configENS1_35radix_sort_onesweep_config_selectorIfNS0_10empty_typeEEEZZNS1_29radix_sort_onesweep_iterationIS3_Lb0EN6thrust23THRUST_200600_302600_NS6detail15normal_iteratorINS9_10device_ptrIfEEEESE_PS5_SF_jNS0_19identity_decomposerENS1_16block_id_wrapperIjLb0EEEEE10hipError_tT1_PNSt15iterator_traitsISK_E10value_typeET2_T3_PNSL_ISQ_E10value_typeET4_T5_PSV_SW_PNS1_23onesweep_lookback_stateEbbT6_jjT7_P12ihipStream_tbENKUlT_T0_SK_SP_E_clISE_PfSF_SF_EEDaS13_S14_SK_SP_EUlS13_E_NS1_11comp_targetILNS1_3genE5ELNS1_11target_archE942ELNS1_3gpuE9ELNS1_3repE0EEENS1_47radix_sort_onesweep_sort_config_static_selectorELNS0_4arch9wavefront6targetE0EEEvSK_,comdat
.Lfunc_end597:
	.size	_ZN7rocprim17ROCPRIM_400000_NS6detail17trampoline_kernelINS0_14default_configENS1_35radix_sort_onesweep_config_selectorIfNS0_10empty_typeEEEZZNS1_29radix_sort_onesweep_iterationIS3_Lb0EN6thrust23THRUST_200600_302600_NS6detail15normal_iteratorINS9_10device_ptrIfEEEESE_PS5_SF_jNS0_19identity_decomposerENS1_16block_id_wrapperIjLb0EEEEE10hipError_tT1_PNSt15iterator_traitsISK_E10value_typeET2_T3_PNSL_ISQ_E10value_typeET4_T5_PSV_SW_PNS1_23onesweep_lookback_stateEbbT6_jjT7_P12ihipStream_tbENKUlT_T0_SK_SP_E_clISE_PfSF_SF_EEDaS13_S14_SK_SP_EUlS13_E_NS1_11comp_targetILNS1_3genE5ELNS1_11target_archE942ELNS1_3gpuE9ELNS1_3repE0EEENS1_47radix_sort_onesweep_sort_config_static_selectorELNS0_4arch9wavefront6targetE0EEEvSK_, .Lfunc_end597-_ZN7rocprim17ROCPRIM_400000_NS6detail17trampoline_kernelINS0_14default_configENS1_35radix_sort_onesweep_config_selectorIfNS0_10empty_typeEEEZZNS1_29radix_sort_onesweep_iterationIS3_Lb0EN6thrust23THRUST_200600_302600_NS6detail15normal_iteratorINS9_10device_ptrIfEEEESE_PS5_SF_jNS0_19identity_decomposerENS1_16block_id_wrapperIjLb0EEEEE10hipError_tT1_PNSt15iterator_traitsISK_E10value_typeET2_T3_PNSL_ISQ_E10value_typeET4_T5_PSV_SW_PNS1_23onesweep_lookback_stateEbbT6_jjT7_P12ihipStream_tbENKUlT_T0_SK_SP_E_clISE_PfSF_SF_EEDaS13_S14_SK_SP_EUlS13_E_NS1_11comp_targetILNS1_3genE5ELNS1_11target_archE942ELNS1_3gpuE9ELNS1_3repE0EEENS1_47radix_sort_onesweep_sort_config_static_selectorELNS0_4arch9wavefront6targetE0EEEvSK_
                                        ; -- End function
	.set _ZN7rocprim17ROCPRIM_400000_NS6detail17trampoline_kernelINS0_14default_configENS1_35radix_sort_onesweep_config_selectorIfNS0_10empty_typeEEEZZNS1_29radix_sort_onesweep_iterationIS3_Lb0EN6thrust23THRUST_200600_302600_NS6detail15normal_iteratorINS9_10device_ptrIfEEEESE_PS5_SF_jNS0_19identity_decomposerENS1_16block_id_wrapperIjLb0EEEEE10hipError_tT1_PNSt15iterator_traitsISK_E10value_typeET2_T3_PNSL_ISQ_E10value_typeET4_T5_PSV_SW_PNS1_23onesweep_lookback_stateEbbT6_jjT7_P12ihipStream_tbENKUlT_T0_SK_SP_E_clISE_PfSF_SF_EEDaS13_S14_SK_SP_EUlS13_E_NS1_11comp_targetILNS1_3genE5ELNS1_11target_archE942ELNS1_3gpuE9ELNS1_3repE0EEENS1_47radix_sort_onesweep_sort_config_static_selectorELNS0_4arch9wavefront6targetE0EEEvSK_.num_vgpr, 0
	.set _ZN7rocprim17ROCPRIM_400000_NS6detail17trampoline_kernelINS0_14default_configENS1_35radix_sort_onesweep_config_selectorIfNS0_10empty_typeEEEZZNS1_29radix_sort_onesweep_iterationIS3_Lb0EN6thrust23THRUST_200600_302600_NS6detail15normal_iteratorINS9_10device_ptrIfEEEESE_PS5_SF_jNS0_19identity_decomposerENS1_16block_id_wrapperIjLb0EEEEE10hipError_tT1_PNSt15iterator_traitsISK_E10value_typeET2_T3_PNSL_ISQ_E10value_typeET4_T5_PSV_SW_PNS1_23onesweep_lookback_stateEbbT6_jjT7_P12ihipStream_tbENKUlT_T0_SK_SP_E_clISE_PfSF_SF_EEDaS13_S14_SK_SP_EUlS13_E_NS1_11comp_targetILNS1_3genE5ELNS1_11target_archE942ELNS1_3gpuE9ELNS1_3repE0EEENS1_47radix_sort_onesweep_sort_config_static_selectorELNS0_4arch9wavefront6targetE0EEEvSK_.num_agpr, 0
	.set _ZN7rocprim17ROCPRIM_400000_NS6detail17trampoline_kernelINS0_14default_configENS1_35radix_sort_onesweep_config_selectorIfNS0_10empty_typeEEEZZNS1_29radix_sort_onesweep_iterationIS3_Lb0EN6thrust23THRUST_200600_302600_NS6detail15normal_iteratorINS9_10device_ptrIfEEEESE_PS5_SF_jNS0_19identity_decomposerENS1_16block_id_wrapperIjLb0EEEEE10hipError_tT1_PNSt15iterator_traitsISK_E10value_typeET2_T3_PNSL_ISQ_E10value_typeET4_T5_PSV_SW_PNS1_23onesweep_lookback_stateEbbT6_jjT7_P12ihipStream_tbENKUlT_T0_SK_SP_E_clISE_PfSF_SF_EEDaS13_S14_SK_SP_EUlS13_E_NS1_11comp_targetILNS1_3genE5ELNS1_11target_archE942ELNS1_3gpuE9ELNS1_3repE0EEENS1_47radix_sort_onesweep_sort_config_static_selectorELNS0_4arch9wavefront6targetE0EEEvSK_.numbered_sgpr, 0
	.set _ZN7rocprim17ROCPRIM_400000_NS6detail17trampoline_kernelINS0_14default_configENS1_35radix_sort_onesweep_config_selectorIfNS0_10empty_typeEEEZZNS1_29radix_sort_onesweep_iterationIS3_Lb0EN6thrust23THRUST_200600_302600_NS6detail15normal_iteratorINS9_10device_ptrIfEEEESE_PS5_SF_jNS0_19identity_decomposerENS1_16block_id_wrapperIjLb0EEEEE10hipError_tT1_PNSt15iterator_traitsISK_E10value_typeET2_T3_PNSL_ISQ_E10value_typeET4_T5_PSV_SW_PNS1_23onesweep_lookback_stateEbbT6_jjT7_P12ihipStream_tbENKUlT_T0_SK_SP_E_clISE_PfSF_SF_EEDaS13_S14_SK_SP_EUlS13_E_NS1_11comp_targetILNS1_3genE5ELNS1_11target_archE942ELNS1_3gpuE9ELNS1_3repE0EEENS1_47radix_sort_onesweep_sort_config_static_selectorELNS0_4arch9wavefront6targetE0EEEvSK_.num_named_barrier, 0
	.set _ZN7rocprim17ROCPRIM_400000_NS6detail17trampoline_kernelINS0_14default_configENS1_35radix_sort_onesweep_config_selectorIfNS0_10empty_typeEEEZZNS1_29radix_sort_onesweep_iterationIS3_Lb0EN6thrust23THRUST_200600_302600_NS6detail15normal_iteratorINS9_10device_ptrIfEEEESE_PS5_SF_jNS0_19identity_decomposerENS1_16block_id_wrapperIjLb0EEEEE10hipError_tT1_PNSt15iterator_traitsISK_E10value_typeET2_T3_PNSL_ISQ_E10value_typeET4_T5_PSV_SW_PNS1_23onesweep_lookback_stateEbbT6_jjT7_P12ihipStream_tbENKUlT_T0_SK_SP_E_clISE_PfSF_SF_EEDaS13_S14_SK_SP_EUlS13_E_NS1_11comp_targetILNS1_3genE5ELNS1_11target_archE942ELNS1_3gpuE9ELNS1_3repE0EEENS1_47radix_sort_onesweep_sort_config_static_selectorELNS0_4arch9wavefront6targetE0EEEvSK_.private_seg_size, 0
	.set _ZN7rocprim17ROCPRIM_400000_NS6detail17trampoline_kernelINS0_14default_configENS1_35radix_sort_onesweep_config_selectorIfNS0_10empty_typeEEEZZNS1_29radix_sort_onesweep_iterationIS3_Lb0EN6thrust23THRUST_200600_302600_NS6detail15normal_iteratorINS9_10device_ptrIfEEEESE_PS5_SF_jNS0_19identity_decomposerENS1_16block_id_wrapperIjLb0EEEEE10hipError_tT1_PNSt15iterator_traitsISK_E10value_typeET2_T3_PNSL_ISQ_E10value_typeET4_T5_PSV_SW_PNS1_23onesweep_lookback_stateEbbT6_jjT7_P12ihipStream_tbENKUlT_T0_SK_SP_E_clISE_PfSF_SF_EEDaS13_S14_SK_SP_EUlS13_E_NS1_11comp_targetILNS1_3genE5ELNS1_11target_archE942ELNS1_3gpuE9ELNS1_3repE0EEENS1_47radix_sort_onesweep_sort_config_static_selectorELNS0_4arch9wavefront6targetE0EEEvSK_.uses_vcc, 0
	.set _ZN7rocprim17ROCPRIM_400000_NS6detail17trampoline_kernelINS0_14default_configENS1_35radix_sort_onesweep_config_selectorIfNS0_10empty_typeEEEZZNS1_29radix_sort_onesweep_iterationIS3_Lb0EN6thrust23THRUST_200600_302600_NS6detail15normal_iteratorINS9_10device_ptrIfEEEESE_PS5_SF_jNS0_19identity_decomposerENS1_16block_id_wrapperIjLb0EEEEE10hipError_tT1_PNSt15iterator_traitsISK_E10value_typeET2_T3_PNSL_ISQ_E10value_typeET4_T5_PSV_SW_PNS1_23onesweep_lookback_stateEbbT6_jjT7_P12ihipStream_tbENKUlT_T0_SK_SP_E_clISE_PfSF_SF_EEDaS13_S14_SK_SP_EUlS13_E_NS1_11comp_targetILNS1_3genE5ELNS1_11target_archE942ELNS1_3gpuE9ELNS1_3repE0EEENS1_47radix_sort_onesweep_sort_config_static_selectorELNS0_4arch9wavefront6targetE0EEEvSK_.uses_flat_scratch, 0
	.set _ZN7rocprim17ROCPRIM_400000_NS6detail17trampoline_kernelINS0_14default_configENS1_35radix_sort_onesweep_config_selectorIfNS0_10empty_typeEEEZZNS1_29radix_sort_onesweep_iterationIS3_Lb0EN6thrust23THRUST_200600_302600_NS6detail15normal_iteratorINS9_10device_ptrIfEEEESE_PS5_SF_jNS0_19identity_decomposerENS1_16block_id_wrapperIjLb0EEEEE10hipError_tT1_PNSt15iterator_traitsISK_E10value_typeET2_T3_PNSL_ISQ_E10value_typeET4_T5_PSV_SW_PNS1_23onesweep_lookback_stateEbbT6_jjT7_P12ihipStream_tbENKUlT_T0_SK_SP_E_clISE_PfSF_SF_EEDaS13_S14_SK_SP_EUlS13_E_NS1_11comp_targetILNS1_3genE5ELNS1_11target_archE942ELNS1_3gpuE9ELNS1_3repE0EEENS1_47radix_sort_onesweep_sort_config_static_selectorELNS0_4arch9wavefront6targetE0EEEvSK_.has_dyn_sized_stack, 0
	.set _ZN7rocprim17ROCPRIM_400000_NS6detail17trampoline_kernelINS0_14default_configENS1_35radix_sort_onesweep_config_selectorIfNS0_10empty_typeEEEZZNS1_29radix_sort_onesweep_iterationIS3_Lb0EN6thrust23THRUST_200600_302600_NS6detail15normal_iteratorINS9_10device_ptrIfEEEESE_PS5_SF_jNS0_19identity_decomposerENS1_16block_id_wrapperIjLb0EEEEE10hipError_tT1_PNSt15iterator_traitsISK_E10value_typeET2_T3_PNSL_ISQ_E10value_typeET4_T5_PSV_SW_PNS1_23onesweep_lookback_stateEbbT6_jjT7_P12ihipStream_tbENKUlT_T0_SK_SP_E_clISE_PfSF_SF_EEDaS13_S14_SK_SP_EUlS13_E_NS1_11comp_targetILNS1_3genE5ELNS1_11target_archE942ELNS1_3gpuE9ELNS1_3repE0EEENS1_47radix_sort_onesweep_sort_config_static_selectorELNS0_4arch9wavefront6targetE0EEEvSK_.has_recursion, 0
	.set _ZN7rocprim17ROCPRIM_400000_NS6detail17trampoline_kernelINS0_14default_configENS1_35radix_sort_onesweep_config_selectorIfNS0_10empty_typeEEEZZNS1_29radix_sort_onesweep_iterationIS3_Lb0EN6thrust23THRUST_200600_302600_NS6detail15normal_iteratorINS9_10device_ptrIfEEEESE_PS5_SF_jNS0_19identity_decomposerENS1_16block_id_wrapperIjLb0EEEEE10hipError_tT1_PNSt15iterator_traitsISK_E10value_typeET2_T3_PNSL_ISQ_E10value_typeET4_T5_PSV_SW_PNS1_23onesweep_lookback_stateEbbT6_jjT7_P12ihipStream_tbENKUlT_T0_SK_SP_E_clISE_PfSF_SF_EEDaS13_S14_SK_SP_EUlS13_E_NS1_11comp_targetILNS1_3genE5ELNS1_11target_archE942ELNS1_3gpuE9ELNS1_3repE0EEENS1_47radix_sort_onesweep_sort_config_static_selectorELNS0_4arch9wavefront6targetE0EEEvSK_.has_indirect_call, 0
	.section	.AMDGPU.csdata,"",@progbits
; Kernel info:
; codeLenInByte = 0
; TotalNumSgprs: 0
; NumVgprs: 0
; ScratchSize: 0
; MemoryBound: 0
; FloatMode: 240
; IeeeMode: 1
; LDSByteSize: 0 bytes/workgroup (compile time only)
; SGPRBlocks: 0
; VGPRBlocks: 0
; NumSGPRsForWavesPerEU: 1
; NumVGPRsForWavesPerEU: 1
; Occupancy: 16
; WaveLimiterHint : 0
; COMPUTE_PGM_RSRC2:SCRATCH_EN: 0
; COMPUTE_PGM_RSRC2:USER_SGPR: 6
; COMPUTE_PGM_RSRC2:TRAP_HANDLER: 0
; COMPUTE_PGM_RSRC2:TGID_X_EN: 1
; COMPUTE_PGM_RSRC2:TGID_Y_EN: 0
; COMPUTE_PGM_RSRC2:TGID_Z_EN: 0
; COMPUTE_PGM_RSRC2:TIDIG_COMP_CNT: 0
	.section	.text._ZN7rocprim17ROCPRIM_400000_NS6detail17trampoline_kernelINS0_14default_configENS1_35radix_sort_onesweep_config_selectorIfNS0_10empty_typeEEEZZNS1_29radix_sort_onesweep_iterationIS3_Lb0EN6thrust23THRUST_200600_302600_NS6detail15normal_iteratorINS9_10device_ptrIfEEEESE_PS5_SF_jNS0_19identity_decomposerENS1_16block_id_wrapperIjLb0EEEEE10hipError_tT1_PNSt15iterator_traitsISK_E10value_typeET2_T3_PNSL_ISQ_E10value_typeET4_T5_PSV_SW_PNS1_23onesweep_lookback_stateEbbT6_jjT7_P12ihipStream_tbENKUlT_T0_SK_SP_E_clISE_PfSF_SF_EEDaS13_S14_SK_SP_EUlS13_E_NS1_11comp_targetILNS1_3genE2ELNS1_11target_archE906ELNS1_3gpuE6ELNS1_3repE0EEENS1_47radix_sort_onesweep_sort_config_static_selectorELNS0_4arch9wavefront6targetE0EEEvSK_,"axG",@progbits,_ZN7rocprim17ROCPRIM_400000_NS6detail17trampoline_kernelINS0_14default_configENS1_35radix_sort_onesweep_config_selectorIfNS0_10empty_typeEEEZZNS1_29radix_sort_onesweep_iterationIS3_Lb0EN6thrust23THRUST_200600_302600_NS6detail15normal_iteratorINS9_10device_ptrIfEEEESE_PS5_SF_jNS0_19identity_decomposerENS1_16block_id_wrapperIjLb0EEEEE10hipError_tT1_PNSt15iterator_traitsISK_E10value_typeET2_T3_PNSL_ISQ_E10value_typeET4_T5_PSV_SW_PNS1_23onesweep_lookback_stateEbbT6_jjT7_P12ihipStream_tbENKUlT_T0_SK_SP_E_clISE_PfSF_SF_EEDaS13_S14_SK_SP_EUlS13_E_NS1_11comp_targetILNS1_3genE2ELNS1_11target_archE906ELNS1_3gpuE6ELNS1_3repE0EEENS1_47radix_sort_onesweep_sort_config_static_selectorELNS0_4arch9wavefront6targetE0EEEvSK_,comdat
	.protected	_ZN7rocprim17ROCPRIM_400000_NS6detail17trampoline_kernelINS0_14default_configENS1_35radix_sort_onesweep_config_selectorIfNS0_10empty_typeEEEZZNS1_29radix_sort_onesweep_iterationIS3_Lb0EN6thrust23THRUST_200600_302600_NS6detail15normal_iteratorINS9_10device_ptrIfEEEESE_PS5_SF_jNS0_19identity_decomposerENS1_16block_id_wrapperIjLb0EEEEE10hipError_tT1_PNSt15iterator_traitsISK_E10value_typeET2_T3_PNSL_ISQ_E10value_typeET4_T5_PSV_SW_PNS1_23onesweep_lookback_stateEbbT6_jjT7_P12ihipStream_tbENKUlT_T0_SK_SP_E_clISE_PfSF_SF_EEDaS13_S14_SK_SP_EUlS13_E_NS1_11comp_targetILNS1_3genE2ELNS1_11target_archE906ELNS1_3gpuE6ELNS1_3repE0EEENS1_47radix_sort_onesweep_sort_config_static_selectorELNS0_4arch9wavefront6targetE0EEEvSK_ ; -- Begin function _ZN7rocprim17ROCPRIM_400000_NS6detail17trampoline_kernelINS0_14default_configENS1_35radix_sort_onesweep_config_selectorIfNS0_10empty_typeEEEZZNS1_29radix_sort_onesweep_iterationIS3_Lb0EN6thrust23THRUST_200600_302600_NS6detail15normal_iteratorINS9_10device_ptrIfEEEESE_PS5_SF_jNS0_19identity_decomposerENS1_16block_id_wrapperIjLb0EEEEE10hipError_tT1_PNSt15iterator_traitsISK_E10value_typeET2_T3_PNSL_ISQ_E10value_typeET4_T5_PSV_SW_PNS1_23onesweep_lookback_stateEbbT6_jjT7_P12ihipStream_tbENKUlT_T0_SK_SP_E_clISE_PfSF_SF_EEDaS13_S14_SK_SP_EUlS13_E_NS1_11comp_targetILNS1_3genE2ELNS1_11target_archE906ELNS1_3gpuE6ELNS1_3repE0EEENS1_47radix_sort_onesweep_sort_config_static_selectorELNS0_4arch9wavefront6targetE0EEEvSK_
	.globl	_ZN7rocprim17ROCPRIM_400000_NS6detail17trampoline_kernelINS0_14default_configENS1_35radix_sort_onesweep_config_selectorIfNS0_10empty_typeEEEZZNS1_29radix_sort_onesweep_iterationIS3_Lb0EN6thrust23THRUST_200600_302600_NS6detail15normal_iteratorINS9_10device_ptrIfEEEESE_PS5_SF_jNS0_19identity_decomposerENS1_16block_id_wrapperIjLb0EEEEE10hipError_tT1_PNSt15iterator_traitsISK_E10value_typeET2_T3_PNSL_ISQ_E10value_typeET4_T5_PSV_SW_PNS1_23onesweep_lookback_stateEbbT6_jjT7_P12ihipStream_tbENKUlT_T0_SK_SP_E_clISE_PfSF_SF_EEDaS13_S14_SK_SP_EUlS13_E_NS1_11comp_targetILNS1_3genE2ELNS1_11target_archE906ELNS1_3gpuE6ELNS1_3repE0EEENS1_47radix_sort_onesweep_sort_config_static_selectorELNS0_4arch9wavefront6targetE0EEEvSK_
	.p2align	8
	.type	_ZN7rocprim17ROCPRIM_400000_NS6detail17trampoline_kernelINS0_14default_configENS1_35radix_sort_onesweep_config_selectorIfNS0_10empty_typeEEEZZNS1_29radix_sort_onesweep_iterationIS3_Lb0EN6thrust23THRUST_200600_302600_NS6detail15normal_iteratorINS9_10device_ptrIfEEEESE_PS5_SF_jNS0_19identity_decomposerENS1_16block_id_wrapperIjLb0EEEEE10hipError_tT1_PNSt15iterator_traitsISK_E10value_typeET2_T3_PNSL_ISQ_E10value_typeET4_T5_PSV_SW_PNS1_23onesweep_lookback_stateEbbT6_jjT7_P12ihipStream_tbENKUlT_T0_SK_SP_E_clISE_PfSF_SF_EEDaS13_S14_SK_SP_EUlS13_E_NS1_11comp_targetILNS1_3genE2ELNS1_11target_archE906ELNS1_3gpuE6ELNS1_3repE0EEENS1_47radix_sort_onesweep_sort_config_static_selectorELNS0_4arch9wavefront6targetE0EEEvSK_,@function
_ZN7rocprim17ROCPRIM_400000_NS6detail17trampoline_kernelINS0_14default_configENS1_35radix_sort_onesweep_config_selectorIfNS0_10empty_typeEEEZZNS1_29radix_sort_onesweep_iterationIS3_Lb0EN6thrust23THRUST_200600_302600_NS6detail15normal_iteratorINS9_10device_ptrIfEEEESE_PS5_SF_jNS0_19identity_decomposerENS1_16block_id_wrapperIjLb0EEEEE10hipError_tT1_PNSt15iterator_traitsISK_E10value_typeET2_T3_PNSL_ISQ_E10value_typeET4_T5_PSV_SW_PNS1_23onesweep_lookback_stateEbbT6_jjT7_P12ihipStream_tbENKUlT_T0_SK_SP_E_clISE_PfSF_SF_EEDaS13_S14_SK_SP_EUlS13_E_NS1_11comp_targetILNS1_3genE2ELNS1_11target_archE906ELNS1_3gpuE6ELNS1_3repE0EEENS1_47radix_sort_onesweep_sort_config_static_selectorELNS0_4arch9wavefront6targetE0EEEvSK_: ; @_ZN7rocprim17ROCPRIM_400000_NS6detail17trampoline_kernelINS0_14default_configENS1_35radix_sort_onesweep_config_selectorIfNS0_10empty_typeEEEZZNS1_29radix_sort_onesweep_iterationIS3_Lb0EN6thrust23THRUST_200600_302600_NS6detail15normal_iteratorINS9_10device_ptrIfEEEESE_PS5_SF_jNS0_19identity_decomposerENS1_16block_id_wrapperIjLb0EEEEE10hipError_tT1_PNSt15iterator_traitsISK_E10value_typeET2_T3_PNSL_ISQ_E10value_typeET4_T5_PSV_SW_PNS1_23onesweep_lookback_stateEbbT6_jjT7_P12ihipStream_tbENKUlT_T0_SK_SP_E_clISE_PfSF_SF_EEDaS13_S14_SK_SP_EUlS13_E_NS1_11comp_targetILNS1_3genE2ELNS1_11target_archE906ELNS1_3gpuE6ELNS1_3repE0EEENS1_47radix_sort_onesweep_sort_config_static_selectorELNS0_4arch9wavefront6targetE0EEEvSK_
; %bb.0:
	.section	.rodata,"a",@progbits
	.p2align	6, 0x0
	.amdhsa_kernel _ZN7rocprim17ROCPRIM_400000_NS6detail17trampoline_kernelINS0_14default_configENS1_35radix_sort_onesweep_config_selectorIfNS0_10empty_typeEEEZZNS1_29radix_sort_onesweep_iterationIS3_Lb0EN6thrust23THRUST_200600_302600_NS6detail15normal_iteratorINS9_10device_ptrIfEEEESE_PS5_SF_jNS0_19identity_decomposerENS1_16block_id_wrapperIjLb0EEEEE10hipError_tT1_PNSt15iterator_traitsISK_E10value_typeET2_T3_PNSL_ISQ_E10value_typeET4_T5_PSV_SW_PNS1_23onesweep_lookback_stateEbbT6_jjT7_P12ihipStream_tbENKUlT_T0_SK_SP_E_clISE_PfSF_SF_EEDaS13_S14_SK_SP_EUlS13_E_NS1_11comp_targetILNS1_3genE2ELNS1_11target_archE906ELNS1_3gpuE6ELNS1_3repE0EEENS1_47radix_sort_onesweep_sort_config_static_selectorELNS0_4arch9wavefront6targetE0EEEvSK_
		.amdhsa_group_segment_fixed_size 0
		.amdhsa_private_segment_fixed_size 0
		.amdhsa_kernarg_size 88
		.amdhsa_user_sgpr_count 6
		.amdhsa_user_sgpr_private_segment_buffer 1
		.amdhsa_user_sgpr_dispatch_ptr 0
		.amdhsa_user_sgpr_queue_ptr 0
		.amdhsa_user_sgpr_kernarg_segment_ptr 1
		.amdhsa_user_sgpr_dispatch_id 0
		.amdhsa_user_sgpr_flat_scratch_init 0
		.amdhsa_user_sgpr_private_segment_size 0
		.amdhsa_wavefront_size32 1
		.amdhsa_uses_dynamic_stack 0
		.amdhsa_system_sgpr_private_segment_wavefront_offset 0
		.amdhsa_system_sgpr_workgroup_id_x 1
		.amdhsa_system_sgpr_workgroup_id_y 0
		.amdhsa_system_sgpr_workgroup_id_z 0
		.amdhsa_system_sgpr_workgroup_info 0
		.amdhsa_system_vgpr_workitem_id 0
		.amdhsa_next_free_vgpr 1
		.amdhsa_next_free_sgpr 1
		.amdhsa_reserve_vcc 0
		.amdhsa_reserve_flat_scratch 0
		.amdhsa_float_round_mode_32 0
		.amdhsa_float_round_mode_16_64 0
		.amdhsa_float_denorm_mode_32 3
		.amdhsa_float_denorm_mode_16_64 3
		.amdhsa_dx10_clamp 1
		.amdhsa_ieee_mode 1
		.amdhsa_fp16_overflow 0
		.amdhsa_workgroup_processor_mode 1
		.amdhsa_memory_ordered 1
		.amdhsa_forward_progress 1
		.amdhsa_shared_vgpr_count 0
		.amdhsa_exception_fp_ieee_invalid_op 0
		.amdhsa_exception_fp_denorm_src 0
		.amdhsa_exception_fp_ieee_div_zero 0
		.amdhsa_exception_fp_ieee_overflow 0
		.amdhsa_exception_fp_ieee_underflow 0
		.amdhsa_exception_fp_ieee_inexact 0
		.amdhsa_exception_int_div_zero 0
	.end_amdhsa_kernel
	.section	.text._ZN7rocprim17ROCPRIM_400000_NS6detail17trampoline_kernelINS0_14default_configENS1_35radix_sort_onesweep_config_selectorIfNS0_10empty_typeEEEZZNS1_29radix_sort_onesweep_iterationIS3_Lb0EN6thrust23THRUST_200600_302600_NS6detail15normal_iteratorINS9_10device_ptrIfEEEESE_PS5_SF_jNS0_19identity_decomposerENS1_16block_id_wrapperIjLb0EEEEE10hipError_tT1_PNSt15iterator_traitsISK_E10value_typeET2_T3_PNSL_ISQ_E10value_typeET4_T5_PSV_SW_PNS1_23onesweep_lookback_stateEbbT6_jjT7_P12ihipStream_tbENKUlT_T0_SK_SP_E_clISE_PfSF_SF_EEDaS13_S14_SK_SP_EUlS13_E_NS1_11comp_targetILNS1_3genE2ELNS1_11target_archE906ELNS1_3gpuE6ELNS1_3repE0EEENS1_47radix_sort_onesweep_sort_config_static_selectorELNS0_4arch9wavefront6targetE0EEEvSK_,"axG",@progbits,_ZN7rocprim17ROCPRIM_400000_NS6detail17trampoline_kernelINS0_14default_configENS1_35radix_sort_onesweep_config_selectorIfNS0_10empty_typeEEEZZNS1_29radix_sort_onesweep_iterationIS3_Lb0EN6thrust23THRUST_200600_302600_NS6detail15normal_iteratorINS9_10device_ptrIfEEEESE_PS5_SF_jNS0_19identity_decomposerENS1_16block_id_wrapperIjLb0EEEEE10hipError_tT1_PNSt15iterator_traitsISK_E10value_typeET2_T3_PNSL_ISQ_E10value_typeET4_T5_PSV_SW_PNS1_23onesweep_lookback_stateEbbT6_jjT7_P12ihipStream_tbENKUlT_T0_SK_SP_E_clISE_PfSF_SF_EEDaS13_S14_SK_SP_EUlS13_E_NS1_11comp_targetILNS1_3genE2ELNS1_11target_archE906ELNS1_3gpuE6ELNS1_3repE0EEENS1_47radix_sort_onesweep_sort_config_static_selectorELNS0_4arch9wavefront6targetE0EEEvSK_,comdat
.Lfunc_end598:
	.size	_ZN7rocprim17ROCPRIM_400000_NS6detail17trampoline_kernelINS0_14default_configENS1_35radix_sort_onesweep_config_selectorIfNS0_10empty_typeEEEZZNS1_29radix_sort_onesweep_iterationIS3_Lb0EN6thrust23THRUST_200600_302600_NS6detail15normal_iteratorINS9_10device_ptrIfEEEESE_PS5_SF_jNS0_19identity_decomposerENS1_16block_id_wrapperIjLb0EEEEE10hipError_tT1_PNSt15iterator_traitsISK_E10value_typeET2_T3_PNSL_ISQ_E10value_typeET4_T5_PSV_SW_PNS1_23onesweep_lookback_stateEbbT6_jjT7_P12ihipStream_tbENKUlT_T0_SK_SP_E_clISE_PfSF_SF_EEDaS13_S14_SK_SP_EUlS13_E_NS1_11comp_targetILNS1_3genE2ELNS1_11target_archE906ELNS1_3gpuE6ELNS1_3repE0EEENS1_47radix_sort_onesweep_sort_config_static_selectorELNS0_4arch9wavefront6targetE0EEEvSK_, .Lfunc_end598-_ZN7rocprim17ROCPRIM_400000_NS6detail17trampoline_kernelINS0_14default_configENS1_35radix_sort_onesweep_config_selectorIfNS0_10empty_typeEEEZZNS1_29radix_sort_onesweep_iterationIS3_Lb0EN6thrust23THRUST_200600_302600_NS6detail15normal_iteratorINS9_10device_ptrIfEEEESE_PS5_SF_jNS0_19identity_decomposerENS1_16block_id_wrapperIjLb0EEEEE10hipError_tT1_PNSt15iterator_traitsISK_E10value_typeET2_T3_PNSL_ISQ_E10value_typeET4_T5_PSV_SW_PNS1_23onesweep_lookback_stateEbbT6_jjT7_P12ihipStream_tbENKUlT_T0_SK_SP_E_clISE_PfSF_SF_EEDaS13_S14_SK_SP_EUlS13_E_NS1_11comp_targetILNS1_3genE2ELNS1_11target_archE906ELNS1_3gpuE6ELNS1_3repE0EEENS1_47radix_sort_onesweep_sort_config_static_selectorELNS0_4arch9wavefront6targetE0EEEvSK_
                                        ; -- End function
	.set _ZN7rocprim17ROCPRIM_400000_NS6detail17trampoline_kernelINS0_14default_configENS1_35radix_sort_onesweep_config_selectorIfNS0_10empty_typeEEEZZNS1_29radix_sort_onesweep_iterationIS3_Lb0EN6thrust23THRUST_200600_302600_NS6detail15normal_iteratorINS9_10device_ptrIfEEEESE_PS5_SF_jNS0_19identity_decomposerENS1_16block_id_wrapperIjLb0EEEEE10hipError_tT1_PNSt15iterator_traitsISK_E10value_typeET2_T3_PNSL_ISQ_E10value_typeET4_T5_PSV_SW_PNS1_23onesweep_lookback_stateEbbT6_jjT7_P12ihipStream_tbENKUlT_T0_SK_SP_E_clISE_PfSF_SF_EEDaS13_S14_SK_SP_EUlS13_E_NS1_11comp_targetILNS1_3genE2ELNS1_11target_archE906ELNS1_3gpuE6ELNS1_3repE0EEENS1_47radix_sort_onesweep_sort_config_static_selectorELNS0_4arch9wavefront6targetE0EEEvSK_.num_vgpr, 0
	.set _ZN7rocprim17ROCPRIM_400000_NS6detail17trampoline_kernelINS0_14default_configENS1_35radix_sort_onesweep_config_selectorIfNS0_10empty_typeEEEZZNS1_29radix_sort_onesweep_iterationIS3_Lb0EN6thrust23THRUST_200600_302600_NS6detail15normal_iteratorINS9_10device_ptrIfEEEESE_PS5_SF_jNS0_19identity_decomposerENS1_16block_id_wrapperIjLb0EEEEE10hipError_tT1_PNSt15iterator_traitsISK_E10value_typeET2_T3_PNSL_ISQ_E10value_typeET4_T5_PSV_SW_PNS1_23onesweep_lookback_stateEbbT6_jjT7_P12ihipStream_tbENKUlT_T0_SK_SP_E_clISE_PfSF_SF_EEDaS13_S14_SK_SP_EUlS13_E_NS1_11comp_targetILNS1_3genE2ELNS1_11target_archE906ELNS1_3gpuE6ELNS1_3repE0EEENS1_47radix_sort_onesweep_sort_config_static_selectorELNS0_4arch9wavefront6targetE0EEEvSK_.num_agpr, 0
	.set _ZN7rocprim17ROCPRIM_400000_NS6detail17trampoline_kernelINS0_14default_configENS1_35radix_sort_onesweep_config_selectorIfNS0_10empty_typeEEEZZNS1_29radix_sort_onesweep_iterationIS3_Lb0EN6thrust23THRUST_200600_302600_NS6detail15normal_iteratorINS9_10device_ptrIfEEEESE_PS5_SF_jNS0_19identity_decomposerENS1_16block_id_wrapperIjLb0EEEEE10hipError_tT1_PNSt15iterator_traitsISK_E10value_typeET2_T3_PNSL_ISQ_E10value_typeET4_T5_PSV_SW_PNS1_23onesweep_lookback_stateEbbT6_jjT7_P12ihipStream_tbENKUlT_T0_SK_SP_E_clISE_PfSF_SF_EEDaS13_S14_SK_SP_EUlS13_E_NS1_11comp_targetILNS1_3genE2ELNS1_11target_archE906ELNS1_3gpuE6ELNS1_3repE0EEENS1_47radix_sort_onesweep_sort_config_static_selectorELNS0_4arch9wavefront6targetE0EEEvSK_.numbered_sgpr, 0
	.set _ZN7rocprim17ROCPRIM_400000_NS6detail17trampoline_kernelINS0_14default_configENS1_35radix_sort_onesweep_config_selectorIfNS0_10empty_typeEEEZZNS1_29radix_sort_onesweep_iterationIS3_Lb0EN6thrust23THRUST_200600_302600_NS6detail15normal_iteratorINS9_10device_ptrIfEEEESE_PS5_SF_jNS0_19identity_decomposerENS1_16block_id_wrapperIjLb0EEEEE10hipError_tT1_PNSt15iterator_traitsISK_E10value_typeET2_T3_PNSL_ISQ_E10value_typeET4_T5_PSV_SW_PNS1_23onesweep_lookback_stateEbbT6_jjT7_P12ihipStream_tbENKUlT_T0_SK_SP_E_clISE_PfSF_SF_EEDaS13_S14_SK_SP_EUlS13_E_NS1_11comp_targetILNS1_3genE2ELNS1_11target_archE906ELNS1_3gpuE6ELNS1_3repE0EEENS1_47radix_sort_onesweep_sort_config_static_selectorELNS0_4arch9wavefront6targetE0EEEvSK_.num_named_barrier, 0
	.set _ZN7rocprim17ROCPRIM_400000_NS6detail17trampoline_kernelINS0_14default_configENS1_35radix_sort_onesweep_config_selectorIfNS0_10empty_typeEEEZZNS1_29radix_sort_onesweep_iterationIS3_Lb0EN6thrust23THRUST_200600_302600_NS6detail15normal_iteratorINS9_10device_ptrIfEEEESE_PS5_SF_jNS0_19identity_decomposerENS1_16block_id_wrapperIjLb0EEEEE10hipError_tT1_PNSt15iterator_traitsISK_E10value_typeET2_T3_PNSL_ISQ_E10value_typeET4_T5_PSV_SW_PNS1_23onesweep_lookback_stateEbbT6_jjT7_P12ihipStream_tbENKUlT_T0_SK_SP_E_clISE_PfSF_SF_EEDaS13_S14_SK_SP_EUlS13_E_NS1_11comp_targetILNS1_3genE2ELNS1_11target_archE906ELNS1_3gpuE6ELNS1_3repE0EEENS1_47radix_sort_onesweep_sort_config_static_selectorELNS0_4arch9wavefront6targetE0EEEvSK_.private_seg_size, 0
	.set _ZN7rocprim17ROCPRIM_400000_NS6detail17trampoline_kernelINS0_14default_configENS1_35radix_sort_onesweep_config_selectorIfNS0_10empty_typeEEEZZNS1_29radix_sort_onesweep_iterationIS3_Lb0EN6thrust23THRUST_200600_302600_NS6detail15normal_iteratorINS9_10device_ptrIfEEEESE_PS5_SF_jNS0_19identity_decomposerENS1_16block_id_wrapperIjLb0EEEEE10hipError_tT1_PNSt15iterator_traitsISK_E10value_typeET2_T3_PNSL_ISQ_E10value_typeET4_T5_PSV_SW_PNS1_23onesweep_lookback_stateEbbT6_jjT7_P12ihipStream_tbENKUlT_T0_SK_SP_E_clISE_PfSF_SF_EEDaS13_S14_SK_SP_EUlS13_E_NS1_11comp_targetILNS1_3genE2ELNS1_11target_archE906ELNS1_3gpuE6ELNS1_3repE0EEENS1_47radix_sort_onesweep_sort_config_static_selectorELNS0_4arch9wavefront6targetE0EEEvSK_.uses_vcc, 0
	.set _ZN7rocprim17ROCPRIM_400000_NS6detail17trampoline_kernelINS0_14default_configENS1_35radix_sort_onesweep_config_selectorIfNS0_10empty_typeEEEZZNS1_29radix_sort_onesweep_iterationIS3_Lb0EN6thrust23THRUST_200600_302600_NS6detail15normal_iteratorINS9_10device_ptrIfEEEESE_PS5_SF_jNS0_19identity_decomposerENS1_16block_id_wrapperIjLb0EEEEE10hipError_tT1_PNSt15iterator_traitsISK_E10value_typeET2_T3_PNSL_ISQ_E10value_typeET4_T5_PSV_SW_PNS1_23onesweep_lookback_stateEbbT6_jjT7_P12ihipStream_tbENKUlT_T0_SK_SP_E_clISE_PfSF_SF_EEDaS13_S14_SK_SP_EUlS13_E_NS1_11comp_targetILNS1_3genE2ELNS1_11target_archE906ELNS1_3gpuE6ELNS1_3repE0EEENS1_47radix_sort_onesweep_sort_config_static_selectorELNS0_4arch9wavefront6targetE0EEEvSK_.uses_flat_scratch, 0
	.set _ZN7rocprim17ROCPRIM_400000_NS6detail17trampoline_kernelINS0_14default_configENS1_35radix_sort_onesweep_config_selectorIfNS0_10empty_typeEEEZZNS1_29radix_sort_onesweep_iterationIS3_Lb0EN6thrust23THRUST_200600_302600_NS6detail15normal_iteratorINS9_10device_ptrIfEEEESE_PS5_SF_jNS0_19identity_decomposerENS1_16block_id_wrapperIjLb0EEEEE10hipError_tT1_PNSt15iterator_traitsISK_E10value_typeET2_T3_PNSL_ISQ_E10value_typeET4_T5_PSV_SW_PNS1_23onesweep_lookback_stateEbbT6_jjT7_P12ihipStream_tbENKUlT_T0_SK_SP_E_clISE_PfSF_SF_EEDaS13_S14_SK_SP_EUlS13_E_NS1_11comp_targetILNS1_3genE2ELNS1_11target_archE906ELNS1_3gpuE6ELNS1_3repE0EEENS1_47radix_sort_onesweep_sort_config_static_selectorELNS0_4arch9wavefront6targetE0EEEvSK_.has_dyn_sized_stack, 0
	.set _ZN7rocprim17ROCPRIM_400000_NS6detail17trampoline_kernelINS0_14default_configENS1_35radix_sort_onesweep_config_selectorIfNS0_10empty_typeEEEZZNS1_29radix_sort_onesweep_iterationIS3_Lb0EN6thrust23THRUST_200600_302600_NS6detail15normal_iteratorINS9_10device_ptrIfEEEESE_PS5_SF_jNS0_19identity_decomposerENS1_16block_id_wrapperIjLb0EEEEE10hipError_tT1_PNSt15iterator_traitsISK_E10value_typeET2_T3_PNSL_ISQ_E10value_typeET4_T5_PSV_SW_PNS1_23onesweep_lookback_stateEbbT6_jjT7_P12ihipStream_tbENKUlT_T0_SK_SP_E_clISE_PfSF_SF_EEDaS13_S14_SK_SP_EUlS13_E_NS1_11comp_targetILNS1_3genE2ELNS1_11target_archE906ELNS1_3gpuE6ELNS1_3repE0EEENS1_47radix_sort_onesweep_sort_config_static_selectorELNS0_4arch9wavefront6targetE0EEEvSK_.has_recursion, 0
	.set _ZN7rocprim17ROCPRIM_400000_NS6detail17trampoline_kernelINS0_14default_configENS1_35radix_sort_onesweep_config_selectorIfNS0_10empty_typeEEEZZNS1_29radix_sort_onesweep_iterationIS3_Lb0EN6thrust23THRUST_200600_302600_NS6detail15normal_iteratorINS9_10device_ptrIfEEEESE_PS5_SF_jNS0_19identity_decomposerENS1_16block_id_wrapperIjLb0EEEEE10hipError_tT1_PNSt15iterator_traitsISK_E10value_typeET2_T3_PNSL_ISQ_E10value_typeET4_T5_PSV_SW_PNS1_23onesweep_lookback_stateEbbT6_jjT7_P12ihipStream_tbENKUlT_T0_SK_SP_E_clISE_PfSF_SF_EEDaS13_S14_SK_SP_EUlS13_E_NS1_11comp_targetILNS1_3genE2ELNS1_11target_archE906ELNS1_3gpuE6ELNS1_3repE0EEENS1_47radix_sort_onesweep_sort_config_static_selectorELNS0_4arch9wavefront6targetE0EEEvSK_.has_indirect_call, 0
	.section	.AMDGPU.csdata,"",@progbits
; Kernel info:
; codeLenInByte = 0
; TotalNumSgprs: 0
; NumVgprs: 0
; ScratchSize: 0
; MemoryBound: 0
; FloatMode: 240
; IeeeMode: 1
; LDSByteSize: 0 bytes/workgroup (compile time only)
; SGPRBlocks: 0
; VGPRBlocks: 0
; NumSGPRsForWavesPerEU: 1
; NumVGPRsForWavesPerEU: 1
; Occupancy: 16
; WaveLimiterHint : 0
; COMPUTE_PGM_RSRC2:SCRATCH_EN: 0
; COMPUTE_PGM_RSRC2:USER_SGPR: 6
; COMPUTE_PGM_RSRC2:TRAP_HANDLER: 0
; COMPUTE_PGM_RSRC2:TGID_X_EN: 1
; COMPUTE_PGM_RSRC2:TGID_Y_EN: 0
; COMPUTE_PGM_RSRC2:TGID_Z_EN: 0
; COMPUTE_PGM_RSRC2:TIDIG_COMP_CNT: 0
	.section	.text._ZN7rocprim17ROCPRIM_400000_NS6detail17trampoline_kernelINS0_14default_configENS1_35radix_sort_onesweep_config_selectorIfNS0_10empty_typeEEEZZNS1_29radix_sort_onesweep_iterationIS3_Lb0EN6thrust23THRUST_200600_302600_NS6detail15normal_iteratorINS9_10device_ptrIfEEEESE_PS5_SF_jNS0_19identity_decomposerENS1_16block_id_wrapperIjLb0EEEEE10hipError_tT1_PNSt15iterator_traitsISK_E10value_typeET2_T3_PNSL_ISQ_E10value_typeET4_T5_PSV_SW_PNS1_23onesweep_lookback_stateEbbT6_jjT7_P12ihipStream_tbENKUlT_T0_SK_SP_E_clISE_PfSF_SF_EEDaS13_S14_SK_SP_EUlS13_E_NS1_11comp_targetILNS1_3genE4ELNS1_11target_archE910ELNS1_3gpuE8ELNS1_3repE0EEENS1_47radix_sort_onesweep_sort_config_static_selectorELNS0_4arch9wavefront6targetE0EEEvSK_,"axG",@progbits,_ZN7rocprim17ROCPRIM_400000_NS6detail17trampoline_kernelINS0_14default_configENS1_35radix_sort_onesweep_config_selectorIfNS0_10empty_typeEEEZZNS1_29radix_sort_onesweep_iterationIS3_Lb0EN6thrust23THRUST_200600_302600_NS6detail15normal_iteratorINS9_10device_ptrIfEEEESE_PS5_SF_jNS0_19identity_decomposerENS1_16block_id_wrapperIjLb0EEEEE10hipError_tT1_PNSt15iterator_traitsISK_E10value_typeET2_T3_PNSL_ISQ_E10value_typeET4_T5_PSV_SW_PNS1_23onesweep_lookback_stateEbbT6_jjT7_P12ihipStream_tbENKUlT_T0_SK_SP_E_clISE_PfSF_SF_EEDaS13_S14_SK_SP_EUlS13_E_NS1_11comp_targetILNS1_3genE4ELNS1_11target_archE910ELNS1_3gpuE8ELNS1_3repE0EEENS1_47radix_sort_onesweep_sort_config_static_selectorELNS0_4arch9wavefront6targetE0EEEvSK_,comdat
	.protected	_ZN7rocprim17ROCPRIM_400000_NS6detail17trampoline_kernelINS0_14default_configENS1_35radix_sort_onesweep_config_selectorIfNS0_10empty_typeEEEZZNS1_29radix_sort_onesweep_iterationIS3_Lb0EN6thrust23THRUST_200600_302600_NS6detail15normal_iteratorINS9_10device_ptrIfEEEESE_PS5_SF_jNS0_19identity_decomposerENS1_16block_id_wrapperIjLb0EEEEE10hipError_tT1_PNSt15iterator_traitsISK_E10value_typeET2_T3_PNSL_ISQ_E10value_typeET4_T5_PSV_SW_PNS1_23onesweep_lookback_stateEbbT6_jjT7_P12ihipStream_tbENKUlT_T0_SK_SP_E_clISE_PfSF_SF_EEDaS13_S14_SK_SP_EUlS13_E_NS1_11comp_targetILNS1_3genE4ELNS1_11target_archE910ELNS1_3gpuE8ELNS1_3repE0EEENS1_47radix_sort_onesweep_sort_config_static_selectorELNS0_4arch9wavefront6targetE0EEEvSK_ ; -- Begin function _ZN7rocprim17ROCPRIM_400000_NS6detail17trampoline_kernelINS0_14default_configENS1_35radix_sort_onesweep_config_selectorIfNS0_10empty_typeEEEZZNS1_29radix_sort_onesweep_iterationIS3_Lb0EN6thrust23THRUST_200600_302600_NS6detail15normal_iteratorINS9_10device_ptrIfEEEESE_PS5_SF_jNS0_19identity_decomposerENS1_16block_id_wrapperIjLb0EEEEE10hipError_tT1_PNSt15iterator_traitsISK_E10value_typeET2_T3_PNSL_ISQ_E10value_typeET4_T5_PSV_SW_PNS1_23onesweep_lookback_stateEbbT6_jjT7_P12ihipStream_tbENKUlT_T0_SK_SP_E_clISE_PfSF_SF_EEDaS13_S14_SK_SP_EUlS13_E_NS1_11comp_targetILNS1_3genE4ELNS1_11target_archE910ELNS1_3gpuE8ELNS1_3repE0EEENS1_47radix_sort_onesweep_sort_config_static_selectorELNS0_4arch9wavefront6targetE0EEEvSK_
	.globl	_ZN7rocprim17ROCPRIM_400000_NS6detail17trampoline_kernelINS0_14default_configENS1_35radix_sort_onesweep_config_selectorIfNS0_10empty_typeEEEZZNS1_29radix_sort_onesweep_iterationIS3_Lb0EN6thrust23THRUST_200600_302600_NS6detail15normal_iteratorINS9_10device_ptrIfEEEESE_PS5_SF_jNS0_19identity_decomposerENS1_16block_id_wrapperIjLb0EEEEE10hipError_tT1_PNSt15iterator_traitsISK_E10value_typeET2_T3_PNSL_ISQ_E10value_typeET4_T5_PSV_SW_PNS1_23onesweep_lookback_stateEbbT6_jjT7_P12ihipStream_tbENKUlT_T0_SK_SP_E_clISE_PfSF_SF_EEDaS13_S14_SK_SP_EUlS13_E_NS1_11comp_targetILNS1_3genE4ELNS1_11target_archE910ELNS1_3gpuE8ELNS1_3repE0EEENS1_47radix_sort_onesweep_sort_config_static_selectorELNS0_4arch9wavefront6targetE0EEEvSK_
	.p2align	8
	.type	_ZN7rocprim17ROCPRIM_400000_NS6detail17trampoline_kernelINS0_14default_configENS1_35radix_sort_onesweep_config_selectorIfNS0_10empty_typeEEEZZNS1_29radix_sort_onesweep_iterationIS3_Lb0EN6thrust23THRUST_200600_302600_NS6detail15normal_iteratorINS9_10device_ptrIfEEEESE_PS5_SF_jNS0_19identity_decomposerENS1_16block_id_wrapperIjLb0EEEEE10hipError_tT1_PNSt15iterator_traitsISK_E10value_typeET2_T3_PNSL_ISQ_E10value_typeET4_T5_PSV_SW_PNS1_23onesweep_lookback_stateEbbT6_jjT7_P12ihipStream_tbENKUlT_T0_SK_SP_E_clISE_PfSF_SF_EEDaS13_S14_SK_SP_EUlS13_E_NS1_11comp_targetILNS1_3genE4ELNS1_11target_archE910ELNS1_3gpuE8ELNS1_3repE0EEENS1_47radix_sort_onesweep_sort_config_static_selectorELNS0_4arch9wavefront6targetE0EEEvSK_,@function
_ZN7rocprim17ROCPRIM_400000_NS6detail17trampoline_kernelINS0_14default_configENS1_35radix_sort_onesweep_config_selectorIfNS0_10empty_typeEEEZZNS1_29radix_sort_onesweep_iterationIS3_Lb0EN6thrust23THRUST_200600_302600_NS6detail15normal_iteratorINS9_10device_ptrIfEEEESE_PS5_SF_jNS0_19identity_decomposerENS1_16block_id_wrapperIjLb0EEEEE10hipError_tT1_PNSt15iterator_traitsISK_E10value_typeET2_T3_PNSL_ISQ_E10value_typeET4_T5_PSV_SW_PNS1_23onesweep_lookback_stateEbbT6_jjT7_P12ihipStream_tbENKUlT_T0_SK_SP_E_clISE_PfSF_SF_EEDaS13_S14_SK_SP_EUlS13_E_NS1_11comp_targetILNS1_3genE4ELNS1_11target_archE910ELNS1_3gpuE8ELNS1_3repE0EEENS1_47radix_sort_onesweep_sort_config_static_selectorELNS0_4arch9wavefront6targetE0EEEvSK_: ; @_ZN7rocprim17ROCPRIM_400000_NS6detail17trampoline_kernelINS0_14default_configENS1_35radix_sort_onesweep_config_selectorIfNS0_10empty_typeEEEZZNS1_29radix_sort_onesweep_iterationIS3_Lb0EN6thrust23THRUST_200600_302600_NS6detail15normal_iteratorINS9_10device_ptrIfEEEESE_PS5_SF_jNS0_19identity_decomposerENS1_16block_id_wrapperIjLb0EEEEE10hipError_tT1_PNSt15iterator_traitsISK_E10value_typeET2_T3_PNSL_ISQ_E10value_typeET4_T5_PSV_SW_PNS1_23onesweep_lookback_stateEbbT6_jjT7_P12ihipStream_tbENKUlT_T0_SK_SP_E_clISE_PfSF_SF_EEDaS13_S14_SK_SP_EUlS13_E_NS1_11comp_targetILNS1_3genE4ELNS1_11target_archE910ELNS1_3gpuE8ELNS1_3repE0EEENS1_47radix_sort_onesweep_sort_config_static_selectorELNS0_4arch9wavefront6targetE0EEEvSK_
; %bb.0:
	.section	.rodata,"a",@progbits
	.p2align	6, 0x0
	.amdhsa_kernel _ZN7rocprim17ROCPRIM_400000_NS6detail17trampoline_kernelINS0_14default_configENS1_35radix_sort_onesweep_config_selectorIfNS0_10empty_typeEEEZZNS1_29radix_sort_onesweep_iterationIS3_Lb0EN6thrust23THRUST_200600_302600_NS6detail15normal_iteratorINS9_10device_ptrIfEEEESE_PS5_SF_jNS0_19identity_decomposerENS1_16block_id_wrapperIjLb0EEEEE10hipError_tT1_PNSt15iterator_traitsISK_E10value_typeET2_T3_PNSL_ISQ_E10value_typeET4_T5_PSV_SW_PNS1_23onesweep_lookback_stateEbbT6_jjT7_P12ihipStream_tbENKUlT_T0_SK_SP_E_clISE_PfSF_SF_EEDaS13_S14_SK_SP_EUlS13_E_NS1_11comp_targetILNS1_3genE4ELNS1_11target_archE910ELNS1_3gpuE8ELNS1_3repE0EEENS1_47radix_sort_onesweep_sort_config_static_selectorELNS0_4arch9wavefront6targetE0EEEvSK_
		.amdhsa_group_segment_fixed_size 0
		.amdhsa_private_segment_fixed_size 0
		.amdhsa_kernarg_size 88
		.amdhsa_user_sgpr_count 6
		.amdhsa_user_sgpr_private_segment_buffer 1
		.amdhsa_user_sgpr_dispatch_ptr 0
		.amdhsa_user_sgpr_queue_ptr 0
		.amdhsa_user_sgpr_kernarg_segment_ptr 1
		.amdhsa_user_sgpr_dispatch_id 0
		.amdhsa_user_sgpr_flat_scratch_init 0
		.amdhsa_user_sgpr_private_segment_size 0
		.amdhsa_wavefront_size32 1
		.amdhsa_uses_dynamic_stack 0
		.amdhsa_system_sgpr_private_segment_wavefront_offset 0
		.amdhsa_system_sgpr_workgroup_id_x 1
		.amdhsa_system_sgpr_workgroup_id_y 0
		.amdhsa_system_sgpr_workgroup_id_z 0
		.amdhsa_system_sgpr_workgroup_info 0
		.amdhsa_system_vgpr_workitem_id 0
		.amdhsa_next_free_vgpr 1
		.amdhsa_next_free_sgpr 1
		.amdhsa_reserve_vcc 0
		.amdhsa_reserve_flat_scratch 0
		.amdhsa_float_round_mode_32 0
		.amdhsa_float_round_mode_16_64 0
		.amdhsa_float_denorm_mode_32 3
		.amdhsa_float_denorm_mode_16_64 3
		.amdhsa_dx10_clamp 1
		.amdhsa_ieee_mode 1
		.amdhsa_fp16_overflow 0
		.amdhsa_workgroup_processor_mode 1
		.amdhsa_memory_ordered 1
		.amdhsa_forward_progress 1
		.amdhsa_shared_vgpr_count 0
		.amdhsa_exception_fp_ieee_invalid_op 0
		.amdhsa_exception_fp_denorm_src 0
		.amdhsa_exception_fp_ieee_div_zero 0
		.amdhsa_exception_fp_ieee_overflow 0
		.amdhsa_exception_fp_ieee_underflow 0
		.amdhsa_exception_fp_ieee_inexact 0
		.amdhsa_exception_int_div_zero 0
	.end_amdhsa_kernel
	.section	.text._ZN7rocprim17ROCPRIM_400000_NS6detail17trampoline_kernelINS0_14default_configENS1_35radix_sort_onesweep_config_selectorIfNS0_10empty_typeEEEZZNS1_29radix_sort_onesweep_iterationIS3_Lb0EN6thrust23THRUST_200600_302600_NS6detail15normal_iteratorINS9_10device_ptrIfEEEESE_PS5_SF_jNS0_19identity_decomposerENS1_16block_id_wrapperIjLb0EEEEE10hipError_tT1_PNSt15iterator_traitsISK_E10value_typeET2_T3_PNSL_ISQ_E10value_typeET4_T5_PSV_SW_PNS1_23onesweep_lookback_stateEbbT6_jjT7_P12ihipStream_tbENKUlT_T0_SK_SP_E_clISE_PfSF_SF_EEDaS13_S14_SK_SP_EUlS13_E_NS1_11comp_targetILNS1_3genE4ELNS1_11target_archE910ELNS1_3gpuE8ELNS1_3repE0EEENS1_47radix_sort_onesweep_sort_config_static_selectorELNS0_4arch9wavefront6targetE0EEEvSK_,"axG",@progbits,_ZN7rocprim17ROCPRIM_400000_NS6detail17trampoline_kernelINS0_14default_configENS1_35radix_sort_onesweep_config_selectorIfNS0_10empty_typeEEEZZNS1_29radix_sort_onesweep_iterationIS3_Lb0EN6thrust23THRUST_200600_302600_NS6detail15normal_iteratorINS9_10device_ptrIfEEEESE_PS5_SF_jNS0_19identity_decomposerENS1_16block_id_wrapperIjLb0EEEEE10hipError_tT1_PNSt15iterator_traitsISK_E10value_typeET2_T3_PNSL_ISQ_E10value_typeET4_T5_PSV_SW_PNS1_23onesweep_lookback_stateEbbT6_jjT7_P12ihipStream_tbENKUlT_T0_SK_SP_E_clISE_PfSF_SF_EEDaS13_S14_SK_SP_EUlS13_E_NS1_11comp_targetILNS1_3genE4ELNS1_11target_archE910ELNS1_3gpuE8ELNS1_3repE0EEENS1_47radix_sort_onesweep_sort_config_static_selectorELNS0_4arch9wavefront6targetE0EEEvSK_,comdat
.Lfunc_end599:
	.size	_ZN7rocprim17ROCPRIM_400000_NS6detail17trampoline_kernelINS0_14default_configENS1_35radix_sort_onesweep_config_selectorIfNS0_10empty_typeEEEZZNS1_29radix_sort_onesweep_iterationIS3_Lb0EN6thrust23THRUST_200600_302600_NS6detail15normal_iteratorINS9_10device_ptrIfEEEESE_PS5_SF_jNS0_19identity_decomposerENS1_16block_id_wrapperIjLb0EEEEE10hipError_tT1_PNSt15iterator_traitsISK_E10value_typeET2_T3_PNSL_ISQ_E10value_typeET4_T5_PSV_SW_PNS1_23onesweep_lookback_stateEbbT6_jjT7_P12ihipStream_tbENKUlT_T0_SK_SP_E_clISE_PfSF_SF_EEDaS13_S14_SK_SP_EUlS13_E_NS1_11comp_targetILNS1_3genE4ELNS1_11target_archE910ELNS1_3gpuE8ELNS1_3repE0EEENS1_47radix_sort_onesweep_sort_config_static_selectorELNS0_4arch9wavefront6targetE0EEEvSK_, .Lfunc_end599-_ZN7rocprim17ROCPRIM_400000_NS6detail17trampoline_kernelINS0_14default_configENS1_35radix_sort_onesweep_config_selectorIfNS0_10empty_typeEEEZZNS1_29radix_sort_onesweep_iterationIS3_Lb0EN6thrust23THRUST_200600_302600_NS6detail15normal_iteratorINS9_10device_ptrIfEEEESE_PS5_SF_jNS0_19identity_decomposerENS1_16block_id_wrapperIjLb0EEEEE10hipError_tT1_PNSt15iterator_traitsISK_E10value_typeET2_T3_PNSL_ISQ_E10value_typeET4_T5_PSV_SW_PNS1_23onesweep_lookback_stateEbbT6_jjT7_P12ihipStream_tbENKUlT_T0_SK_SP_E_clISE_PfSF_SF_EEDaS13_S14_SK_SP_EUlS13_E_NS1_11comp_targetILNS1_3genE4ELNS1_11target_archE910ELNS1_3gpuE8ELNS1_3repE0EEENS1_47radix_sort_onesweep_sort_config_static_selectorELNS0_4arch9wavefront6targetE0EEEvSK_
                                        ; -- End function
	.set _ZN7rocprim17ROCPRIM_400000_NS6detail17trampoline_kernelINS0_14default_configENS1_35radix_sort_onesweep_config_selectorIfNS0_10empty_typeEEEZZNS1_29radix_sort_onesweep_iterationIS3_Lb0EN6thrust23THRUST_200600_302600_NS6detail15normal_iteratorINS9_10device_ptrIfEEEESE_PS5_SF_jNS0_19identity_decomposerENS1_16block_id_wrapperIjLb0EEEEE10hipError_tT1_PNSt15iterator_traitsISK_E10value_typeET2_T3_PNSL_ISQ_E10value_typeET4_T5_PSV_SW_PNS1_23onesweep_lookback_stateEbbT6_jjT7_P12ihipStream_tbENKUlT_T0_SK_SP_E_clISE_PfSF_SF_EEDaS13_S14_SK_SP_EUlS13_E_NS1_11comp_targetILNS1_3genE4ELNS1_11target_archE910ELNS1_3gpuE8ELNS1_3repE0EEENS1_47radix_sort_onesweep_sort_config_static_selectorELNS0_4arch9wavefront6targetE0EEEvSK_.num_vgpr, 0
	.set _ZN7rocprim17ROCPRIM_400000_NS6detail17trampoline_kernelINS0_14default_configENS1_35radix_sort_onesweep_config_selectorIfNS0_10empty_typeEEEZZNS1_29radix_sort_onesweep_iterationIS3_Lb0EN6thrust23THRUST_200600_302600_NS6detail15normal_iteratorINS9_10device_ptrIfEEEESE_PS5_SF_jNS0_19identity_decomposerENS1_16block_id_wrapperIjLb0EEEEE10hipError_tT1_PNSt15iterator_traitsISK_E10value_typeET2_T3_PNSL_ISQ_E10value_typeET4_T5_PSV_SW_PNS1_23onesweep_lookback_stateEbbT6_jjT7_P12ihipStream_tbENKUlT_T0_SK_SP_E_clISE_PfSF_SF_EEDaS13_S14_SK_SP_EUlS13_E_NS1_11comp_targetILNS1_3genE4ELNS1_11target_archE910ELNS1_3gpuE8ELNS1_3repE0EEENS1_47radix_sort_onesweep_sort_config_static_selectorELNS0_4arch9wavefront6targetE0EEEvSK_.num_agpr, 0
	.set _ZN7rocprim17ROCPRIM_400000_NS6detail17trampoline_kernelINS0_14default_configENS1_35radix_sort_onesweep_config_selectorIfNS0_10empty_typeEEEZZNS1_29radix_sort_onesweep_iterationIS3_Lb0EN6thrust23THRUST_200600_302600_NS6detail15normal_iteratorINS9_10device_ptrIfEEEESE_PS5_SF_jNS0_19identity_decomposerENS1_16block_id_wrapperIjLb0EEEEE10hipError_tT1_PNSt15iterator_traitsISK_E10value_typeET2_T3_PNSL_ISQ_E10value_typeET4_T5_PSV_SW_PNS1_23onesweep_lookback_stateEbbT6_jjT7_P12ihipStream_tbENKUlT_T0_SK_SP_E_clISE_PfSF_SF_EEDaS13_S14_SK_SP_EUlS13_E_NS1_11comp_targetILNS1_3genE4ELNS1_11target_archE910ELNS1_3gpuE8ELNS1_3repE0EEENS1_47radix_sort_onesweep_sort_config_static_selectorELNS0_4arch9wavefront6targetE0EEEvSK_.numbered_sgpr, 0
	.set _ZN7rocprim17ROCPRIM_400000_NS6detail17trampoline_kernelINS0_14default_configENS1_35radix_sort_onesweep_config_selectorIfNS0_10empty_typeEEEZZNS1_29radix_sort_onesweep_iterationIS3_Lb0EN6thrust23THRUST_200600_302600_NS6detail15normal_iteratorINS9_10device_ptrIfEEEESE_PS5_SF_jNS0_19identity_decomposerENS1_16block_id_wrapperIjLb0EEEEE10hipError_tT1_PNSt15iterator_traitsISK_E10value_typeET2_T3_PNSL_ISQ_E10value_typeET4_T5_PSV_SW_PNS1_23onesweep_lookback_stateEbbT6_jjT7_P12ihipStream_tbENKUlT_T0_SK_SP_E_clISE_PfSF_SF_EEDaS13_S14_SK_SP_EUlS13_E_NS1_11comp_targetILNS1_3genE4ELNS1_11target_archE910ELNS1_3gpuE8ELNS1_3repE0EEENS1_47radix_sort_onesweep_sort_config_static_selectorELNS0_4arch9wavefront6targetE0EEEvSK_.num_named_barrier, 0
	.set _ZN7rocprim17ROCPRIM_400000_NS6detail17trampoline_kernelINS0_14default_configENS1_35radix_sort_onesweep_config_selectorIfNS0_10empty_typeEEEZZNS1_29radix_sort_onesweep_iterationIS3_Lb0EN6thrust23THRUST_200600_302600_NS6detail15normal_iteratorINS9_10device_ptrIfEEEESE_PS5_SF_jNS0_19identity_decomposerENS1_16block_id_wrapperIjLb0EEEEE10hipError_tT1_PNSt15iterator_traitsISK_E10value_typeET2_T3_PNSL_ISQ_E10value_typeET4_T5_PSV_SW_PNS1_23onesweep_lookback_stateEbbT6_jjT7_P12ihipStream_tbENKUlT_T0_SK_SP_E_clISE_PfSF_SF_EEDaS13_S14_SK_SP_EUlS13_E_NS1_11comp_targetILNS1_3genE4ELNS1_11target_archE910ELNS1_3gpuE8ELNS1_3repE0EEENS1_47radix_sort_onesweep_sort_config_static_selectorELNS0_4arch9wavefront6targetE0EEEvSK_.private_seg_size, 0
	.set _ZN7rocprim17ROCPRIM_400000_NS6detail17trampoline_kernelINS0_14default_configENS1_35radix_sort_onesweep_config_selectorIfNS0_10empty_typeEEEZZNS1_29radix_sort_onesweep_iterationIS3_Lb0EN6thrust23THRUST_200600_302600_NS6detail15normal_iteratorINS9_10device_ptrIfEEEESE_PS5_SF_jNS0_19identity_decomposerENS1_16block_id_wrapperIjLb0EEEEE10hipError_tT1_PNSt15iterator_traitsISK_E10value_typeET2_T3_PNSL_ISQ_E10value_typeET4_T5_PSV_SW_PNS1_23onesweep_lookback_stateEbbT6_jjT7_P12ihipStream_tbENKUlT_T0_SK_SP_E_clISE_PfSF_SF_EEDaS13_S14_SK_SP_EUlS13_E_NS1_11comp_targetILNS1_3genE4ELNS1_11target_archE910ELNS1_3gpuE8ELNS1_3repE0EEENS1_47radix_sort_onesweep_sort_config_static_selectorELNS0_4arch9wavefront6targetE0EEEvSK_.uses_vcc, 0
	.set _ZN7rocprim17ROCPRIM_400000_NS6detail17trampoline_kernelINS0_14default_configENS1_35radix_sort_onesweep_config_selectorIfNS0_10empty_typeEEEZZNS1_29radix_sort_onesweep_iterationIS3_Lb0EN6thrust23THRUST_200600_302600_NS6detail15normal_iteratorINS9_10device_ptrIfEEEESE_PS5_SF_jNS0_19identity_decomposerENS1_16block_id_wrapperIjLb0EEEEE10hipError_tT1_PNSt15iterator_traitsISK_E10value_typeET2_T3_PNSL_ISQ_E10value_typeET4_T5_PSV_SW_PNS1_23onesweep_lookback_stateEbbT6_jjT7_P12ihipStream_tbENKUlT_T0_SK_SP_E_clISE_PfSF_SF_EEDaS13_S14_SK_SP_EUlS13_E_NS1_11comp_targetILNS1_3genE4ELNS1_11target_archE910ELNS1_3gpuE8ELNS1_3repE0EEENS1_47radix_sort_onesweep_sort_config_static_selectorELNS0_4arch9wavefront6targetE0EEEvSK_.uses_flat_scratch, 0
	.set _ZN7rocprim17ROCPRIM_400000_NS6detail17trampoline_kernelINS0_14default_configENS1_35radix_sort_onesweep_config_selectorIfNS0_10empty_typeEEEZZNS1_29radix_sort_onesweep_iterationIS3_Lb0EN6thrust23THRUST_200600_302600_NS6detail15normal_iteratorINS9_10device_ptrIfEEEESE_PS5_SF_jNS0_19identity_decomposerENS1_16block_id_wrapperIjLb0EEEEE10hipError_tT1_PNSt15iterator_traitsISK_E10value_typeET2_T3_PNSL_ISQ_E10value_typeET4_T5_PSV_SW_PNS1_23onesweep_lookback_stateEbbT6_jjT7_P12ihipStream_tbENKUlT_T0_SK_SP_E_clISE_PfSF_SF_EEDaS13_S14_SK_SP_EUlS13_E_NS1_11comp_targetILNS1_3genE4ELNS1_11target_archE910ELNS1_3gpuE8ELNS1_3repE0EEENS1_47radix_sort_onesweep_sort_config_static_selectorELNS0_4arch9wavefront6targetE0EEEvSK_.has_dyn_sized_stack, 0
	.set _ZN7rocprim17ROCPRIM_400000_NS6detail17trampoline_kernelINS0_14default_configENS1_35radix_sort_onesweep_config_selectorIfNS0_10empty_typeEEEZZNS1_29radix_sort_onesweep_iterationIS3_Lb0EN6thrust23THRUST_200600_302600_NS6detail15normal_iteratorINS9_10device_ptrIfEEEESE_PS5_SF_jNS0_19identity_decomposerENS1_16block_id_wrapperIjLb0EEEEE10hipError_tT1_PNSt15iterator_traitsISK_E10value_typeET2_T3_PNSL_ISQ_E10value_typeET4_T5_PSV_SW_PNS1_23onesweep_lookback_stateEbbT6_jjT7_P12ihipStream_tbENKUlT_T0_SK_SP_E_clISE_PfSF_SF_EEDaS13_S14_SK_SP_EUlS13_E_NS1_11comp_targetILNS1_3genE4ELNS1_11target_archE910ELNS1_3gpuE8ELNS1_3repE0EEENS1_47radix_sort_onesweep_sort_config_static_selectorELNS0_4arch9wavefront6targetE0EEEvSK_.has_recursion, 0
	.set _ZN7rocprim17ROCPRIM_400000_NS6detail17trampoline_kernelINS0_14default_configENS1_35radix_sort_onesweep_config_selectorIfNS0_10empty_typeEEEZZNS1_29radix_sort_onesweep_iterationIS3_Lb0EN6thrust23THRUST_200600_302600_NS6detail15normal_iteratorINS9_10device_ptrIfEEEESE_PS5_SF_jNS0_19identity_decomposerENS1_16block_id_wrapperIjLb0EEEEE10hipError_tT1_PNSt15iterator_traitsISK_E10value_typeET2_T3_PNSL_ISQ_E10value_typeET4_T5_PSV_SW_PNS1_23onesweep_lookback_stateEbbT6_jjT7_P12ihipStream_tbENKUlT_T0_SK_SP_E_clISE_PfSF_SF_EEDaS13_S14_SK_SP_EUlS13_E_NS1_11comp_targetILNS1_3genE4ELNS1_11target_archE910ELNS1_3gpuE8ELNS1_3repE0EEENS1_47radix_sort_onesweep_sort_config_static_selectorELNS0_4arch9wavefront6targetE0EEEvSK_.has_indirect_call, 0
	.section	.AMDGPU.csdata,"",@progbits
; Kernel info:
; codeLenInByte = 0
; TotalNumSgprs: 0
; NumVgprs: 0
; ScratchSize: 0
; MemoryBound: 0
; FloatMode: 240
; IeeeMode: 1
; LDSByteSize: 0 bytes/workgroup (compile time only)
; SGPRBlocks: 0
; VGPRBlocks: 0
; NumSGPRsForWavesPerEU: 1
; NumVGPRsForWavesPerEU: 1
; Occupancy: 16
; WaveLimiterHint : 0
; COMPUTE_PGM_RSRC2:SCRATCH_EN: 0
; COMPUTE_PGM_RSRC2:USER_SGPR: 6
; COMPUTE_PGM_RSRC2:TRAP_HANDLER: 0
; COMPUTE_PGM_RSRC2:TGID_X_EN: 1
; COMPUTE_PGM_RSRC2:TGID_Y_EN: 0
; COMPUTE_PGM_RSRC2:TGID_Z_EN: 0
; COMPUTE_PGM_RSRC2:TIDIG_COMP_CNT: 0
	.section	.text._ZN7rocprim17ROCPRIM_400000_NS6detail17trampoline_kernelINS0_14default_configENS1_35radix_sort_onesweep_config_selectorIfNS0_10empty_typeEEEZZNS1_29radix_sort_onesweep_iterationIS3_Lb0EN6thrust23THRUST_200600_302600_NS6detail15normal_iteratorINS9_10device_ptrIfEEEESE_PS5_SF_jNS0_19identity_decomposerENS1_16block_id_wrapperIjLb0EEEEE10hipError_tT1_PNSt15iterator_traitsISK_E10value_typeET2_T3_PNSL_ISQ_E10value_typeET4_T5_PSV_SW_PNS1_23onesweep_lookback_stateEbbT6_jjT7_P12ihipStream_tbENKUlT_T0_SK_SP_E_clISE_PfSF_SF_EEDaS13_S14_SK_SP_EUlS13_E_NS1_11comp_targetILNS1_3genE3ELNS1_11target_archE908ELNS1_3gpuE7ELNS1_3repE0EEENS1_47radix_sort_onesweep_sort_config_static_selectorELNS0_4arch9wavefront6targetE0EEEvSK_,"axG",@progbits,_ZN7rocprim17ROCPRIM_400000_NS6detail17trampoline_kernelINS0_14default_configENS1_35radix_sort_onesweep_config_selectorIfNS0_10empty_typeEEEZZNS1_29radix_sort_onesweep_iterationIS3_Lb0EN6thrust23THRUST_200600_302600_NS6detail15normal_iteratorINS9_10device_ptrIfEEEESE_PS5_SF_jNS0_19identity_decomposerENS1_16block_id_wrapperIjLb0EEEEE10hipError_tT1_PNSt15iterator_traitsISK_E10value_typeET2_T3_PNSL_ISQ_E10value_typeET4_T5_PSV_SW_PNS1_23onesweep_lookback_stateEbbT6_jjT7_P12ihipStream_tbENKUlT_T0_SK_SP_E_clISE_PfSF_SF_EEDaS13_S14_SK_SP_EUlS13_E_NS1_11comp_targetILNS1_3genE3ELNS1_11target_archE908ELNS1_3gpuE7ELNS1_3repE0EEENS1_47radix_sort_onesweep_sort_config_static_selectorELNS0_4arch9wavefront6targetE0EEEvSK_,comdat
	.protected	_ZN7rocprim17ROCPRIM_400000_NS6detail17trampoline_kernelINS0_14default_configENS1_35radix_sort_onesweep_config_selectorIfNS0_10empty_typeEEEZZNS1_29radix_sort_onesweep_iterationIS3_Lb0EN6thrust23THRUST_200600_302600_NS6detail15normal_iteratorINS9_10device_ptrIfEEEESE_PS5_SF_jNS0_19identity_decomposerENS1_16block_id_wrapperIjLb0EEEEE10hipError_tT1_PNSt15iterator_traitsISK_E10value_typeET2_T3_PNSL_ISQ_E10value_typeET4_T5_PSV_SW_PNS1_23onesweep_lookback_stateEbbT6_jjT7_P12ihipStream_tbENKUlT_T0_SK_SP_E_clISE_PfSF_SF_EEDaS13_S14_SK_SP_EUlS13_E_NS1_11comp_targetILNS1_3genE3ELNS1_11target_archE908ELNS1_3gpuE7ELNS1_3repE0EEENS1_47radix_sort_onesweep_sort_config_static_selectorELNS0_4arch9wavefront6targetE0EEEvSK_ ; -- Begin function _ZN7rocprim17ROCPRIM_400000_NS6detail17trampoline_kernelINS0_14default_configENS1_35radix_sort_onesweep_config_selectorIfNS0_10empty_typeEEEZZNS1_29radix_sort_onesweep_iterationIS3_Lb0EN6thrust23THRUST_200600_302600_NS6detail15normal_iteratorINS9_10device_ptrIfEEEESE_PS5_SF_jNS0_19identity_decomposerENS1_16block_id_wrapperIjLb0EEEEE10hipError_tT1_PNSt15iterator_traitsISK_E10value_typeET2_T3_PNSL_ISQ_E10value_typeET4_T5_PSV_SW_PNS1_23onesweep_lookback_stateEbbT6_jjT7_P12ihipStream_tbENKUlT_T0_SK_SP_E_clISE_PfSF_SF_EEDaS13_S14_SK_SP_EUlS13_E_NS1_11comp_targetILNS1_3genE3ELNS1_11target_archE908ELNS1_3gpuE7ELNS1_3repE0EEENS1_47radix_sort_onesweep_sort_config_static_selectorELNS0_4arch9wavefront6targetE0EEEvSK_
	.globl	_ZN7rocprim17ROCPRIM_400000_NS6detail17trampoline_kernelINS0_14default_configENS1_35radix_sort_onesweep_config_selectorIfNS0_10empty_typeEEEZZNS1_29radix_sort_onesweep_iterationIS3_Lb0EN6thrust23THRUST_200600_302600_NS6detail15normal_iteratorINS9_10device_ptrIfEEEESE_PS5_SF_jNS0_19identity_decomposerENS1_16block_id_wrapperIjLb0EEEEE10hipError_tT1_PNSt15iterator_traitsISK_E10value_typeET2_T3_PNSL_ISQ_E10value_typeET4_T5_PSV_SW_PNS1_23onesweep_lookback_stateEbbT6_jjT7_P12ihipStream_tbENKUlT_T0_SK_SP_E_clISE_PfSF_SF_EEDaS13_S14_SK_SP_EUlS13_E_NS1_11comp_targetILNS1_3genE3ELNS1_11target_archE908ELNS1_3gpuE7ELNS1_3repE0EEENS1_47radix_sort_onesweep_sort_config_static_selectorELNS0_4arch9wavefront6targetE0EEEvSK_
	.p2align	8
	.type	_ZN7rocprim17ROCPRIM_400000_NS6detail17trampoline_kernelINS0_14default_configENS1_35radix_sort_onesweep_config_selectorIfNS0_10empty_typeEEEZZNS1_29radix_sort_onesweep_iterationIS3_Lb0EN6thrust23THRUST_200600_302600_NS6detail15normal_iteratorINS9_10device_ptrIfEEEESE_PS5_SF_jNS0_19identity_decomposerENS1_16block_id_wrapperIjLb0EEEEE10hipError_tT1_PNSt15iterator_traitsISK_E10value_typeET2_T3_PNSL_ISQ_E10value_typeET4_T5_PSV_SW_PNS1_23onesweep_lookback_stateEbbT6_jjT7_P12ihipStream_tbENKUlT_T0_SK_SP_E_clISE_PfSF_SF_EEDaS13_S14_SK_SP_EUlS13_E_NS1_11comp_targetILNS1_3genE3ELNS1_11target_archE908ELNS1_3gpuE7ELNS1_3repE0EEENS1_47radix_sort_onesweep_sort_config_static_selectorELNS0_4arch9wavefront6targetE0EEEvSK_,@function
_ZN7rocprim17ROCPRIM_400000_NS6detail17trampoline_kernelINS0_14default_configENS1_35radix_sort_onesweep_config_selectorIfNS0_10empty_typeEEEZZNS1_29radix_sort_onesweep_iterationIS3_Lb0EN6thrust23THRUST_200600_302600_NS6detail15normal_iteratorINS9_10device_ptrIfEEEESE_PS5_SF_jNS0_19identity_decomposerENS1_16block_id_wrapperIjLb0EEEEE10hipError_tT1_PNSt15iterator_traitsISK_E10value_typeET2_T3_PNSL_ISQ_E10value_typeET4_T5_PSV_SW_PNS1_23onesweep_lookback_stateEbbT6_jjT7_P12ihipStream_tbENKUlT_T0_SK_SP_E_clISE_PfSF_SF_EEDaS13_S14_SK_SP_EUlS13_E_NS1_11comp_targetILNS1_3genE3ELNS1_11target_archE908ELNS1_3gpuE7ELNS1_3repE0EEENS1_47radix_sort_onesweep_sort_config_static_selectorELNS0_4arch9wavefront6targetE0EEEvSK_: ; @_ZN7rocprim17ROCPRIM_400000_NS6detail17trampoline_kernelINS0_14default_configENS1_35radix_sort_onesweep_config_selectorIfNS0_10empty_typeEEEZZNS1_29radix_sort_onesweep_iterationIS3_Lb0EN6thrust23THRUST_200600_302600_NS6detail15normal_iteratorINS9_10device_ptrIfEEEESE_PS5_SF_jNS0_19identity_decomposerENS1_16block_id_wrapperIjLb0EEEEE10hipError_tT1_PNSt15iterator_traitsISK_E10value_typeET2_T3_PNSL_ISQ_E10value_typeET4_T5_PSV_SW_PNS1_23onesweep_lookback_stateEbbT6_jjT7_P12ihipStream_tbENKUlT_T0_SK_SP_E_clISE_PfSF_SF_EEDaS13_S14_SK_SP_EUlS13_E_NS1_11comp_targetILNS1_3genE3ELNS1_11target_archE908ELNS1_3gpuE7ELNS1_3repE0EEENS1_47radix_sort_onesweep_sort_config_static_selectorELNS0_4arch9wavefront6targetE0EEEvSK_
; %bb.0:
	.section	.rodata,"a",@progbits
	.p2align	6, 0x0
	.amdhsa_kernel _ZN7rocprim17ROCPRIM_400000_NS6detail17trampoline_kernelINS0_14default_configENS1_35radix_sort_onesweep_config_selectorIfNS0_10empty_typeEEEZZNS1_29radix_sort_onesweep_iterationIS3_Lb0EN6thrust23THRUST_200600_302600_NS6detail15normal_iteratorINS9_10device_ptrIfEEEESE_PS5_SF_jNS0_19identity_decomposerENS1_16block_id_wrapperIjLb0EEEEE10hipError_tT1_PNSt15iterator_traitsISK_E10value_typeET2_T3_PNSL_ISQ_E10value_typeET4_T5_PSV_SW_PNS1_23onesweep_lookback_stateEbbT6_jjT7_P12ihipStream_tbENKUlT_T0_SK_SP_E_clISE_PfSF_SF_EEDaS13_S14_SK_SP_EUlS13_E_NS1_11comp_targetILNS1_3genE3ELNS1_11target_archE908ELNS1_3gpuE7ELNS1_3repE0EEENS1_47radix_sort_onesweep_sort_config_static_selectorELNS0_4arch9wavefront6targetE0EEEvSK_
		.amdhsa_group_segment_fixed_size 0
		.amdhsa_private_segment_fixed_size 0
		.amdhsa_kernarg_size 88
		.amdhsa_user_sgpr_count 6
		.amdhsa_user_sgpr_private_segment_buffer 1
		.amdhsa_user_sgpr_dispatch_ptr 0
		.amdhsa_user_sgpr_queue_ptr 0
		.amdhsa_user_sgpr_kernarg_segment_ptr 1
		.amdhsa_user_sgpr_dispatch_id 0
		.amdhsa_user_sgpr_flat_scratch_init 0
		.amdhsa_user_sgpr_private_segment_size 0
		.amdhsa_wavefront_size32 1
		.amdhsa_uses_dynamic_stack 0
		.amdhsa_system_sgpr_private_segment_wavefront_offset 0
		.amdhsa_system_sgpr_workgroup_id_x 1
		.amdhsa_system_sgpr_workgroup_id_y 0
		.amdhsa_system_sgpr_workgroup_id_z 0
		.amdhsa_system_sgpr_workgroup_info 0
		.amdhsa_system_vgpr_workitem_id 0
		.amdhsa_next_free_vgpr 1
		.amdhsa_next_free_sgpr 1
		.amdhsa_reserve_vcc 0
		.amdhsa_reserve_flat_scratch 0
		.amdhsa_float_round_mode_32 0
		.amdhsa_float_round_mode_16_64 0
		.amdhsa_float_denorm_mode_32 3
		.amdhsa_float_denorm_mode_16_64 3
		.amdhsa_dx10_clamp 1
		.amdhsa_ieee_mode 1
		.amdhsa_fp16_overflow 0
		.amdhsa_workgroup_processor_mode 1
		.amdhsa_memory_ordered 1
		.amdhsa_forward_progress 1
		.amdhsa_shared_vgpr_count 0
		.amdhsa_exception_fp_ieee_invalid_op 0
		.amdhsa_exception_fp_denorm_src 0
		.amdhsa_exception_fp_ieee_div_zero 0
		.amdhsa_exception_fp_ieee_overflow 0
		.amdhsa_exception_fp_ieee_underflow 0
		.amdhsa_exception_fp_ieee_inexact 0
		.amdhsa_exception_int_div_zero 0
	.end_amdhsa_kernel
	.section	.text._ZN7rocprim17ROCPRIM_400000_NS6detail17trampoline_kernelINS0_14default_configENS1_35radix_sort_onesweep_config_selectorIfNS0_10empty_typeEEEZZNS1_29radix_sort_onesweep_iterationIS3_Lb0EN6thrust23THRUST_200600_302600_NS6detail15normal_iteratorINS9_10device_ptrIfEEEESE_PS5_SF_jNS0_19identity_decomposerENS1_16block_id_wrapperIjLb0EEEEE10hipError_tT1_PNSt15iterator_traitsISK_E10value_typeET2_T3_PNSL_ISQ_E10value_typeET4_T5_PSV_SW_PNS1_23onesweep_lookback_stateEbbT6_jjT7_P12ihipStream_tbENKUlT_T0_SK_SP_E_clISE_PfSF_SF_EEDaS13_S14_SK_SP_EUlS13_E_NS1_11comp_targetILNS1_3genE3ELNS1_11target_archE908ELNS1_3gpuE7ELNS1_3repE0EEENS1_47radix_sort_onesweep_sort_config_static_selectorELNS0_4arch9wavefront6targetE0EEEvSK_,"axG",@progbits,_ZN7rocprim17ROCPRIM_400000_NS6detail17trampoline_kernelINS0_14default_configENS1_35radix_sort_onesweep_config_selectorIfNS0_10empty_typeEEEZZNS1_29radix_sort_onesweep_iterationIS3_Lb0EN6thrust23THRUST_200600_302600_NS6detail15normal_iteratorINS9_10device_ptrIfEEEESE_PS5_SF_jNS0_19identity_decomposerENS1_16block_id_wrapperIjLb0EEEEE10hipError_tT1_PNSt15iterator_traitsISK_E10value_typeET2_T3_PNSL_ISQ_E10value_typeET4_T5_PSV_SW_PNS1_23onesweep_lookback_stateEbbT6_jjT7_P12ihipStream_tbENKUlT_T0_SK_SP_E_clISE_PfSF_SF_EEDaS13_S14_SK_SP_EUlS13_E_NS1_11comp_targetILNS1_3genE3ELNS1_11target_archE908ELNS1_3gpuE7ELNS1_3repE0EEENS1_47radix_sort_onesweep_sort_config_static_selectorELNS0_4arch9wavefront6targetE0EEEvSK_,comdat
.Lfunc_end600:
	.size	_ZN7rocprim17ROCPRIM_400000_NS6detail17trampoline_kernelINS0_14default_configENS1_35radix_sort_onesweep_config_selectorIfNS0_10empty_typeEEEZZNS1_29radix_sort_onesweep_iterationIS3_Lb0EN6thrust23THRUST_200600_302600_NS6detail15normal_iteratorINS9_10device_ptrIfEEEESE_PS5_SF_jNS0_19identity_decomposerENS1_16block_id_wrapperIjLb0EEEEE10hipError_tT1_PNSt15iterator_traitsISK_E10value_typeET2_T3_PNSL_ISQ_E10value_typeET4_T5_PSV_SW_PNS1_23onesweep_lookback_stateEbbT6_jjT7_P12ihipStream_tbENKUlT_T0_SK_SP_E_clISE_PfSF_SF_EEDaS13_S14_SK_SP_EUlS13_E_NS1_11comp_targetILNS1_3genE3ELNS1_11target_archE908ELNS1_3gpuE7ELNS1_3repE0EEENS1_47radix_sort_onesweep_sort_config_static_selectorELNS0_4arch9wavefront6targetE0EEEvSK_, .Lfunc_end600-_ZN7rocprim17ROCPRIM_400000_NS6detail17trampoline_kernelINS0_14default_configENS1_35radix_sort_onesweep_config_selectorIfNS0_10empty_typeEEEZZNS1_29radix_sort_onesweep_iterationIS3_Lb0EN6thrust23THRUST_200600_302600_NS6detail15normal_iteratorINS9_10device_ptrIfEEEESE_PS5_SF_jNS0_19identity_decomposerENS1_16block_id_wrapperIjLb0EEEEE10hipError_tT1_PNSt15iterator_traitsISK_E10value_typeET2_T3_PNSL_ISQ_E10value_typeET4_T5_PSV_SW_PNS1_23onesweep_lookback_stateEbbT6_jjT7_P12ihipStream_tbENKUlT_T0_SK_SP_E_clISE_PfSF_SF_EEDaS13_S14_SK_SP_EUlS13_E_NS1_11comp_targetILNS1_3genE3ELNS1_11target_archE908ELNS1_3gpuE7ELNS1_3repE0EEENS1_47radix_sort_onesweep_sort_config_static_selectorELNS0_4arch9wavefront6targetE0EEEvSK_
                                        ; -- End function
	.set _ZN7rocprim17ROCPRIM_400000_NS6detail17trampoline_kernelINS0_14default_configENS1_35radix_sort_onesweep_config_selectorIfNS0_10empty_typeEEEZZNS1_29radix_sort_onesweep_iterationIS3_Lb0EN6thrust23THRUST_200600_302600_NS6detail15normal_iteratorINS9_10device_ptrIfEEEESE_PS5_SF_jNS0_19identity_decomposerENS1_16block_id_wrapperIjLb0EEEEE10hipError_tT1_PNSt15iterator_traitsISK_E10value_typeET2_T3_PNSL_ISQ_E10value_typeET4_T5_PSV_SW_PNS1_23onesweep_lookback_stateEbbT6_jjT7_P12ihipStream_tbENKUlT_T0_SK_SP_E_clISE_PfSF_SF_EEDaS13_S14_SK_SP_EUlS13_E_NS1_11comp_targetILNS1_3genE3ELNS1_11target_archE908ELNS1_3gpuE7ELNS1_3repE0EEENS1_47radix_sort_onesweep_sort_config_static_selectorELNS0_4arch9wavefront6targetE0EEEvSK_.num_vgpr, 0
	.set _ZN7rocprim17ROCPRIM_400000_NS6detail17trampoline_kernelINS0_14default_configENS1_35radix_sort_onesweep_config_selectorIfNS0_10empty_typeEEEZZNS1_29radix_sort_onesweep_iterationIS3_Lb0EN6thrust23THRUST_200600_302600_NS6detail15normal_iteratorINS9_10device_ptrIfEEEESE_PS5_SF_jNS0_19identity_decomposerENS1_16block_id_wrapperIjLb0EEEEE10hipError_tT1_PNSt15iterator_traitsISK_E10value_typeET2_T3_PNSL_ISQ_E10value_typeET4_T5_PSV_SW_PNS1_23onesweep_lookback_stateEbbT6_jjT7_P12ihipStream_tbENKUlT_T0_SK_SP_E_clISE_PfSF_SF_EEDaS13_S14_SK_SP_EUlS13_E_NS1_11comp_targetILNS1_3genE3ELNS1_11target_archE908ELNS1_3gpuE7ELNS1_3repE0EEENS1_47radix_sort_onesweep_sort_config_static_selectorELNS0_4arch9wavefront6targetE0EEEvSK_.num_agpr, 0
	.set _ZN7rocprim17ROCPRIM_400000_NS6detail17trampoline_kernelINS0_14default_configENS1_35radix_sort_onesweep_config_selectorIfNS0_10empty_typeEEEZZNS1_29radix_sort_onesweep_iterationIS3_Lb0EN6thrust23THRUST_200600_302600_NS6detail15normal_iteratorINS9_10device_ptrIfEEEESE_PS5_SF_jNS0_19identity_decomposerENS1_16block_id_wrapperIjLb0EEEEE10hipError_tT1_PNSt15iterator_traitsISK_E10value_typeET2_T3_PNSL_ISQ_E10value_typeET4_T5_PSV_SW_PNS1_23onesweep_lookback_stateEbbT6_jjT7_P12ihipStream_tbENKUlT_T0_SK_SP_E_clISE_PfSF_SF_EEDaS13_S14_SK_SP_EUlS13_E_NS1_11comp_targetILNS1_3genE3ELNS1_11target_archE908ELNS1_3gpuE7ELNS1_3repE0EEENS1_47radix_sort_onesweep_sort_config_static_selectorELNS0_4arch9wavefront6targetE0EEEvSK_.numbered_sgpr, 0
	.set _ZN7rocprim17ROCPRIM_400000_NS6detail17trampoline_kernelINS0_14default_configENS1_35radix_sort_onesweep_config_selectorIfNS0_10empty_typeEEEZZNS1_29radix_sort_onesweep_iterationIS3_Lb0EN6thrust23THRUST_200600_302600_NS6detail15normal_iteratorINS9_10device_ptrIfEEEESE_PS5_SF_jNS0_19identity_decomposerENS1_16block_id_wrapperIjLb0EEEEE10hipError_tT1_PNSt15iterator_traitsISK_E10value_typeET2_T3_PNSL_ISQ_E10value_typeET4_T5_PSV_SW_PNS1_23onesweep_lookback_stateEbbT6_jjT7_P12ihipStream_tbENKUlT_T0_SK_SP_E_clISE_PfSF_SF_EEDaS13_S14_SK_SP_EUlS13_E_NS1_11comp_targetILNS1_3genE3ELNS1_11target_archE908ELNS1_3gpuE7ELNS1_3repE0EEENS1_47radix_sort_onesweep_sort_config_static_selectorELNS0_4arch9wavefront6targetE0EEEvSK_.num_named_barrier, 0
	.set _ZN7rocprim17ROCPRIM_400000_NS6detail17trampoline_kernelINS0_14default_configENS1_35radix_sort_onesweep_config_selectorIfNS0_10empty_typeEEEZZNS1_29radix_sort_onesweep_iterationIS3_Lb0EN6thrust23THRUST_200600_302600_NS6detail15normal_iteratorINS9_10device_ptrIfEEEESE_PS5_SF_jNS0_19identity_decomposerENS1_16block_id_wrapperIjLb0EEEEE10hipError_tT1_PNSt15iterator_traitsISK_E10value_typeET2_T3_PNSL_ISQ_E10value_typeET4_T5_PSV_SW_PNS1_23onesweep_lookback_stateEbbT6_jjT7_P12ihipStream_tbENKUlT_T0_SK_SP_E_clISE_PfSF_SF_EEDaS13_S14_SK_SP_EUlS13_E_NS1_11comp_targetILNS1_3genE3ELNS1_11target_archE908ELNS1_3gpuE7ELNS1_3repE0EEENS1_47radix_sort_onesweep_sort_config_static_selectorELNS0_4arch9wavefront6targetE0EEEvSK_.private_seg_size, 0
	.set _ZN7rocprim17ROCPRIM_400000_NS6detail17trampoline_kernelINS0_14default_configENS1_35radix_sort_onesweep_config_selectorIfNS0_10empty_typeEEEZZNS1_29radix_sort_onesweep_iterationIS3_Lb0EN6thrust23THRUST_200600_302600_NS6detail15normal_iteratorINS9_10device_ptrIfEEEESE_PS5_SF_jNS0_19identity_decomposerENS1_16block_id_wrapperIjLb0EEEEE10hipError_tT1_PNSt15iterator_traitsISK_E10value_typeET2_T3_PNSL_ISQ_E10value_typeET4_T5_PSV_SW_PNS1_23onesweep_lookback_stateEbbT6_jjT7_P12ihipStream_tbENKUlT_T0_SK_SP_E_clISE_PfSF_SF_EEDaS13_S14_SK_SP_EUlS13_E_NS1_11comp_targetILNS1_3genE3ELNS1_11target_archE908ELNS1_3gpuE7ELNS1_3repE0EEENS1_47radix_sort_onesweep_sort_config_static_selectorELNS0_4arch9wavefront6targetE0EEEvSK_.uses_vcc, 0
	.set _ZN7rocprim17ROCPRIM_400000_NS6detail17trampoline_kernelINS0_14default_configENS1_35radix_sort_onesweep_config_selectorIfNS0_10empty_typeEEEZZNS1_29radix_sort_onesweep_iterationIS3_Lb0EN6thrust23THRUST_200600_302600_NS6detail15normal_iteratorINS9_10device_ptrIfEEEESE_PS5_SF_jNS0_19identity_decomposerENS1_16block_id_wrapperIjLb0EEEEE10hipError_tT1_PNSt15iterator_traitsISK_E10value_typeET2_T3_PNSL_ISQ_E10value_typeET4_T5_PSV_SW_PNS1_23onesweep_lookback_stateEbbT6_jjT7_P12ihipStream_tbENKUlT_T0_SK_SP_E_clISE_PfSF_SF_EEDaS13_S14_SK_SP_EUlS13_E_NS1_11comp_targetILNS1_3genE3ELNS1_11target_archE908ELNS1_3gpuE7ELNS1_3repE0EEENS1_47radix_sort_onesweep_sort_config_static_selectorELNS0_4arch9wavefront6targetE0EEEvSK_.uses_flat_scratch, 0
	.set _ZN7rocprim17ROCPRIM_400000_NS6detail17trampoline_kernelINS0_14default_configENS1_35radix_sort_onesweep_config_selectorIfNS0_10empty_typeEEEZZNS1_29radix_sort_onesweep_iterationIS3_Lb0EN6thrust23THRUST_200600_302600_NS6detail15normal_iteratorINS9_10device_ptrIfEEEESE_PS5_SF_jNS0_19identity_decomposerENS1_16block_id_wrapperIjLb0EEEEE10hipError_tT1_PNSt15iterator_traitsISK_E10value_typeET2_T3_PNSL_ISQ_E10value_typeET4_T5_PSV_SW_PNS1_23onesweep_lookback_stateEbbT6_jjT7_P12ihipStream_tbENKUlT_T0_SK_SP_E_clISE_PfSF_SF_EEDaS13_S14_SK_SP_EUlS13_E_NS1_11comp_targetILNS1_3genE3ELNS1_11target_archE908ELNS1_3gpuE7ELNS1_3repE0EEENS1_47radix_sort_onesweep_sort_config_static_selectorELNS0_4arch9wavefront6targetE0EEEvSK_.has_dyn_sized_stack, 0
	.set _ZN7rocprim17ROCPRIM_400000_NS6detail17trampoline_kernelINS0_14default_configENS1_35radix_sort_onesweep_config_selectorIfNS0_10empty_typeEEEZZNS1_29radix_sort_onesweep_iterationIS3_Lb0EN6thrust23THRUST_200600_302600_NS6detail15normal_iteratorINS9_10device_ptrIfEEEESE_PS5_SF_jNS0_19identity_decomposerENS1_16block_id_wrapperIjLb0EEEEE10hipError_tT1_PNSt15iterator_traitsISK_E10value_typeET2_T3_PNSL_ISQ_E10value_typeET4_T5_PSV_SW_PNS1_23onesweep_lookback_stateEbbT6_jjT7_P12ihipStream_tbENKUlT_T0_SK_SP_E_clISE_PfSF_SF_EEDaS13_S14_SK_SP_EUlS13_E_NS1_11comp_targetILNS1_3genE3ELNS1_11target_archE908ELNS1_3gpuE7ELNS1_3repE0EEENS1_47radix_sort_onesweep_sort_config_static_selectorELNS0_4arch9wavefront6targetE0EEEvSK_.has_recursion, 0
	.set _ZN7rocprim17ROCPRIM_400000_NS6detail17trampoline_kernelINS0_14default_configENS1_35radix_sort_onesweep_config_selectorIfNS0_10empty_typeEEEZZNS1_29radix_sort_onesweep_iterationIS3_Lb0EN6thrust23THRUST_200600_302600_NS6detail15normal_iteratorINS9_10device_ptrIfEEEESE_PS5_SF_jNS0_19identity_decomposerENS1_16block_id_wrapperIjLb0EEEEE10hipError_tT1_PNSt15iterator_traitsISK_E10value_typeET2_T3_PNSL_ISQ_E10value_typeET4_T5_PSV_SW_PNS1_23onesweep_lookback_stateEbbT6_jjT7_P12ihipStream_tbENKUlT_T0_SK_SP_E_clISE_PfSF_SF_EEDaS13_S14_SK_SP_EUlS13_E_NS1_11comp_targetILNS1_3genE3ELNS1_11target_archE908ELNS1_3gpuE7ELNS1_3repE0EEENS1_47radix_sort_onesweep_sort_config_static_selectorELNS0_4arch9wavefront6targetE0EEEvSK_.has_indirect_call, 0
	.section	.AMDGPU.csdata,"",@progbits
; Kernel info:
; codeLenInByte = 0
; TotalNumSgprs: 0
; NumVgprs: 0
; ScratchSize: 0
; MemoryBound: 0
; FloatMode: 240
; IeeeMode: 1
; LDSByteSize: 0 bytes/workgroup (compile time only)
; SGPRBlocks: 0
; VGPRBlocks: 0
; NumSGPRsForWavesPerEU: 1
; NumVGPRsForWavesPerEU: 1
; Occupancy: 16
; WaveLimiterHint : 0
; COMPUTE_PGM_RSRC2:SCRATCH_EN: 0
; COMPUTE_PGM_RSRC2:USER_SGPR: 6
; COMPUTE_PGM_RSRC2:TRAP_HANDLER: 0
; COMPUTE_PGM_RSRC2:TGID_X_EN: 1
; COMPUTE_PGM_RSRC2:TGID_Y_EN: 0
; COMPUTE_PGM_RSRC2:TGID_Z_EN: 0
; COMPUTE_PGM_RSRC2:TIDIG_COMP_CNT: 0
	.section	.text._ZN7rocprim17ROCPRIM_400000_NS6detail17trampoline_kernelINS0_14default_configENS1_35radix_sort_onesweep_config_selectorIfNS0_10empty_typeEEEZZNS1_29radix_sort_onesweep_iterationIS3_Lb0EN6thrust23THRUST_200600_302600_NS6detail15normal_iteratorINS9_10device_ptrIfEEEESE_PS5_SF_jNS0_19identity_decomposerENS1_16block_id_wrapperIjLb0EEEEE10hipError_tT1_PNSt15iterator_traitsISK_E10value_typeET2_T3_PNSL_ISQ_E10value_typeET4_T5_PSV_SW_PNS1_23onesweep_lookback_stateEbbT6_jjT7_P12ihipStream_tbENKUlT_T0_SK_SP_E_clISE_PfSF_SF_EEDaS13_S14_SK_SP_EUlS13_E_NS1_11comp_targetILNS1_3genE10ELNS1_11target_archE1201ELNS1_3gpuE5ELNS1_3repE0EEENS1_47radix_sort_onesweep_sort_config_static_selectorELNS0_4arch9wavefront6targetE0EEEvSK_,"axG",@progbits,_ZN7rocprim17ROCPRIM_400000_NS6detail17trampoline_kernelINS0_14default_configENS1_35radix_sort_onesweep_config_selectorIfNS0_10empty_typeEEEZZNS1_29radix_sort_onesweep_iterationIS3_Lb0EN6thrust23THRUST_200600_302600_NS6detail15normal_iteratorINS9_10device_ptrIfEEEESE_PS5_SF_jNS0_19identity_decomposerENS1_16block_id_wrapperIjLb0EEEEE10hipError_tT1_PNSt15iterator_traitsISK_E10value_typeET2_T3_PNSL_ISQ_E10value_typeET4_T5_PSV_SW_PNS1_23onesweep_lookback_stateEbbT6_jjT7_P12ihipStream_tbENKUlT_T0_SK_SP_E_clISE_PfSF_SF_EEDaS13_S14_SK_SP_EUlS13_E_NS1_11comp_targetILNS1_3genE10ELNS1_11target_archE1201ELNS1_3gpuE5ELNS1_3repE0EEENS1_47radix_sort_onesweep_sort_config_static_selectorELNS0_4arch9wavefront6targetE0EEEvSK_,comdat
	.protected	_ZN7rocprim17ROCPRIM_400000_NS6detail17trampoline_kernelINS0_14default_configENS1_35radix_sort_onesweep_config_selectorIfNS0_10empty_typeEEEZZNS1_29radix_sort_onesweep_iterationIS3_Lb0EN6thrust23THRUST_200600_302600_NS6detail15normal_iteratorINS9_10device_ptrIfEEEESE_PS5_SF_jNS0_19identity_decomposerENS1_16block_id_wrapperIjLb0EEEEE10hipError_tT1_PNSt15iterator_traitsISK_E10value_typeET2_T3_PNSL_ISQ_E10value_typeET4_T5_PSV_SW_PNS1_23onesweep_lookback_stateEbbT6_jjT7_P12ihipStream_tbENKUlT_T0_SK_SP_E_clISE_PfSF_SF_EEDaS13_S14_SK_SP_EUlS13_E_NS1_11comp_targetILNS1_3genE10ELNS1_11target_archE1201ELNS1_3gpuE5ELNS1_3repE0EEENS1_47radix_sort_onesweep_sort_config_static_selectorELNS0_4arch9wavefront6targetE0EEEvSK_ ; -- Begin function _ZN7rocprim17ROCPRIM_400000_NS6detail17trampoline_kernelINS0_14default_configENS1_35radix_sort_onesweep_config_selectorIfNS0_10empty_typeEEEZZNS1_29radix_sort_onesweep_iterationIS3_Lb0EN6thrust23THRUST_200600_302600_NS6detail15normal_iteratorINS9_10device_ptrIfEEEESE_PS5_SF_jNS0_19identity_decomposerENS1_16block_id_wrapperIjLb0EEEEE10hipError_tT1_PNSt15iterator_traitsISK_E10value_typeET2_T3_PNSL_ISQ_E10value_typeET4_T5_PSV_SW_PNS1_23onesweep_lookback_stateEbbT6_jjT7_P12ihipStream_tbENKUlT_T0_SK_SP_E_clISE_PfSF_SF_EEDaS13_S14_SK_SP_EUlS13_E_NS1_11comp_targetILNS1_3genE10ELNS1_11target_archE1201ELNS1_3gpuE5ELNS1_3repE0EEENS1_47radix_sort_onesweep_sort_config_static_selectorELNS0_4arch9wavefront6targetE0EEEvSK_
	.globl	_ZN7rocprim17ROCPRIM_400000_NS6detail17trampoline_kernelINS0_14default_configENS1_35radix_sort_onesweep_config_selectorIfNS0_10empty_typeEEEZZNS1_29radix_sort_onesweep_iterationIS3_Lb0EN6thrust23THRUST_200600_302600_NS6detail15normal_iteratorINS9_10device_ptrIfEEEESE_PS5_SF_jNS0_19identity_decomposerENS1_16block_id_wrapperIjLb0EEEEE10hipError_tT1_PNSt15iterator_traitsISK_E10value_typeET2_T3_PNSL_ISQ_E10value_typeET4_T5_PSV_SW_PNS1_23onesweep_lookback_stateEbbT6_jjT7_P12ihipStream_tbENKUlT_T0_SK_SP_E_clISE_PfSF_SF_EEDaS13_S14_SK_SP_EUlS13_E_NS1_11comp_targetILNS1_3genE10ELNS1_11target_archE1201ELNS1_3gpuE5ELNS1_3repE0EEENS1_47radix_sort_onesweep_sort_config_static_selectorELNS0_4arch9wavefront6targetE0EEEvSK_
	.p2align	8
	.type	_ZN7rocprim17ROCPRIM_400000_NS6detail17trampoline_kernelINS0_14default_configENS1_35radix_sort_onesweep_config_selectorIfNS0_10empty_typeEEEZZNS1_29radix_sort_onesweep_iterationIS3_Lb0EN6thrust23THRUST_200600_302600_NS6detail15normal_iteratorINS9_10device_ptrIfEEEESE_PS5_SF_jNS0_19identity_decomposerENS1_16block_id_wrapperIjLb0EEEEE10hipError_tT1_PNSt15iterator_traitsISK_E10value_typeET2_T3_PNSL_ISQ_E10value_typeET4_T5_PSV_SW_PNS1_23onesweep_lookback_stateEbbT6_jjT7_P12ihipStream_tbENKUlT_T0_SK_SP_E_clISE_PfSF_SF_EEDaS13_S14_SK_SP_EUlS13_E_NS1_11comp_targetILNS1_3genE10ELNS1_11target_archE1201ELNS1_3gpuE5ELNS1_3repE0EEENS1_47radix_sort_onesweep_sort_config_static_selectorELNS0_4arch9wavefront6targetE0EEEvSK_,@function
_ZN7rocprim17ROCPRIM_400000_NS6detail17trampoline_kernelINS0_14default_configENS1_35radix_sort_onesweep_config_selectorIfNS0_10empty_typeEEEZZNS1_29radix_sort_onesweep_iterationIS3_Lb0EN6thrust23THRUST_200600_302600_NS6detail15normal_iteratorINS9_10device_ptrIfEEEESE_PS5_SF_jNS0_19identity_decomposerENS1_16block_id_wrapperIjLb0EEEEE10hipError_tT1_PNSt15iterator_traitsISK_E10value_typeET2_T3_PNSL_ISQ_E10value_typeET4_T5_PSV_SW_PNS1_23onesweep_lookback_stateEbbT6_jjT7_P12ihipStream_tbENKUlT_T0_SK_SP_E_clISE_PfSF_SF_EEDaS13_S14_SK_SP_EUlS13_E_NS1_11comp_targetILNS1_3genE10ELNS1_11target_archE1201ELNS1_3gpuE5ELNS1_3repE0EEENS1_47radix_sort_onesweep_sort_config_static_selectorELNS0_4arch9wavefront6targetE0EEEvSK_: ; @_ZN7rocprim17ROCPRIM_400000_NS6detail17trampoline_kernelINS0_14default_configENS1_35radix_sort_onesweep_config_selectorIfNS0_10empty_typeEEEZZNS1_29radix_sort_onesweep_iterationIS3_Lb0EN6thrust23THRUST_200600_302600_NS6detail15normal_iteratorINS9_10device_ptrIfEEEESE_PS5_SF_jNS0_19identity_decomposerENS1_16block_id_wrapperIjLb0EEEEE10hipError_tT1_PNSt15iterator_traitsISK_E10value_typeET2_T3_PNSL_ISQ_E10value_typeET4_T5_PSV_SW_PNS1_23onesweep_lookback_stateEbbT6_jjT7_P12ihipStream_tbENKUlT_T0_SK_SP_E_clISE_PfSF_SF_EEDaS13_S14_SK_SP_EUlS13_E_NS1_11comp_targetILNS1_3genE10ELNS1_11target_archE1201ELNS1_3gpuE5ELNS1_3repE0EEENS1_47radix_sort_onesweep_sort_config_static_selectorELNS0_4arch9wavefront6targetE0EEEvSK_
; %bb.0:
	.section	.rodata,"a",@progbits
	.p2align	6, 0x0
	.amdhsa_kernel _ZN7rocprim17ROCPRIM_400000_NS6detail17trampoline_kernelINS0_14default_configENS1_35radix_sort_onesweep_config_selectorIfNS0_10empty_typeEEEZZNS1_29radix_sort_onesweep_iterationIS3_Lb0EN6thrust23THRUST_200600_302600_NS6detail15normal_iteratorINS9_10device_ptrIfEEEESE_PS5_SF_jNS0_19identity_decomposerENS1_16block_id_wrapperIjLb0EEEEE10hipError_tT1_PNSt15iterator_traitsISK_E10value_typeET2_T3_PNSL_ISQ_E10value_typeET4_T5_PSV_SW_PNS1_23onesweep_lookback_stateEbbT6_jjT7_P12ihipStream_tbENKUlT_T0_SK_SP_E_clISE_PfSF_SF_EEDaS13_S14_SK_SP_EUlS13_E_NS1_11comp_targetILNS1_3genE10ELNS1_11target_archE1201ELNS1_3gpuE5ELNS1_3repE0EEENS1_47radix_sort_onesweep_sort_config_static_selectorELNS0_4arch9wavefront6targetE0EEEvSK_
		.amdhsa_group_segment_fixed_size 0
		.amdhsa_private_segment_fixed_size 0
		.amdhsa_kernarg_size 88
		.amdhsa_user_sgpr_count 6
		.amdhsa_user_sgpr_private_segment_buffer 1
		.amdhsa_user_sgpr_dispatch_ptr 0
		.amdhsa_user_sgpr_queue_ptr 0
		.amdhsa_user_sgpr_kernarg_segment_ptr 1
		.amdhsa_user_sgpr_dispatch_id 0
		.amdhsa_user_sgpr_flat_scratch_init 0
		.amdhsa_user_sgpr_private_segment_size 0
		.amdhsa_wavefront_size32 1
		.amdhsa_uses_dynamic_stack 0
		.amdhsa_system_sgpr_private_segment_wavefront_offset 0
		.amdhsa_system_sgpr_workgroup_id_x 1
		.amdhsa_system_sgpr_workgroup_id_y 0
		.amdhsa_system_sgpr_workgroup_id_z 0
		.amdhsa_system_sgpr_workgroup_info 0
		.amdhsa_system_vgpr_workitem_id 0
		.amdhsa_next_free_vgpr 1
		.amdhsa_next_free_sgpr 1
		.amdhsa_reserve_vcc 0
		.amdhsa_reserve_flat_scratch 0
		.amdhsa_float_round_mode_32 0
		.amdhsa_float_round_mode_16_64 0
		.amdhsa_float_denorm_mode_32 3
		.amdhsa_float_denorm_mode_16_64 3
		.amdhsa_dx10_clamp 1
		.amdhsa_ieee_mode 1
		.amdhsa_fp16_overflow 0
		.amdhsa_workgroup_processor_mode 1
		.amdhsa_memory_ordered 1
		.amdhsa_forward_progress 1
		.amdhsa_shared_vgpr_count 0
		.amdhsa_exception_fp_ieee_invalid_op 0
		.amdhsa_exception_fp_denorm_src 0
		.amdhsa_exception_fp_ieee_div_zero 0
		.amdhsa_exception_fp_ieee_overflow 0
		.amdhsa_exception_fp_ieee_underflow 0
		.amdhsa_exception_fp_ieee_inexact 0
		.amdhsa_exception_int_div_zero 0
	.end_amdhsa_kernel
	.section	.text._ZN7rocprim17ROCPRIM_400000_NS6detail17trampoline_kernelINS0_14default_configENS1_35radix_sort_onesweep_config_selectorIfNS0_10empty_typeEEEZZNS1_29radix_sort_onesweep_iterationIS3_Lb0EN6thrust23THRUST_200600_302600_NS6detail15normal_iteratorINS9_10device_ptrIfEEEESE_PS5_SF_jNS0_19identity_decomposerENS1_16block_id_wrapperIjLb0EEEEE10hipError_tT1_PNSt15iterator_traitsISK_E10value_typeET2_T3_PNSL_ISQ_E10value_typeET4_T5_PSV_SW_PNS1_23onesweep_lookback_stateEbbT6_jjT7_P12ihipStream_tbENKUlT_T0_SK_SP_E_clISE_PfSF_SF_EEDaS13_S14_SK_SP_EUlS13_E_NS1_11comp_targetILNS1_3genE10ELNS1_11target_archE1201ELNS1_3gpuE5ELNS1_3repE0EEENS1_47radix_sort_onesweep_sort_config_static_selectorELNS0_4arch9wavefront6targetE0EEEvSK_,"axG",@progbits,_ZN7rocprim17ROCPRIM_400000_NS6detail17trampoline_kernelINS0_14default_configENS1_35radix_sort_onesweep_config_selectorIfNS0_10empty_typeEEEZZNS1_29radix_sort_onesweep_iterationIS3_Lb0EN6thrust23THRUST_200600_302600_NS6detail15normal_iteratorINS9_10device_ptrIfEEEESE_PS5_SF_jNS0_19identity_decomposerENS1_16block_id_wrapperIjLb0EEEEE10hipError_tT1_PNSt15iterator_traitsISK_E10value_typeET2_T3_PNSL_ISQ_E10value_typeET4_T5_PSV_SW_PNS1_23onesweep_lookback_stateEbbT6_jjT7_P12ihipStream_tbENKUlT_T0_SK_SP_E_clISE_PfSF_SF_EEDaS13_S14_SK_SP_EUlS13_E_NS1_11comp_targetILNS1_3genE10ELNS1_11target_archE1201ELNS1_3gpuE5ELNS1_3repE0EEENS1_47radix_sort_onesweep_sort_config_static_selectorELNS0_4arch9wavefront6targetE0EEEvSK_,comdat
.Lfunc_end601:
	.size	_ZN7rocprim17ROCPRIM_400000_NS6detail17trampoline_kernelINS0_14default_configENS1_35radix_sort_onesweep_config_selectorIfNS0_10empty_typeEEEZZNS1_29radix_sort_onesweep_iterationIS3_Lb0EN6thrust23THRUST_200600_302600_NS6detail15normal_iteratorINS9_10device_ptrIfEEEESE_PS5_SF_jNS0_19identity_decomposerENS1_16block_id_wrapperIjLb0EEEEE10hipError_tT1_PNSt15iterator_traitsISK_E10value_typeET2_T3_PNSL_ISQ_E10value_typeET4_T5_PSV_SW_PNS1_23onesweep_lookback_stateEbbT6_jjT7_P12ihipStream_tbENKUlT_T0_SK_SP_E_clISE_PfSF_SF_EEDaS13_S14_SK_SP_EUlS13_E_NS1_11comp_targetILNS1_3genE10ELNS1_11target_archE1201ELNS1_3gpuE5ELNS1_3repE0EEENS1_47radix_sort_onesweep_sort_config_static_selectorELNS0_4arch9wavefront6targetE0EEEvSK_, .Lfunc_end601-_ZN7rocprim17ROCPRIM_400000_NS6detail17trampoline_kernelINS0_14default_configENS1_35radix_sort_onesweep_config_selectorIfNS0_10empty_typeEEEZZNS1_29radix_sort_onesweep_iterationIS3_Lb0EN6thrust23THRUST_200600_302600_NS6detail15normal_iteratorINS9_10device_ptrIfEEEESE_PS5_SF_jNS0_19identity_decomposerENS1_16block_id_wrapperIjLb0EEEEE10hipError_tT1_PNSt15iterator_traitsISK_E10value_typeET2_T3_PNSL_ISQ_E10value_typeET4_T5_PSV_SW_PNS1_23onesweep_lookback_stateEbbT6_jjT7_P12ihipStream_tbENKUlT_T0_SK_SP_E_clISE_PfSF_SF_EEDaS13_S14_SK_SP_EUlS13_E_NS1_11comp_targetILNS1_3genE10ELNS1_11target_archE1201ELNS1_3gpuE5ELNS1_3repE0EEENS1_47radix_sort_onesweep_sort_config_static_selectorELNS0_4arch9wavefront6targetE0EEEvSK_
                                        ; -- End function
	.set _ZN7rocprim17ROCPRIM_400000_NS6detail17trampoline_kernelINS0_14default_configENS1_35radix_sort_onesweep_config_selectorIfNS0_10empty_typeEEEZZNS1_29radix_sort_onesweep_iterationIS3_Lb0EN6thrust23THRUST_200600_302600_NS6detail15normal_iteratorINS9_10device_ptrIfEEEESE_PS5_SF_jNS0_19identity_decomposerENS1_16block_id_wrapperIjLb0EEEEE10hipError_tT1_PNSt15iterator_traitsISK_E10value_typeET2_T3_PNSL_ISQ_E10value_typeET4_T5_PSV_SW_PNS1_23onesweep_lookback_stateEbbT6_jjT7_P12ihipStream_tbENKUlT_T0_SK_SP_E_clISE_PfSF_SF_EEDaS13_S14_SK_SP_EUlS13_E_NS1_11comp_targetILNS1_3genE10ELNS1_11target_archE1201ELNS1_3gpuE5ELNS1_3repE0EEENS1_47radix_sort_onesweep_sort_config_static_selectorELNS0_4arch9wavefront6targetE0EEEvSK_.num_vgpr, 0
	.set _ZN7rocprim17ROCPRIM_400000_NS6detail17trampoline_kernelINS0_14default_configENS1_35radix_sort_onesweep_config_selectorIfNS0_10empty_typeEEEZZNS1_29radix_sort_onesweep_iterationIS3_Lb0EN6thrust23THRUST_200600_302600_NS6detail15normal_iteratorINS9_10device_ptrIfEEEESE_PS5_SF_jNS0_19identity_decomposerENS1_16block_id_wrapperIjLb0EEEEE10hipError_tT1_PNSt15iterator_traitsISK_E10value_typeET2_T3_PNSL_ISQ_E10value_typeET4_T5_PSV_SW_PNS1_23onesweep_lookback_stateEbbT6_jjT7_P12ihipStream_tbENKUlT_T0_SK_SP_E_clISE_PfSF_SF_EEDaS13_S14_SK_SP_EUlS13_E_NS1_11comp_targetILNS1_3genE10ELNS1_11target_archE1201ELNS1_3gpuE5ELNS1_3repE0EEENS1_47radix_sort_onesweep_sort_config_static_selectorELNS0_4arch9wavefront6targetE0EEEvSK_.num_agpr, 0
	.set _ZN7rocprim17ROCPRIM_400000_NS6detail17trampoline_kernelINS0_14default_configENS1_35radix_sort_onesweep_config_selectorIfNS0_10empty_typeEEEZZNS1_29radix_sort_onesweep_iterationIS3_Lb0EN6thrust23THRUST_200600_302600_NS6detail15normal_iteratorINS9_10device_ptrIfEEEESE_PS5_SF_jNS0_19identity_decomposerENS1_16block_id_wrapperIjLb0EEEEE10hipError_tT1_PNSt15iterator_traitsISK_E10value_typeET2_T3_PNSL_ISQ_E10value_typeET4_T5_PSV_SW_PNS1_23onesweep_lookback_stateEbbT6_jjT7_P12ihipStream_tbENKUlT_T0_SK_SP_E_clISE_PfSF_SF_EEDaS13_S14_SK_SP_EUlS13_E_NS1_11comp_targetILNS1_3genE10ELNS1_11target_archE1201ELNS1_3gpuE5ELNS1_3repE0EEENS1_47radix_sort_onesweep_sort_config_static_selectorELNS0_4arch9wavefront6targetE0EEEvSK_.numbered_sgpr, 0
	.set _ZN7rocprim17ROCPRIM_400000_NS6detail17trampoline_kernelINS0_14default_configENS1_35radix_sort_onesweep_config_selectorIfNS0_10empty_typeEEEZZNS1_29radix_sort_onesweep_iterationIS3_Lb0EN6thrust23THRUST_200600_302600_NS6detail15normal_iteratorINS9_10device_ptrIfEEEESE_PS5_SF_jNS0_19identity_decomposerENS1_16block_id_wrapperIjLb0EEEEE10hipError_tT1_PNSt15iterator_traitsISK_E10value_typeET2_T3_PNSL_ISQ_E10value_typeET4_T5_PSV_SW_PNS1_23onesweep_lookback_stateEbbT6_jjT7_P12ihipStream_tbENKUlT_T0_SK_SP_E_clISE_PfSF_SF_EEDaS13_S14_SK_SP_EUlS13_E_NS1_11comp_targetILNS1_3genE10ELNS1_11target_archE1201ELNS1_3gpuE5ELNS1_3repE0EEENS1_47radix_sort_onesweep_sort_config_static_selectorELNS0_4arch9wavefront6targetE0EEEvSK_.num_named_barrier, 0
	.set _ZN7rocprim17ROCPRIM_400000_NS6detail17trampoline_kernelINS0_14default_configENS1_35radix_sort_onesweep_config_selectorIfNS0_10empty_typeEEEZZNS1_29radix_sort_onesweep_iterationIS3_Lb0EN6thrust23THRUST_200600_302600_NS6detail15normal_iteratorINS9_10device_ptrIfEEEESE_PS5_SF_jNS0_19identity_decomposerENS1_16block_id_wrapperIjLb0EEEEE10hipError_tT1_PNSt15iterator_traitsISK_E10value_typeET2_T3_PNSL_ISQ_E10value_typeET4_T5_PSV_SW_PNS1_23onesweep_lookback_stateEbbT6_jjT7_P12ihipStream_tbENKUlT_T0_SK_SP_E_clISE_PfSF_SF_EEDaS13_S14_SK_SP_EUlS13_E_NS1_11comp_targetILNS1_3genE10ELNS1_11target_archE1201ELNS1_3gpuE5ELNS1_3repE0EEENS1_47radix_sort_onesweep_sort_config_static_selectorELNS0_4arch9wavefront6targetE0EEEvSK_.private_seg_size, 0
	.set _ZN7rocprim17ROCPRIM_400000_NS6detail17trampoline_kernelINS0_14default_configENS1_35radix_sort_onesweep_config_selectorIfNS0_10empty_typeEEEZZNS1_29radix_sort_onesweep_iterationIS3_Lb0EN6thrust23THRUST_200600_302600_NS6detail15normal_iteratorINS9_10device_ptrIfEEEESE_PS5_SF_jNS0_19identity_decomposerENS1_16block_id_wrapperIjLb0EEEEE10hipError_tT1_PNSt15iterator_traitsISK_E10value_typeET2_T3_PNSL_ISQ_E10value_typeET4_T5_PSV_SW_PNS1_23onesweep_lookback_stateEbbT6_jjT7_P12ihipStream_tbENKUlT_T0_SK_SP_E_clISE_PfSF_SF_EEDaS13_S14_SK_SP_EUlS13_E_NS1_11comp_targetILNS1_3genE10ELNS1_11target_archE1201ELNS1_3gpuE5ELNS1_3repE0EEENS1_47radix_sort_onesweep_sort_config_static_selectorELNS0_4arch9wavefront6targetE0EEEvSK_.uses_vcc, 0
	.set _ZN7rocprim17ROCPRIM_400000_NS6detail17trampoline_kernelINS0_14default_configENS1_35radix_sort_onesweep_config_selectorIfNS0_10empty_typeEEEZZNS1_29radix_sort_onesweep_iterationIS3_Lb0EN6thrust23THRUST_200600_302600_NS6detail15normal_iteratorINS9_10device_ptrIfEEEESE_PS5_SF_jNS0_19identity_decomposerENS1_16block_id_wrapperIjLb0EEEEE10hipError_tT1_PNSt15iterator_traitsISK_E10value_typeET2_T3_PNSL_ISQ_E10value_typeET4_T5_PSV_SW_PNS1_23onesweep_lookback_stateEbbT6_jjT7_P12ihipStream_tbENKUlT_T0_SK_SP_E_clISE_PfSF_SF_EEDaS13_S14_SK_SP_EUlS13_E_NS1_11comp_targetILNS1_3genE10ELNS1_11target_archE1201ELNS1_3gpuE5ELNS1_3repE0EEENS1_47radix_sort_onesweep_sort_config_static_selectorELNS0_4arch9wavefront6targetE0EEEvSK_.uses_flat_scratch, 0
	.set _ZN7rocprim17ROCPRIM_400000_NS6detail17trampoline_kernelINS0_14default_configENS1_35radix_sort_onesweep_config_selectorIfNS0_10empty_typeEEEZZNS1_29radix_sort_onesweep_iterationIS3_Lb0EN6thrust23THRUST_200600_302600_NS6detail15normal_iteratorINS9_10device_ptrIfEEEESE_PS5_SF_jNS0_19identity_decomposerENS1_16block_id_wrapperIjLb0EEEEE10hipError_tT1_PNSt15iterator_traitsISK_E10value_typeET2_T3_PNSL_ISQ_E10value_typeET4_T5_PSV_SW_PNS1_23onesweep_lookback_stateEbbT6_jjT7_P12ihipStream_tbENKUlT_T0_SK_SP_E_clISE_PfSF_SF_EEDaS13_S14_SK_SP_EUlS13_E_NS1_11comp_targetILNS1_3genE10ELNS1_11target_archE1201ELNS1_3gpuE5ELNS1_3repE0EEENS1_47radix_sort_onesweep_sort_config_static_selectorELNS0_4arch9wavefront6targetE0EEEvSK_.has_dyn_sized_stack, 0
	.set _ZN7rocprim17ROCPRIM_400000_NS6detail17trampoline_kernelINS0_14default_configENS1_35radix_sort_onesweep_config_selectorIfNS0_10empty_typeEEEZZNS1_29radix_sort_onesweep_iterationIS3_Lb0EN6thrust23THRUST_200600_302600_NS6detail15normal_iteratorINS9_10device_ptrIfEEEESE_PS5_SF_jNS0_19identity_decomposerENS1_16block_id_wrapperIjLb0EEEEE10hipError_tT1_PNSt15iterator_traitsISK_E10value_typeET2_T3_PNSL_ISQ_E10value_typeET4_T5_PSV_SW_PNS1_23onesweep_lookback_stateEbbT6_jjT7_P12ihipStream_tbENKUlT_T0_SK_SP_E_clISE_PfSF_SF_EEDaS13_S14_SK_SP_EUlS13_E_NS1_11comp_targetILNS1_3genE10ELNS1_11target_archE1201ELNS1_3gpuE5ELNS1_3repE0EEENS1_47radix_sort_onesweep_sort_config_static_selectorELNS0_4arch9wavefront6targetE0EEEvSK_.has_recursion, 0
	.set _ZN7rocprim17ROCPRIM_400000_NS6detail17trampoline_kernelINS0_14default_configENS1_35radix_sort_onesweep_config_selectorIfNS0_10empty_typeEEEZZNS1_29radix_sort_onesweep_iterationIS3_Lb0EN6thrust23THRUST_200600_302600_NS6detail15normal_iteratorINS9_10device_ptrIfEEEESE_PS5_SF_jNS0_19identity_decomposerENS1_16block_id_wrapperIjLb0EEEEE10hipError_tT1_PNSt15iterator_traitsISK_E10value_typeET2_T3_PNSL_ISQ_E10value_typeET4_T5_PSV_SW_PNS1_23onesweep_lookback_stateEbbT6_jjT7_P12ihipStream_tbENKUlT_T0_SK_SP_E_clISE_PfSF_SF_EEDaS13_S14_SK_SP_EUlS13_E_NS1_11comp_targetILNS1_3genE10ELNS1_11target_archE1201ELNS1_3gpuE5ELNS1_3repE0EEENS1_47radix_sort_onesweep_sort_config_static_selectorELNS0_4arch9wavefront6targetE0EEEvSK_.has_indirect_call, 0
	.section	.AMDGPU.csdata,"",@progbits
; Kernel info:
; codeLenInByte = 0
; TotalNumSgprs: 0
; NumVgprs: 0
; ScratchSize: 0
; MemoryBound: 0
; FloatMode: 240
; IeeeMode: 1
; LDSByteSize: 0 bytes/workgroup (compile time only)
; SGPRBlocks: 0
; VGPRBlocks: 0
; NumSGPRsForWavesPerEU: 1
; NumVGPRsForWavesPerEU: 1
; Occupancy: 16
; WaveLimiterHint : 0
; COMPUTE_PGM_RSRC2:SCRATCH_EN: 0
; COMPUTE_PGM_RSRC2:USER_SGPR: 6
; COMPUTE_PGM_RSRC2:TRAP_HANDLER: 0
; COMPUTE_PGM_RSRC2:TGID_X_EN: 1
; COMPUTE_PGM_RSRC2:TGID_Y_EN: 0
; COMPUTE_PGM_RSRC2:TGID_Z_EN: 0
; COMPUTE_PGM_RSRC2:TIDIG_COMP_CNT: 0
	.section	.text._ZN7rocprim17ROCPRIM_400000_NS6detail17trampoline_kernelINS0_14default_configENS1_35radix_sort_onesweep_config_selectorIfNS0_10empty_typeEEEZZNS1_29radix_sort_onesweep_iterationIS3_Lb0EN6thrust23THRUST_200600_302600_NS6detail15normal_iteratorINS9_10device_ptrIfEEEESE_PS5_SF_jNS0_19identity_decomposerENS1_16block_id_wrapperIjLb0EEEEE10hipError_tT1_PNSt15iterator_traitsISK_E10value_typeET2_T3_PNSL_ISQ_E10value_typeET4_T5_PSV_SW_PNS1_23onesweep_lookback_stateEbbT6_jjT7_P12ihipStream_tbENKUlT_T0_SK_SP_E_clISE_PfSF_SF_EEDaS13_S14_SK_SP_EUlS13_E_NS1_11comp_targetILNS1_3genE9ELNS1_11target_archE1100ELNS1_3gpuE3ELNS1_3repE0EEENS1_47radix_sort_onesweep_sort_config_static_selectorELNS0_4arch9wavefront6targetE0EEEvSK_,"axG",@progbits,_ZN7rocprim17ROCPRIM_400000_NS6detail17trampoline_kernelINS0_14default_configENS1_35radix_sort_onesweep_config_selectorIfNS0_10empty_typeEEEZZNS1_29radix_sort_onesweep_iterationIS3_Lb0EN6thrust23THRUST_200600_302600_NS6detail15normal_iteratorINS9_10device_ptrIfEEEESE_PS5_SF_jNS0_19identity_decomposerENS1_16block_id_wrapperIjLb0EEEEE10hipError_tT1_PNSt15iterator_traitsISK_E10value_typeET2_T3_PNSL_ISQ_E10value_typeET4_T5_PSV_SW_PNS1_23onesweep_lookback_stateEbbT6_jjT7_P12ihipStream_tbENKUlT_T0_SK_SP_E_clISE_PfSF_SF_EEDaS13_S14_SK_SP_EUlS13_E_NS1_11comp_targetILNS1_3genE9ELNS1_11target_archE1100ELNS1_3gpuE3ELNS1_3repE0EEENS1_47radix_sort_onesweep_sort_config_static_selectorELNS0_4arch9wavefront6targetE0EEEvSK_,comdat
	.protected	_ZN7rocprim17ROCPRIM_400000_NS6detail17trampoline_kernelINS0_14default_configENS1_35radix_sort_onesweep_config_selectorIfNS0_10empty_typeEEEZZNS1_29radix_sort_onesweep_iterationIS3_Lb0EN6thrust23THRUST_200600_302600_NS6detail15normal_iteratorINS9_10device_ptrIfEEEESE_PS5_SF_jNS0_19identity_decomposerENS1_16block_id_wrapperIjLb0EEEEE10hipError_tT1_PNSt15iterator_traitsISK_E10value_typeET2_T3_PNSL_ISQ_E10value_typeET4_T5_PSV_SW_PNS1_23onesweep_lookback_stateEbbT6_jjT7_P12ihipStream_tbENKUlT_T0_SK_SP_E_clISE_PfSF_SF_EEDaS13_S14_SK_SP_EUlS13_E_NS1_11comp_targetILNS1_3genE9ELNS1_11target_archE1100ELNS1_3gpuE3ELNS1_3repE0EEENS1_47radix_sort_onesweep_sort_config_static_selectorELNS0_4arch9wavefront6targetE0EEEvSK_ ; -- Begin function _ZN7rocprim17ROCPRIM_400000_NS6detail17trampoline_kernelINS0_14default_configENS1_35radix_sort_onesweep_config_selectorIfNS0_10empty_typeEEEZZNS1_29radix_sort_onesweep_iterationIS3_Lb0EN6thrust23THRUST_200600_302600_NS6detail15normal_iteratorINS9_10device_ptrIfEEEESE_PS5_SF_jNS0_19identity_decomposerENS1_16block_id_wrapperIjLb0EEEEE10hipError_tT1_PNSt15iterator_traitsISK_E10value_typeET2_T3_PNSL_ISQ_E10value_typeET4_T5_PSV_SW_PNS1_23onesweep_lookback_stateEbbT6_jjT7_P12ihipStream_tbENKUlT_T0_SK_SP_E_clISE_PfSF_SF_EEDaS13_S14_SK_SP_EUlS13_E_NS1_11comp_targetILNS1_3genE9ELNS1_11target_archE1100ELNS1_3gpuE3ELNS1_3repE0EEENS1_47radix_sort_onesweep_sort_config_static_selectorELNS0_4arch9wavefront6targetE0EEEvSK_
	.globl	_ZN7rocprim17ROCPRIM_400000_NS6detail17trampoline_kernelINS0_14default_configENS1_35radix_sort_onesweep_config_selectorIfNS0_10empty_typeEEEZZNS1_29radix_sort_onesweep_iterationIS3_Lb0EN6thrust23THRUST_200600_302600_NS6detail15normal_iteratorINS9_10device_ptrIfEEEESE_PS5_SF_jNS0_19identity_decomposerENS1_16block_id_wrapperIjLb0EEEEE10hipError_tT1_PNSt15iterator_traitsISK_E10value_typeET2_T3_PNSL_ISQ_E10value_typeET4_T5_PSV_SW_PNS1_23onesweep_lookback_stateEbbT6_jjT7_P12ihipStream_tbENKUlT_T0_SK_SP_E_clISE_PfSF_SF_EEDaS13_S14_SK_SP_EUlS13_E_NS1_11comp_targetILNS1_3genE9ELNS1_11target_archE1100ELNS1_3gpuE3ELNS1_3repE0EEENS1_47radix_sort_onesweep_sort_config_static_selectorELNS0_4arch9wavefront6targetE0EEEvSK_
	.p2align	8
	.type	_ZN7rocprim17ROCPRIM_400000_NS6detail17trampoline_kernelINS0_14default_configENS1_35radix_sort_onesweep_config_selectorIfNS0_10empty_typeEEEZZNS1_29radix_sort_onesweep_iterationIS3_Lb0EN6thrust23THRUST_200600_302600_NS6detail15normal_iteratorINS9_10device_ptrIfEEEESE_PS5_SF_jNS0_19identity_decomposerENS1_16block_id_wrapperIjLb0EEEEE10hipError_tT1_PNSt15iterator_traitsISK_E10value_typeET2_T3_PNSL_ISQ_E10value_typeET4_T5_PSV_SW_PNS1_23onesweep_lookback_stateEbbT6_jjT7_P12ihipStream_tbENKUlT_T0_SK_SP_E_clISE_PfSF_SF_EEDaS13_S14_SK_SP_EUlS13_E_NS1_11comp_targetILNS1_3genE9ELNS1_11target_archE1100ELNS1_3gpuE3ELNS1_3repE0EEENS1_47radix_sort_onesweep_sort_config_static_selectorELNS0_4arch9wavefront6targetE0EEEvSK_,@function
_ZN7rocprim17ROCPRIM_400000_NS6detail17trampoline_kernelINS0_14default_configENS1_35radix_sort_onesweep_config_selectorIfNS0_10empty_typeEEEZZNS1_29radix_sort_onesweep_iterationIS3_Lb0EN6thrust23THRUST_200600_302600_NS6detail15normal_iteratorINS9_10device_ptrIfEEEESE_PS5_SF_jNS0_19identity_decomposerENS1_16block_id_wrapperIjLb0EEEEE10hipError_tT1_PNSt15iterator_traitsISK_E10value_typeET2_T3_PNSL_ISQ_E10value_typeET4_T5_PSV_SW_PNS1_23onesweep_lookback_stateEbbT6_jjT7_P12ihipStream_tbENKUlT_T0_SK_SP_E_clISE_PfSF_SF_EEDaS13_S14_SK_SP_EUlS13_E_NS1_11comp_targetILNS1_3genE9ELNS1_11target_archE1100ELNS1_3gpuE3ELNS1_3repE0EEENS1_47radix_sort_onesweep_sort_config_static_selectorELNS0_4arch9wavefront6targetE0EEEvSK_: ; @_ZN7rocprim17ROCPRIM_400000_NS6detail17trampoline_kernelINS0_14default_configENS1_35radix_sort_onesweep_config_selectorIfNS0_10empty_typeEEEZZNS1_29radix_sort_onesweep_iterationIS3_Lb0EN6thrust23THRUST_200600_302600_NS6detail15normal_iteratorINS9_10device_ptrIfEEEESE_PS5_SF_jNS0_19identity_decomposerENS1_16block_id_wrapperIjLb0EEEEE10hipError_tT1_PNSt15iterator_traitsISK_E10value_typeET2_T3_PNSL_ISQ_E10value_typeET4_T5_PSV_SW_PNS1_23onesweep_lookback_stateEbbT6_jjT7_P12ihipStream_tbENKUlT_T0_SK_SP_E_clISE_PfSF_SF_EEDaS13_S14_SK_SP_EUlS13_E_NS1_11comp_targetILNS1_3genE9ELNS1_11target_archE1100ELNS1_3gpuE3ELNS1_3repE0EEENS1_47radix_sort_onesweep_sort_config_static_selectorELNS0_4arch9wavefront6targetE0EEEvSK_
; %bb.0:
	.section	.rodata,"a",@progbits
	.p2align	6, 0x0
	.amdhsa_kernel _ZN7rocprim17ROCPRIM_400000_NS6detail17trampoline_kernelINS0_14default_configENS1_35radix_sort_onesweep_config_selectorIfNS0_10empty_typeEEEZZNS1_29radix_sort_onesweep_iterationIS3_Lb0EN6thrust23THRUST_200600_302600_NS6detail15normal_iteratorINS9_10device_ptrIfEEEESE_PS5_SF_jNS0_19identity_decomposerENS1_16block_id_wrapperIjLb0EEEEE10hipError_tT1_PNSt15iterator_traitsISK_E10value_typeET2_T3_PNSL_ISQ_E10value_typeET4_T5_PSV_SW_PNS1_23onesweep_lookback_stateEbbT6_jjT7_P12ihipStream_tbENKUlT_T0_SK_SP_E_clISE_PfSF_SF_EEDaS13_S14_SK_SP_EUlS13_E_NS1_11comp_targetILNS1_3genE9ELNS1_11target_archE1100ELNS1_3gpuE3ELNS1_3repE0EEENS1_47radix_sort_onesweep_sort_config_static_selectorELNS0_4arch9wavefront6targetE0EEEvSK_
		.amdhsa_group_segment_fixed_size 0
		.amdhsa_private_segment_fixed_size 0
		.amdhsa_kernarg_size 88
		.amdhsa_user_sgpr_count 6
		.amdhsa_user_sgpr_private_segment_buffer 1
		.amdhsa_user_sgpr_dispatch_ptr 0
		.amdhsa_user_sgpr_queue_ptr 0
		.amdhsa_user_sgpr_kernarg_segment_ptr 1
		.amdhsa_user_sgpr_dispatch_id 0
		.amdhsa_user_sgpr_flat_scratch_init 0
		.amdhsa_user_sgpr_private_segment_size 0
		.amdhsa_wavefront_size32 1
		.amdhsa_uses_dynamic_stack 0
		.amdhsa_system_sgpr_private_segment_wavefront_offset 0
		.amdhsa_system_sgpr_workgroup_id_x 1
		.amdhsa_system_sgpr_workgroup_id_y 0
		.amdhsa_system_sgpr_workgroup_id_z 0
		.amdhsa_system_sgpr_workgroup_info 0
		.amdhsa_system_vgpr_workitem_id 0
		.amdhsa_next_free_vgpr 1
		.amdhsa_next_free_sgpr 1
		.amdhsa_reserve_vcc 0
		.amdhsa_reserve_flat_scratch 0
		.amdhsa_float_round_mode_32 0
		.amdhsa_float_round_mode_16_64 0
		.amdhsa_float_denorm_mode_32 3
		.amdhsa_float_denorm_mode_16_64 3
		.amdhsa_dx10_clamp 1
		.amdhsa_ieee_mode 1
		.amdhsa_fp16_overflow 0
		.amdhsa_workgroup_processor_mode 1
		.amdhsa_memory_ordered 1
		.amdhsa_forward_progress 1
		.amdhsa_shared_vgpr_count 0
		.amdhsa_exception_fp_ieee_invalid_op 0
		.amdhsa_exception_fp_denorm_src 0
		.amdhsa_exception_fp_ieee_div_zero 0
		.amdhsa_exception_fp_ieee_overflow 0
		.amdhsa_exception_fp_ieee_underflow 0
		.amdhsa_exception_fp_ieee_inexact 0
		.amdhsa_exception_int_div_zero 0
	.end_amdhsa_kernel
	.section	.text._ZN7rocprim17ROCPRIM_400000_NS6detail17trampoline_kernelINS0_14default_configENS1_35radix_sort_onesweep_config_selectorIfNS0_10empty_typeEEEZZNS1_29radix_sort_onesweep_iterationIS3_Lb0EN6thrust23THRUST_200600_302600_NS6detail15normal_iteratorINS9_10device_ptrIfEEEESE_PS5_SF_jNS0_19identity_decomposerENS1_16block_id_wrapperIjLb0EEEEE10hipError_tT1_PNSt15iterator_traitsISK_E10value_typeET2_T3_PNSL_ISQ_E10value_typeET4_T5_PSV_SW_PNS1_23onesweep_lookback_stateEbbT6_jjT7_P12ihipStream_tbENKUlT_T0_SK_SP_E_clISE_PfSF_SF_EEDaS13_S14_SK_SP_EUlS13_E_NS1_11comp_targetILNS1_3genE9ELNS1_11target_archE1100ELNS1_3gpuE3ELNS1_3repE0EEENS1_47radix_sort_onesweep_sort_config_static_selectorELNS0_4arch9wavefront6targetE0EEEvSK_,"axG",@progbits,_ZN7rocprim17ROCPRIM_400000_NS6detail17trampoline_kernelINS0_14default_configENS1_35radix_sort_onesweep_config_selectorIfNS0_10empty_typeEEEZZNS1_29radix_sort_onesweep_iterationIS3_Lb0EN6thrust23THRUST_200600_302600_NS6detail15normal_iteratorINS9_10device_ptrIfEEEESE_PS5_SF_jNS0_19identity_decomposerENS1_16block_id_wrapperIjLb0EEEEE10hipError_tT1_PNSt15iterator_traitsISK_E10value_typeET2_T3_PNSL_ISQ_E10value_typeET4_T5_PSV_SW_PNS1_23onesweep_lookback_stateEbbT6_jjT7_P12ihipStream_tbENKUlT_T0_SK_SP_E_clISE_PfSF_SF_EEDaS13_S14_SK_SP_EUlS13_E_NS1_11comp_targetILNS1_3genE9ELNS1_11target_archE1100ELNS1_3gpuE3ELNS1_3repE0EEENS1_47radix_sort_onesweep_sort_config_static_selectorELNS0_4arch9wavefront6targetE0EEEvSK_,comdat
.Lfunc_end602:
	.size	_ZN7rocprim17ROCPRIM_400000_NS6detail17trampoline_kernelINS0_14default_configENS1_35radix_sort_onesweep_config_selectorIfNS0_10empty_typeEEEZZNS1_29radix_sort_onesweep_iterationIS3_Lb0EN6thrust23THRUST_200600_302600_NS6detail15normal_iteratorINS9_10device_ptrIfEEEESE_PS5_SF_jNS0_19identity_decomposerENS1_16block_id_wrapperIjLb0EEEEE10hipError_tT1_PNSt15iterator_traitsISK_E10value_typeET2_T3_PNSL_ISQ_E10value_typeET4_T5_PSV_SW_PNS1_23onesweep_lookback_stateEbbT6_jjT7_P12ihipStream_tbENKUlT_T0_SK_SP_E_clISE_PfSF_SF_EEDaS13_S14_SK_SP_EUlS13_E_NS1_11comp_targetILNS1_3genE9ELNS1_11target_archE1100ELNS1_3gpuE3ELNS1_3repE0EEENS1_47radix_sort_onesweep_sort_config_static_selectorELNS0_4arch9wavefront6targetE0EEEvSK_, .Lfunc_end602-_ZN7rocprim17ROCPRIM_400000_NS6detail17trampoline_kernelINS0_14default_configENS1_35radix_sort_onesweep_config_selectorIfNS0_10empty_typeEEEZZNS1_29radix_sort_onesweep_iterationIS3_Lb0EN6thrust23THRUST_200600_302600_NS6detail15normal_iteratorINS9_10device_ptrIfEEEESE_PS5_SF_jNS0_19identity_decomposerENS1_16block_id_wrapperIjLb0EEEEE10hipError_tT1_PNSt15iterator_traitsISK_E10value_typeET2_T3_PNSL_ISQ_E10value_typeET4_T5_PSV_SW_PNS1_23onesweep_lookback_stateEbbT6_jjT7_P12ihipStream_tbENKUlT_T0_SK_SP_E_clISE_PfSF_SF_EEDaS13_S14_SK_SP_EUlS13_E_NS1_11comp_targetILNS1_3genE9ELNS1_11target_archE1100ELNS1_3gpuE3ELNS1_3repE0EEENS1_47radix_sort_onesweep_sort_config_static_selectorELNS0_4arch9wavefront6targetE0EEEvSK_
                                        ; -- End function
	.set _ZN7rocprim17ROCPRIM_400000_NS6detail17trampoline_kernelINS0_14default_configENS1_35radix_sort_onesweep_config_selectorIfNS0_10empty_typeEEEZZNS1_29radix_sort_onesweep_iterationIS3_Lb0EN6thrust23THRUST_200600_302600_NS6detail15normal_iteratorINS9_10device_ptrIfEEEESE_PS5_SF_jNS0_19identity_decomposerENS1_16block_id_wrapperIjLb0EEEEE10hipError_tT1_PNSt15iterator_traitsISK_E10value_typeET2_T3_PNSL_ISQ_E10value_typeET4_T5_PSV_SW_PNS1_23onesweep_lookback_stateEbbT6_jjT7_P12ihipStream_tbENKUlT_T0_SK_SP_E_clISE_PfSF_SF_EEDaS13_S14_SK_SP_EUlS13_E_NS1_11comp_targetILNS1_3genE9ELNS1_11target_archE1100ELNS1_3gpuE3ELNS1_3repE0EEENS1_47radix_sort_onesweep_sort_config_static_selectorELNS0_4arch9wavefront6targetE0EEEvSK_.num_vgpr, 0
	.set _ZN7rocprim17ROCPRIM_400000_NS6detail17trampoline_kernelINS0_14default_configENS1_35radix_sort_onesweep_config_selectorIfNS0_10empty_typeEEEZZNS1_29radix_sort_onesweep_iterationIS3_Lb0EN6thrust23THRUST_200600_302600_NS6detail15normal_iteratorINS9_10device_ptrIfEEEESE_PS5_SF_jNS0_19identity_decomposerENS1_16block_id_wrapperIjLb0EEEEE10hipError_tT1_PNSt15iterator_traitsISK_E10value_typeET2_T3_PNSL_ISQ_E10value_typeET4_T5_PSV_SW_PNS1_23onesweep_lookback_stateEbbT6_jjT7_P12ihipStream_tbENKUlT_T0_SK_SP_E_clISE_PfSF_SF_EEDaS13_S14_SK_SP_EUlS13_E_NS1_11comp_targetILNS1_3genE9ELNS1_11target_archE1100ELNS1_3gpuE3ELNS1_3repE0EEENS1_47radix_sort_onesweep_sort_config_static_selectorELNS0_4arch9wavefront6targetE0EEEvSK_.num_agpr, 0
	.set _ZN7rocprim17ROCPRIM_400000_NS6detail17trampoline_kernelINS0_14default_configENS1_35radix_sort_onesweep_config_selectorIfNS0_10empty_typeEEEZZNS1_29radix_sort_onesweep_iterationIS3_Lb0EN6thrust23THRUST_200600_302600_NS6detail15normal_iteratorINS9_10device_ptrIfEEEESE_PS5_SF_jNS0_19identity_decomposerENS1_16block_id_wrapperIjLb0EEEEE10hipError_tT1_PNSt15iterator_traitsISK_E10value_typeET2_T3_PNSL_ISQ_E10value_typeET4_T5_PSV_SW_PNS1_23onesweep_lookback_stateEbbT6_jjT7_P12ihipStream_tbENKUlT_T0_SK_SP_E_clISE_PfSF_SF_EEDaS13_S14_SK_SP_EUlS13_E_NS1_11comp_targetILNS1_3genE9ELNS1_11target_archE1100ELNS1_3gpuE3ELNS1_3repE0EEENS1_47radix_sort_onesweep_sort_config_static_selectorELNS0_4arch9wavefront6targetE0EEEvSK_.numbered_sgpr, 0
	.set _ZN7rocprim17ROCPRIM_400000_NS6detail17trampoline_kernelINS0_14default_configENS1_35radix_sort_onesweep_config_selectorIfNS0_10empty_typeEEEZZNS1_29radix_sort_onesweep_iterationIS3_Lb0EN6thrust23THRUST_200600_302600_NS6detail15normal_iteratorINS9_10device_ptrIfEEEESE_PS5_SF_jNS0_19identity_decomposerENS1_16block_id_wrapperIjLb0EEEEE10hipError_tT1_PNSt15iterator_traitsISK_E10value_typeET2_T3_PNSL_ISQ_E10value_typeET4_T5_PSV_SW_PNS1_23onesweep_lookback_stateEbbT6_jjT7_P12ihipStream_tbENKUlT_T0_SK_SP_E_clISE_PfSF_SF_EEDaS13_S14_SK_SP_EUlS13_E_NS1_11comp_targetILNS1_3genE9ELNS1_11target_archE1100ELNS1_3gpuE3ELNS1_3repE0EEENS1_47radix_sort_onesweep_sort_config_static_selectorELNS0_4arch9wavefront6targetE0EEEvSK_.num_named_barrier, 0
	.set _ZN7rocprim17ROCPRIM_400000_NS6detail17trampoline_kernelINS0_14default_configENS1_35radix_sort_onesweep_config_selectorIfNS0_10empty_typeEEEZZNS1_29radix_sort_onesweep_iterationIS3_Lb0EN6thrust23THRUST_200600_302600_NS6detail15normal_iteratorINS9_10device_ptrIfEEEESE_PS5_SF_jNS0_19identity_decomposerENS1_16block_id_wrapperIjLb0EEEEE10hipError_tT1_PNSt15iterator_traitsISK_E10value_typeET2_T3_PNSL_ISQ_E10value_typeET4_T5_PSV_SW_PNS1_23onesweep_lookback_stateEbbT6_jjT7_P12ihipStream_tbENKUlT_T0_SK_SP_E_clISE_PfSF_SF_EEDaS13_S14_SK_SP_EUlS13_E_NS1_11comp_targetILNS1_3genE9ELNS1_11target_archE1100ELNS1_3gpuE3ELNS1_3repE0EEENS1_47radix_sort_onesweep_sort_config_static_selectorELNS0_4arch9wavefront6targetE0EEEvSK_.private_seg_size, 0
	.set _ZN7rocprim17ROCPRIM_400000_NS6detail17trampoline_kernelINS0_14default_configENS1_35radix_sort_onesweep_config_selectorIfNS0_10empty_typeEEEZZNS1_29radix_sort_onesweep_iterationIS3_Lb0EN6thrust23THRUST_200600_302600_NS6detail15normal_iteratorINS9_10device_ptrIfEEEESE_PS5_SF_jNS0_19identity_decomposerENS1_16block_id_wrapperIjLb0EEEEE10hipError_tT1_PNSt15iterator_traitsISK_E10value_typeET2_T3_PNSL_ISQ_E10value_typeET4_T5_PSV_SW_PNS1_23onesweep_lookback_stateEbbT6_jjT7_P12ihipStream_tbENKUlT_T0_SK_SP_E_clISE_PfSF_SF_EEDaS13_S14_SK_SP_EUlS13_E_NS1_11comp_targetILNS1_3genE9ELNS1_11target_archE1100ELNS1_3gpuE3ELNS1_3repE0EEENS1_47radix_sort_onesweep_sort_config_static_selectorELNS0_4arch9wavefront6targetE0EEEvSK_.uses_vcc, 0
	.set _ZN7rocprim17ROCPRIM_400000_NS6detail17trampoline_kernelINS0_14default_configENS1_35radix_sort_onesweep_config_selectorIfNS0_10empty_typeEEEZZNS1_29radix_sort_onesweep_iterationIS3_Lb0EN6thrust23THRUST_200600_302600_NS6detail15normal_iteratorINS9_10device_ptrIfEEEESE_PS5_SF_jNS0_19identity_decomposerENS1_16block_id_wrapperIjLb0EEEEE10hipError_tT1_PNSt15iterator_traitsISK_E10value_typeET2_T3_PNSL_ISQ_E10value_typeET4_T5_PSV_SW_PNS1_23onesweep_lookback_stateEbbT6_jjT7_P12ihipStream_tbENKUlT_T0_SK_SP_E_clISE_PfSF_SF_EEDaS13_S14_SK_SP_EUlS13_E_NS1_11comp_targetILNS1_3genE9ELNS1_11target_archE1100ELNS1_3gpuE3ELNS1_3repE0EEENS1_47radix_sort_onesweep_sort_config_static_selectorELNS0_4arch9wavefront6targetE0EEEvSK_.uses_flat_scratch, 0
	.set _ZN7rocprim17ROCPRIM_400000_NS6detail17trampoline_kernelINS0_14default_configENS1_35radix_sort_onesweep_config_selectorIfNS0_10empty_typeEEEZZNS1_29radix_sort_onesweep_iterationIS3_Lb0EN6thrust23THRUST_200600_302600_NS6detail15normal_iteratorINS9_10device_ptrIfEEEESE_PS5_SF_jNS0_19identity_decomposerENS1_16block_id_wrapperIjLb0EEEEE10hipError_tT1_PNSt15iterator_traitsISK_E10value_typeET2_T3_PNSL_ISQ_E10value_typeET4_T5_PSV_SW_PNS1_23onesweep_lookback_stateEbbT6_jjT7_P12ihipStream_tbENKUlT_T0_SK_SP_E_clISE_PfSF_SF_EEDaS13_S14_SK_SP_EUlS13_E_NS1_11comp_targetILNS1_3genE9ELNS1_11target_archE1100ELNS1_3gpuE3ELNS1_3repE0EEENS1_47radix_sort_onesweep_sort_config_static_selectorELNS0_4arch9wavefront6targetE0EEEvSK_.has_dyn_sized_stack, 0
	.set _ZN7rocprim17ROCPRIM_400000_NS6detail17trampoline_kernelINS0_14default_configENS1_35radix_sort_onesweep_config_selectorIfNS0_10empty_typeEEEZZNS1_29radix_sort_onesweep_iterationIS3_Lb0EN6thrust23THRUST_200600_302600_NS6detail15normal_iteratorINS9_10device_ptrIfEEEESE_PS5_SF_jNS0_19identity_decomposerENS1_16block_id_wrapperIjLb0EEEEE10hipError_tT1_PNSt15iterator_traitsISK_E10value_typeET2_T3_PNSL_ISQ_E10value_typeET4_T5_PSV_SW_PNS1_23onesweep_lookback_stateEbbT6_jjT7_P12ihipStream_tbENKUlT_T0_SK_SP_E_clISE_PfSF_SF_EEDaS13_S14_SK_SP_EUlS13_E_NS1_11comp_targetILNS1_3genE9ELNS1_11target_archE1100ELNS1_3gpuE3ELNS1_3repE0EEENS1_47radix_sort_onesweep_sort_config_static_selectorELNS0_4arch9wavefront6targetE0EEEvSK_.has_recursion, 0
	.set _ZN7rocprim17ROCPRIM_400000_NS6detail17trampoline_kernelINS0_14default_configENS1_35radix_sort_onesweep_config_selectorIfNS0_10empty_typeEEEZZNS1_29radix_sort_onesweep_iterationIS3_Lb0EN6thrust23THRUST_200600_302600_NS6detail15normal_iteratorINS9_10device_ptrIfEEEESE_PS5_SF_jNS0_19identity_decomposerENS1_16block_id_wrapperIjLb0EEEEE10hipError_tT1_PNSt15iterator_traitsISK_E10value_typeET2_T3_PNSL_ISQ_E10value_typeET4_T5_PSV_SW_PNS1_23onesweep_lookback_stateEbbT6_jjT7_P12ihipStream_tbENKUlT_T0_SK_SP_E_clISE_PfSF_SF_EEDaS13_S14_SK_SP_EUlS13_E_NS1_11comp_targetILNS1_3genE9ELNS1_11target_archE1100ELNS1_3gpuE3ELNS1_3repE0EEENS1_47radix_sort_onesweep_sort_config_static_selectorELNS0_4arch9wavefront6targetE0EEEvSK_.has_indirect_call, 0
	.section	.AMDGPU.csdata,"",@progbits
; Kernel info:
; codeLenInByte = 0
; TotalNumSgprs: 0
; NumVgprs: 0
; ScratchSize: 0
; MemoryBound: 0
; FloatMode: 240
; IeeeMode: 1
; LDSByteSize: 0 bytes/workgroup (compile time only)
; SGPRBlocks: 0
; VGPRBlocks: 0
; NumSGPRsForWavesPerEU: 1
; NumVGPRsForWavesPerEU: 1
; Occupancy: 16
; WaveLimiterHint : 0
; COMPUTE_PGM_RSRC2:SCRATCH_EN: 0
; COMPUTE_PGM_RSRC2:USER_SGPR: 6
; COMPUTE_PGM_RSRC2:TRAP_HANDLER: 0
; COMPUTE_PGM_RSRC2:TGID_X_EN: 1
; COMPUTE_PGM_RSRC2:TGID_Y_EN: 0
; COMPUTE_PGM_RSRC2:TGID_Z_EN: 0
; COMPUTE_PGM_RSRC2:TIDIG_COMP_CNT: 0
	.section	.text._ZN7rocprim17ROCPRIM_400000_NS6detail17trampoline_kernelINS0_14default_configENS1_35radix_sort_onesweep_config_selectorIfNS0_10empty_typeEEEZZNS1_29radix_sort_onesweep_iterationIS3_Lb0EN6thrust23THRUST_200600_302600_NS6detail15normal_iteratorINS9_10device_ptrIfEEEESE_PS5_SF_jNS0_19identity_decomposerENS1_16block_id_wrapperIjLb0EEEEE10hipError_tT1_PNSt15iterator_traitsISK_E10value_typeET2_T3_PNSL_ISQ_E10value_typeET4_T5_PSV_SW_PNS1_23onesweep_lookback_stateEbbT6_jjT7_P12ihipStream_tbENKUlT_T0_SK_SP_E_clISE_PfSF_SF_EEDaS13_S14_SK_SP_EUlS13_E_NS1_11comp_targetILNS1_3genE8ELNS1_11target_archE1030ELNS1_3gpuE2ELNS1_3repE0EEENS1_47radix_sort_onesweep_sort_config_static_selectorELNS0_4arch9wavefront6targetE0EEEvSK_,"axG",@progbits,_ZN7rocprim17ROCPRIM_400000_NS6detail17trampoline_kernelINS0_14default_configENS1_35radix_sort_onesweep_config_selectorIfNS0_10empty_typeEEEZZNS1_29radix_sort_onesweep_iterationIS3_Lb0EN6thrust23THRUST_200600_302600_NS6detail15normal_iteratorINS9_10device_ptrIfEEEESE_PS5_SF_jNS0_19identity_decomposerENS1_16block_id_wrapperIjLb0EEEEE10hipError_tT1_PNSt15iterator_traitsISK_E10value_typeET2_T3_PNSL_ISQ_E10value_typeET4_T5_PSV_SW_PNS1_23onesweep_lookback_stateEbbT6_jjT7_P12ihipStream_tbENKUlT_T0_SK_SP_E_clISE_PfSF_SF_EEDaS13_S14_SK_SP_EUlS13_E_NS1_11comp_targetILNS1_3genE8ELNS1_11target_archE1030ELNS1_3gpuE2ELNS1_3repE0EEENS1_47radix_sort_onesweep_sort_config_static_selectorELNS0_4arch9wavefront6targetE0EEEvSK_,comdat
	.protected	_ZN7rocprim17ROCPRIM_400000_NS6detail17trampoline_kernelINS0_14default_configENS1_35radix_sort_onesweep_config_selectorIfNS0_10empty_typeEEEZZNS1_29radix_sort_onesweep_iterationIS3_Lb0EN6thrust23THRUST_200600_302600_NS6detail15normal_iteratorINS9_10device_ptrIfEEEESE_PS5_SF_jNS0_19identity_decomposerENS1_16block_id_wrapperIjLb0EEEEE10hipError_tT1_PNSt15iterator_traitsISK_E10value_typeET2_T3_PNSL_ISQ_E10value_typeET4_T5_PSV_SW_PNS1_23onesweep_lookback_stateEbbT6_jjT7_P12ihipStream_tbENKUlT_T0_SK_SP_E_clISE_PfSF_SF_EEDaS13_S14_SK_SP_EUlS13_E_NS1_11comp_targetILNS1_3genE8ELNS1_11target_archE1030ELNS1_3gpuE2ELNS1_3repE0EEENS1_47radix_sort_onesweep_sort_config_static_selectorELNS0_4arch9wavefront6targetE0EEEvSK_ ; -- Begin function _ZN7rocprim17ROCPRIM_400000_NS6detail17trampoline_kernelINS0_14default_configENS1_35radix_sort_onesweep_config_selectorIfNS0_10empty_typeEEEZZNS1_29radix_sort_onesweep_iterationIS3_Lb0EN6thrust23THRUST_200600_302600_NS6detail15normal_iteratorINS9_10device_ptrIfEEEESE_PS5_SF_jNS0_19identity_decomposerENS1_16block_id_wrapperIjLb0EEEEE10hipError_tT1_PNSt15iterator_traitsISK_E10value_typeET2_T3_PNSL_ISQ_E10value_typeET4_T5_PSV_SW_PNS1_23onesweep_lookback_stateEbbT6_jjT7_P12ihipStream_tbENKUlT_T0_SK_SP_E_clISE_PfSF_SF_EEDaS13_S14_SK_SP_EUlS13_E_NS1_11comp_targetILNS1_3genE8ELNS1_11target_archE1030ELNS1_3gpuE2ELNS1_3repE0EEENS1_47radix_sort_onesweep_sort_config_static_selectorELNS0_4arch9wavefront6targetE0EEEvSK_
	.globl	_ZN7rocprim17ROCPRIM_400000_NS6detail17trampoline_kernelINS0_14default_configENS1_35radix_sort_onesweep_config_selectorIfNS0_10empty_typeEEEZZNS1_29radix_sort_onesweep_iterationIS3_Lb0EN6thrust23THRUST_200600_302600_NS6detail15normal_iteratorINS9_10device_ptrIfEEEESE_PS5_SF_jNS0_19identity_decomposerENS1_16block_id_wrapperIjLb0EEEEE10hipError_tT1_PNSt15iterator_traitsISK_E10value_typeET2_T3_PNSL_ISQ_E10value_typeET4_T5_PSV_SW_PNS1_23onesweep_lookback_stateEbbT6_jjT7_P12ihipStream_tbENKUlT_T0_SK_SP_E_clISE_PfSF_SF_EEDaS13_S14_SK_SP_EUlS13_E_NS1_11comp_targetILNS1_3genE8ELNS1_11target_archE1030ELNS1_3gpuE2ELNS1_3repE0EEENS1_47radix_sort_onesweep_sort_config_static_selectorELNS0_4arch9wavefront6targetE0EEEvSK_
	.p2align	8
	.type	_ZN7rocprim17ROCPRIM_400000_NS6detail17trampoline_kernelINS0_14default_configENS1_35radix_sort_onesweep_config_selectorIfNS0_10empty_typeEEEZZNS1_29radix_sort_onesweep_iterationIS3_Lb0EN6thrust23THRUST_200600_302600_NS6detail15normal_iteratorINS9_10device_ptrIfEEEESE_PS5_SF_jNS0_19identity_decomposerENS1_16block_id_wrapperIjLb0EEEEE10hipError_tT1_PNSt15iterator_traitsISK_E10value_typeET2_T3_PNSL_ISQ_E10value_typeET4_T5_PSV_SW_PNS1_23onesweep_lookback_stateEbbT6_jjT7_P12ihipStream_tbENKUlT_T0_SK_SP_E_clISE_PfSF_SF_EEDaS13_S14_SK_SP_EUlS13_E_NS1_11comp_targetILNS1_3genE8ELNS1_11target_archE1030ELNS1_3gpuE2ELNS1_3repE0EEENS1_47radix_sort_onesweep_sort_config_static_selectorELNS0_4arch9wavefront6targetE0EEEvSK_,@function
_ZN7rocprim17ROCPRIM_400000_NS6detail17trampoline_kernelINS0_14default_configENS1_35radix_sort_onesweep_config_selectorIfNS0_10empty_typeEEEZZNS1_29radix_sort_onesweep_iterationIS3_Lb0EN6thrust23THRUST_200600_302600_NS6detail15normal_iteratorINS9_10device_ptrIfEEEESE_PS5_SF_jNS0_19identity_decomposerENS1_16block_id_wrapperIjLb0EEEEE10hipError_tT1_PNSt15iterator_traitsISK_E10value_typeET2_T3_PNSL_ISQ_E10value_typeET4_T5_PSV_SW_PNS1_23onesweep_lookback_stateEbbT6_jjT7_P12ihipStream_tbENKUlT_T0_SK_SP_E_clISE_PfSF_SF_EEDaS13_S14_SK_SP_EUlS13_E_NS1_11comp_targetILNS1_3genE8ELNS1_11target_archE1030ELNS1_3gpuE2ELNS1_3repE0EEENS1_47radix_sort_onesweep_sort_config_static_selectorELNS0_4arch9wavefront6targetE0EEEvSK_: ; @_ZN7rocprim17ROCPRIM_400000_NS6detail17trampoline_kernelINS0_14default_configENS1_35radix_sort_onesweep_config_selectorIfNS0_10empty_typeEEEZZNS1_29radix_sort_onesweep_iterationIS3_Lb0EN6thrust23THRUST_200600_302600_NS6detail15normal_iteratorINS9_10device_ptrIfEEEESE_PS5_SF_jNS0_19identity_decomposerENS1_16block_id_wrapperIjLb0EEEEE10hipError_tT1_PNSt15iterator_traitsISK_E10value_typeET2_T3_PNSL_ISQ_E10value_typeET4_T5_PSV_SW_PNS1_23onesweep_lookback_stateEbbT6_jjT7_P12ihipStream_tbENKUlT_T0_SK_SP_E_clISE_PfSF_SF_EEDaS13_S14_SK_SP_EUlS13_E_NS1_11comp_targetILNS1_3genE8ELNS1_11target_archE1030ELNS1_3gpuE2ELNS1_3repE0EEENS1_47radix_sort_onesweep_sort_config_static_selectorELNS0_4arch9wavefront6targetE0EEEvSK_
; %bb.0:
	s_clause 0x3
	s_load_dwordx4 s[20:23], s[4:5], 0x44
	s_load_dwordx2 s[10:11], s[4:5], 0x38
	s_load_dwordx4 s[16:19], s[4:5], 0x0
	s_load_dwordx4 s[12:15], s[4:5], 0x28
	v_mbcnt_lo_u32_b32 v11, -1, 0
	v_and_b32_e32 v12, 0x3e0, v0
	s_mov_b32 s0, -1
	s_mul_i32 s24, s6, 0x1800
	s_waitcnt lgkmcnt(0)
	s_cmp_ge_u32 s6, s22
	s_cbranch_scc0 .LBB603_60
; %bb.1:
	s_load_dword s9, s[4:5], 0x20
	s_mov_b32 s25, 0
	s_mul_i32 s2, s22, 0xffffe800
	v_mul_u32_u24_e32 v4, 6, v12
	v_lshlrev_b32_e32 v8, 2, v11
	s_lshl_b64 s[0:1], s[24:25], 2
	v_bfrev_b32_e32 v3, -2
	v_lshlrev_b32_e32 v9, 2, v4
	v_or_b32_e32 v13, v11, v4
	v_mov_b32_e32 v4, v3
	v_mov_b32_e32 v5, v3
	;; [unrolled: 1-line block ×4, first 2 shown]
	s_waitcnt lgkmcnt(0)
	s_add_i32 s9, s9, s2
	s_add_u32 s0, s16, s0
	s_addc_u32 s1, s17, s1
	v_add_co_u32 v8, s0, s0, v8
	v_add_co_ci_u32_e64 v10, null, s1, 0, s0
	v_add_co_u32 v9, s0, v8, v9
	v_add_co_ci_u32_e64 v10, null, 0, v10, s0
	v_mov_b32_e32 v8, v3
	s_mov_b32 s0, exec_lo
	v_cmpx_gt_u32_e64 s9, v13
	s_cbranch_execz .LBB603_3
; %bb.2:
	global_load_dword v14, v[9:10], off
	v_mov_b32_e32 v15, v3
	v_mov_b32_e32 v16, v3
	;; [unrolled: 1-line block ×5, first 2 shown]
	s_waitcnt vmcnt(0)
	v_mov_b32_e32 v3, v14
	v_mov_b32_e32 v4, v15
	;; [unrolled: 1-line block ×6, first 2 shown]
.LBB603_3:
	s_or_b32 exec_lo, exec_lo, s0
	v_or_b32_e32 v14, 32, v13
	s_mov_b32 s0, exec_lo
	v_cmpx_gt_u32_e64 s9, v14
	s_cbranch_execz .LBB603_5
; %bb.4:
	global_load_dword v4, v[9:10], off offset:128
.LBB603_5:
	s_or_b32 exec_lo, exec_lo, s0
	v_add_nc_u32_e32 v14, 64, v13
	s_mov_b32 s0, exec_lo
	v_cmpx_gt_u32_e64 s9, v14
	s_cbranch_execz .LBB603_7
; %bb.6:
	global_load_dword v5, v[9:10], off offset:256
.LBB603_7:
	s_or_b32 exec_lo, exec_lo, s0
	v_add_nc_u32_e32 v14, 0x60, v13
	;; [unrolled: 8-line block ×4, first 2 shown]
	s_mov_b32 s0, exec_lo
	v_cmpx_gt_u32_e64 s9, v13
	s_cbranch_execz .LBB603_13
; %bb.12:
	global_load_dword v8, v[9:10], off offset:640
.LBB603_13:
	s_or_b32 exec_lo, exec_lo, s0
	s_clause 0x1
	s_load_dword s0, s[4:5], 0x64
	s_load_dword s22, s[4:5], 0x58
	s_add_u32 s1, s4, 0x58
	s_addc_u32 s2, s5, 0
	v_mov_b32_e32 v10, 0
	v_cmp_lt_i32_e32 vcc_lo, -1, v3
	v_cndmask_b32_e64 v13, -1, 0x80000000, vcc_lo
	v_xor_b32_e32 v13, v13, v3
	v_cmp_ne_u32_e32 vcc_lo, 0x7fffffff, v13
	s_waitcnt lgkmcnt(0)
	s_lshr_b32 s3, s0, 16
	s_cmp_lt_u32 s6, s22
	s_cselect_b32 s0, 12, 18
	v_cndmask_b32_e32 v3, 0x80000000, v13, vcc_lo
	s_add_u32 s0, s1, s0
	s_addc_u32 s1, s2, 0
	global_load_ushort v9, v10, s[0:1]
	v_lshrrev_b32_e32 v3, s20, v3
	s_lshl_b32 s0, -1, s21
	s_not_b32 s23, s0
	v_and_b32_e32 v3, s23, v3
	v_and_b32_e32 v14, 1, v3
	v_lshlrev_b32_e32 v15, 30, v3
	v_lshlrev_b32_e32 v16, 29, v3
	;; [unrolled: 1-line block ×4, first 2 shown]
	v_add_co_u32 v14, s0, v14, -1
	v_cndmask_b32_e64 v17, 0, 1, s0
	v_not_b32_e32 v21, v15
	v_cmp_gt_i32_e64 s0, 0, v15
	v_not_b32_e32 v15, v16
	v_lshlrev_b32_e32 v20, 26, v3
	v_cmp_ne_u32_e32 vcc_lo, 0, v17
	v_ashrrev_i32_e32 v21, 31, v21
	v_lshlrev_b32_e32 v17, 25, v3
	v_ashrrev_i32_e32 v15, 31, v15
	v_xor_b32_e32 v14, vcc_lo, v14
	v_cmp_gt_i32_e32 vcc_lo, 0, v16
	v_not_b32_e32 v16, v18
	v_xor_b32_e32 v21, s0, v21
	v_cmp_gt_i32_e64 s0, 0, v18
	v_and_b32_e32 v14, exec_lo, v14
	v_not_b32_e32 v18, v19
	v_ashrrev_i32_e32 v16, 31, v16
	v_xor_b32_e32 v15, vcc_lo, v15
	v_cmp_gt_i32_e32 vcc_lo, 0, v19
	v_and_b32_e32 v14, v14, v21
	v_not_b32_e32 v19, v20
	v_ashrrev_i32_e32 v18, 31, v18
	v_xor_b32_e32 v16, s0, v16
	v_cmp_gt_i32_e64 s0, 0, v20
	v_and_b32_e32 v14, v14, v15
	v_not_b32_e32 v15, v17
	v_ashrrev_i32_e32 v19, 31, v19
	v_xor_b32_e32 v18, vcc_lo, v18
	v_cmp_gt_i32_e32 vcc_lo, 0, v17
	v_and_b32_e32 v14, v14, v16
	v_lshlrev_b32_e32 v16, 24, v3
	v_ashrrev_i32_e32 v15, 31, v15
	v_xor_b32_e32 v17, s0, v19
	v_and_b32_e32 v14, v14, v18
	v_not_b32_e32 v18, v16
	v_xor_b32_e32 v15, vcc_lo, v15
	v_cmp_gt_i32_e32 vcc_lo, 0, v16
	v_mul_u32_u24_e32 v16, 36, v0
	v_and_b32_e32 v14, v14, v17
	v_mad_u32_u24 v17, v2, s3, v1
	v_ashrrev_i32_e32 v18, 31, v18
	ds_write2_b32 v16, v10, v10 offset0:32 offset1:33
	v_and_b32_e32 v19, v14, v15
	ds_write2_b32 v16, v10, v10 offset0:34 offset1:35
	ds_write2_b32 v16, v10, v10 offset0:36 offset1:37
	;; [unrolled: 1-line block ×3, first 2 shown]
	ds_write_b32 v16, v10 offset:160
	s_waitcnt vmcnt(0) lgkmcnt(0)
	s_barrier
	buffer_gl0_inv
	; wave barrier
	v_mad_u64_u32 v[14:15], null, v17, v9, v[0:1]
	v_xor_b32_e32 v9, vcc_lo, v18
	v_mul_lo_u32 v17, 0x84, v3
	v_and_b32_e32 v9, v19, v9
	v_lshrrev_b32_e32 v14, 3, v14
	v_mbcnt_lo_u32_b32 v15, v9, 0
	v_and_b32_e32 v3, 0x1ffffffc, v14
	v_cmp_ne_u32_e64 s0, 0, v9
	v_cmp_eq_u32_e32 vcc_lo, 0, v15
	v_add_nc_u32_e32 v17, v3, v17
	s_and_b32 s1, s0, vcc_lo
	s_and_saveexec_b32 s0, s1
; %bb.14:
	v_bcnt_u32_b32 v9, v9, 0
	ds_write_b32 v17, v9 offset:128
; %bb.15:
	s_or_b32 exec_lo, exec_lo, s0
	v_cmp_lt_i32_e32 vcc_lo, -1, v4
	; wave barrier
	v_cndmask_b32_e64 v9, -1, 0x80000000, vcc_lo
	v_xor_b32_e32 v14, v9, v4
	v_cmp_ne_u32_e32 vcc_lo, 0x7fffffff, v14
	v_cndmask_b32_e32 v4, 0x80000000, v14, vcc_lo
	v_lshrrev_b32_e32 v4, s20, v4
	v_and_b32_e32 v4, s23, v4
	v_and_b32_e32 v10, 1, v4
	v_lshlrev_b32_e32 v18, 30, v4
	v_lshlrev_b32_e32 v19, 29, v4
	;; [unrolled: 1-line block ×4, first 2 shown]
	v_add_co_u32 v10, s0, v10, -1
	v_cndmask_b32_e64 v21, 0, 1, s0
	v_not_b32_e32 v25, v18
	v_cmp_gt_i32_e64 s0, 0, v18
	v_not_b32_e32 v18, v19
	v_lshlrev_b32_e32 v23, 26, v4
	v_cmp_ne_u32_e32 vcc_lo, 0, v21
	v_ashrrev_i32_e32 v21, 31, v25
	v_lshlrev_b32_e32 v24, 25, v4
	v_ashrrev_i32_e32 v18, 31, v18
	v_mul_lo_u32 v9, 0x84, v4
	v_xor_b32_e32 v10, vcc_lo, v10
	v_cmp_gt_i32_e32 vcc_lo, 0, v19
	v_not_b32_e32 v19, v20
	v_xor_b32_e32 v21, s0, v21
	v_cmp_gt_i32_e64 s0, 0, v20
	v_and_b32_e32 v10, exec_lo, v10
	v_not_b32_e32 v20, v22
	v_ashrrev_i32_e32 v19, 31, v19
	v_xor_b32_e32 v18, vcc_lo, v18
	v_cmp_gt_i32_e32 vcc_lo, 0, v22
	v_and_b32_e32 v10, v10, v21
	v_not_b32_e32 v21, v23
	v_ashrrev_i32_e32 v20, 31, v20
	v_xor_b32_e32 v19, s0, v19
	v_lshlrev_b32_e32 v4, 24, v4
	v_and_b32_e32 v10, v10, v18
	v_cmp_gt_i32_e64 s0, 0, v23
	v_not_b32_e32 v18, v24
	v_ashrrev_i32_e32 v21, 31, v21
	v_xor_b32_e32 v20, vcc_lo, v20
	v_and_b32_e32 v10, v10, v19
	v_cmp_gt_i32_e32 vcc_lo, 0, v24
	v_not_b32_e32 v19, v4
	v_ashrrev_i32_e32 v18, 31, v18
	v_xor_b32_e32 v21, s0, v21
	v_and_b32_e32 v10, v10, v20
	v_cmp_gt_i32_e64 s0, 0, v4
	v_ashrrev_i32_e32 v4, 31, v19
	v_xor_b32_e32 v18, vcc_lo, v18
	v_and_b32_e32 v10, v10, v21
	v_add_nc_u32_e32 v21, v3, v9
	v_xor_b32_e32 v4, s0, v4
	v_and_b32_e32 v9, v10, v18
	ds_read_b32 v19, v21 offset:128
	; wave barrier
	v_and_b32_e32 v4, v9, v4
	v_mbcnt_lo_u32_b32 v20, v4, 0
	v_cmp_ne_u32_e64 s0, 0, v4
	v_cmp_eq_u32_e32 vcc_lo, 0, v20
	s_and_b32 s1, s0, vcc_lo
	s_and_saveexec_b32 s0, s1
	s_cbranch_execz .LBB603_17
; %bb.16:
	s_waitcnt lgkmcnt(0)
	v_bcnt_u32_b32 v4, v4, v19
	ds_write_b32 v21, v4 offset:128
.LBB603_17:
	s_or_b32 exec_lo, exec_lo, s0
	v_cmp_lt_i32_e32 vcc_lo, -1, v5
	; wave barrier
	v_cndmask_b32_e64 v4, -1, 0x80000000, vcc_lo
	v_xor_b32_e32 v18, v4, v5
	v_cmp_ne_u32_e32 vcc_lo, 0x7fffffff, v18
	v_cndmask_b32_e32 v4, 0x80000000, v18, vcc_lo
	v_lshrrev_b32_e32 v4, s20, v4
	v_and_b32_e32 v4, s23, v4
	v_and_b32_e32 v9, 1, v4
	v_lshlrev_b32_e32 v10, 30, v4
	v_lshlrev_b32_e32 v22, 29, v4
	;; [unrolled: 1-line block ×4, first 2 shown]
	v_add_co_u32 v9, s0, v9, -1
	v_cndmask_b32_e64 v24, 0, 1, s0
	v_not_b32_e32 v28, v10
	v_cmp_gt_i32_e64 s0, 0, v10
	v_not_b32_e32 v10, v22
	v_lshlrev_b32_e32 v26, 26, v4
	v_cmp_ne_u32_e32 vcc_lo, 0, v24
	v_ashrrev_i32_e32 v24, 31, v28
	v_lshlrev_b32_e32 v27, 25, v4
	v_ashrrev_i32_e32 v10, 31, v10
	v_mul_lo_u32 v5, 0x84, v4
	v_xor_b32_e32 v9, vcc_lo, v9
	v_cmp_gt_i32_e32 vcc_lo, 0, v22
	v_not_b32_e32 v22, v23
	v_xor_b32_e32 v24, s0, v24
	v_cmp_gt_i32_e64 s0, 0, v23
	v_and_b32_e32 v9, exec_lo, v9
	v_not_b32_e32 v23, v25
	v_ashrrev_i32_e32 v22, 31, v22
	v_xor_b32_e32 v10, vcc_lo, v10
	v_cmp_gt_i32_e32 vcc_lo, 0, v25
	v_and_b32_e32 v9, v9, v24
	v_not_b32_e32 v24, v26
	v_ashrrev_i32_e32 v23, 31, v23
	v_xor_b32_e32 v22, s0, v22
	v_lshlrev_b32_e32 v4, 24, v4
	v_and_b32_e32 v9, v9, v10
	v_cmp_gt_i32_e64 s0, 0, v26
	v_not_b32_e32 v10, v27
	v_ashrrev_i32_e32 v24, 31, v24
	v_xor_b32_e32 v23, vcc_lo, v23
	v_and_b32_e32 v9, v9, v22
	v_cmp_gt_i32_e32 vcc_lo, 0, v27
	v_not_b32_e32 v22, v4
	v_ashrrev_i32_e32 v10, 31, v10
	v_xor_b32_e32 v24, s0, v24
	v_and_b32_e32 v9, v9, v23
	v_cmp_gt_i32_e64 s0, 0, v4
	v_ashrrev_i32_e32 v4, 31, v22
	v_xor_b32_e32 v10, vcc_lo, v10
	v_add_nc_u32_e32 v25, v3, v5
	v_and_b32_e32 v9, v9, v24
	v_xor_b32_e32 v4, s0, v4
	ds_read_b32 v23, v25 offset:128
	v_and_b32_e32 v5, v9, v10
	; wave barrier
	v_and_b32_e32 v4, v5, v4
	v_mbcnt_lo_u32_b32 v24, v4, 0
	v_cmp_ne_u32_e64 s0, 0, v4
	v_cmp_eq_u32_e32 vcc_lo, 0, v24
	s_and_b32 s1, s0, vcc_lo
	s_and_saveexec_b32 s0, s1
	s_cbranch_execz .LBB603_19
; %bb.18:
	s_waitcnt lgkmcnt(0)
	v_bcnt_u32_b32 v4, v4, v23
	ds_write_b32 v25, v4 offset:128
.LBB603_19:
	s_or_b32 exec_lo, exec_lo, s0
	v_cmp_lt_i32_e32 vcc_lo, -1, v6
	; wave barrier
	v_cndmask_b32_e64 v4, -1, 0x80000000, vcc_lo
	v_xor_b32_e32 v22, v4, v6
	v_cmp_ne_u32_e32 vcc_lo, 0x7fffffff, v22
	v_cndmask_b32_e32 v4, 0x80000000, v22, vcc_lo
	v_lshrrev_b32_e32 v4, s20, v4
	v_and_b32_e32 v4, s23, v4
	v_and_b32_e32 v6, 1, v4
	v_lshlrev_b32_e32 v9, 30, v4
	v_lshlrev_b32_e32 v10, 29, v4
	;; [unrolled: 1-line block ×4, first 2 shown]
	v_add_co_u32 v6, s0, v6, -1
	v_cndmask_b32_e64 v27, 0, 1, s0
	v_not_b32_e32 v31, v9
	v_cmp_gt_i32_e64 s0, 0, v9
	v_not_b32_e32 v9, v10
	v_lshlrev_b32_e32 v29, 26, v4
	v_cmp_ne_u32_e32 vcc_lo, 0, v27
	v_ashrrev_i32_e32 v27, 31, v31
	v_lshlrev_b32_e32 v30, 25, v4
	v_ashrrev_i32_e32 v9, 31, v9
	v_mul_lo_u32 v5, 0x84, v4
	v_xor_b32_e32 v6, vcc_lo, v6
	v_cmp_gt_i32_e32 vcc_lo, 0, v10
	v_not_b32_e32 v10, v26
	v_xor_b32_e32 v27, s0, v27
	v_cmp_gt_i32_e64 s0, 0, v26
	v_and_b32_e32 v6, exec_lo, v6
	v_not_b32_e32 v26, v28
	v_ashrrev_i32_e32 v10, 31, v10
	v_xor_b32_e32 v9, vcc_lo, v9
	v_cmp_gt_i32_e32 vcc_lo, 0, v28
	v_and_b32_e32 v6, v6, v27
	v_not_b32_e32 v27, v29
	v_ashrrev_i32_e32 v26, 31, v26
	v_xor_b32_e32 v10, s0, v10
	v_lshlrev_b32_e32 v4, 24, v4
	v_and_b32_e32 v6, v6, v9
	v_cmp_gt_i32_e64 s0, 0, v29
	v_not_b32_e32 v9, v30
	v_ashrrev_i32_e32 v27, 31, v27
	v_xor_b32_e32 v26, vcc_lo, v26
	v_and_b32_e32 v6, v6, v10
	v_cmp_gt_i32_e32 vcc_lo, 0, v30
	v_not_b32_e32 v10, v4
	v_ashrrev_i32_e32 v9, 31, v9
	v_xor_b32_e32 v27, s0, v27
	v_and_b32_e32 v6, v6, v26
	v_cmp_gt_i32_e64 s0, 0, v4
	v_ashrrev_i32_e32 v4, 31, v10
	v_xor_b32_e32 v9, vcc_lo, v9
	v_add_nc_u32_e32 v29, v3, v5
	v_and_b32_e32 v6, v6, v27
	v_xor_b32_e32 v4, s0, v4
	ds_read_b32 v26, v29 offset:128
	v_and_b32_e32 v5, v6, v9
	; wave barrier
	v_and_b32_e32 v4, v5, v4
	v_mbcnt_lo_u32_b32 v28, v4, 0
	v_cmp_ne_u32_e64 s0, 0, v4
	v_cmp_eq_u32_e32 vcc_lo, 0, v28
	s_and_b32 s1, s0, vcc_lo
	s_and_saveexec_b32 s0, s1
	s_cbranch_execz .LBB603_21
; %bb.20:
	s_waitcnt lgkmcnt(0)
	v_bcnt_u32_b32 v4, v4, v26
	ds_write_b32 v29, v4 offset:128
.LBB603_21:
	s_or_b32 exec_lo, exec_lo, s0
	v_cmp_lt_i32_e32 vcc_lo, -1, v7
	; wave barrier
	v_cndmask_b32_e64 v4, -1, 0x80000000, vcc_lo
	v_xor_b32_e32 v27, v4, v7
	v_cmp_ne_u32_e32 vcc_lo, 0x7fffffff, v27
	v_cndmask_b32_e32 v4, 0x80000000, v27, vcc_lo
	v_lshrrev_b32_e32 v4, s20, v4
	v_and_b32_e32 v4, s23, v4
	v_and_b32_e32 v6, 1, v4
	v_lshlrev_b32_e32 v7, 30, v4
	v_lshlrev_b32_e32 v9, 29, v4
	v_lshlrev_b32_e32 v10, 28, v4
	v_lshlrev_b32_e32 v31, 27, v4
	v_add_co_u32 v6, s0, v6, -1
	v_cndmask_b32_e64 v30, 0, 1, s0
	v_not_b32_e32 v34, v7
	v_cmp_gt_i32_e64 s0, 0, v7
	v_not_b32_e32 v7, v9
	v_lshlrev_b32_e32 v32, 26, v4
	v_cmp_ne_u32_e32 vcc_lo, 0, v30
	v_ashrrev_i32_e32 v30, 31, v34
	v_lshlrev_b32_e32 v33, 25, v4
	v_ashrrev_i32_e32 v7, 31, v7
	v_mul_lo_u32 v5, 0x84, v4
	v_xor_b32_e32 v6, vcc_lo, v6
	v_cmp_gt_i32_e32 vcc_lo, 0, v9
	v_not_b32_e32 v9, v10
	v_xor_b32_e32 v30, s0, v30
	v_cmp_gt_i32_e64 s0, 0, v10
	v_and_b32_e32 v6, exec_lo, v6
	v_not_b32_e32 v10, v31
	v_ashrrev_i32_e32 v9, 31, v9
	v_xor_b32_e32 v7, vcc_lo, v7
	v_cmp_gt_i32_e32 vcc_lo, 0, v31
	v_and_b32_e32 v6, v6, v30
	v_not_b32_e32 v30, v32
	v_ashrrev_i32_e32 v10, 31, v10
	v_xor_b32_e32 v9, s0, v9
	v_lshlrev_b32_e32 v4, 24, v4
	v_and_b32_e32 v6, v6, v7
	v_cmp_gt_i32_e64 s0, 0, v32
	v_not_b32_e32 v7, v33
	v_ashrrev_i32_e32 v30, 31, v30
	v_xor_b32_e32 v10, vcc_lo, v10
	v_and_b32_e32 v6, v6, v9
	v_cmp_gt_i32_e32 vcc_lo, 0, v33
	v_not_b32_e32 v9, v4
	v_ashrrev_i32_e32 v7, 31, v7
	v_xor_b32_e32 v30, s0, v30
	v_and_b32_e32 v6, v6, v10
	v_cmp_gt_i32_e64 s0, 0, v4
	v_ashrrev_i32_e32 v4, 31, v9
	v_xor_b32_e32 v7, vcc_lo, v7
	v_add_nc_u32_e32 v33, v3, v5
	v_and_b32_e32 v6, v6, v30
	v_xor_b32_e32 v4, s0, v4
	ds_read_b32 v30, v33 offset:128
	v_and_b32_e32 v5, v6, v7
	; wave barrier
	v_and_b32_e32 v4, v5, v4
	v_mbcnt_lo_u32_b32 v31, v4, 0
	v_cmp_ne_u32_e64 s0, 0, v4
	v_cmp_eq_u32_e32 vcc_lo, 0, v31
	s_and_b32 s1, s0, vcc_lo
	s_and_saveexec_b32 s0, s1
	s_cbranch_execz .LBB603_23
; %bb.22:
	s_waitcnt lgkmcnt(0)
	v_bcnt_u32_b32 v4, v4, v30
	ds_write_b32 v33, v4 offset:128
.LBB603_23:
	s_or_b32 exec_lo, exec_lo, s0
	v_cmp_lt_i32_e32 vcc_lo, -1, v8
	; wave barrier
	v_cndmask_b32_e64 v4, -1, 0x80000000, vcc_lo
	v_xor_b32_e32 v32, v4, v8
	v_cmp_ne_u32_e32 vcc_lo, 0x7fffffff, v32
	v_cndmask_b32_e32 v4, 0x80000000, v32, vcc_lo
	v_lshrrev_b32_e32 v4, s20, v4
	v_and_b32_e32 v4, s23, v4
	v_and_b32_e32 v6, 1, v4
	v_lshlrev_b32_e32 v7, 30, v4
	v_lshlrev_b32_e32 v8, 29, v4
	;; [unrolled: 1-line block ×4, first 2 shown]
	v_add_co_u32 v6, s0, v6, -1
	v_cndmask_b32_e64 v10, 0, 1, s0
	v_not_b32_e32 v37, v7
	v_cmp_gt_i32_e64 s0, 0, v7
	v_not_b32_e32 v7, v8
	v_lshlrev_b32_e32 v35, 26, v4
	v_cmp_ne_u32_e32 vcc_lo, 0, v10
	v_ashrrev_i32_e32 v10, 31, v37
	v_lshlrev_b32_e32 v36, 25, v4
	v_ashrrev_i32_e32 v7, 31, v7
	v_mul_lo_u32 v5, 0x84, v4
	v_xor_b32_e32 v6, vcc_lo, v6
	v_cmp_gt_i32_e32 vcc_lo, 0, v8
	v_not_b32_e32 v8, v9
	v_xor_b32_e32 v10, s0, v10
	v_cmp_gt_i32_e64 s0, 0, v9
	v_and_b32_e32 v6, exec_lo, v6
	v_not_b32_e32 v9, v34
	v_ashrrev_i32_e32 v8, 31, v8
	v_xor_b32_e32 v7, vcc_lo, v7
	v_cmp_gt_i32_e32 vcc_lo, 0, v34
	v_and_b32_e32 v6, v6, v10
	v_not_b32_e32 v10, v35
	v_ashrrev_i32_e32 v9, 31, v9
	v_xor_b32_e32 v8, s0, v8
	v_lshlrev_b32_e32 v4, 24, v4
	v_and_b32_e32 v6, v6, v7
	v_cmp_gt_i32_e64 s0, 0, v35
	v_not_b32_e32 v7, v36
	v_ashrrev_i32_e32 v10, 31, v10
	v_xor_b32_e32 v9, vcc_lo, v9
	v_and_b32_e32 v6, v6, v8
	v_cmp_gt_i32_e32 vcc_lo, 0, v36
	v_not_b32_e32 v8, v4
	v_ashrrev_i32_e32 v7, 31, v7
	v_xor_b32_e32 v10, s0, v10
	v_and_b32_e32 v6, v6, v9
	v_cmp_gt_i32_e64 s0, 0, v4
	v_ashrrev_i32_e32 v4, 31, v8
	v_xor_b32_e32 v7, vcc_lo, v7
	v_add_nc_u32_e32 v36, v3, v5
	v_and_b32_e32 v6, v6, v10
	v_xor_b32_e32 v3, s0, v4
	ds_read_b32 v34, v36 offset:128
	v_and_b32_e32 v4, v6, v7
	; wave barrier
	v_and_b32_e32 v3, v4, v3
	v_mbcnt_lo_u32_b32 v35, v3, 0
	v_cmp_ne_u32_e64 s0, 0, v3
	v_cmp_eq_u32_e32 vcc_lo, 0, v35
	s_and_b32 s1, s0, vcc_lo
	s_and_saveexec_b32 s0, s1
	s_cbranch_execz .LBB603_25
; %bb.24:
	s_waitcnt lgkmcnt(0)
	v_bcnt_u32_b32 v3, v3, v34
	ds_write_b32 v36, v3 offset:128
.LBB603_25:
	s_or_b32 exec_lo, exec_lo, s0
	; wave barrier
	s_waitcnt lgkmcnt(0)
	s_barrier
	buffer_gl0_inv
	ds_read2_b32 v[9:10], v16 offset0:32 offset1:33
	ds_read2_b32 v[7:8], v16 offset0:34 offset1:35
	;; [unrolled: 1-line block ×4, first 2 shown]
	ds_read_b32 v37, v16 offset:160
	v_and_b32_e32 v40, 16, v11
	v_and_b32_e32 v41, 31, v0
	s_mov_b32 s8, exec_lo
	v_cmp_eq_u32_e64 s3, 0, v40
	s_waitcnt lgkmcnt(3)
	v_add3_u32 v38, v10, v9, v7
	s_waitcnt lgkmcnt(2)
	v_add3_u32 v38, v38, v8, v5
	;; [unrolled: 2-line block ×4, first 2 shown]
	v_and_b32_e32 v38, 15, v11
	v_mov_b32_dpp v39, v37 row_shr:1 row_mask:0xf bank_mask:0xf
	v_cmp_eq_u32_e32 vcc_lo, 0, v38
	v_cmp_lt_u32_e64 s0, 1, v38
	v_cmp_lt_u32_e64 s1, 3, v38
	;; [unrolled: 1-line block ×3, first 2 shown]
	v_cndmask_b32_e64 v39, v39, 0, vcc_lo
	v_add_nc_u32_e32 v37, v39, v37
	v_mov_b32_dpp v39, v37 row_shr:2 row_mask:0xf bank_mask:0xf
	v_cndmask_b32_e64 v39, 0, v39, s0
	v_add_nc_u32_e32 v37, v37, v39
	v_mov_b32_dpp v39, v37 row_shr:4 row_mask:0xf bank_mask:0xf
	v_cndmask_b32_e64 v39, 0, v39, s1
	;; [unrolled: 3-line block ×3, first 2 shown]
	v_bfe_i32 v39, v11, 4, 1
	v_add_nc_u32_e32 v37, v37, v38
	ds_swizzle_b32 v38, v37 offset:swizzle(BROADCAST,32,15)
	s_waitcnt lgkmcnt(0)
	v_and_b32_e32 v39, v39, v38
	v_lshrrev_b32_e32 v38, 5, v0
	v_add_nc_u32_e32 v37, v37, v39
	v_cmpx_eq_u32_e32 31, v41
; %bb.26:
	v_lshlrev_b32_e32 v39, 2, v38
	ds_write_b32 v39, v37
; %bb.27:
	s_or_b32 exec_lo, exec_lo, s8
	v_cmp_lt_u32_e64 s7, 31, v0
	s_mov_b32 s25, exec_lo
	s_waitcnt lgkmcnt(0)
	s_barrier
	buffer_gl0_inv
	v_cmpx_gt_u32_e32 32, v0
	s_cbranch_execz .LBB603_29
; %bb.28:
	v_lshlrev_b32_e32 v39, 2, v0
	ds_read_b32 v40, v39
	s_waitcnt lgkmcnt(0)
	v_mov_b32_dpp v41, v40 row_shr:1 row_mask:0xf bank_mask:0xf
	v_cndmask_b32_e64 v41, v41, 0, vcc_lo
	v_add_nc_u32_e32 v40, v41, v40
	v_mov_b32_dpp v41, v40 row_shr:2 row_mask:0xf bank_mask:0xf
	v_cndmask_b32_e64 v41, 0, v41, s0
	v_add_nc_u32_e32 v40, v40, v41
	v_mov_b32_dpp v41, v40 row_shr:4 row_mask:0xf bank_mask:0xf
	v_cndmask_b32_e64 v41, 0, v41, s1
	;; [unrolled: 3-line block ×3, first 2 shown]
	v_add_nc_u32_e32 v40, v40, v41
	ds_swizzle_b32 v41, v40 offset:swizzle(BROADCAST,32,15)
	s_waitcnt lgkmcnt(0)
	v_cndmask_b32_e64 v41, v41, 0, s3
	v_add_nc_u32_e32 v40, v40, v41
	ds_write_b32 v39, v40
.LBB603_29:
	s_or_b32 exec_lo, exec_lo, s25
	v_mov_b32_e32 v39, 0
	s_waitcnt lgkmcnt(0)
	s_barrier
	buffer_gl0_inv
	s_and_saveexec_b32 s0, s7
; %bb.30:
	v_lshl_add_u32 v38, v38, 2, -4
	ds_read_b32 v39, v38
; %bb.31:
	s_or_b32 exec_lo, exec_lo, s0
	v_sub_co_u32 v38, vcc_lo, v11, 1
	s_waitcnt lgkmcnt(0)
	v_add_nc_u32_e32 v37, v39, v37
	v_cmp_gt_i32_e64 s0, 0, v38
	v_cndmask_b32_e64 v38, v38, v11, s0
	v_cmp_gt_u32_e64 s0, 0x100, v0
	v_lshlrev_b32_e32 v38, 2, v38
	ds_bpermute_b32 v37, v38, v37
	s_waitcnt lgkmcnt(0)
	v_cndmask_b32_e32 v37, v37, v39, vcc_lo
	v_cmp_ne_u32_e32 vcc_lo, 0, v0
	v_cndmask_b32_e32 v37, 0, v37, vcc_lo
	v_cmp_lt_u32_e32 vcc_lo, 0xff, v0
	v_add_nc_u32_e32 v9, v37, v9
	v_add_nc_u32_e32 v10, v9, v10
	;; [unrolled: 1-line block ×8, first 2 shown]
	ds_write2_b32 v16, v37, v9 offset0:32 offset1:33
	ds_write2_b32 v16, v10, v7 offset0:34 offset1:35
	;; [unrolled: 1-line block ×4, first 2 shown]
	ds_write_b32 v16, v4 offset:160
	s_waitcnt lgkmcnt(0)
	s_barrier
	buffer_gl0_inv
	ds_read_b32 v7, v17 offset:128
	ds_read_b32 v8, v21 offset:128
	;; [unrolled: 1-line block ×6, first 2 shown]
                                        ; implicit-def: $vgpr9
                                        ; implicit-def: $vgpr10
	s_and_saveexec_b32 s2, s0
	s_cbranch_execz .LBB603_35
; %bb.32:
	v_mul_u32_u24_e32 v9, 0x84, v0
	v_add_nc_u32_e32 v16, 1, v0
	v_mov_b32_e32 v10, 0x1800
	s_mov_b32 s3, exec_lo
	ds_read_b32 v9, v9 offset:128
	v_cmpx_ne_u32_e32 0x100, v16
; %bb.33:
	v_mul_u32_u24_e32 v10, 0x84, v16
	ds_read_b32 v10, v10 offset:128
; %bb.34:
	s_or_b32 exec_lo, exec_lo, s3
	s_waitcnt lgkmcnt(0)
	v_sub_nc_u32_e32 v10, v10, v9
.LBB603_35:
	s_or_b32 exec_lo, exec_lo, s2
	v_lshlrev_b32_e32 v15, 2, v15
	s_waitcnt lgkmcnt(4)
	v_lshlrev_b32_e32 v8, 2, v8
	v_lshlrev_b32_e32 v16, 2, v20
	;; [unrolled: 1-line block ×3, first 2 shown]
	s_waitcnt lgkmcnt(0)
	v_lshl_add_u32 v7, v7, 2, v15
	s_barrier
	buffer_gl0_inv
	v_lshlrev_b32_e32 v6, 2, v6
	v_add3_u32 v8, v8, v16, v17
	ds_write_b32 v7, v13 offset:1024
	v_lshlrev_b32_e32 v7, 2, v24
	v_lshlrev_b32_e32 v13, 2, v23
	;; [unrolled: 1-line block ×11, first 2 shown]
	v_add3_u32 v6, v6, v7, v13
	v_add3_u32 v7, v4, v17, v19
	v_mov_b32_e32 v4, 0
	v_lshlrev_b32_e32 v13, 2, v0
	v_add3_u32 v5, v5, v15, v16
	v_add3_u32 v3, v3, v20, v21
	ds_write_b32 v8, v14 offset:1024
	ds_write_b32 v6, v18 offset:1024
	;; [unrolled: 1-line block ×5, first 2 shown]
	s_and_saveexec_b32 s1, s0
	s_cbranch_execz .LBB603_45
; %bb.36:
	v_lshl_add_u32 v3, s6, 8, v0
	v_mov_b32_e32 v14, 0
	s_mov_b32 s2, 0
	s_mov_b32 s3, s6
	v_lshlrev_b64 v[5:6], 2, v[3:4]
	v_or_b32_e32 v3, 2.0, v10
	v_add_co_u32 v5, s0, s10, v5
	v_add_co_ci_u32_e64 v6, null, s11, v6, s0
                                        ; implicit-def: $sgpr0
	global_store_dword v[5:6], v3, off
	s_branch .LBB603_39
	.p2align	6
.LBB603_37:                             ;   in Loop: Header=BB603_39 Depth=1
	s_or_b32 exec_lo, exec_lo, s8
.LBB603_38:                             ;   in Loop: Header=BB603_39 Depth=1
	s_or_b32 exec_lo, exec_lo, s7
	v_and_b32_e32 v7, 0x3fffffff, v3
	v_cmp_gt_i32_e64 s0, -2.0, v3
	v_add_nc_u32_e32 v14, v7, v14
	s_and_b32 s7, exec_lo, s0
	s_or_b32 s2, s7, s2
	s_andn2_b32 exec_lo, exec_lo, s2
	s_cbranch_execz .LBB603_44
.LBB603_39:                             ; =>This Loop Header: Depth=1
                                        ;     Child Loop BB603_42 Depth 2
	s_or_b32 s0, s0, exec_lo
	s_cmp_eq_u32 s3, 0
	s_cbranch_scc1 .LBB603_43
; %bb.40:                               ;   in Loop: Header=BB603_39 Depth=1
	s_add_i32 s3, s3, -1
	s_mov_b32 s7, exec_lo
	v_lshl_or_b32 v3, s3, 8, v0
	v_lshlrev_b64 v[7:8], 2, v[3:4]
	v_add_co_u32 v7, s0, s10, v7
	v_add_co_ci_u32_e64 v8, null, s11, v8, s0
	global_load_dword v3, v[7:8], off glc dlc
	s_waitcnt vmcnt(0)
	v_cmpx_gt_u32_e32 2.0, v3
	s_cbranch_execz .LBB603_38
; %bb.41:                               ;   in Loop: Header=BB603_39 Depth=1
	s_mov_b32 s8, 0
.LBB603_42:                             ;   Parent Loop BB603_39 Depth=1
                                        ; =>  This Inner Loop Header: Depth=2
	global_load_dword v3, v[7:8], off glc dlc
	s_waitcnt vmcnt(0)
	v_cmp_lt_u32_e64 s0, 0x3fffffff, v3
	s_or_b32 s8, s0, s8
	s_andn2_b32 exec_lo, exec_lo, s8
	s_cbranch_execnz .LBB603_42
	s_branch .LBB603_37
.LBB603_43:                             ;   in Loop: Header=BB603_39 Depth=1
                                        ; implicit-def: $sgpr3
	s_and_b32 s7, exec_lo, s0
	s_or_b32 s2, s7, s2
	s_andn2_b32 exec_lo, exec_lo, s2
	s_cbranch_execnz .LBB603_39
.LBB603_44:
	s_or_b32 exec_lo, exec_lo, s2
	v_add_nc_u32_e32 v3, v14, v10
	v_sub_nc_u32_e32 v4, v14, v9
	v_or_b32_e32 v3, 0x80000000, v3
	global_store_dword v[5:6], v3, off
	global_load_dword v3, v13, s[12:13]
	s_waitcnt vmcnt(0)
	v_add_nc_u32_e32 v3, v4, v3
	ds_write_b32 v13, v3
.LBB603_45:
	s_or_b32 exec_lo, exec_lo, s1
	s_mov_b32 s1, exec_lo
	s_waitcnt lgkmcnt(0)
	s_waitcnt_vscnt null, 0x0
	s_barrier
	buffer_gl0_inv
	v_cmpx_gt_u32_e64 s9, v0
	s_cbranch_execz .LBB603_47
; %bb.46:
	ds_read_b32 v5, v13 offset:1024
	v_mov_b32_e32 v4, 0
	s_waitcnt lgkmcnt(0)
	v_cmp_ne_u32_e64 s0, 0x7fffffff, v5
	v_cndmask_b32_e64 v3, 0x80000000, v5, s0
	v_cmp_lt_i32_e64 s0, -1, v5
	v_lshrrev_b32_e32 v3, s20, v3
	v_cndmask_b32_e64 v6, 0x80000000, -1, s0
	v_and_b32_e32 v3, s23, v3
	v_xor_b32_e32 v5, v6, v5
	v_lshlrev_b32_e32 v3, 2, v3
	ds_read_b32 v3, v3
	s_waitcnt lgkmcnt(0)
	v_add_nc_u32_e32 v3, v3, v0
	v_lshlrev_b64 v[3:4], 2, v[3:4]
	v_add_co_u32 v3, s0, s18, v3
	v_add_co_ci_u32_e64 v4, null, s19, v4, s0
	global_store_dword v[3:4], v5, off
.LBB603_47:
	s_or_b32 exec_lo, exec_lo, s1
	v_or_b32_e32 v3, 0x400, v0
	s_mov_b32 s1, exec_lo
	v_cmpx_gt_u32_e64 s9, v3
	s_cbranch_execz .LBB603_49
; %bb.48:
	ds_read_b32 v5, v13 offset:5120
	s_waitcnt lgkmcnt(0)
	v_cmp_ne_u32_e64 s0, 0x7fffffff, v5
	v_cndmask_b32_e64 v4, 0x80000000, v5, s0
	v_cmp_lt_i32_e64 s0, -1, v5
	v_lshrrev_b32_e32 v4, s20, v4
	v_and_b32_e32 v4, s23, v4
	v_lshlrev_b32_e32 v4, 2, v4
	ds_read_b32 v6, v4
	v_mov_b32_e32 v4, 0
	s_waitcnt lgkmcnt(0)
	v_add_nc_u32_e32 v3, v6, v3
	v_cndmask_b32_e64 v6, 0x80000000, -1, s0
	v_lshlrev_b64 v[3:4], 2, v[3:4]
	v_xor_b32_e32 v5, v6, v5
	v_add_co_u32 v3, s0, s18, v3
	v_add_co_ci_u32_e64 v4, null, s19, v4, s0
	global_store_dword v[3:4], v5, off
.LBB603_49:
	s_or_b32 exec_lo, exec_lo, s1
	v_or_b32_e32 v3, 0x800, v0
	s_mov_b32 s1, exec_lo
	v_cmpx_gt_u32_e64 s9, v3
	s_cbranch_execz .LBB603_51
; %bb.50:
	ds_read_b32 v5, v13 offset:9216
	s_waitcnt lgkmcnt(0)
	v_cmp_ne_u32_e64 s0, 0x7fffffff, v5
	v_cndmask_b32_e64 v4, 0x80000000, v5, s0
	v_cmp_lt_i32_e64 s0, -1, v5
	v_lshrrev_b32_e32 v4, s20, v4
	v_and_b32_e32 v4, s23, v4
	v_lshlrev_b32_e32 v4, 2, v4
	ds_read_b32 v6, v4
	v_mov_b32_e32 v4, 0
	s_waitcnt lgkmcnt(0)
	v_add_nc_u32_e32 v3, v6, v3
	v_cndmask_b32_e64 v6, 0x80000000, -1, s0
	v_lshlrev_b64 v[3:4], 2, v[3:4]
	v_xor_b32_e32 v5, v6, v5
	v_add_co_u32 v3, s0, s18, v3
	v_add_co_ci_u32_e64 v4, null, s19, v4, s0
	global_store_dword v[3:4], v5, off
.LBB603_51:
	;; [unrolled: 25-line block ×5, first 2 shown]
	s_or_b32 exec_lo, exec_lo, s1
	s_add_i32 s22, s22, -1
	s_cmp_eq_u32 s6, s22
	s_cselect_b32 s0, -1, 0
	s_xor_b32 s1, vcc_lo, -1
	s_and_b32 s1, s1, s0
	s_and_saveexec_b32 s0, s1
	s_cbranch_execz .LBB603_59
; %bb.58:
	ds_read_b32 v3, v13
	s_waitcnt lgkmcnt(0)
	v_add3_u32 v3, v9, v10, v3
	global_store_dword v13, v3, s[14:15]
.LBB603_59:
	s_or_b32 exec_lo, exec_lo, s0
	s_mov_b32 s0, 0
.LBB603_60:
	s_and_b32 vcc_lo, exec_lo, s0
	s_cbranch_vccz .LBB603_95
; %bb.61:
	s_mov_b32 s25, 0
	v_mul_u32_u24_e32 v3, 6, v12
	v_lshlrev_b32_e32 v4, 2, v11
	s_lshl_b64 s[0:1], s[24:25], 2
	v_mov_b32_e32 v14, 0
	s_add_u32 s0, s16, s0
	s_addc_u32 s1, s17, s1
	v_lshlrev_b32_e32 v3, 2, v3
	v_add_co_u32 v4, s0, s0, v4
	v_add_co_ci_u32_e64 v5, null, s1, 0, s0
	s_add_u32 s1, s4, 0x58
	v_add_co_u32 v8, vcc_lo, v4, v3
	v_add_co_ci_u32_e64 v9, null, 0, v5, vcc_lo
	s_addc_u32 s2, s5, 0
	global_load_dword v10, v[8:9], off
	s_clause 0x1
	s_load_dword s0, s[4:5], 0x64
	s_load_dword s7, s[4:5], 0x58
	s_waitcnt lgkmcnt(0)
	s_lshr_b32 s3, s0, 16
	s_cmp_lt_u32 s6, s7
	v_mad_u32_u24 v1, v2, s3, v1
	s_cselect_b32 s0, 12, 18
	s_add_u32 s0, s1, s0
	s_addc_u32 s1, s2, 0
	global_load_ushort v12, v14, s[0:1]
	s_clause 0x4
	global_load_dword v7, v[8:9], off offset:128
	global_load_dword v6, v[8:9], off offset:256
	;; [unrolled: 1-line block ×5, first 2 shown]
	s_lshl_b32 s0, -1, s21
	s_not_b32 s8, s0
	s_waitcnt vmcnt(6)
	v_cmp_lt_i32_e32 vcc_lo, -1, v10
	v_cndmask_b32_e64 v8, -1, 0x80000000, vcc_lo
	v_xor_b32_e32 v9, v8, v10
	v_cmp_ne_u32_e32 vcc_lo, 0x7fffffff, v9
	v_cndmask_b32_e32 v8, 0x80000000, v9, vcc_lo
	s_waitcnt vmcnt(5)
	v_mad_u64_u32 v[1:2], null, v1, v12, v[0:1]
	v_lshrrev_b32_e32 v8, s20, v8
	v_and_b32_e32 v8, s8, v8
	v_lshrrev_b32_e32 v1, 3, v1
	v_and_b32_e32 v10, 1, v8
	v_lshlrev_b32_e32 v13, 30, v8
	v_lshlrev_b32_e32 v15, 29, v8
	;; [unrolled: 1-line block ×4, first 2 shown]
	v_add_co_u32 v10, s0, v10, -1
	v_cndmask_b32_e64 v17, 0, 1, s0
	v_not_b32_e32 v21, v13
	v_cmp_gt_i32_e64 s0, 0, v13
	v_not_b32_e32 v13, v15
	v_lshlrev_b32_e32 v19, 26, v8
	v_cmp_ne_u32_e32 vcc_lo, 0, v17
	v_ashrrev_i32_e32 v21, 31, v21
	v_lshlrev_b32_e32 v20, 25, v8
	v_ashrrev_i32_e32 v13, 31, v13
	v_lshlrev_b32_e32 v17, 24, v8
	v_xor_b32_e32 v10, vcc_lo, v10
	v_cmp_gt_i32_e32 vcc_lo, 0, v15
	v_not_b32_e32 v15, v16
	v_xor_b32_e32 v21, s0, v21
	v_cmp_gt_i32_e64 s0, 0, v16
	v_and_b32_e32 v10, exec_lo, v10
	v_not_b32_e32 v16, v18
	v_ashrrev_i32_e32 v15, 31, v15
	v_xor_b32_e32 v13, vcc_lo, v13
	v_cmp_gt_i32_e32 vcc_lo, 0, v18
	v_and_b32_e32 v10, v10, v21
	v_not_b32_e32 v18, v19
	v_ashrrev_i32_e32 v16, 31, v16
	v_xor_b32_e32 v15, s0, v15
	v_cmp_gt_i32_e64 s0, 0, v19
	v_and_b32_e32 v10, v10, v13
	v_not_b32_e32 v13, v20
	v_ashrrev_i32_e32 v18, 31, v18
	v_xor_b32_e32 v16, vcc_lo, v16
	v_cmp_gt_i32_e32 vcc_lo, 0, v20
	v_and_b32_e32 v10, v10, v15
	v_not_b32_e32 v15, v17
	v_ashrrev_i32_e32 v13, 31, v13
	v_xor_b32_e32 v18, s0, v18
	v_cmp_gt_i32_e64 s0, 0, v17
	v_and_b32_e32 v10, v10, v16
	v_ashrrev_i32_e32 v15, 31, v15
	v_xor_b32_e32 v16, vcc_lo, v13
	v_mul_lo_u32 v8, 0x84, v8
	v_mul_u32_u24_e32 v13, 36, v0
	v_and_b32_e32 v10, v10, v18
	v_xor_b32_e32 v2, s0, v15
	v_and_b32_e32 v1, 0x1ffffffc, v1
	ds_write2_b32 v13, v14, v14 offset0:32 offset1:33
	v_and_b32_e32 v10, v10, v16
	ds_write2_b32 v13, v14, v14 offset0:34 offset1:35
	ds_write2_b32 v13, v14, v14 offset0:36 offset1:37
	;; [unrolled: 1-line block ×3, first 2 shown]
	ds_write_b32 v13, v14 offset:160
	v_add_nc_u32_e32 v14, v1, v8
	s_waitcnt vmcnt(0) lgkmcnt(0)
	s_waitcnt_vscnt null, 0x0
	v_and_b32_e32 v2, v10, v2
	s_barrier
	buffer_gl0_inv
	; wave barrier
	v_mbcnt_lo_u32_b32 v12, v2, 0
	v_cmp_ne_u32_e64 s0, 0, v2
	v_cmp_eq_u32_e32 vcc_lo, 0, v12
	s_and_b32 s1, s0, vcc_lo
	s_and_saveexec_b32 s0, s1
; %bb.62:
	v_bcnt_u32_b32 v2, v2, 0
	ds_write_b32 v14, v2 offset:128
; %bb.63:
	s_or_b32 exec_lo, exec_lo, s0
	v_cmp_lt_i32_e32 vcc_lo, -1, v7
	; wave barrier
	v_cndmask_b32_e64 v2, -1, 0x80000000, vcc_lo
	v_xor_b32_e32 v10, v2, v7
	v_cmp_ne_u32_e32 vcc_lo, 0x7fffffff, v10
	v_cndmask_b32_e32 v2, 0x80000000, v10, vcc_lo
	v_lshrrev_b32_e32 v2, s20, v2
	v_and_b32_e32 v2, s8, v2
	v_and_b32_e32 v8, 1, v2
	v_lshlrev_b32_e32 v15, 30, v2
	v_lshlrev_b32_e32 v16, 29, v2
	;; [unrolled: 1-line block ×4, first 2 shown]
	v_add_co_u32 v8, s0, v8, -1
	v_cndmask_b32_e64 v18, 0, 1, s0
	v_not_b32_e32 v22, v15
	v_cmp_gt_i32_e64 s0, 0, v15
	v_not_b32_e32 v15, v16
	v_lshlrev_b32_e32 v20, 26, v2
	v_cmp_ne_u32_e32 vcc_lo, 0, v18
	v_ashrrev_i32_e32 v18, 31, v22
	v_lshlrev_b32_e32 v21, 25, v2
	v_ashrrev_i32_e32 v15, 31, v15
	v_mul_lo_u32 v7, 0x84, v2
	v_xor_b32_e32 v8, vcc_lo, v8
	v_cmp_gt_i32_e32 vcc_lo, 0, v16
	v_not_b32_e32 v16, v17
	v_xor_b32_e32 v18, s0, v18
	v_cmp_gt_i32_e64 s0, 0, v17
	v_and_b32_e32 v8, exec_lo, v8
	v_not_b32_e32 v17, v19
	v_ashrrev_i32_e32 v16, 31, v16
	v_xor_b32_e32 v15, vcc_lo, v15
	v_cmp_gt_i32_e32 vcc_lo, 0, v19
	v_and_b32_e32 v8, v8, v18
	v_not_b32_e32 v18, v20
	v_ashrrev_i32_e32 v17, 31, v17
	v_xor_b32_e32 v16, s0, v16
	v_lshlrev_b32_e32 v2, 24, v2
	v_and_b32_e32 v8, v8, v15
	v_cmp_gt_i32_e64 s0, 0, v20
	v_not_b32_e32 v15, v21
	v_ashrrev_i32_e32 v18, 31, v18
	v_xor_b32_e32 v17, vcc_lo, v17
	v_and_b32_e32 v8, v8, v16
	v_cmp_gt_i32_e32 vcc_lo, 0, v21
	v_not_b32_e32 v16, v2
	v_ashrrev_i32_e32 v15, 31, v15
	v_xor_b32_e32 v18, s0, v18
	v_and_b32_e32 v8, v8, v17
	v_cmp_gt_i32_e64 s0, 0, v2
	v_ashrrev_i32_e32 v2, 31, v16
	v_xor_b32_e32 v15, vcc_lo, v15
	v_and_b32_e32 v8, v8, v18
	v_add_nc_u32_e32 v18, v1, v7
	v_xor_b32_e32 v2, s0, v2
	v_and_b32_e32 v7, v8, v15
	ds_read_b32 v16, v18 offset:128
	; wave barrier
	v_and_b32_e32 v2, v7, v2
	v_mbcnt_lo_u32_b32 v17, v2, 0
	v_cmp_ne_u32_e64 s0, 0, v2
	v_cmp_eq_u32_e32 vcc_lo, 0, v17
	s_and_b32 s1, s0, vcc_lo
	s_and_saveexec_b32 s0, s1
	s_cbranch_execz .LBB603_65
; %bb.64:
	s_waitcnt lgkmcnt(0)
	v_bcnt_u32_b32 v2, v2, v16
	ds_write_b32 v18, v2 offset:128
.LBB603_65:
	s_or_b32 exec_lo, exec_lo, s0
	v_cmp_lt_i32_e32 vcc_lo, -1, v6
	; wave barrier
	v_cndmask_b32_e64 v2, -1, 0x80000000, vcc_lo
	v_xor_b32_e32 v15, v2, v6
	v_cmp_ne_u32_e32 vcc_lo, 0x7fffffff, v15
	v_cndmask_b32_e32 v2, 0x80000000, v15, vcc_lo
	v_lshrrev_b32_e32 v2, s20, v2
	v_and_b32_e32 v2, s8, v2
	v_and_b32_e32 v7, 1, v2
	v_lshlrev_b32_e32 v8, 30, v2
	v_lshlrev_b32_e32 v19, 29, v2
	;; [unrolled: 1-line block ×4, first 2 shown]
	v_add_co_u32 v7, s0, v7, -1
	v_cndmask_b32_e64 v21, 0, 1, s0
	v_not_b32_e32 v25, v8
	v_cmp_gt_i32_e64 s0, 0, v8
	v_not_b32_e32 v8, v19
	v_lshlrev_b32_e32 v23, 26, v2
	v_cmp_ne_u32_e32 vcc_lo, 0, v21
	v_ashrrev_i32_e32 v21, 31, v25
	v_lshlrev_b32_e32 v24, 25, v2
	v_ashrrev_i32_e32 v8, 31, v8
	v_mul_lo_u32 v6, 0x84, v2
	v_xor_b32_e32 v7, vcc_lo, v7
	v_cmp_gt_i32_e32 vcc_lo, 0, v19
	v_not_b32_e32 v19, v20
	v_xor_b32_e32 v21, s0, v21
	v_cmp_gt_i32_e64 s0, 0, v20
	v_and_b32_e32 v7, exec_lo, v7
	v_not_b32_e32 v20, v22
	v_ashrrev_i32_e32 v19, 31, v19
	v_xor_b32_e32 v8, vcc_lo, v8
	v_cmp_gt_i32_e32 vcc_lo, 0, v22
	v_and_b32_e32 v7, v7, v21
	v_not_b32_e32 v21, v23
	v_ashrrev_i32_e32 v20, 31, v20
	v_xor_b32_e32 v19, s0, v19
	v_lshlrev_b32_e32 v2, 24, v2
	v_and_b32_e32 v7, v7, v8
	v_cmp_gt_i32_e64 s0, 0, v23
	v_not_b32_e32 v8, v24
	v_ashrrev_i32_e32 v21, 31, v21
	v_xor_b32_e32 v20, vcc_lo, v20
	v_and_b32_e32 v7, v7, v19
	v_cmp_gt_i32_e32 vcc_lo, 0, v24
	v_not_b32_e32 v19, v2
	v_ashrrev_i32_e32 v8, 31, v8
	v_xor_b32_e32 v21, s0, v21
	v_and_b32_e32 v7, v7, v20
	v_cmp_gt_i32_e64 s0, 0, v2
	v_ashrrev_i32_e32 v2, 31, v19
	v_xor_b32_e32 v8, vcc_lo, v8
	v_add_nc_u32_e32 v22, v1, v6
	v_and_b32_e32 v7, v7, v21
	v_xor_b32_e32 v2, s0, v2
	ds_read_b32 v19, v22 offset:128
	v_and_b32_e32 v6, v7, v8
	; wave barrier
	v_and_b32_e32 v2, v6, v2
	v_mbcnt_lo_u32_b32 v21, v2, 0
	v_cmp_ne_u32_e64 s0, 0, v2
	v_cmp_eq_u32_e32 vcc_lo, 0, v21
	s_and_b32 s1, s0, vcc_lo
	s_and_saveexec_b32 s0, s1
	s_cbranch_execz .LBB603_67
; %bb.66:
	s_waitcnt lgkmcnt(0)
	v_bcnt_u32_b32 v2, v2, v19
	ds_write_b32 v22, v2 offset:128
.LBB603_67:
	s_or_b32 exec_lo, exec_lo, s0
	v_cmp_lt_i32_e32 vcc_lo, -1, v5
	; wave barrier
	v_cndmask_b32_e64 v2, -1, 0x80000000, vcc_lo
	v_xor_b32_e32 v20, v2, v5
	v_cmp_ne_u32_e32 vcc_lo, 0x7fffffff, v20
	v_cndmask_b32_e32 v2, 0x80000000, v20, vcc_lo
	v_lshrrev_b32_e32 v2, s20, v2
	v_and_b32_e32 v2, s8, v2
	v_and_b32_e32 v6, 1, v2
	v_lshlrev_b32_e32 v7, 30, v2
	v_lshlrev_b32_e32 v8, 29, v2
	;; [unrolled: 1-line block ×4, first 2 shown]
	v_add_co_u32 v6, s0, v6, -1
	v_cndmask_b32_e64 v24, 0, 1, s0
	v_not_b32_e32 v28, v7
	v_cmp_gt_i32_e64 s0, 0, v7
	v_not_b32_e32 v7, v8
	v_lshlrev_b32_e32 v26, 26, v2
	v_cmp_ne_u32_e32 vcc_lo, 0, v24
	v_ashrrev_i32_e32 v24, 31, v28
	v_lshlrev_b32_e32 v27, 25, v2
	v_ashrrev_i32_e32 v7, 31, v7
	v_mul_lo_u32 v5, 0x84, v2
	v_xor_b32_e32 v6, vcc_lo, v6
	v_cmp_gt_i32_e32 vcc_lo, 0, v8
	v_not_b32_e32 v8, v23
	v_xor_b32_e32 v24, s0, v24
	v_cmp_gt_i32_e64 s0, 0, v23
	v_and_b32_e32 v6, exec_lo, v6
	v_not_b32_e32 v23, v25
	v_ashrrev_i32_e32 v8, 31, v8
	v_xor_b32_e32 v7, vcc_lo, v7
	v_cmp_gt_i32_e32 vcc_lo, 0, v25
	v_and_b32_e32 v6, v6, v24
	v_not_b32_e32 v24, v26
	v_ashrrev_i32_e32 v23, 31, v23
	v_xor_b32_e32 v8, s0, v8
	v_lshlrev_b32_e32 v2, 24, v2
	v_and_b32_e32 v6, v6, v7
	v_cmp_gt_i32_e64 s0, 0, v26
	v_not_b32_e32 v7, v27
	v_ashrrev_i32_e32 v24, 31, v24
	v_xor_b32_e32 v23, vcc_lo, v23
	v_and_b32_e32 v6, v6, v8
	v_cmp_gt_i32_e32 vcc_lo, 0, v27
	v_not_b32_e32 v8, v2
	v_ashrrev_i32_e32 v7, 31, v7
	v_xor_b32_e32 v24, s0, v24
	v_and_b32_e32 v6, v6, v23
	v_cmp_gt_i32_e64 s0, 0, v2
	v_ashrrev_i32_e32 v2, 31, v8
	v_xor_b32_e32 v7, vcc_lo, v7
	v_add_nc_u32_e32 v27, v1, v5
	v_and_b32_e32 v6, v6, v24
	v_xor_b32_e32 v2, s0, v2
	ds_read_b32 v24, v27 offset:128
	v_and_b32_e32 v5, v6, v7
	; wave barrier
	v_and_b32_e32 v2, v5, v2
	v_mbcnt_lo_u32_b32 v26, v2, 0
	v_cmp_ne_u32_e64 s0, 0, v2
	v_cmp_eq_u32_e32 vcc_lo, 0, v26
	s_and_b32 s1, s0, vcc_lo
	s_and_saveexec_b32 s0, s1
	s_cbranch_execz .LBB603_69
; %bb.68:
	s_waitcnt lgkmcnt(0)
	v_bcnt_u32_b32 v2, v2, v24
	ds_write_b32 v27, v2 offset:128
.LBB603_69:
	s_or_b32 exec_lo, exec_lo, s0
	v_cmp_lt_i32_e32 vcc_lo, -1, v4
	; wave barrier
	v_cndmask_b32_e64 v2, -1, 0x80000000, vcc_lo
	v_xor_b32_e32 v25, v2, v4
	v_cmp_ne_u32_e32 vcc_lo, 0x7fffffff, v25
	v_cndmask_b32_e32 v2, 0x80000000, v25, vcc_lo
	v_lshrrev_b32_e32 v2, s20, v2
	v_and_b32_e32 v2, s8, v2
	v_and_b32_e32 v5, 1, v2
	v_lshlrev_b32_e32 v6, 30, v2
	v_lshlrev_b32_e32 v7, 29, v2
	;; [unrolled: 1-line block ×4, first 2 shown]
	v_add_co_u32 v5, s0, v5, -1
	v_cndmask_b32_e64 v23, 0, 1, s0
	v_not_b32_e32 v31, v6
	v_cmp_gt_i32_e64 s0, 0, v6
	v_not_b32_e32 v6, v7
	v_lshlrev_b32_e32 v29, 26, v2
	v_cmp_ne_u32_e32 vcc_lo, 0, v23
	v_ashrrev_i32_e32 v23, 31, v31
	v_lshlrev_b32_e32 v30, 25, v2
	v_ashrrev_i32_e32 v6, 31, v6
	v_mul_lo_u32 v4, 0x84, v2
	v_xor_b32_e32 v5, vcc_lo, v5
	v_cmp_gt_i32_e32 vcc_lo, 0, v7
	v_not_b32_e32 v7, v8
	v_xor_b32_e32 v23, s0, v23
	v_cmp_gt_i32_e64 s0, 0, v8
	v_and_b32_e32 v5, exec_lo, v5
	v_not_b32_e32 v8, v28
	v_ashrrev_i32_e32 v7, 31, v7
	v_xor_b32_e32 v6, vcc_lo, v6
	v_cmp_gt_i32_e32 vcc_lo, 0, v28
	v_and_b32_e32 v5, v5, v23
	v_not_b32_e32 v23, v29
	v_ashrrev_i32_e32 v8, 31, v8
	v_xor_b32_e32 v7, s0, v7
	v_lshlrev_b32_e32 v2, 24, v2
	v_and_b32_e32 v5, v5, v6
	v_cmp_gt_i32_e64 s0, 0, v29
	v_not_b32_e32 v6, v30
	v_ashrrev_i32_e32 v23, 31, v23
	v_xor_b32_e32 v8, vcc_lo, v8
	v_and_b32_e32 v5, v5, v7
	v_cmp_gt_i32_e32 vcc_lo, 0, v30
	v_not_b32_e32 v7, v2
	v_ashrrev_i32_e32 v6, 31, v6
	v_xor_b32_e32 v23, s0, v23
	v_and_b32_e32 v5, v5, v8
	v_cmp_gt_i32_e64 s0, 0, v2
	v_ashrrev_i32_e32 v2, 31, v7
	v_xor_b32_e32 v6, vcc_lo, v6
	v_add_nc_u32_e32 v31, v1, v4
	v_and_b32_e32 v5, v5, v23
	v_xor_b32_e32 v2, s0, v2
	ds_read_b32 v28, v31 offset:128
	v_and_b32_e32 v4, v5, v6
	; wave barrier
	v_and_b32_e32 v2, v4, v2
	v_mbcnt_lo_u32_b32 v29, v2, 0
	v_cmp_ne_u32_e64 s0, 0, v2
	v_cmp_eq_u32_e32 vcc_lo, 0, v29
	s_and_b32 s1, s0, vcc_lo
	s_and_saveexec_b32 s0, s1
	s_cbranch_execz .LBB603_71
; %bb.70:
	s_waitcnt lgkmcnt(0)
	v_bcnt_u32_b32 v2, v2, v28
	ds_write_b32 v31, v2 offset:128
.LBB603_71:
	s_or_b32 exec_lo, exec_lo, s0
	v_cmp_lt_i32_e32 vcc_lo, -1, v3
	; wave barrier
	v_cndmask_b32_e64 v2, -1, 0x80000000, vcc_lo
	v_xor_b32_e32 v30, v2, v3
	v_cmp_ne_u32_e32 vcc_lo, 0x7fffffff, v30
	v_cndmask_b32_e32 v2, 0x80000000, v30, vcc_lo
	v_lshrrev_b32_e32 v2, s20, v2
	v_and_b32_e32 v2, s8, v2
	v_and_b32_e32 v4, 1, v2
	v_lshlrev_b32_e32 v5, 30, v2
	v_lshlrev_b32_e32 v6, 29, v2
	;; [unrolled: 1-line block ×4, first 2 shown]
	v_add_co_u32 v4, s0, v4, -1
	v_cndmask_b32_e64 v8, 0, 1, s0
	v_not_b32_e32 v34, v5
	v_cmp_gt_i32_e64 s0, 0, v5
	v_not_b32_e32 v5, v6
	v_lshlrev_b32_e32 v32, 26, v2
	v_cmp_ne_u32_e32 vcc_lo, 0, v8
	v_ashrrev_i32_e32 v8, 31, v34
	v_lshlrev_b32_e32 v33, 25, v2
	v_ashrrev_i32_e32 v5, 31, v5
	v_mul_lo_u32 v3, 0x84, v2
	v_xor_b32_e32 v4, vcc_lo, v4
	v_cmp_gt_i32_e32 vcc_lo, 0, v6
	v_not_b32_e32 v6, v7
	v_xor_b32_e32 v8, s0, v8
	v_cmp_gt_i32_e64 s0, 0, v7
	v_and_b32_e32 v4, exec_lo, v4
	v_not_b32_e32 v7, v23
	v_ashrrev_i32_e32 v6, 31, v6
	v_xor_b32_e32 v5, vcc_lo, v5
	v_cmp_gt_i32_e32 vcc_lo, 0, v23
	v_and_b32_e32 v4, v4, v8
	v_not_b32_e32 v8, v32
	v_ashrrev_i32_e32 v7, 31, v7
	v_xor_b32_e32 v6, s0, v6
	v_lshlrev_b32_e32 v2, 24, v2
	v_and_b32_e32 v4, v4, v5
	v_cmp_gt_i32_e64 s0, 0, v32
	v_not_b32_e32 v5, v33
	v_ashrrev_i32_e32 v8, 31, v8
	v_xor_b32_e32 v7, vcc_lo, v7
	v_and_b32_e32 v4, v4, v6
	v_cmp_gt_i32_e32 vcc_lo, 0, v33
	v_not_b32_e32 v6, v2
	v_ashrrev_i32_e32 v5, 31, v5
	v_xor_b32_e32 v8, s0, v8
	v_and_b32_e32 v4, v4, v7
	v_cmp_gt_i32_e64 s0, 0, v2
	v_ashrrev_i32_e32 v2, 31, v6
	v_xor_b32_e32 v5, vcc_lo, v5
	v_add_nc_u32_e32 v34, v1, v3
	v_and_b32_e32 v4, v4, v8
	v_xor_b32_e32 v1, s0, v2
	ds_read_b32 v32, v34 offset:128
	v_and_b32_e32 v2, v4, v5
	; wave barrier
	v_and_b32_e32 v1, v2, v1
	v_mbcnt_lo_u32_b32 v33, v1, 0
	v_cmp_ne_u32_e64 s0, 0, v1
	v_cmp_eq_u32_e32 vcc_lo, 0, v33
	s_and_b32 s1, s0, vcc_lo
	s_and_saveexec_b32 s0, s1
	s_cbranch_execz .LBB603_73
; %bb.72:
	s_waitcnt lgkmcnt(0)
	v_bcnt_u32_b32 v1, v1, v32
	ds_write_b32 v34, v1 offset:128
.LBB603_73:
	s_or_b32 exec_lo, exec_lo, s0
	; wave barrier
	s_waitcnt lgkmcnt(0)
	s_barrier
	buffer_gl0_inv
	ds_read2_b32 v[7:8], v13 offset0:32 offset1:33
	ds_read2_b32 v[5:6], v13 offset0:34 offset1:35
	ds_read2_b32 v[3:4], v13 offset0:36 offset1:37
	ds_read2_b32 v[1:2], v13 offset0:38 offset1:39
	ds_read_b32 v23, v13 offset:160
	v_and_b32_e32 v37, 16, v11
	v_and_b32_e32 v38, 31, v0
	s_mov_b32 s5, exec_lo
	v_cmp_eq_u32_e64 s3, 0, v37
	s_waitcnt lgkmcnt(3)
	v_add3_u32 v35, v8, v7, v5
	s_waitcnt lgkmcnt(2)
	v_add3_u32 v35, v35, v6, v3
	;; [unrolled: 2-line block ×4, first 2 shown]
	v_and_b32_e32 v35, 15, v11
	v_mov_b32_dpp v36, v23 row_shr:1 row_mask:0xf bank_mask:0xf
	v_cmp_eq_u32_e32 vcc_lo, 0, v35
	v_cmp_lt_u32_e64 s0, 1, v35
	v_cmp_lt_u32_e64 s1, 3, v35
	;; [unrolled: 1-line block ×3, first 2 shown]
	v_cndmask_b32_e64 v36, v36, 0, vcc_lo
	v_add_nc_u32_e32 v23, v36, v23
	v_mov_b32_dpp v36, v23 row_shr:2 row_mask:0xf bank_mask:0xf
	v_cndmask_b32_e64 v36, 0, v36, s0
	v_add_nc_u32_e32 v23, v23, v36
	v_mov_b32_dpp v36, v23 row_shr:4 row_mask:0xf bank_mask:0xf
	v_cndmask_b32_e64 v36, 0, v36, s1
	;; [unrolled: 3-line block ×3, first 2 shown]
	v_bfe_i32 v36, v11, 4, 1
	v_add_nc_u32_e32 v23, v23, v35
	ds_swizzle_b32 v35, v23 offset:swizzle(BROADCAST,32,15)
	s_waitcnt lgkmcnt(0)
	v_and_b32_e32 v35, v36, v35
	v_lshrrev_b32_e32 v36, 5, v0
	v_add_nc_u32_e32 v35, v23, v35
	v_cmpx_eq_u32_e32 31, v38
; %bb.74:
	v_lshlrev_b32_e32 v23, 2, v36
	ds_write_b32 v23, v35
; %bb.75:
	s_or_b32 exec_lo, exec_lo, s5
	v_cmp_lt_u32_e64 s4, 31, v0
	v_lshlrev_b32_e32 v23, 2, v0
	s_mov_b32 s9, exec_lo
	s_waitcnt lgkmcnt(0)
	s_barrier
	buffer_gl0_inv
	v_cmpx_gt_u32_e32 32, v0
	s_cbranch_execz .LBB603_77
; %bb.76:
	ds_read_b32 v37, v23
	s_waitcnt lgkmcnt(0)
	v_mov_b32_dpp v38, v37 row_shr:1 row_mask:0xf bank_mask:0xf
	v_cndmask_b32_e64 v38, v38, 0, vcc_lo
	v_add_nc_u32_e32 v37, v38, v37
	v_mov_b32_dpp v38, v37 row_shr:2 row_mask:0xf bank_mask:0xf
	v_cndmask_b32_e64 v38, 0, v38, s0
	v_add_nc_u32_e32 v37, v37, v38
	v_mov_b32_dpp v38, v37 row_shr:4 row_mask:0xf bank_mask:0xf
	v_cndmask_b32_e64 v38, 0, v38, s1
	;; [unrolled: 3-line block ×3, first 2 shown]
	v_add_nc_u32_e32 v37, v37, v38
	ds_swizzle_b32 v38, v37 offset:swizzle(BROADCAST,32,15)
	s_waitcnt lgkmcnt(0)
	v_cndmask_b32_e64 v38, v38, 0, s3
	v_add_nc_u32_e32 v37, v37, v38
	ds_write_b32 v23, v37
.LBB603_77:
	s_or_b32 exec_lo, exec_lo, s9
	v_mov_b32_e32 v37, 0
	s_waitcnt lgkmcnt(0)
	s_barrier
	buffer_gl0_inv
	s_and_saveexec_b32 s0, s4
; %bb.78:
	v_lshl_add_u32 v36, v36, 2, -4
	ds_read_b32 v37, v36
; %bb.79:
	s_or_b32 exec_lo, exec_lo, s0
	v_sub_co_u32 v36, vcc_lo, v11, 1
	s_waitcnt lgkmcnt(0)
	v_add_nc_u32_e32 v35, v37, v35
	v_cmp_gt_i32_e64 s0, 0, v36
	v_cndmask_b32_e64 v11, v36, v11, s0
	v_cmp_gt_u32_e64 s0, 0x100, v0
	v_lshlrev_b32_e32 v11, 2, v11
	ds_bpermute_b32 v11, v11, v35
	s_waitcnt lgkmcnt(0)
	v_cndmask_b32_e32 v11, v11, v37, vcc_lo
	v_cmp_ne_u32_e32 vcc_lo, 0, v0
	v_cndmask_b32_e32 v11, 0, v11, vcc_lo
	v_cmp_lt_u32_e32 vcc_lo, 0xff, v0
	v_add_nc_u32_e32 v7, v11, v7
	v_add_nc_u32_e32 v8, v7, v8
	;; [unrolled: 1-line block ×8, first 2 shown]
	ds_write2_b32 v13, v11, v7 offset0:32 offset1:33
	ds_write2_b32 v13, v8, v5 offset0:34 offset1:35
	;; [unrolled: 1-line block ×4, first 2 shown]
	ds_write_b32 v13, v2 offset:160
	s_waitcnt lgkmcnt(0)
	s_barrier
	buffer_gl0_inv
	ds_read_b32 v5, v14 offset:128
	ds_read_b32 v6, v18 offset:128
	;; [unrolled: 1-line block ×6, first 2 shown]
                                        ; implicit-def: $vgpr7
                                        ; implicit-def: $vgpr8
	s_and_saveexec_b32 s2, s0
	s_cbranch_execz .LBB603_83
; %bb.80:
	v_mul_u32_u24_e32 v7, 0x84, v0
	v_add_nc_u32_e32 v11, 1, v0
	v_mov_b32_e32 v8, 0x1800
	s_mov_b32 s3, exec_lo
	ds_read_b32 v7, v7 offset:128
	v_cmpx_ne_u32_e32 0x100, v11
; %bb.81:
	v_mul_u32_u24_e32 v8, 0x84, v11
	ds_read_b32 v8, v8 offset:128
; %bb.82:
	s_or_b32 exec_lo, exec_lo, s3
	s_waitcnt lgkmcnt(0)
	v_sub_nc_u32_e32 v8, v8, v7
.LBB603_83:
	s_or_b32 exec_lo, exec_lo, s2
	v_lshlrev_b32_e32 v11, 2, v12
	s_waitcnt lgkmcnt(4)
	v_lshlrev_b32_e32 v6, 2, v6
	v_lshlrev_b32_e32 v12, 2, v17
	;; [unrolled: 1-line block ×3, first 2 shown]
	s_waitcnt lgkmcnt(0)
	v_lshl_add_u32 v5, v5, 2, v11
	s_barrier
	buffer_gl0_inv
	v_lshlrev_b32_e32 v4, 2, v4
	v_add3_u32 v6, v6, v12, v13
	ds_write_b32 v5, v9 offset:1024
	v_lshlrev_b32_e32 v5, 2, v21
	v_lshlrev_b32_e32 v9, 2, v19
	;; [unrolled: 1-line block ×11, first 2 shown]
	v_add3_u32 v4, v4, v5, v9
	v_add3_u32 v5, v2, v13, v14
	v_mov_b32_e32 v2, 0
	v_add3_u32 v3, v3, v11, v12
	v_add3_u32 v1, v1, v16, v17
	ds_write_b32 v6, v10 offset:1024
	ds_write_b32 v4, v15 offset:1024
	;; [unrolled: 1-line block ×5, first 2 shown]
	s_and_saveexec_b32 s1, s0
	s_cbranch_execz .LBB603_93
; %bb.84:
	v_lshl_add_u32 v1, s6, 8, v0
	v_mov_b32_e32 v9, 0
	s_mov_b32 s2, 0
	s_mov_b32 s3, s6
	v_lshlrev_b64 v[3:4], 2, v[1:2]
	v_or_b32_e32 v1, 2.0, v8
	v_add_co_u32 v3, s0, s10, v3
	v_add_co_ci_u32_e64 v4, null, s11, v4, s0
                                        ; implicit-def: $sgpr0
	global_store_dword v[3:4], v1, off
	s_branch .LBB603_87
	.p2align	6
.LBB603_85:                             ;   in Loop: Header=BB603_87 Depth=1
	s_or_b32 exec_lo, exec_lo, s5
.LBB603_86:                             ;   in Loop: Header=BB603_87 Depth=1
	s_or_b32 exec_lo, exec_lo, s4
	v_and_b32_e32 v5, 0x3fffffff, v1
	v_cmp_gt_i32_e64 s0, -2.0, v1
	v_add_nc_u32_e32 v9, v5, v9
	s_and_b32 s4, exec_lo, s0
	s_or_b32 s2, s4, s2
	s_andn2_b32 exec_lo, exec_lo, s2
	s_cbranch_execz .LBB603_92
.LBB603_87:                             ; =>This Loop Header: Depth=1
                                        ;     Child Loop BB603_90 Depth 2
	s_or_b32 s0, s0, exec_lo
	s_cmp_eq_u32 s3, 0
	s_cbranch_scc1 .LBB603_91
; %bb.88:                               ;   in Loop: Header=BB603_87 Depth=1
	s_add_i32 s3, s3, -1
	s_mov_b32 s4, exec_lo
	v_lshl_or_b32 v1, s3, 8, v0
	v_lshlrev_b64 v[5:6], 2, v[1:2]
	v_add_co_u32 v5, s0, s10, v5
	v_add_co_ci_u32_e64 v6, null, s11, v6, s0
	global_load_dword v1, v[5:6], off glc dlc
	s_waitcnt vmcnt(0)
	v_cmpx_gt_u32_e32 2.0, v1
	s_cbranch_execz .LBB603_86
; %bb.89:                               ;   in Loop: Header=BB603_87 Depth=1
	s_mov_b32 s5, 0
.LBB603_90:                             ;   Parent Loop BB603_87 Depth=1
                                        ; =>  This Inner Loop Header: Depth=2
	global_load_dword v1, v[5:6], off glc dlc
	s_waitcnt vmcnt(0)
	v_cmp_lt_u32_e64 s0, 0x3fffffff, v1
	s_or_b32 s5, s0, s5
	s_andn2_b32 exec_lo, exec_lo, s5
	s_cbranch_execnz .LBB603_90
	s_branch .LBB603_85
.LBB603_91:                             ;   in Loop: Header=BB603_87 Depth=1
                                        ; implicit-def: $sgpr3
	s_and_b32 s4, exec_lo, s0
	s_or_b32 s2, s4, s2
	s_andn2_b32 exec_lo, exec_lo, s2
	s_cbranch_execnz .LBB603_87
.LBB603_92:
	s_or_b32 exec_lo, exec_lo, s2
	v_add_nc_u32_e32 v1, v9, v8
	v_sub_nc_u32_e32 v2, v9, v7
	v_or_b32_e32 v1, 0x80000000, v1
	global_store_dword v[3:4], v1, off
	global_load_dword v1, v23, s[12:13]
	s_waitcnt vmcnt(0)
	v_add_nc_u32_e32 v1, v2, v1
	ds_write_b32 v23, v1
.LBB603_93:
	s_or_b32 exec_lo, exec_lo, s1
	s_waitcnt lgkmcnt(0)
	s_waitcnt_vscnt null, 0x0
	s_barrier
	buffer_gl0_inv
	ds_read2st64_b32 v[1:2], v23 offset0:4 offset1:20
	ds_read2st64_b32 v[3:4], v23 offset0:36 offset1:52
	;; [unrolled: 1-line block ×3, first 2 shown]
	v_mov_b32_e32 v10, 0
	s_add_i32 s7, s7, -1
	s_cmp_eq_u32 s6, s7
	s_waitcnt lgkmcnt(2)
	v_cmp_ne_u32_e64 s0, 0x7fffffff, v1
	v_cndmask_b32_e64 v9, 0x80000000, v1, s0
	v_cmp_lt_i32_e64 s0, -1, v1
	v_lshrrev_b32_e32 v9, s20, v9
	v_cndmask_b32_e64 v11, 0x80000000, -1, s0
	v_cmp_ne_u32_e64 s0, 0x7fffffff, v2
	v_and_b32_e32 v9, s8, v9
	v_xor_b32_e32 v24, v11, v1
	v_cndmask_b32_e64 v12, 0x80000000, v2, s0
	v_cmp_lt_i32_e64 s0, -1, v2
	v_lshlrev_b32_e32 v9, 2, v9
	v_lshrrev_b32_e32 v12, s20, v12
	v_cndmask_b32_e64 v13, 0x80000000, -1, s0
	s_waitcnt lgkmcnt(1)
	v_cmp_ne_u32_e64 s0, 0x7fffffff, v3
	ds_read_b32 v9, v9
	v_and_b32_e32 v12, s8, v12
	v_cndmask_b32_e64 v14, 0x80000000, v3, s0
	v_cmp_ne_u32_e64 s0, 0x7fffffff, v4
	v_lshlrev_b32_e32 v12, 2, v12
	v_lshrrev_b32_e32 v14, s20, v14
	v_cndmask_b32_e64 v15, 0x80000000, v4, s0
	s_waitcnt lgkmcnt(1)
	v_cmp_ne_u32_e64 s0, 0x7fffffff, v5
	ds_read_b32 v18, v12
	v_and_b32_e32 v14, s8, v14
	v_lshrrev_b32_e32 v15, s20, v15
	v_cndmask_b32_e64 v16, 0x80000000, v5, s0
	v_cmp_ne_u32_e64 s0, 0x7fffffff, v6
	v_lshlrev_b32_e32 v12, 2, v14
	v_and_b32_e32 v15, s8, v15
	v_lshrrev_b32_e32 v16, s20, v16
	v_cndmask_b32_e64 v17, 0x80000000, v6, s0
	v_cmp_lt_i32_e64 s0, -1, v3
	ds_read_b32 v19, v12
	v_lshlrev_b32_e32 v15, 2, v15
	v_and_b32_e32 v16, s8, v16
	v_lshrrev_b32_e32 v17, s20, v17
	v_cndmask_b32_e64 v14, 0x80000000, -1, s0
	v_cmp_lt_i32_e64 s0, -1, v4
	s_waitcnt lgkmcnt(2)
	v_add_nc_u32_e32 v9, v9, v0
	v_lshlrev_b32_e32 v16, 2, v16
	v_and_b32_e32 v17, s8, v17
	v_xor_b32_e32 v25, v14, v3
	v_lshlrev_b32_e32 v12, 2, v17
	ds_read_b32 v15, v15
	ds_read_b32 v16, v16
	;; [unrolled: 1-line block ×3, first 2 shown]
	v_cndmask_b32_e64 v17, 0x80000000, -1, s0
	v_cmp_lt_i32_e64 s0, -1, v5
	v_lshlrev_b64 v[11:12], 2, v[9:10]
	s_waitcnt lgkmcnt(4)
	v_add3_u32 v9, v18, v0, 0x400
	v_xor_b32_e32 v18, v13, v2
	v_xor_b32_e32 v17, v17, v4
	v_cndmask_b32_e64 v21, 0x80000000, -1, s0
	v_cmp_lt_i32_e64 s0, -1, v6
	v_lshlrev_b64 v[1:2], 2, v[9:10]
	s_waitcnt lgkmcnt(3)
	v_add3_u32 v9, v19, v0, 0x800
	v_xor_b32_e32 v5, v21, v5
	v_cndmask_b32_e64 v22, 0x80000000, -1, s0
	v_add_co_u32 v3, s0, s18, v11
	v_add_co_ci_u32_e64 v4, null, s19, v12, s0
	v_lshlrev_b64 v[11:12], 2, v[9:10]
	s_waitcnt lgkmcnt(2)
	v_add3_u32 v9, v15, v0, 0xc00
	v_add_co_u32 v1, s0, s18, v1
	v_add_co_ci_u32_e64 v2, null, s19, v2, s0
	v_lshlrev_b64 v[13:14], 2, v[9:10]
	s_waitcnt lgkmcnt(1)
	v_add3_u32 v9, v16, v0, 0x1000
	;; [unrolled: 5-line block ×3, first 2 shown]
	global_store_dword v[3:4], v24, off
	global_store_dword v[1:2], v18, off
	;; [unrolled: 1-line block ×3, first 2 shown]
	v_add_co_u32 v13, s0, s18, v13
	v_add_co_ci_u32_e64 v14, null, s19, v14, s0
	v_lshlrev_b64 v[0:1], 2, v[9:10]
	v_add_co_u32 v2, s0, s18, v15
	v_add_co_ci_u32_e64 v3, null, s19, v16, s0
	v_xor_b32_e32 v4, v22, v6
	v_add_co_u32 v0, s0, s18, v0
	v_add_co_ci_u32_e64 v1, null, s19, v1, s0
	s_cselect_b32 s0, -1, 0
	s_xor_b32 s1, vcc_lo, -1
	global_store_dword v[13:14], v17, off
	s_and_b32 s0, s1, s0
	global_store_dword v[2:3], v5, off
	global_store_dword v[0:1], v4, off
	s_and_saveexec_b32 s1, s0
	s_cbranch_execz .LBB603_95
; %bb.94:
	ds_read_b32 v0, v23
	s_waitcnt lgkmcnt(0)
	v_add3_u32 v0, v7, v8, v0
	global_store_dword v23, v0, s[14:15]
.LBB603_95:
	s_endpgm
	.section	.rodata,"a",@progbits
	.p2align	6, 0x0
	.amdhsa_kernel _ZN7rocprim17ROCPRIM_400000_NS6detail17trampoline_kernelINS0_14default_configENS1_35radix_sort_onesweep_config_selectorIfNS0_10empty_typeEEEZZNS1_29radix_sort_onesweep_iterationIS3_Lb0EN6thrust23THRUST_200600_302600_NS6detail15normal_iteratorINS9_10device_ptrIfEEEESE_PS5_SF_jNS0_19identity_decomposerENS1_16block_id_wrapperIjLb0EEEEE10hipError_tT1_PNSt15iterator_traitsISK_E10value_typeET2_T3_PNSL_ISQ_E10value_typeET4_T5_PSV_SW_PNS1_23onesweep_lookback_stateEbbT6_jjT7_P12ihipStream_tbENKUlT_T0_SK_SP_E_clISE_PfSF_SF_EEDaS13_S14_SK_SP_EUlS13_E_NS1_11comp_targetILNS1_3genE8ELNS1_11target_archE1030ELNS1_3gpuE2ELNS1_3repE0EEENS1_47radix_sort_onesweep_sort_config_static_selectorELNS0_4arch9wavefront6targetE0EEEvSK_
		.amdhsa_group_segment_fixed_size 37000
		.amdhsa_private_segment_fixed_size 0
		.amdhsa_kernarg_size 344
		.amdhsa_user_sgpr_count 6
		.amdhsa_user_sgpr_private_segment_buffer 1
		.amdhsa_user_sgpr_dispatch_ptr 0
		.amdhsa_user_sgpr_queue_ptr 0
		.amdhsa_user_sgpr_kernarg_segment_ptr 1
		.amdhsa_user_sgpr_dispatch_id 0
		.amdhsa_user_sgpr_flat_scratch_init 0
		.amdhsa_user_sgpr_private_segment_size 0
		.amdhsa_wavefront_size32 1
		.amdhsa_uses_dynamic_stack 0
		.amdhsa_system_sgpr_private_segment_wavefront_offset 0
		.amdhsa_system_sgpr_workgroup_id_x 1
		.amdhsa_system_sgpr_workgroup_id_y 0
		.amdhsa_system_sgpr_workgroup_id_z 0
		.amdhsa_system_sgpr_workgroup_info 0
		.amdhsa_system_vgpr_workitem_id 2
		.amdhsa_next_free_vgpr 42
		.amdhsa_next_free_sgpr 26
		.amdhsa_reserve_vcc 1
		.amdhsa_reserve_flat_scratch 0
		.amdhsa_float_round_mode_32 0
		.amdhsa_float_round_mode_16_64 0
		.amdhsa_float_denorm_mode_32 3
		.amdhsa_float_denorm_mode_16_64 3
		.amdhsa_dx10_clamp 1
		.amdhsa_ieee_mode 1
		.amdhsa_fp16_overflow 0
		.amdhsa_workgroup_processor_mode 1
		.amdhsa_memory_ordered 1
		.amdhsa_forward_progress 1
		.amdhsa_shared_vgpr_count 0
		.amdhsa_exception_fp_ieee_invalid_op 0
		.amdhsa_exception_fp_denorm_src 0
		.amdhsa_exception_fp_ieee_div_zero 0
		.amdhsa_exception_fp_ieee_overflow 0
		.amdhsa_exception_fp_ieee_underflow 0
		.amdhsa_exception_fp_ieee_inexact 0
		.amdhsa_exception_int_div_zero 0
	.end_amdhsa_kernel
	.section	.text._ZN7rocprim17ROCPRIM_400000_NS6detail17trampoline_kernelINS0_14default_configENS1_35radix_sort_onesweep_config_selectorIfNS0_10empty_typeEEEZZNS1_29radix_sort_onesweep_iterationIS3_Lb0EN6thrust23THRUST_200600_302600_NS6detail15normal_iteratorINS9_10device_ptrIfEEEESE_PS5_SF_jNS0_19identity_decomposerENS1_16block_id_wrapperIjLb0EEEEE10hipError_tT1_PNSt15iterator_traitsISK_E10value_typeET2_T3_PNSL_ISQ_E10value_typeET4_T5_PSV_SW_PNS1_23onesweep_lookback_stateEbbT6_jjT7_P12ihipStream_tbENKUlT_T0_SK_SP_E_clISE_PfSF_SF_EEDaS13_S14_SK_SP_EUlS13_E_NS1_11comp_targetILNS1_3genE8ELNS1_11target_archE1030ELNS1_3gpuE2ELNS1_3repE0EEENS1_47radix_sort_onesweep_sort_config_static_selectorELNS0_4arch9wavefront6targetE0EEEvSK_,"axG",@progbits,_ZN7rocprim17ROCPRIM_400000_NS6detail17trampoline_kernelINS0_14default_configENS1_35radix_sort_onesweep_config_selectorIfNS0_10empty_typeEEEZZNS1_29radix_sort_onesweep_iterationIS3_Lb0EN6thrust23THRUST_200600_302600_NS6detail15normal_iteratorINS9_10device_ptrIfEEEESE_PS5_SF_jNS0_19identity_decomposerENS1_16block_id_wrapperIjLb0EEEEE10hipError_tT1_PNSt15iterator_traitsISK_E10value_typeET2_T3_PNSL_ISQ_E10value_typeET4_T5_PSV_SW_PNS1_23onesweep_lookback_stateEbbT6_jjT7_P12ihipStream_tbENKUlT_T0_SK_SP_E_clISE_PfSF_SF_EEDaS13_S14_SK_SP_EUlS13_E_NS1_11comp_targetILNS1_3genE8ELNS1_11target_archE1030ELNS1_3gpuE2ELNS1_3repE0EEENS1_47radix_sort_onesweep_sort_config_static_selectorELNS0_4arch9wavefront6targetE0EEEvSK_,comdat
.Lfunc_end603:
	.size	_ZN7rocprim17ROCPRIM_400000_NS6detail17trampoline_kernelINS0_14default_configENS1_35radix_sort_onesweep_config_selectorIfNS0_10empty_typeEEEZZNS1_29radix_sort_onesweep_iterationIS3_Lb0EN6thrust23THRUST_200600_302600_NS6detail15normal_iteratorINS9_10device_ptrIfEEEESE_PS5_SF_jNS0_19identity_decomposerENS1_16block_id_wrapperIjLb0EEEEE10hipError_tT1_PNSt15iterator_traitsISK_E10value_typeET2_T3_PNSL_ISQ_E10value_typeET4_T5_PSV_SW_PNS1_23onesweep_lookback_stateEbbT6_jjT7_P12ihipStream_tbENKUlT_T0_SK_SP_E_clISE_PfSF_SF_EEDaS13_S14_SK_SP_EUlS13_E_NS1_11comp_targetILNS1_3genE8ELNS1_11target_archE1030ELNS1_3gpuE2ELNS1_3repE0EEENS1_47radix_sort_onesweep_sort_config_static_selectorELNS0_4arch9wavefront6targetE0EEEvSK_, .Lfunc_end603-_ZN7rocprim17ROCPRIM_400000_NS6detail17trampoline_kernelINS0_14default_configENS1_35radix_sort_onesweep_config_selectorIfNS0_10empty_typeEEEZZNS1_29radix_sort_onesweep_iterationIS3_Lb0EN6thrust23THRUST_200600_302600_NS6detail15normal_iteratorINS9_10device_ptrIfEEEESE_PS5_SF_jNS0_19identity_decomposerENS1_16block_id_wrapperIjLb0EEEEE10hipError_tT1_PNSt15iterator_traitsISK_E10value_typeET2_T3_PNSL_ISQ_E10value_typeET4_T5_PSV_SW_PNS1_23onesweep_lookback_stateEbbT6_jjT7_P12ihipStream_tbENKUlT_T0_SK_SP_E_clISE_PfSF_SF_EEDaS13_S14_SK_SP_EUlS13_E_NS1_11comp_targetILNS1_3genE8ELNS1_11target_archE1030ELNS1_3gpuE2ELNS1_3repE0EEENS1_47radix_sort_onesweep_sort_config_static_selectorELNS0_4arch9wavefront6targetE0EEEvSK_
                                        ; -- End function
	.set _ZN7rocprim17ROCPRIM_400000_NS6detail17trampoline_kernelINS0_14default_configENS1_35radix_sort_onesweep_config_selectorIfNS0_10empty_typeEEEZZNS1_29radix_sort_onesweep_iterationIS3_Lb0EN6thrust23THRUST_200600_302600_NS6detail15normal_iteratorINS9_10device_ptrIfEEEESE_PS5_SF_jNS0_19identity_decomposerENS1_16block_id_wrapperIjLb0EEEEE10hipError_tT1_PNSt15iterator_traitsISK_E10value_typeET2_T3_PNSL_ISQ_E10value_typeET4_T5_PSV_SW_PNS1_23onesweep_lookback_stateEbbT6_jjT7_P12ihipStream_tbENKUlT_T0_SK_SP_E_clISE_PfSF_SF_EEDaS13_S14_SK_SP_EUlS13_E_NS1_11comp_targetILNS1_3genE8ELNS1_11target_archE1030ELNS1_3gpuE2ELNS1_3repE0EEENS1_47radix_sort_onesweep_sort_config_static_selectorELNS0_4arch9wavefront6targetE0EEEvSK_.num_vgpr, 42
	.set _ZN7rocprim17ROCPRIM_400000_NS6detail17trampoline_kernelINS0_14default_configENS1_35radix_sort_onesweep_config_selectorIfNS0_10empty_typeEEEZZNS1_29radix_sort_onesweep_iterationIS3_Lb0EN6thrust23THRUST_200600_302600_NS6detail15normal_iteratorINS9_10device_ptrIfEEEESE_PS5_SF_jNS0_19identity_decomposerENS1_16block_id_wrapperIjLb0EEEEE10hipError_tT1_PNSt15iterator_traitsISK_E10value_typeET2_T3_PNSL_ISQ_E10value_typeET4_T5_PSV_SW_PNS1_23onesweep_lookback_stateEbbT6_jjT7_P12ihipStream_tbENKUlT_T0_SK_SP_E_clISE_PfSF_SF_EEDaS13_S14_SK_SP_EUlS13_E_NS1_11comp_targetILNS1_3genE8ELNS1_11target_archE1030ELNS1_3gpuE2ELNS1_3repE0EEENS1_47radix_sort_onesweep_sort_config_static_selectorELNS0_4arch9wavefront6targetE0EEEvSK_.num_agpr, 0
	.set _ZN7rocprim17ROCPRIM_400000_NS6detail17trampoline_kernelINS0_14default_configENS1_35radix_sort_onesweep_config_selectorIfNS0_10empty_typeEEEZZNS1_29radix_sort_onesweep_iterationIS3_Lb0EN6thrust23THRUST_200600_302600_NS6detail15normal_iteratorINS9_10device_ptrIfEEEESE_PS5_SF_jNS0_19identity_decomposerENS1_16block_id_wrapperIjLb0EEEEE10hipError_tT1_PNSt15iterator_traitsISK_E10value_typeET2_T3_PNSL_ISQ_E10value_typeET4_T5_PSV_SW_PNS1_23onesweep_lookback_stateEbbT6_jjT7_P12ihipStream_tbENKUlT_T0_SK_SP_E_clISE_PfSF_SF_EEDaS13_S14_SK_SP_EUlS13_E_NS1_11comp_targetILNS1_3genE8ELNS1_11target_archE1030ELNS1_3gpuE2ELNS1_3repE0EEENS1_47radix_sort_onesweep_sort_config_static_selectorELNS0_4arch9wavefront6targetE0EEEvSK_.numbered_sgpr, 26
	.set _ZN7rocprim17ROCPRIM_400000_NS6detail17trampoline_kernelINS0_14default_configENS1_35radix_sort_onesweep_config_selectorIfNS0_10empty_typeEEEZZNS1_29radix_sort_onesweep_iterationIS3_Lb0EN6thrust23THRUST_200600_302600_NS6detail15normal_iteratorINS9_10device_ptrIfEEEESE_PS5_SF_jNS0_19identity_decomposerENS1_16block_id_wrapperIjLb0EEEEE10hipError_tT1_PNSt15iterator_traitsISK_E10value_typeET2_T3_PNSL_ISQ_E10value_typeET4_T5_PSV_SW_PNS1_23onesweep_lookback_stateEbbT6_jjT7_P12ihipStream_tbENKUlT_T0_SK_SP_E_clISE_PfSF_SF_EEDaS13_S14_SK_SP_EUlS13_E_NS1_11comp_targetILNS1_3genE8ELNS1_11target_archE1030ELNS1_3gpuE2ELNS1_3repE0EEENS1_47radix_sort_onesweep_sort_config_static_selectorELNS0_4arch9wavefront6targetE0EEEvSK_.num_named_barrier, 0
	.set _ZN7rocprim17ROCPRIM_400000_NS6detail17trampoline_kernelINS0_14default_configENS1_35radix_sort_onesweep_config_selectorIfNS0_10empty_typeEEEZZNS1_29radix_sort_onesweep_iterationIS3_Lb0EN6thrust23THRUST_200600_302600_NS6detail15normal_iteratorINS9_10device_ptrIfEEEESE_PS5_SF_jNS0_19identity_decomposerENS1_16block_id_wrapperIjLb0EEEEE10hipError_tT1_PNSt15iterator_traitsISK_E10value_typeET2_T3_PNSL_ISQ_E10value_typeET4_T5_PSV_SW_PNS1_23onesweep_lookback_stateEbbT6_jjT7_P12ihipStream_tbENKUlT_T0_SK_SP_E_clISE_PfSF_SF_EEDaS13_S14_SK_SP_EUlS13_E_NS1_11comp_targetILNS1_3genE8ELNS1_11target_archE1030ELNS1_3gpuE2ELNS1_3repE0EEENS1_47radix_sort_onesweep_sort_config_static_selectorELNS0_4arch9wavefront6targetE0EEEvSK_.private_seg_size, 0
	.set _ZN7rocprim17ROCPRIM_400000_NS6detail17trampoline_kernelINS0_14default_configENS1_35radix_sort_onesweep_config_selectorIfNS0_10empty_typeEEEZZNS1_29radix_sort_onesweep_iterationIS3_Lb0EN6thrust23THRUST_200600_302600_NS6detail15normal_iteratorINS9_10device_ptrIfEEEESE_PS5_SF_jNS0_19identity_decomposerENS1_16block_id_wrapperIjLb0EEEEE10hipError_tT1_PNSt15iterator_traitsISK_E10value_typeET2_T3_PNSL_ISQ_E10value_typeET4_T5_PSV_SW_PNS1_23onesweep_lookback_stateEbbT6_jjT7_P12ihipStream_tbENKUlT_T0_SK_SP_E_clISE_PfSF_SF_EEDaS13_S14_SK_SP_EUlS13_E_NS1_11comp_targetILNS1_3genE8ELNS1_11target_archE1030ELNS1_3gpuE2ELNS1_3repE0EEENS1_47radix_sort_onesweep_sort_config_static_selectorELNS0_4arch9wavefront6targetE0EEEvSK_.uses_vcc, 1
	.set _ZN7rocprim17ROCPRIM_400000_NS6detail17trampoline_kernelINS0_14default_configENS1_35radix_sort_onesweep_config_selectorIfNS0_10empty_typeEEEZZNS1_29radix_sort_onesweep_iterationIS3_Lb0EN6thrust23THRUST_200600_302600_NS6detail15normal_iteratorINS9_10device_ptrIfEEEESE_PS5_SF_jNS0_19identity_decomposerENS1_16block_id_wrapperIjLb0EEEEE10hipError_tT1_PNSt15iterator_traitsISK_E10value_typeET2_T3_PNSL_ISQ_E10value_typeET4_T5_PSV_SW_PNS1_23onesweep_lookback_stateEbbT6_jjT7_P12ihipStream_tbENKUlT_T0_SK_SP_E_clISE_PfSF_SF_EEDaS13_S14_SK_SP_EUlS13_E_NS1_11comp_targetILNS1_3genE8ELNS1_11target_archE1030ELNS1_3gpuE2ELNS1_3repE0EEENS1_47radix_sort_onesweep_sort_config_static_selectorELNS0_4arch9wavefront6targetE0EEEvSK_.uses_flat_scratch, 0
	.set _ZN7rocprim17ROCPRIM_400000_NS6detail17trampoline_kernelINS0_14default_configENS1_35radix_sort_onesweep_config_selectorIfNS0_10empty_typeEEEZZNS1_29radix_sort_onesweep_iterationIS3_Lb0EN6thrust23THRUST_200600_302600_NS6detail15normal_iteratorINS9_10device_ptrIfEEEESE_PS5_SF_jNS0_19identity_decomposerENS1_16block_id_wrapperIjLb0EEEEE10hipError_tT1_PNSt15iterator_traitsISK_E10value_typeET2_T3_PNSL_ISQ_E10value_typeET4_T5_PSV_SW_PNS1_23onesweep_lookback_stateEbbT6_jjT7_P12ihipStream_tbENKUlT_T0_SK_SP_E_clISE_PfSF_SF_EEDaS13_S14_SK_SP_EUlS13_E_NS1_11comp_targetILNS1_3genE8ELNS1_11target_archE1030ELNS1_3gpuE2ELNS1_3repE0EEENS1_47radix_sort_onesweep_sort_config_static_selectorELNS0_4arch9wavefront6targetE0EEEvSK_.has_dyn_sized_stack, 0
	.set _ZN7rocprim17ROCPRIM_400000_NS6detail17trampoline_kernelINS0_14default_configENS1_35radix_sort_onesweep_config_selectorIfNS0_10empty_typeEEEZZNS1_29radix_sort_onesweep_iterationIS3_Lb0EN6thrust23THRUST_200600_302600_NS6detail15normal_iteratorINS9_10device_ptrIfEEEESE_PS5_SF_jNS0_19identity_decomposerENS1_16block_id_wrapperIjLb0EEEEE10hipError_tT1_PNSt15iterator_traitsISK_E10value_typeET2_T3_PNSL_ISQ_E10value_typeET4_T5_PSV_SW_PNS1_23onesweep_lookback_stateEbbT6_jjT7_P12ihipStream_tbENKUlT_T0_SK_SP_E_clISE_PfSF_SF_EEDaS13_S14_SK_SP_EUlS13_E_NS1_11comp_targetILNS1_3genE8ELNS1_11target_archE1030ELNS1_3gpuE2ELNS1_3repE0EEENS1_47radix_sort_onesweep_sort_config_static_selectorELNS0_4arch9wavefront6targetE0EEEvSK_.has_recursion, 0
	.set _ZN7rocprim17ROCPRIM_400000_NS6detail17trampoline_kernelINS0_14default_configENS1_35radix_sort_onesweep_config_selectorIfNS0_10empty_typeEEEZZNS1_29radix_sort_onesweep_iterationIS3_Lb0EN6thrust23THRUST_200600_302600_NS6detail15normal_iteratorINS9_10device_ptrIfEEEESE_PS5_SF_jNS0_19identity_decomposerENS1_16block_id_wrapperIjLb0EEEEE10hipError_tT1_PNSt15iterator_traitsISK_E10value_typeET2_T3_PNSL_ISQ_E10value_typeET4_T5_PSV_SW_PNS1_23onesweep_lookback_stateEbbT6_jjT7_P12ihipStream_tbENKUlT_T0_SK_SP_E_clISE_PfSF_SF_EEDaS13_S14_SK_SP_EUlS13_E_NS1_11comp_targetILNS1_3genE8ELNS1_11target_archE1030ELNS1_3gpuE2ELNS1_3repE0EEENS1_47radix_sort_onesweep_sort_config_static_selectorELNS0_4arch9wavefront6targetE0EEEvSK_.has_indirect_call, 0
	.section	.AMDGPU.csdata,"",@progbits
; Kernel info:
; codeLenInByte = 9360
; TotalNumSgprs: 28
; NumVgprs: 42
; ScratchSize: 0
; MemoryBound: 0
; FloatMode: 240
; IeeeMode: 1
; LDSByteSize: 37000 bytes/workgroup (compile time only)
; SGPRBlocks: 0
; VGPRBlocks: 5
; NumSGPRsForWavesPerEU: 28
; NumVGPRsForWavesPerEU: 42
; Occupancy: 16
; WaveLimiterHint : 1
; COMPUTE_PGM_RSRC2:SCRATCH_EN: 0
; COMPUTE_PGM_RSRC2:USER_SGPR: 6
; COMPUTE_PGM_RSRC2:TRAP_HANDLER: 0
; COMPUTE_PGM_RSRC2:TGID_X_EN: 1
; COMPUTE_PGM_RSRC2:TGID_Y_EN: 0
; COMPUTE_PGM_RSRC2:TGID_Z_EN: 0
; COMPUTE_PGM_RSRC2:TIDIG_COMP_CNT: 2
	.section	.text._ZN7rocprim17ROCPRIM_400000_NS6detail17trampoline_kernelINS0_14default_configENS1_35radix_sort_onesweep_config_selectorIfNS0_10empty_typeEEEZZNS1_29radix_sort_onesweep_iterationIS3_Lb0EN6thrust23THRUST_200600_302600_NS6detail15normal_iteratorINS9_10device_ptrIfEEEESE_PS5_SF_jNS0_19identity_decomposerENS1_16block_id_wrapperIjLb0EEEEE10hipError_tT1_PNSt15iterator_traitsISK_E10value_typeET2_T3_PNSL_ISQ_E10value_typeET4_T5_PSV_SW_PNS1_23onesweep_lookback_stateEbbT6_jjT7_P12ihipStream_tbENKUlT_T0_SK_SP_E_clIPfSE_SF_SF_EEDaS13_S14_SK_SP_EUlS13_E_NS1_11comp_targetILNS1_3genE0ELNS1_11target_archE4294967295ELNS1_3gpuE0ELNS1_3repE0EEENS1_47radix_sort_onesweep_sort_config_static_selectorELNS0_4arch9wavefront6targetE0EEEvSK_,"axG",@progbits,_ZN7rocprim17ROCPRIM_400000_NS6detail17trampoline_kernelINS0_14default_configENS1_35radix_sort_onesweep_config_selectorIfNS0_10empty_typeEEEZZNS1_29radix_sort_onesweep_iterationIS3_Lb0EN6thrust23THRUST_200600_302600_NS6detail15normal_iteratorINS9_10device_ptrIfEEEESE_PS5_SF_jNS0_19identity_decomposerENS1_16block_id_wrapperIjLb0EEEEE10hipError_tT1_PNSt15iterator_traitsISK_E10value_typeET2_T3_PNSL_ISQ_E10value_typeET4_T5_PSV_SW_PNS1_23onesweep_lookback_stateEbbT6_jjT7_P12ihipStream_tbENKUlT_T0_SK_SP_E_clIPfSE_SF_SF_EEDaS13_S14_SK_SP_EUlS13_E_NS1_11comp_targetILNS1_3genE0ELNS1_11target_archE4294967295ELNS1_3gpuE0ELNS1_3repE0EEENS1_47radix_sort_onesweep_sort_config_static_selectorELNS0_4arch9wavefront6targetE0EEEvSK_,comdat
	.protected	_ZN7rocprim17ROCPRIM_400000_NS6detail17trampoline_kernelINS0_14default_configENS1_35radix_sort_onesweep_config_selectorIfNS0_10empty_typeEEEZZNS1_29radix_sort_onesweep_iterationIS3_Lb0EN6thrust23THRUST_200600_302600_NS6detail15normal_iteratorINS9_10device_ptrIfEEEESE_PS5_SF_jNS0_19identity_decomposerENS1_16block_id_wrapperIjLb0EEEEE10hipError_tT1_PNSt15iterator_traitsISK_E10value_typeET2_T3_PNSL_ISQ_E10value_typeET4_T5_PSV_SW_PNS1_23onesweep_lookback_stateEbbT6_jjT7_P12ihipStream_tbENKUlT_T0_SK_SP_E_clIPfSE_SF_SF_EEDaS13_S14_SK_SP_EUlS13_E_NS1_11comp_targetILNS1_3genE0ELNS1_11target_archE4294967295ELNS1_3gpuE0ELNS1_3repE0EEENS1_47radix_sort_onesweep_sort_config_static_selectorELNS0_4arch9wavefront6targetE0EEEvSK_ ; -- Begin function _ZN7rocprim17ROCPRIM_400000_NS6detail17trampoline_kernelINS0_14default_configENS1_35radix_sort_onesweep_config_selectorIfNS0_10empty_typeEEEZZNS1_29radix_sort_onesweep_iterationIS3_Lb0EN6thrust23THRUST_200600_302600_NS6detail15normal_iteratorINS9_10device_ptrIfEEEESE_PS5_SF_jNS0_19identity_decomposerENS1_16block_id_wrapperIjLb0EEEEE10hipError_tT1_PNSt15iterator_traitsISK_E10value_typeET2_T3_PNSL_ISQ_E10value_typeET4_T5_PSV_SW_PNS1_23onesweep_lookback_stateEbbT6_jjT7_P12ihipStream_tbENKUlT_T0_SK_SP_E_clIPfSE_SF_SF_EEDaS13_S14_SK_SP_EUlS13_E_NS1_11comp_targetILNS1_3genE0ELNS1_11target_archE4294967295ELNS1_3gpuE0ELNS1_3repE0EEENS1_47radix_sort_onesweep_sort_config_static_selectorELNS0_4arch9wavefront6targetE0EEEvSK_
	.globl	_ZN7rocprim17ROCPRIM_400000_NS6detail17trampoline_kernelINS0_14default_configENS1_35radix_sort_onesweep_config_selectorIfNS0_10empty_typeEEEZZNS1_29radix_sort_onesweep_iterationIS3_Lb0EN6thrust23THRUST_200600_302600_NS6detail15normal_iteratorINS9_10device_ptrIfEEEESE_PS5_SF_jNS0_19identity_decomposerENS1_16block_id_wrapperIjLb0EEEEE10hipError_tT1_PNSt15iterator_traitsISK_E10value_typeET2_T3_PNSL_ISQ_E10value_typeET4_T5_PSV_SW_PNS1_23onesweep_lookback_stateEbbT6_jjT7_P12ihipStream_tbENKUlT_T0_SK_SP_E_clIPfSE_SF_SF_EEDaS13_S14_SK_SP_EUlS13_E_NS1_11comp_targetILNS1_3genE0ELNS1_11target_archE4294967295ELNS1_3gpuE0ELNS1_3repE0EEENS1_47radix_sort_onesweep_sort_config_static_selectorELNS0_4arch9wavefront6targetE0EEEvSK_
	.p2align	8
	.type	_ZN7rocprim17ROCPRIM_400000_NS6detail17trampoline_kernelINS0_14default_configENS1_35radix_sort_onesweep_config_selectorIfNS0_10empty_typeEEEZZNS1_29radix_sort_onesweep_iterationIS3_Lb0EN6thrust23THRUST_200600_302600_NS6detail15normal_iteratorINS9_10device_ptrIfEEEESE_PS5_SF_jNS0_19identity_decomposerENS1_16block_id_wrapperIjLb0EEEEE10hipError_tT1_PNSt15iterator_traitsISK_E10value_typeET2_T3_PNSL_ISQ_E10value_typeET4_T5_PSV_SW_PNS1_23onesweep_lookback_stateEbbT6_jjT7_P12ihipStream_tbENKUlT_T0_SK_SP_E_clIPfSE_SF_SF_EEDaS13_S14_SK_SP_EUlS13_E_NS1_11comp_targetILNS1_3genE0ELNS1_11target_archE4294967295ELNS1_3gpuE0ELNS1_3repE0EEENS1_47radix_sort_onesweep_sort_config_static_selectorELNS0_4arch9wavefront6targetE0EEEvSK_,@function
_ZN7rocprim17ROCPRIM_400000_NS6detail17trampoline_kernelINS0_14default_configENS1_35radix_sort_onesweep_config_selectorIfNS0_10empty_typeEEEZZNS1_29radix_sort_onesweep_iterationIS3_Lb0EN6thrust23THRUST_200600_302600_NS6detail15normal_iteratorINS9_10device_ptrIfEEEESE_PS5_SF_jNS0_19identity_decomposerENS1_16block_id_wrapperIjLb0EEEEE10hipError_tT1_PNSt15iterator_traitsISK_E10value_typeET2_T3_PNSL_ISQ_E10value_typeET4_T5_PSV_SW_PNS1_23onesweep_lookback_stateEbbT6_jjT7_P12ihipStream_tbENKUlT_T0_SK_SP_E_clIPfSE_SF_SF_EEDaS13_S14_SK_SP_EUlS13_E_NS1_11comp_targetILNS1_3genE0ELNS1_11target_archE4294967295ELNS1_3gpuE0ELNS1_3repE0EEENS1_47radix_sort_onesweep_sort_config_static_selectorELNS0_4arch9wavefront6targetE0EEEvSK_: ; @_ZN7rocprim17ROCPRIM_400000_NS6detail17trampoline_kernelINS0_14default_configENS1_35radix_sort_onesweep_config_selectorIfNS0_10empty_typeEEEZZNS1_29radix_sort_onesweep_iterationIS3_Lb0EN6thrust23THRUST_200600_302600_NS6detail15normal_iteratorINS9_10device_ptrIfEEEESE_PS5_SF_jNS0_19identity_decomposerENS1_16block_id_wrapperIjLb0EEEEE10hipError_tT1_PNSt15iterator_traitsISK_E10value_typeET2_T3_PNSL_ISQ_E10value_typeET4_T5_PSV_SW_PNS1_23onesweep_lookback_stateEbbT6_jjT7_P12ihipStream_tbENKUlT_T0_SK_SP_E_clIPfSE_SF_SF_EEDaS13_S14_SK_SP_EUlS13_E_NS1_11comp_targetILNS1_3genE0ELNS1_11target_archE4294967295ELNS1_3gpuE0ELNS1_3repE0EEENS1_47radix_sort_onesweep_sort_config_static_selectorELNS0_4arch9wavefront6targetE0EEEvSK_
; %bb.0:
	.section	.rodata,"a",@progbits
	.p2align	6, 0x0
	.amdhsa_kernel _ZN7rocprim17ROCPRIM_400000_NS6detail17trampoline_kernelINS0_14default_configENS1_35radix_sort_onesweep_config_selectorIfNS0_10empty_typeEEEZZNS1_29radix_sort_onesweep_iterationIS3_Lb0EN6thrust23THRUST_200600_302600_NS6detail15normal_iteratorINS9_10device_ptrIfEEEESE_PS5_SF_jNS0_19identity_decomposerENS1_16block_id_wrapperIjLb0EEEEE10hipError_tT1_PNSt15iterator_traitsISK_E10value_typeET2_T3_PNSL_ISQ_E10value_typeET4_T5_PSV_SW_PNS1_23onesweep_lookback_stateEbbT6_jjT7_P12ihipStream_tbENKUlT_T0_SK_SP_E_clIPfSE_SF_SF_EEDaS13_S14_SK_SP_EUlS13_E_NS1_11comp_targetILNS1_3genE0ELNS1_11target_archE4294967295ELNS1_3gpuE0ELNS1_3repE0EEENS1_47radix_sort_onesweep_sort_config_static_selectorELNS0_4arch9wavefront6targetE0EEEvSK_
		.amdhsa_group_segment_fixed_size 0
		.amdhsa_private_segment_fixed_size 0
		.amdhsa_kernarg_size 88
		.amdhsa_user_sgpr_count 6
		.amdhsa_user_sgpr_private_segment_buffer 1
		.amdhsa_user_sgpr_dispatch_ptr 0
		.amdhsa_user_sgpr_queue_ptr 0
		.amdhsa_user_sgpr_kernarg_segment_ptr 1
		.amdhsa_user_sgpr_dispatch_id 0
		.amdhsa_user_sgpr_flat_scratch_init 0
		.amdhsa_user_sgpr_private_segment_size 0
		.amdhsa_wavefront_size32 1
		.amdhsa_uses_dynamic_stack 0
		.amdhsa_system_sgpr_private_segment_wavefront_offset 0
		.amdhsa_system_sgpr_workgroup_id_x 1
		.amdhsa_system_sgpr_workgroup_id_y 0
		.amdhsa_system_sgpr_workgroup_id_z 0
		.amdhsa_system_sgpr_workgroup_info 0
		.amdhsa_system_vgpr_workitem_id 0
		.amdhsa_next_free_vgpr 1
		.amdhsa_next_free_sgpr 1
		.amdhsa_reserve_vcc 0
		.amdhsa_reserve_flat_scratch 0
		.amdhsa_float_round_mode_32 0
		.amdhsa_float_round_mode_16_64 0
		.amdhsa_float_denorm_mode_32 3
		.amdhsa_float_denorm_mode_16_64 3
		.amdhsa_dx10_clamp 1
		.amdhsa_ieee_mode 1
		.amdhsa_fp16_overflow 0
		.amdhsa_workgroup_processor_mode 1
		.amdhsa_memory_ordered 1
		.amdhsa_forward_progress 1
		.amdhsa_shared_vgpr_count 0
		.amdhsa_exception_fp_ieee_invalid_op 0
		.amdhsa_exception_fp_denorm_src 0
		.amdhsa_exception_fp_ieee_div_zero 0
		.amdhsa_exception_fp_ieee_overflow 0
		.amdhsa_exception_fp_ieee_underflow 0
		.amdhsa_exception_fp_ieee_inexact 0
		.amdhsa_exception_int_div_zero 0
	.end_amdhsa_kernel
	.section	.text._ZN7rocprim17ROCPRIM_400000_NS6detail17trampoline_kernelINS0_14default_configENS1_35radix_sort_onesweep_config_selectorIfNS0_10empty_typeEEEZZNS1_29radix_sort_onesweep_iterationIS3_Lb0EN6thrust23THRUST_200600_302600_NS6detail15normal_iteratorINS9_10device_ptrIfEEEESE_PS5_SF_jNS0_19identity_decomposerENS1_16block_id_wrapperIjLb0EEEEE10hipError_tT1_PNSt15iterator_traitsISK_E10value_typeET2_T3_PNSL_ISQ_E10value_typeET4_T5_PSV_SW_PNS1_23onesweep_lookback_stateEbbT6_jjT7_P12ihipStream_tbENKUlT_T0_SK_SP_E_clIPfSE_SF_SF_EEDaS13_S14_SK_SP_EUlS13_E_NS1_11comp_targetILNS1_3genE0ELNS1_11target_archE4294967295ELNS1_3gpuE0ELNS1_3repE0EEENS1_47radix_sort_onesweep_sort_config_static_selectorELNS0_4arch9wavefront6targetE0EEEvSK_,"axG",@progbits,_ZN7rocprim17ROCPRIM_400000_NS6detail17trampoline_kernelINS0_14default_configENS1_35radix_sort_onesweep_config_selectorIfNS0_10empty_typeEEEZZNS1_29radix_sort_onesweep_iterationIS3_Lb0EN6thrust23THRUST_200600_302600_NS6detail15normal_iteratorINS9_10device_ptrIfEEEESE_PS5_SF_jNS0_19identity_decomposerENS1_16block_id_wrapperIjLb0EEEEE10hipError_tT1_PNSt15iterator_traitsISK_E10value_typeET2_T3_PNSL_ISQ_E10value_typeET4_T5_PSV_SW_PNS1_23onesweep_lookback_stateEbbT6_jjT7_P12ihipStream_tbENKUlT_T0_SK_SP_E_clIPfSE_SF_SF_EEDaS13_S14_SK_SP_EUlS13_E_NS1_11comp_targetILNS1_3genE0ELNS1_11target_archE4294967295ELNS1_3gpuE0ELNS1_3repE0EEENS1_47radix_sort_onesweep_sort_config_static_selectorELNS0_4arch9wavefront6targetE0EEEvSK_,comdat
.Lfunc_end604:
	.size	_ZN7rocprim17ROCPRIM_400000_NS6detail17trampoline_kernelINS0_14default_configENS1_35radix_sort_onesweep_config_selectorIfNS0_10empty_typeEEEZZNS1_29radix_sort_onesweep_iterationIS3_Lb0EN6thrust23THRUST_200600_302600_NS6detail15normal_iteratorINS9_10device_ptrIfEEEESE_PS5_SF_jNS0_19identity_decomposerENS1_16block_id_wrapperIjLb0EEEEE10hipError_tT1_PNSt15iterator_traitsISK_E10value_typeET2_T3_PNSL_ISQ_E10value_typeET4_T5_PSV_SW_PNS1_23onesweep_lookback_stateEbbT6_jjT7_P12ihipStream_tbENKUlT_T0_SK_SP_E_clIPfSE_SF_SF_EEDaS13_S14_SK_SP_EUlS13_E_NS1_11comp_targetILNS1_3genE0ELNS1_11target_archE4294967295ELNS1_3gpuE0ELNS1_3repE0EEENS1_47radix_sort_onesweep_sort_config_static_selectorELNS0_4arch9wavefront6targetE0EEEvSK_, .Lfunc_end604-_ZN7rocprim17ROCPRIM_400000_NS6detail17trampoline_kernelINS0_14default_configENS1_35radix_sort_onesweep_config_selectorIfNS0_10empty_typeEEEZZNS1_29radix_sort_onesweep_iterationIS3_Lb0EN6thrust23THRUST_200600_302600_NS6detail15normal_iteratorINS9_10device_ptrIfEEEESE_PS5_SF_jNS0_19identity_decomposerENS1_16block_id_wrapperIjLb0EEEEE10hipError_tT1_PNSt15iterator_traitsISK_E10value_typeET2_T3_PNSL_ISQ_E10value_typeET4_T5_PSV_SW_PNS1_23onesweep_lookback_stateEbbT6_jjT7_P12ihipStream_tbENKUlT_T0_SK_SP_E_clIPfSE_SF_SF_EEDaS13_S14_SK_SP_EUlS13_E_NS1_11comp_targetILNS1_3genE0ELNS1_11target_archE4294967295ELNS1_3gpuE0ELNS1_3repE0EEENS1_47radix_sort_onesweep_sort_config_static_selectorELNS0_4arch9wavefront6targetE0EEEvSK_
                                        ; -- End function
	.set _ZN7rocprim17ROCPRIM_400000_NS6detail17trampoline_kernelINS0_14default_configENS1_35radix_sort_onesweep_config_selectorIfNS0_10empty_typeEEEZZNS1_29radix_sort_onesweep_iterationIS3_Lb0EN6thrust23THRUST_200600_302600_NS6detail15normal_iteratorINS9_10device_ptrIfEEEESE_PS5_SF_jNS0_19identity_decomposerENS1_16block_id_wrapperIjLb0EEEEE10hipError_tT1_PNSt15iterator_traitsISK_E10value_typeET2_T3_PNSL_ISQ_E10value_typeET4_T5_PSV_SW_PNS1_23onesweep_lookback_stateEbbT6_jjT7_P12ihipStream_tbENKUlT_T0_SK_SP_E_clIPfSE_SF_SF_EEDaS13_S14_SK_SP_EUlS13_E_NS1_11comp_targetILNS1_3genE0ELNS1_11target_archE4294967295ELNS1_3gpuE0ELNS1_3repE0EEENS1_47radix_sort_onesweep_sort_config_static_selectorELNS0_4arch9wavefront6targetE0EEEvSK_.num_vgpr, 0
	.set _ZN7rocprim17ROCPRIM_400000_NS6detail17trampoline_kernelINS0_14default_configENS1_35radix_sort_onesweep_config_selectorIfNS0_10empty_typeEEEZZNS1_29radix_sort_onesweep_iterationIS3_Lb0EN6thrust23THRUST_200600_302600_NS6detail15normal_iteratorINS9_10device_ptrIfEEEESE_PS5_SF_jNS0_19identity_decomposerENS1_16block_id_wrapperIjLb0EEEEE10hipError_tT1_PNSt15iterator_traitsISK_E10value_typeET2_T3_PNSL_ISQ_E10value_typeET4_T5_PSV_SW_PNS1_23onesweep_lookback_stateEbbT6_jjT7_P12ihipStream_tbENKUlT_T0_SK_SP_E_clIPfSE_SF_SF_EEDaS13_S14_SK_SP_EUlS13_E_NS1_11comp_targetILNS1_3genE0ELNS1_11target_archE4294967295ELNS1_3gpuE0ELNS1_3repE0EEENS1_47radix_sort_onesweep_sort_config_static_selectorELNS0_4arch9wavefront6targetE0EEEvSK_.num_agpr, 0
	.set _ZN7rocprim17ROCPRIM_400000_NS6detail17trampoline_kernelINS0_14default_configENS1_35radix_sort_onesweep_config_selectorIfNS0_10empty_typeEEEZZNS1_29radix_sort_onesweep_iterationIS3_Lb0EN6thrust23THRUST_200600_302600_NS6detail15normal_iteratorINS9_10device_ptrIfEEEESE_PS5_SF_jNS0_19identity_decomposerENS1_16block_id_wrapperIjLb0EEEEE10hipError_tT1_PNSt15iterator_traitsISK_E10value_typeET2_T3_PNSL_ISQ_E10value_typeET4_T5_PSV_SW_PNS1_23onesweep_lookback_stateEbbT6_jjT7_P12ihipStream_tbENKUlT_T0_SK_SP_E_clIPfSE_SF_SF_EEDaS13_S14_SK_SP_EUlS13_E_NS1_11comp_targetILNS1_3genE0ELNS1_11target_archE4294967295ELNS1_3gpuE0ELNS1_3repE0EEENS1_47radix_sort_onesweep_sort_config_static_selectorELNS0_4arch9wavefront6targetE0EEEvSK_.numbered_sgpr, 0
	.set _ZN7rocprim17ROCPRIM_400000_NS6detail17trampoline_kernelINS0_14default_configENS1_35radix_sort_onesweep_config_selectorIfNS0_10empty_typeEEEZZNS1_29radix_sort_onesweep_iterationIS3_Lb0EN6thrust23THRUST_200600_302600_NS6detail15normal_iteratorINS9_10device_ptrIfEEEESE_PS5_SF_jNS0_19identity_decomposerENS1_16block_id_wrapperIjLb0EEEEE10hipError_tT1_PNSt15iterator_traitsISK_E10value_typeET2_T3_PNSL_ISQ_E10value_typeET4_T5_PSV_SW_PNS1_23onesweep_lookback_stateEbbT6_jjT7_P12ihipStream_tbENKUlT_T0_SK_SP_E_clIPfSE_SF_SF_EEDaS13_S14_SK_SP_EUlS13_E_NS1_11comp_targetILNS1_3genE0ELNS1_11target_archE4294967295ELNS1_3gpuE0ELNS1_3repE0EEENS1_47radix_sort_onesweep_sort_config_static_selectorELNS0_4arch9wavefront6targetE0EEEvSK_.num_named_barrier, 0
	.set _ZN7rocprim17ROCPRIM_400000_NS6detail17trampoline_kernelINS0_14default_configENS1_35radix_sort_onesweep_config_selectorIfNS0_10empty_typeEEEZZNS1_29radix_sort_onesweep_iterationIS3_Lb0EN6thrust23THRUST_200600_302600_NS6detail15normal_iteratorINS9_10device_ptrIfEEEESE_PS5_SF_jNS0_19identity_decomposerENS1_16block_id_wrapperIjLb0EEEEE10hipError_tT1_PNSt15iterator_traitsISK_E10value_typeET2_T3_PNSL_ISQ_E10value_typeET4_T5_PSV_SW_PNS1_23onesweep_lookback_stateEbbT6_jjT7_P12ihipStream_tbENKUlT_T0_SK_SP_E_clIPfSE_SF_SF_EEDaS13_S14_SK_SP_EUlS13_E_NS1_11comp_targetILNS1_3genE0ELNS1_11target_archE4294967295ELNS1_3gpuE0ELNS1_3repE0EEENS1_47radix_sort_onesweep_sort_config_static_selectorELNS0_4arch9wavefront6targetE0EEEvSK_.private_seg_size, 0
	.set _ZN7rocprim17ROCPRIM_400000_NS6detail17trampoline_kernelINS0_14default_configENS1_35radix_sort_onesweep_config_selectorIfNS0_10empty_typeEEEZZNS1_29radix_sort_onesweep_iterationIS3_Lb0EN6thrust23THRUST_200600_302600_NS6detail15normal_iteratorINS9_10device_ptrIfEEEESE_PS5_SF_jNS0_19identity_decomposerENS1_16block_id_wrapperIjLb0EEEEE10hipError_tT1_PNSt15iterator_traitsISK_E10value_typeET2_T3_PNSL_ISQ_E10value_typeET4_T5_PSV_SW_PNS1_23onesweep_lookback_stateEbbT6_jjT7_P12ihipStream_tbENKUlT_T0_SK_SP_E_clIPfSE_SF_SF_EEDaS13_S14_SK_SP_EUlS13_E_NS1_11comp_targetILNS1_3genE0ELNS1_11target_archE4294967295ELNS1_3gpuE0ELNS1_3repE0EEENS1_47radix_sort_onesweep_sort_config_static_selectorELNS0_4arch9wavefront6targetE0EEEvSK_.uses_vcc, 0
	.set _ZN7rocprim17ROCPRIM_400000_NS6detail17trampoline_kernelINS0_14default_configENS1_35radix_sort_onesweep_config_selectorIfNS0_10empty_typeEEEZZNS1_29radix_sort_onesweep_iterationIS3_Lb0EN6thrust23THRUST_200600_302600_NS6detail15normal_iteratorINS9_10device_ptrIfEEEESE_PS5_SF_jNS0_19identity_decomposerENS1_16block_id_wrapperIjLb0EEEEE10hipError_tT1_PNSt15iterator_traitsISK_E10value_typeET2_T3_PNSL_ISQ_E10value_typeET4_T5_PSV_SW_PNS1_23onesweep_lookback_stateEbbT6_jjT7_P12ihipStream_tbENKUlT_T0_SK_SP_E_clIPfSE_SF_SF_EEDaS13_S14_SK_SP_EUlS13_E_NS1_11comp_targetILNS1_3genE0ELNS1_11target_archE4294967295ELNS1_3gpuE0ELNS1_3repE0EEENS1_47radix_sort_onesweep_sort_config_static_selectorELNS0_4arch9wavefront6targetE0EEEvSK_.uses_flat_scratch, 0
	.set _ZN7rocprim17ROCPRIM_400000_NS6detail17trampoline_kernelINS0_14default_configENS1_35radix_sort_onesweep_config_selectorIfNS0_10empty_typeEEEZZNS1_29radix_sort_onesweep_iterationIS3_Lb0EN6thrust23THRUST_200600_302600_NS6detail15normal_iteratorINS9_10device_ptrIfEEEESE_PS5_SF_jNS0_19identity_decomposerENS1_16block_id_wrapperIjLb0EEEEE10hipError_tT1_PNSt15iterator_traitsISK_E10value_typeET2_T3_PNSL_ISQ_E10value_typeET4_T5_PSV_SW_PNS1_23onesweep_lookback_stateEbbT6_jjT7_P12ihipStream_tbENKUlT_T0_SK_SP_E_clIPfSE_SF_SF_EEDaS13_S14_SK_SP_EUlS13_E_NS1_11comp_targetILNS1_3genE0ELNS1_11target_archE4294967295ELNS1_3gpuE0ELNS1_3repE0EEENS1_47radix_sort_onesweep_sort_config_static_selectorELNS0_4arch9wavefront6targetE0EEEvSK_.has_dyn_sized_stack, 0
	.set _ZN7rocprim17ROCPRIM_400000_NS6detail17trampoline_kernelINS0_14default_configENS1_35radix_sort_onesweep_config_selectorIfNS0_10empty_typeEEEZZNS1_29radix_sort_onesweep_iterationIS3_Lb0EN6thrust23THRUST_200600_302600_NS6detail15normal_iteratorINS9_10device_ptrIfEEEESE_PS5_SF_jNS0_19identity_decomposerENS1_16block_id_wrapperIjLb0EEEEE10hipError_tT1_PNSt15iterator_traitsISK_E10value_typeET2_T3_PNSL_ISQ_E10value_typeET4_T5_PSV_SW_PNS1_23onesweep_lookback_stateEbbT6_jjT7_P12ihipStream_tbENKUlT_T0_SK_SP_E_clIPfSE_SF_SF_EEDaS13_S14_SK_SP_EUlS13_E_NS1_11comp_targetILNS1_3genE0ELNS1_11target_archE4294967295ELNS1_3gpuE0ELNS1_3repE0EEENS1_47radix_sort_onesweep_sort_config_static_selectorELNS0_4arch9wavefront6targetE0EEEvSK_.has_recursion, 0
	.set _ZN7rocprim17ROCPRIM_400000_NS6detail17trampoline_kernelINS0_14default_configENS1_35radix_sort_onesweep_config_selectorIfNS0_10empty_typeEEEZZNS1_29radix_sort_onesweep_iterationIS3_Lb0EN6thrust23THRUST_200600_302600_NS6detail15normal_iteratorINS9_10device_ptrIfEEEESE_PS5_SF_jNS0_19identity_decomposerENS1_16block_id_wrapperIjLb0EEEEE10hipError_tT1_PNSt15iterator_traitsISK_E10value_typeET2_T3_PNSL_ISQ_E10value_typeET4_T5_PSV_SW_PNS1_23onesweep_lookback_stateEbbT6_jjT7_P12ihipStream_tbENKUlT_T0_SK_SP_E_clIPfSE_SF_SF_EEDaS13_S14_SK_SP_EUlS13_E_NS1_11comp_targetILNS1_3genE0ELNS1_11target_archE4294967295ELNS1_3gpuE0ELNS1_3repE0EEENS1_47radix_sort_onesweep_sort_config_static_selectorELNS0_4arch9wavefront6targetE0EEEvSK_.has_indirect_call, 0
	.section	.AMDGPU.csdata,"",@progbits
; Kernel info:
; codeLenInByte = 0
; TotalNumSgprs: 0
; NumVgprs: 0
; ScratchSize: 0
; MemoryBound: 0
; FloatMode: 240
; IeeeMode: 1
; LDSByteSize: 0 bytes/workgroup (compile time only)
; SGPRBlocks: 0
; VGPRBlocks: 0
; NumSGPRsForWavesPerEU: 1
; NumVGPRsForWavesPerEU: 1
; Occupancy: 16
; WaveLimiterHint : 0
; COMPUTE_PGM_RSRC2:SCRATCH_EN: 0
; COMPUTE_PGM_RSRC2:USER_SGPR: 6
; COMPUTE_PGM_RSRC2:TRAP_HANDLER: 0
; COMPUTE_PGM_RSRC2:TGID_X_EN: 1
; COMPUTE_PGM_RSRC2:TGID_Y_EN: 0
; COMPUTE_PGM_RSRC2:TGID_Z_EN: 0
; COMPUTE_PGM_RSRC2:TIDIG_COMP_CNT: 0
	.section	.text._ZN7rocprim17ROCPRIM_400000_NS6detail17trampoline_kernelINS0_14default_configENS1_35radix_sort_onesweep_config_selectorIfNS0_10empty_typeEEEZZNS1_29radix_sort_onesweep_iterationIS3_Lb0EN6thrust23THRUST_200600_302600_NS6detail15normal_iteratorINS9_10device_ptrIfEEEESE_PS5_SF_jNS0_19identity_decomposerENS1_16block_id_wrapperIjLb0EEEEE10hipError_tT1_PNSt15iterator_traitsISK_E10value_typeET2_T3_PNSL_ISQ_E10value_typeET4_T5_PSV_SW_PNS1_23onesweep_lookback_stateEbbT6_jjT7_P12ihipStream_tbENKUlT_T0_SK_SP_E_clIPfSE_SF_SF_EEDaS13_S14_SK_SP_EUlS13_E_NS1_11comp_targetILNS1_3genE6ELNS1_11target_archE950ELNS1_3gpuE13ELNS1_3repE0EEENS1_47radix_sort_onesweep_sort_config_static_selectorELNS0_4arch9wavefront6targetE0EEEvSK_,"axG",@progbits,_ZN7rocprim17ROCPRIM_400000_NS6detail17trampoline_kernelINS0_14default_configENS1_35radix_sort_onesweep_config_selectorIfNS0_10empty_typeEEEZZNS1_29radix_sort_onesweep_iterationIS3_Lb0EN6thrust23THRUST_200600_302600_NS6detail15normal_iteratorINS9_10device_ptrIfEEEESE_PS5_SF_jNS0_19identity_decomposerENS1_16block_id_wrapperIjLb0EEEEE10hipError_tT1_PNSt15iterator_traitsISK_E10value_typeET2_T3_PNSL_ISQ_E10value_typeET4_T5_PSV_SW_PNS1_23onesweep_lookback_stateEbbT6_jjT7_P12ihipStream_tbENKUlT_T0_SK_SP_E_clIPfSE_SF_SF_EEDaS13_S14_SK_SP_EUlS13_E_NS1_11comp_targetILNS1_3genE6ELNS1_11target_archE950ELNS1_3gpuE13ELNS1_3repE0EEENS1_47radix_sort_onesweep_sort_config_static_selectorELNS0_4arch9wavefront6targetE0EEEvSK_,comdat
	.protected	_ZN7rocprim17ROCPRIM_400000_NS6detail17trampoline_kernelINS0_14default_configENS1_35radix_sort_onesweep_config_selectorIfNS0_10empty_typeEEEZZNS1_29radix_sort_onesweep_iterationIS3_Lb0EN6thrust23THRUST_200600_302600_NS6detail15normal_iteratorINS9_10device_ptrIfEEEESE_PS5_SF_jNS0_19identity_decomposerENS1_16block_id_wrapperIjLb0EEEEE10hipError_tT1_PNSt15iterator_traitsISK_E10value_typeET2_T3_PNSL_ISQ_E10value_typeET4_T5_PSV_SW_PNS1_23onesweep_lookback_stateEbbT6_jjT7_P12ihipStream_tbENKUlT_T0_SK_SP_E_clIPfSE_SF_SF_EEDaS13_S14_SK_SP_EUlS13_E_NS1_11comp_targetILNS1_3genE6ELNS1_11target_archE950ELNS1_3gpuE13ELNS1_3repE0EEENS1_47radix_sort_onesweep_sort_config_static_selectorELNS0_4arch9wavefront6targetE0EEEvSK_ ; -- Begin function _ZN7rocprim17ROCPRIM_400000_NS6detail17trampoline_kernelINS0_14default_configENS1_35radix_sort_onesweep_config_selectorIfNS0_10empty_typeEEEZZNS1_29radix_sort_onesweep_iterationIS3_Lb0EN6thrust23THRUST_200600_302600_NS6detail15normal_iteratorINS9_10device_ptrIfEEEESE_PS5_SF_jNS0_19identity_decomposerENS1_16block_id_wrapperIjLb0EEEEE10hipError_tT1_PNSt15iterator_traitsISK_E10value_typeET2_T3_PNSL_ISQ_E10value_typeET4_T5_PSV_SW_PNS1_23onesweep_lookback_stateEbbT6_jjT7_P12ihipStream_tbENKUlT_T0_SK_SP_E_clIPfSE_SF_SF_EEDaS13_S14_SK_SP_EUlS13_E_NS1_11comp_targetILNS1_3genE6ELNS1_11target_archE950ELNS1_3gpuE13ELNS1_3repE0EEENS1_47radix_sort_onesweep_sort_config_static_selectorELNS0_4arch9wavefront6targetE0EEEvSK_
	.globl	_ZN7rocprim17ROCPRIM_400000_NS6detail17trampoline_kernelINS0_14default_configENS1_35radix_sort_onesweep_config_selectorIfNS0_10empty_typeEEEZZNS1_29radix_sort_onesweep_iterationIS3_Lb0EN6thrust23THRUST_200600_302600_NS6detail15normal_iteratorINS9_10device_ptrIfEEEESE_PS5_SF_jNS0_19identity_decomposerENS1_16block_id_wrapperIjLb0EEEEE10hipError_tT1_PNSt15iterator_traitsISK_E10value_typeET2_T3_PNSL_ISQ_E10value_typeET4_T5_PSV_SW_PNS1_23onesweep_lookback_stateEbbT6_jjT7_P12ihipStream_tbENKUlT_T0_SK_SP_E_clIPfSE_SF_SF_EEDaS13_S14_SK_SP_EUlS13_E_NS1_11comp_targetILNS1_3genE6ELNS1_11target_archE950ELNS1_3gpuE13ELNS1_3repE0EEENS1_47radix_sort_onesweep_sort_config_static_selectorELNS0_4arch9wavefront6targetE0EEEvSK_
	.p2align	8
	.type	_ZN7rocprim17ROCPRIM_400000_NS6detail17trampoline_kernelINS0_14default_configENS1_35radix_sort_onesweep_config_selectorIfNS0_10empty_typeEEEZZNS1_29radix_sort_onesweep_iterationIS3_Lb0EN6thrust23THRUST_200600_302600_NS6detail15normal_iteratorINS9_10device_ptrIfEEEESE_PS5_SF_jNS0_19identity_decomposerENS1_16block_id_wrapperIjLb0EEEEE10hipError_tT1_PNSt15iterator_traitsISK_E10value_typeET2_T3_PNSL_ISQ_E10value_typeET4_T5_PSV_SW_PNS1_23onesweep_lookback_stateEbbT6_jjT7_P12ihipStream_tbENKUlT_T0_SK_SP_E_clIPfSE_SF_SF_EEDaS13_S14_SK_SP_EUlS13_E_NS1_11comp_targetILNS1_3genE6ELNS1_11target_archE950ELNS1_3gpuE13ELNS1_3repE0EEENS1_47radix_sort_onesweep_sort_config_static_selectorELNS0_4arch9wavefront6targetE0EEEvSK_,@function
_ZN7rocprim17ROCPRIM_400000_NS6detail17trampoline_kernelINS0_14default_configENS1_35radix_sort_onesweep_config_selectorIfNS0_10empty_typeEEEZZNS1_29radix_sort_onesweep_iterationIS3_Lb0EN6thrust23THRUST_200600_302600_NS6detail15normal_iteratorINS9_10device_ptrIfEEEESE_PS5_SF_jNS0_19identity_decomposerENS1_16block_id_wrapperIjLb0EEEEE10hipError_tT1_PNSt15iterator_traitsISK_E10value_typeET2_T3_PNSL_ISQ_E10value_typeET4_T5_PSV_SW_PNS1_23onesweep_lookback_stateEbbT6_jjT7_P12ihipStream_tbENKUlT_T0_SK_SP_E_clIPfSE_SF_SF_EEDaS13_S14_SK_SP_EUlS13_E_NS1_11comp_targetILNS1_3genE6ELNS1_11target_archE950ELNS1_3gpuE13ELNS1_3repE0EEENS1_47radix_sort_onesweep_sort_config_static_selectorELNS0_4arch9wavefront6targetE0EEEvSK_: ; @_ZN7rocprim17ROCPRIM_400000_NS6detail17trampoline_kernelINS0_14default_configENS1_35radix_sort_onesweep_config_selectorIfNS0_10empty_typeEEEZZNS1_29radix_sort_onesweep_iterationIS3_Lb0EN6thrust23THRUST_200600_302600_NS6detail15normal_iteratorINS9_10device_ptrIfEEEESE_PS5_SF_jNS0_19identity_decomposerENS1_16block_id_wrapperIjLb0EEEEE10hipError_tT1_PNSt15iterator_traitsISK_E10value_typeET2_T3_PNSL_ISQ_E10value_typeET4_T5_PSV_SW_PNS1_23onesweep_lookback_stateEbbT6_jjT7_P12ihipStream_tbENKUlT_T0_SK_SP_E_clIPfSE_SF_SF_EEDaS13_S14_SK_SP_EUlS13_E_NS1_11comp_targetILNS1_3genE6ELNS1_11target_archE950ELNS1_3gpuE13ELNS1_3repE0EEENS1_47radix_sort_onesweep_sort_config_static_selectorELNS0_4arch9wavefront6targetE0EEEvSK_
; %bb.0:
	.section	.rodata,"a",@progbits
	.p2align	6, 0x0
	.amdhsa_kernel _ZN7rocprim17ROCPRIM_400000_NS6detail17trampoline_kernelINS0_14default_configENS1_35radix_sort_onesweep_config_selectorIfNS0_10empty_typeEEEZZNS1_29radix_sort_onesweep_iterationIS3_Lb0EN6thrust23THRUST_200600_302600_NS6detail15normal_iteratorINS9_10device_ptrIfEEEESE_PS5_SF_jNS0_19identity_decomposerENS1_16block_id_wrapperIjLb0EEEEE10hipError_tT1_PNSt15iterator_traitsISK_E10value_typeET2_T3_PNSL_ISQ_E10value_typeET4_T5_PSV_SW_PNS1_23onesweep_lookback_stateEbbT6_jjT7_P12ihipStream_tbENKUlT_T0_SK_SP_E_clIPfSE_SF_SF_EEDaS13_S14_SK_SP_EUlS13_E_NS1_11comp_targetILNS1_3genE6ELNS1_11target_archE950ELNS1_3gpuE13ELNS1_3repE0EEENS1_47radix_sort_onesweep_sort_config_static_selectorELNS0_4arch9wavefront6targetE0EEEvSK_
		.amdhsa_group_segment_fixed_size 0
		.amdhsa_private_segment_fixed_size 0
		.amdhsa_kernarg_size 88
		.amdhsa_user_sgpr_count 6
		.amdhsa_user_sgpr_private_segment_buffer 1
		.amdhsa_user_sgpr_dispatch_ptr 0
		.amdhsa_user_sgpr_queue_ptr 0
		.amdhsa_user_sgpr_kernarg_segment_ptr 1
		.amdhsa_user_sgpr_dispatch_id 0
		.amdhsa_user_sgpr_flat_scratch_init 0
		.amdhsa_user_sgpr_private_segment_size 0
		.amdhsa_wavefront_size32 1
		.amdhsa_uses_dynamic_stack 0
		.amdhsa_system_sgpr_private_segment_wavefront_offset 0
		.amdhsa_system_sgpr_workgroup_id_x 1
		.amdhsa_system_sgpr_workgroup_id_y 0
		.amdhsa_system_sgpr_workgroup_id_z 0
		.amdhsa_system_sgpr_workgroup_info 0
		.amdhsa_system_vgpr_workitem_id 0
		.amdhsa_next_free_vgpr 1
		.amdhsa_next_free_sgpr 1
		.amdhsa_reserve_vcc 0
		.amdhsa_reserve_flat_scratch 0
		.amdhsa_float_round_mode_32 0
		.amdhsa_float_round_mode_16_64 0
		.amdhsa_float_denorm_mode_32 3
		.amdhsa_float_denorm_mode_16_64 3
		.amdhsa_dx10_clamp 1
		.amdhsa_ieee_mode 1
		.amdhsa_fp16_overflow 0
		.amdhsa_workgroup_processor_mode 1
		.amdhsa_memory_ordered 1
		.amdhsa_forward_progress 1
		.amdhsa_shared_vgpr_count 0
		.amdhsa_exception_fp_ieee_invalid_op 0
		.amdhsa_exception_fp_denorm_src 0
		.amdhsa_exception_fp_ieee_div_zero 0
		.amdhsa_exception_fp_ieee_overflow 0
		.amdhsa_exception_fp_ieee_underflow 0
		.amdhsa_exception_fp_ieee_inexact 0
		.amdhsa_exception_int_div_zero 0
	.end_amdhsa_kernel
	.section	.text._ZN7rocprim17ROCPRIM_400000_NS6detail17trampoline_kernelINS0_14default_configENS1_35radix_sort_onesweep_config_selectorIfNS0_10empty_typeEEEZZNS1_29radix_sort_onesweep_iterationIS3_Lb0EN6thrust23THRUST_200600_302600_NS6detail15normal_iteratorINS9_10device_ptrIfEEEESE_PS5_SF_jNS0_19identity_decomposerENS1_16block_id_wrapperIjLb0EEEEE10hipError_tT1_PNSt15iterator_traitsISK_E10value_typeET2_T3_PNSL_ISQ_E10value_typeET4_T5_PSV_SW_PNS1_23onesweep_lookback_stateEbbT6_jjT7_P12ihipStream_tbENKUlT_T0_SK_SP_E_clIPfSE_SF_SF_EEDaS13_S14_SK_SP_EUlS13_E_NS1_11comp_targetILNS1_3genE6ELNS1_11target_archE950ELNS1_3gpuE13ELNS1_3repE0EEENS1_47radix_sort_onesweep_sort_config_static_selectorELNS0_4arch9wavefront6targetE0EEEvSK_,"axG",@progbits,_ZN7rocprim17ROCPRIM_400000_NS6detail17trampoline_kernelINS0_14default_configENS1_35radix_sort_onesweep_config_selectorIfNS0_10empty_typeEEEZZNS1_29radix_sort_onesweep_iterationIS3_Lb0EN6thrust23THRUST_200600_302600_NS6detail15normal_iteratorINS9_10device_ptrIfEEEESE_PS5_SF_jNS0_19identity_decomposerENS1_16block_id_wrapperIjLb0EEEEE10hipError_tT1_PNSt15iterator_traitsISK_E10value_typeET2_T3_PNSL_ISQ_E10value_typeET4_T5_PSV_SW_PNS1_23onesweep_lookback_stateEbbT6_jjT7_P12ihipStream_tbENKUlT_T0_SK_SP_E_clIPfSE_SF_SF_EEDaS13_S14_SK_SP_EUlS13_E_NS1_11comp_targetILNS1_3genE6ELNS1_11target_archE950ELNS1_3gpuE13ELNS1_3repE0EEENS1_47radix_sort_onesweep_sort_config_static_selectorELNS0_4arch9wavefront6targetE0EEEvSK_,comdat
.Lfunc_end605:
	.size	_ZN7rocprim17ROCPRIM_400000_NS6detail17trampoline_kernelINS0_14default_configENS1_35radix_sort_onesweep_config_selectorIfNS0_10empty_typeEEEZZNS1_29radix_sort_onesweep_iterationIS3_Lb0EN6thrust23THRUST_200600_302600_NS6detail15normal_iteratorINS9_10device_ptrIfEEEESE_PS5_SF_jNS0_19identity_decomposerENS1_16block_id_wrapperIjLb0EEEEE10hipError_tT1_PNSt15iterator_traitsISK_E10value_typeET2_T3_PNSL_ISQ_E10value_typeET4_T5_PSV_SW_PNS1_23onesweep_lookback_stateEbbT6_jjT7_P12ihipStream_tbENKUlT_T0_SK_SP_E_clIPfSE_SF_SF_EEDaS13_S14_SK_SP_EUlS13_E_NS1_11comp_targetILNS1_3genE6ELNS1_11target_archE950ELNS1_3gpuE13ELNS1_3repE0EEENS1_47radix_sort_onesweep_sort_config_static_selectorELNS0_4arch9wavefront6targetE0EEEvSK_, .Lfunc_end605-_ZN7rocprim17ROCPRIM_400000_NS6detail17trampoline_kernelINS0_14default_configENS1_35radix_sort_onesweep_config_selectorIfNS0_10empty_typeEEEZZNS1_29radix_sort_onesweep_iterationIS3_Lb0EN6thrust23THRUST_200600_302600_NS6detail15normal_iteratorINS9_10device_ptrIfEEEESE_PS5_SF_jNS0_19identity_decomposerENS1_16block_id_wrapperIjLb0EEEEE10hipError_tT1_PNSt15iterator_traitsISK_E10value_typeET2_T3_PNSL_ISQ_E10value_typeET4_T5_PSV_SW_PNS1_23onesweep_lookback_stateEbbT6_jjT7_P12ihipStream_tbENKUlT_T0_SK_SP_E_clIPfSE_SF_SF_EEDaS13_S14_SK_SP_EUlS13_E_NS1_11comp_targetILNS1_3genE6ELNS1_11target_archE950ELNS1_3gpuE13ELNS1_3repE0EEENS1_47radix_sort_onesweep_sort_config_static_selectorELNS0_4arch9wavefront6targetE0EEEvSK_
                                        ; -- End function
	.set _ZN7rocprim17ROCPRIM_400000_NS6detail17trampoline_kernelINS0_14default_configENS1_35radix_sort_onesweep_config_selectorIfNS0_10empty_typeEEEZZNS1_29radix_sort_onesweep_iterationIS3_Lb0EN6thrust23THRUST_200600_302600_NS6detail15normal_iteratorINS9_10device_ptrIfEEEESE_PS5_SF_jNS0_19identity_decomposerENS1_16block_id_wrapperIjLb0EEEEE10hipError_tT1_PNSt15iterator_traitsISK_E10value_typeET2_T3_PNSL_ISQ_E10value_typeET4_T5_PSV_SW_PNS1_23onesweep_lookback_stateEbbT6_jjT7_P12ihipStream_tbENKUlT_T0_SK_SP_E_clIPfSE_SF_SF_EEDaS13_S14_SK_SP_EUlS13_E_NS1_11comp_targetILNS1_3genE6ELNS1_11target_archE950ELNS1_3gpuE13ELNS1_3repE0EEENS1_47radix_sort_onesweep_sort_config_static_selectorELNS0_4arch9wavefront6targetE0EEEvSK_.num_vgpr, 0
	.set _ZN7rocprim17ROCPRIM_400000_NS6detail17trampoline_kernelINS0_14default_configENS1_35radix_sort_onesweep_config_selectorIfNS0_10empty_typeEEEZZNS1_29radix_sort_onesweep_iterationIS3_Lb0EN6thrust23THRUST_200600_302600_NS6detail15normal_iteratorINS9_10device_ptrIfEEEESE_PS5_SF_jNS0_19identity_decomposerENS1_16block_id_wrapperIjLb0EEEEE10hipError_tT1_PNSt15iterator_traitsISK_E10value_typeET2_T3_PNSL_ISQ_E10value_typeET4_T5_PSV_SW_PNS1_23onesweep_lookback_stateEbbT6_jjT7_P12ihipStream_tbENKUlT_T0_SK_SP_E_clIPfSE_SF_SF_EEDaS13_S14_SK_SP_EUlS13_E_NS1_11comp_targetILNS1_3genE6ELNS1_11target_archE950ELNS1_3gpuE13ELNS1_3repE0EEENS1_47radix_sort_onesweep_sort_config_static_selectorELNS0_4arch9wavefront6targetE0EEEvSK_.num_agpr, 0
	.set _ZN7rocprim17ROCPRIM_400000_NS6detail17trampoline_kernelINS0_14default_configENS1_35radix_sort_onesweep_config_selectorIfNS0_10empty_typeEEEZZNS1_29radix_sort_onesweep_iterationIS3_Lb0EN6thrust23THRUST_200600_302600_NS6detail15normal_iteratorINS9_10device_ptrIfEEEESE_PS5_SF_jNS0_19identity_decomposerENS1_16block_id_wrapperIjLb0EEEEE10hipError_tT1_PNSt15iterator_traitsISK_E10value_typeET2_T3_PNSL_ISQ_E10value_typeET4_T5_PSV_SW_PNS1_23onesweep_lookback_stateEbbT6_jjT7_P12ihipStream_tbENKUlT_T0_SK_SP_E_clIPfSE_SF_SF_EEDaS13_S14_SK_SP_EUlS13_E_NS1_11comp_targetILNS1_3genE6ELNS1_11target_archE950ELNS1_3gpuE13ELNS1_3repE0EEENS1_47radix_sort_onesweep_sort_config_static_selectorELNS0_4arch9wavefront6targetE0EEEvSK_.numbered_sgpr, 0
	.set _ZN7rocprim17ROCPRIM_400000_NS6detail17trampoline_kernelINS0_14default_configENS1_35radix_sort_onesweep_config_selectorIfNS0_10empty_typeEEEZZNS1_29radix_sort_onesweep_iterationIS3_Lb0EN6thrust23THRUST_200600_302600_NS6detail15normal_iteratorINS9_10device_ptrIfEEEESE_PS5_SF_jNS0_19identity_decomposerENS1_16block_id_wrapperIjLb0EEEEE10hipError_tT1_PNSt15iterator_traitsISK_E10value_typeET2_T3_PNSL_ISQ_E10value_typeET4_T5_PSV_SW_PNS1_23onesweep_lookback_stateEbbT6_jjT7_P12ihipStream_tbENKUlT_T0_SK_SP_E_clIPfSE_SF_SF_EEDaS13_S14_SK_SP_EUlS13_E_NS1_11comp_targetILNS1_3genE6ELNS1_11target_archE950ELNS1_3gpuE13ELNS1_3repE0EEENS1_47radix_sort_onesweep_sort_config_static_selectorELNS0_4arch9wavefront6targetE0EEEvSK_.num_named_barrier, 0
	.set _ZN7rocprim17ROCPRIM_400000_NS6detail17trampoline_kernelINS0_14default_configENS1_35radix_sort_onesweep_config_selectorIfNS0_10empty_typeEEEZZNS1_29radix_sort_onesweep_iterationIS3_Lb0EN6thrust23THRUST_200600_302600_NS6detail15normal_iteratorINS9_10device_ptrIfEEEESE_PS5_SF_jNS0_19identity_decomposerENS1_16block_id_wrapperIjLb0EEEEE10hipError_tT1_PNSt15iterator_traitsISK_E10value_typeET2_T3_PNSL_ISQ_E10value_typeET4_T5_PSV_SW_PNS1_23onesweep_lookback_stateEbbT6_jjT7_P12ihipStream_tbENKUlT_T0_SK_SP_E_clIPfSE_SF_SF_EEDaS13_S14_SK_SP_EUlS13_E_NS1_11comp_targetILNS1_3genE6ELNS1_11target_archE950ELNS1_3gpuE13ELNS1_3repE0EEENS1_47radix_sort_onesweep_sort_config_static_selectorELNS0_4arch9wavefront6targetE0EEEvSK_.private_seg_size, 0
	.set _ZN7rocprim17ROCPRIM_400000_NS6detail17trampoline_kernelINS0_14default_configENS1_35radix_sort_onesweep_config_selectorIfNS0_10empty_typeEEEZZNS1_29radix_sort_onesweep_iterationIS3_Lb0EN6thrust23THRUST_200600_302600_NS6detail15normal_iteratorINS9_10device_ptrIfEEEESE_PS5_SF_jNS0_19identity_decomposerENS1_16block_id_wrapperIjLb0EEEEE10hipError_tT1_PNSt15iterator_traitsISK_E10value_typeET2_T3_PNSL_ISQ_E10value_typeET4_T5_PSV_SW_PNS1_23onesweep_lookback_stateEbbT6_jjT7_P12ihipStream_tbENKUlT_T0_SK_SP_E_clIPfSE_SF_SF_EEDaS13_S14_SK_SP_EUlS13_E_NS1_11comp_targetILNS1_3genE6ELNS1_11target_archE950ELNS1_3gpuE13ELNS1_3repE0EEENS1_47radix_sort_onesweep_sort_config_static_selectorELNS0_4arch9wavefront6targetE0EEEvSK_.uses_vcc, 0
	.set _ZN7rocprim17ROCPRIM_400000_NS6detail17trampoline_kernelINS0_14default_configENS1_35radix_sort_onesweep_config_selectorIfNS0_10empty_typeEEEZZNS1_29radix_sort_onesweep_iterationIS3_Lb0EN6thrust23THRUST_200600_302600_NS6detail15normal_iteratorINS9_10device_ptrIfEEEESE_PS5_SF_jNS0_19identity_decomposerENS1_16block_id_wrapperIjLb0EEEEE10hipError_tT1_PNSt15iterator_traitsISK_E10value_typeET2_T3_PNSL_ISQ_E10value_typeET4_T5_PSV_SW_PNS1_23onesweep_lookback_stateEbbT6_jjT7_P12ihipStream_tbENKUlT_T0_SK_SP_E_clIPfSE_SF_SF_EEDaS13_S14_SK_SP_EUlS13_E_NS1_11comp_targetILNS1_3genE6ELNS1_11target_archE950ELNS1_3gpuE13ELNS1_3repE0EEENS1_47radix_sort_onesweep_sort_config_static_selectorELNS0_4arch9wavefront6targetE0EEEvSK_.uses_flat_scratch, 0
	.set _ZN7rocprim17ROCPRIM_400000_NS6detail17trampoline_kernelINS0_14default_configENS1_35radix_sort_onesweep_config_selectorIfNS0_10empty_typeEEEZZNS1_29radix_sort_onesweep_iterationIS3_Lb0EN6thrust23THRUST_200600_302600_NS6detail15normal_iteratorINS9_10device_ptrIfEEEESE_PS5_SF_jNS0_19identity_decomposerENS1_16block_id_wrapperIjLb0EEEEE10hipError_tT1_PNSt15iterator_traitsISK_E10value_typeET2_T3_PNSL_ISQ_E10value_typeET4_T5_PSV_SW_PNS1_23onesweep_lookback_stateEbbT6_jjT7_P12ihipStream_tbENKUlT_T0_SK_SP_E_clIPfSE_SF_SF_EEDaS13_S14_SK_SP_EUlS13_E_NS1_11comp_targetILNS1_3genE6ELNS1_11target_archE950ELNS1_3gpuE13ELNS1_3repE0EEENS1_47radix_sort_onesweep_sort_config_static_selectorELNS0_4arch9wavefront6targetE0EEEvSK_.has_dyn_sized_stack, 0
	.set _ZN7rocprim17ROCPRIM_400000_NS6detail17trampoline_kernelINS0_14default_configENS1_35radix_sort_onesweep_config_selectorIfNS0_10empty_typeEEEZZNS1_29radix_sort_onesweep_iterationIS3_Lb0EN6thrust23THRUST_200600_302600_NS6detail15normal_iteratorINS9_10device_ptrIfEEEESE_PS5_SF_jNS0_19identity_decomposerENS1_16block_id_wrapperIjLb0EEEEE10hipError_tT1_PNSt15iterator_traitsISK_E10value_typeET2_T3_PNSL_ISQ_E10value_typeET4_T5_PSV_SW_PNS1_23onesweep_lookback_stateEbbT6_jjT7_P12ihipStream_tbENKUlT_T0_SK_SP_E_clIPfSE_SF_SF_EEDaS13_S14_SK_SP_EUlS13_E_NS1_11comp_targetILNS1_3genE6ELNS1_11target_archE950ELNS1_3gpuE13ELNS1_3repE0EEENS1_47radix_sort_onesweep_sort_config_static_selectorELNS0_4arch9wavefront6targetE0EEEvSK_.has_recursion, 0
	.set _ZN7rocprim17ROCPRIM_400000_NS6detail17trampoline_kernelINS0_14default_configENS1_35radix_sort_onesweep_config_selectorIfNS0_10empty_typeEEEZZNS1_29radix_sort_onesweep_iterationIS3_Lb0EN6thrust23THRUST_200600_302600_NS6detail15normal_iteratorINS9_10device_ptrIfEEEESE_PS5_SF_jNS0_19identity_decomposerENS1_16block_id_wrapperIjLb0EEEEE10hipError_tT1_PNSt15iterator_traitsISK_E10value_typeET2_T3_PNSL_ISQ_E10value_typeET4_T5_PSV_SW_PNS1_23onesweep_lookback_stateEbbT6_jjT7_P12ihipStream_tbENKUlT_T0_SK_SP_E_clIPfSE_SF_SF_EEDaS13_S14_SK_SP_EUlS13_E_NS1_11comp_targetILNS1_3genE6ELNS1_11target_archE950ELNS1_3gpuE13ELNS1_3repE0EEENS1_47radix_sort_onesweep_sort_config_static_selectorELNS0_4arch9wavefront6targetE0EEEvSK_.has_indirect_call, 0
	.section	.AMDGPU.csdata,"",@progbits
; Kernel info:
; codeLenInByte = 0
; TotalNumSgprs: 0
; NumVgprs: 0
; ScratchSize: 0
; MemoryBound: 0
; FloatMode: 240
; IeeeMode: 1
; LDSByteSize: 0 bytes/workgroup (compile time only)
; SGPRBlocks: 0
; VGPRBlocks: 0
; NumSGPRsForWavesPerEU: 1
; NumVGPRsForWavesPerEU: 1
; Occupancy: 16
; WaveLimiterHint : 0
; COMPUTE_PGM_RSRC2:SCRATCH_EN: 0
; COMPUTE_PGM_RSRC2:USER_SGPR: 6
; COMPUTE_PGM_RSRC2:TRAP_HANDLER: 0
; COMPUTE_PGM_RSRC2:TGID_X_EN: 1
; COMPUTE_PGM_RSRC2:TGID_Y_EN: 0
; COMPUTE_PGM_RSRC2:TGID_Z_EN: 0
; COMPUTE_PGM_RSRC2:TIDIG_COMP_CNT: 0
	.section	.text._ZN7rocprim17ROCPRIM_400000_NS6detail17trampoline_kernelINS0_14default_configENS1_35radix_sort_onesweep_config_selectorIfNS0_10empty_typeEEEZZNS1_29radix_sort_onesweep_iterationIS3_Lb0EN6thrust23THRUST_200600_302600_NS6detail15normal_iteratorINS9_10device_ptrIfEEEESE_PS5_SF_jNS0_19identity_decomposerENS1_16block_id_wrapperIjLb0EEEEE10hipError_tT1_PNSt15iterator_traitsISK_E10value_typeET2_T3_PNSL_ISQ_E10value_typeET4_T5_PSV_SW_PNS1_23onesweep_lookback_stateEbbT6_jjT7_P12ihipStream_tbENKUlT_T0_SK_SP_E_clIPfSE_SF_SF_EEDaS13_S14_SK_SP_EUlS13_E_NS1_11comp_targetILNS1_3genE5ELNS1_11target_archE942ELNS1_3gpuE9ELNS1_3repE0EEENS1_47radix_sort_onesweep_sort_config_static_selectorELNS0_4arch9wavefront6targetE0EEEvSK_,"axG",@progbits,_ZN7rocprim17ROCPRIM_400000_NS6detail17trampoline_kernelINS0_14default_configENS1_35radix_sort_onesweep_config_selectorIfNS0_10empty_typeEEEZZNS1_29radix_sort_onesweep_iterationIS3_Lb0EN6thrust23THRUST_200600_302600_NS6detail15normal_iteratorINS9_10device_ptrIfEEEESE_PS5_SF_jNS0_19identity_decomposerENS1_16block_id_wrapperIjLb0EEEEE10hipError_tT1_PNSt15iterator_traitsISK_E10value_typeET2_T3_PNSL_ISQ_E10value_typeET4_T5_PSV_SW_PNS1_23onesweep_lookback_stateEbbT6_jjT7_P12ihipStream_tbENKUlT_T0_SK_SP_E_clIPfSE_SF_SF_EEDaS13_S14_SK_SP_EUlS13_E_NS1_11comp_targetILNS1_3genE5ELNS1_11target_archE942ELNS1_3gpuE9ELNS1_3repE0EEENS1_47radix_sort_onesweep_sort_config_static_selectorELNS0_4arch9wavefront6targetE0EEEvSK_,comdat
	.protected	_ZN7rocprim17ROCPRIM_400000_NS6detail17trampoline_kernelINS0_14default_configENS1_35radix_sort_onesweep_config_selectorIfNS0_10empty_typeEEEZZNS1_29radix_sort_onesweep_iterationIS3_Lb0EN6thrust23THRUST_200600_302600_NS6detail15normal_iteratorINS9_10device_ptrIfEEEESE_PS5_SF_jNS0_19identity_decomposerENS1_16block_id_wrapperIjLb0EEEEE10hipError_tT1_PNSt15iterator_traitsISK_E10value_typeET2_T3_PNSL_ISQ_E10value_typeET4_T5_PSV_SW_PNS1_23onesweep_lookback_stateEbbT6_jjT7_P12ihipStream_tbENKUlT_T0_SK_SP_E_clIPfSE_SF_SF_EEDaS13_S14_SK_SP_EUlS13_E_NS1_11comp_targetILNS1_3genE5ELNS1_11target_archE942ELNS1_3gpuE9ELNS1_3repE0EEENS1_47radix_sort_onesweep_sort_config_static_selectorELNS0_4arch9wavefront6targetE0EEEvSK_ ; -- Begin function _ZN7rocprim17ROCPRIM_400000_NS6detail17trampoline_kernelINS0_14default_configENS1_35radix_sort_onesweep_config_selectorIfNS0_10empty_typeEEEZZNS1_29radix_sort_onesweep_iterationIS3_Lb0EN6thrust23THRUST_200600_302600_NS6detail15normal_iteratorINS9_10device_ptrIfEEEESE_PS5_SF_jNS0_19identity_decomposerENS1_16block_id_wrapperIjLb0EEEEE10hipError_tT1_PNSt15iterator_traitsISK_E10value_typeET2_T3_PNSL_ISQ_E10value_typeET4_T5_PSV_SW_PNS1_23onesweep_lookback_stateEbbT6_jjT7_P12ihipStream_tbENKUlT_T0_SK_SP_E_clIPfSE_SF_SF_EEDaS13_S14_SK_SP_EUlS13_E_NS1_11comp_targetILNS1_3genE5ELNS1_11target_archE942ELNS1_3gpuE9ELNS1_3repE0EEENS1_47radix_sort_onesweep_sort_config_static_selectorELNS0_4arch9wavefront6targetE0EEEvSK_
	.globl	_ZN7rocprim17ROCPRIM_400000_NS6detail17trampoline_kernelINS0_14default_configENS1_35radix_sort_onesweep_config_selectorIfNS0_10empty_typeEEEZZNS1_29radix_sort_onesweep_iterationIS3_Lb0EN6thrust23THRUST_200600_302600_NS6detail15normal_iteratorINS9_10device_ptrIfEEEESE_PS5_SF_jNS0_19identity_decomposerENS1_16block_id_wrapperIjLb0EEEEE10hipError_tT1_PNSt15iterator_traitsISK_E10value_typeET2_T3_PNSL_ISQ_E10value_typeET4_T5_PSV_SW_PNS1_23onesweep_lookback_stateEbbT6_jjT7_P12ihipStream_tbENKUlT_T0_SK_SP_E_clIPfSE_SF_SF_EEDaS13_S14_SK_SP_EUlS13_E_NS1_11comp_targetILNS1_3genE5ELNS1_11target_archE942ELNS1_3gpuE9ELNS1_3repE0EEENS1_47radix_sort_onesweep_sort_config_static_selectorELNS0_4arch9wavefront6targetE0EEEvSK_
	.p2align	8
	.type	_ZN7rocprim17ROCPRIM_400000_NS6detail17trampoline_kernelINS0_14default_configENS1_35radix_sort_onesweep_config_selectorIfNS0_10empty_typeEEEZZNS1_29radix_sort_onesweep_iterationIS3_Lb0EN6thrust23THRUST_200600_302600_NS6detail15normal_iteratorINS9_10device_ptrIfEEEESE_PS5_SF_jNS0_19identity_decomposerENS1_16block_id_wrapperIjLb0EEEEE10hipError_tT1_PNSt15iterator_traitsISK_E10value_typeET2_T3_PNSL_ISQ_E10value_typeET4_T5_PSV_SW_PNS1_23onesweep_lookback_stateEbbT6_jjT7_P12ihipStream_tbENKUlT_T0_SK_SP_E_clIPfSE_SF_SF_EEDaS13_S14_SK_SP_EUlS13_E_NS1_11comp_targetILNS1_3genE5ELNS1_11target_archE942ELNS1_3gpuE9ELNS1_3repE0EEENS1_47radix_sort_onesweep_sort_config_static_selectorELNS0_4arch9wavefront6targetE0EEEvSK_,@function
_ZN7rocprim17ROCPRIM_400000_NS6detail17trampoline_kernelINS0_14default_configENS1_35radix_sort_onesweep_config_selectorIfNS0_10empty_typeEEEZZNS1_29radix_sort_onesweep_iterationIS3_Lb0EN6thrust23THRUST_200600_302600_NS6detail15normal_iteratorINS9_10device_ptrIfEEEESE_PS5_SF_jNS0_19identity_decomposerENS1_16block_id_wrapperIjLb0EEEEE10hipError_tT1_PNSt15iterator_traitsISK_E10value_typeET2_T3_PNSL_ISQ_E10value_typeET4_T5_PSV_SW_PNS1_23onesweep_lookback_stateEbbT6_jjT7_P12ihipStream_tbENKUlT_T0_SK_SP_E_clIPfSE_SF_SF_EEDaS13_S14_SK_SP_EUlS13_E_NS1_11comp_targetILNS1_3genE5ELNS1_11target_archE942ELNS1_3gpuE9ELNS1_3repE0EEENS1_47radix_sort_onesweep_sort_config_static_selectorELNS0_4arch9wavefront6targetE0EEEvSK_: ; @_ZN7rocprim17ROCPRIM_400000_NS6detail17trampoline_kernelINS0_14default_configENS1_35radix_sort_onesweep_config_selectorIfNS0_10empty_typeEEEZZNS1_29radix_sort_onesweep_iterationIS3_Lb0EN6thrust23THRUST_200600_302600_NS6detail15normal_iteratorINS9_10device_ptrIfEEEESE_PS5_SF_jNS0_19identity_decomposerENS1_16block_id_wrapperIjLb0EEEEE10hipError_tT1_PNSt15iterator_traitsISK_E10value_typeET2_T3_PNSL_ISQ_E10value_typeET4_T5_PSV_SW_PNS1_23onesweep_lookback_stateEbbT6_jjT7_P12ihipStream_tbENKUlT_T0_SK_SP_E_clIPfSE_SF_SF_EEDaS13_S14_SK_SP_EUlS13_E_NS1_11comp_targetILNS1_3genE5ELNS1_11target_archE942ELNS1_3gpuE9ELNS1_3repE0EEENS1_47radix_sort_onesweep_sort_config_static_selectorELNS0_4arch9wavefront6targetE0EEEvSK_
; %bb.0:
	.section	.rodata,"a",@progbits
	.p2align	6, 0x0
	.amdhsa_kernel _ZN7rocprim17ROCPRIM_400000_NS6detail17trampoline_kernelINS0_14default_configENS1_35radix_sort_onesweep_config_selectorIfNS0_10empty_typeEEEZZNS1_29radix_sort_onesweep_iterationIS3_Lb0EN6thrust23THRUST_200600_302600_NS6detail15normal_iteratorINS9_10device_ptrIfEEEESE_PS5_SF_jNS0_19identity_decomposerENS1_16block_id_wrapperIjLb0EEEEE10hipError_tT1_PNSt15iterator_traitsISK_E10value_typeET2_T3_PNSL_ISQ_E10value_typeET4_T5_PSV_SW_PNS1_23onesweep_lookback_stateEbbT6_jjT7_P12ihipStream_tbENKUlT_T0_SK_SP_E_clIPfSE_SF_SF_EEDaS13_S14_SK_SP_EUlS13_E_NS1_11comp_targetILNS1_3genE5ELNS1_11target_archE942ELNS1_3gpuE9ELNS1_3repE0EEENS1_47radix_sort_onesweep_sort_config_static_selectorELNS0_4arch9wavefront6targetE0EEEvSK_
		.amdhsa_group_segment_fixed_size 0
		.amdhsa_private_segment_fixed_size 0
		.amdhsa_kernarg_size 88
		.amdhsa_user_sgpr_count 6
		.amdhsa_user_sgpr_private_segment_buffer 1
		.amdhsa_user_sgpr_dispatch_ptr 0
		.amdhsa_user_sgpr_queue_ptr 0
		.amdhsa_user_sgpr_kernarg_segment_ptr 1
		.amdhsa_user_sgpr_dispatch_id 0
		.amdhsa_user_sgpr_flat_scratch_init 0
		.amdhsa_user_sgpr_private_segment_size 0
		.amdhsa_wavefront_size32 1
		.amdhsa_uses_dynamic_stack 0
		.amdhsa_system_sgpr_private_segment_wavefront_offset 0
		.amdhsa_system_sgpr_workgroup_id_x 1
		.amdhsa_system_sgpr_workgroup_id_y 0
		.amdhsa_system_sgpr_workgroup_id_z 0
		.amdhsa_system_sgpr_workgroup_info 0
		.amdhsa_system_vgpr_workitem_id 0
		.amdhsa_next_free_vgpr 1
		.amdhsa_next_free_sgpr 1
		.amdhsa_reserve_vcc 0
		.amdhsa_reserve_flat_scratch 0
		.amdhsa_float_round_mode_32 0
		.amdhsa_float_round_mode_16_64 0
		.amdhsa_float_denorm_mode_32 3
		.amdhsa_float_denorm_mode_16_64 3
		.amdhsa_dx10_clamp 1
		.amdhsa_ieee_mode 1
		.amdhsa_fp16_overflow 0
		.amdhsa_workgroup_processor_mode 1
		.amdhsa_memory_ordered 1
		.amdhsa_forward_progress 1
		.amdhsa_shared_vgpr_count 0
		.amdhsa_exception_fp_ieee_invalid_op 0
		.amdhsa_exception_fp_denorm_src 0
		.amdhsa_exception_fp_ieee_div_zero 0
		.amdhsa_exception_fp_ieee_overflow 0
		.amdhsa_exception_fp_ieee_underflow 0
		.amdhsa_exception_fp_ieee_inexact 0
		.amdhsa_exception_int_div_zero 0
	.end_amdhsa_kernel
	.section	.text._ZN7rocprim17ROCPRIM_400000_NS6detail17trampoline_kernelINS0_14default_configENS1_35radix_sort_onesweep_config_selectorIfNS0_10empty_typeEEEZZNS1_29radix_sort_onesweep_iterationIS3_Lb0EN6thrust23THRUST_200600_302600_NS6detail15normal_iteratorINS9_10device_ptrIfEEEESE_PS5_SF_jNS0_19identity_decomposerENS1_16block_id_wrapperIjLb0EEEEE10hipError_tT1_PNSt15iterator_traitsISK_E10value_typeET2_T3_PNSL_ISQ_E10value_typeET4_T5_PSV_SW_PNS1_23onesweep_lookback_stateEbbT6_jjT7_P12ihipStream_tbENKUlT_T0_SK_SP_E_clIPfSE_SF_SF_EEDaS13_S14_SK_SP_EUlS13_E_NS1_11comp_targetILNS1_3genE5ELNS1_11target_archE942ELNS1_3gpuE9ELNS1_3repE0EEENS1_47radix_sort_onesweep_sort_config_static_selectorELNS0_4arch9wavefront6targetE0EEEvSK_,"axG",@progbits,_ZN7rocprim17ROCPRIM_400000_NS6detail17trampoline_kernelINS0_14default_configENS1_35radix_sort_onesweep_config_selectorIfNS0_10empty_typeEEEZZNS1_29radix_sort_onesweep_iterationIS3_Lb0EN6thrust23THRUST_200600_302600_NS6detail15normal_iteratorINS9_10device_ptrIfEEEESE_PS5_SF_jNS0_19identity_decomposerENS1_16block_id_wrapperIjLb0EEEEE10hipError_tT1_PNSt15iterator_traitsISK_E10value_typeET2_T3_PNSL_ISQ_E10value_typeET4_T5_PSV_SW_PNS1_23onesweep_lookback_stateEbbT6_jjT7_P12ihipStream_tbENKUlT_T0_SK_SP_E_clIPfSE_SF_SF_EEDaS13_S14_SK_SP_EUlS13_E_NS1_11comp_targetILNS1_3genE5ELNS1_11target_archE942ELNS1_3gpuE9ELNS1_3repE0EEENS1_47radix_sort_onesweep_sort_config_static_selectorELNS0_4arch9wavefront6targetE0EEEvSK_,comdat
.Lfunc_end606:
	.size	_ZN7rocprim17ROCPRIM_400000_NS6detail17trampoline_kernelINS0_14default_configENS1_35radix_sort_onesweep_config_selectorIfNS0_10empty_typeEEEZZNS1_29radix_sort_onesweep_iterationIS3_Lb0EN6thrust23THRUST_200600_302600_NS6detail15normal_iteratorINS9_10device_ptrIfEEEESE_PS5_SF_jNS0_19identity_decomposerENS1_16block_id_wrapperIjLb0EEEEE10hipError_tT1_PNSt15iterator_traitsISK_E10value_typeET2_T3_PNSL_ISQ_E10value_typeET4_T5_PSV_SW_PNS1_23onesweep_lookback_stateEbbT6_jjT7_P12ihipStream_tbENKUlT_T0_SK_SP_E_clIPfSE_SF_SF_EEDaS13_S14_SK_SP_EUlS13_E_NS1_11comp_targetILNS1_3genE5ELNS1_11target_archE942ELNS1_3gpuE9ELNS1_3repE0EEENS1_47radix_sort_onesweep_sort_config_static_selectorELNS0_4arch9wavefront6targetE0EEEvSK_, .Lfunc_end606-_ZN7rocprim17ROCPRIM_400000_NS6detail17trampoline_kernelINS0_14default_configENS1_35radix_sort_onesweep_config_selectorIfNS0_10empty_typeEEEZZNS1_29radix_sort_onesweep_iterationIS3_Lb0EN6thrust23THRUST_200600_302600_NS6detail15normal_iteratorINS9_10device_ptrIfEEEESE_PS5_SF_jNS0_19identity_decomposerENS1_16block_id_wrapperIjLb0EEEEE10hipError_tT1_PNSt15iterator_traitsISK_E10value_typeET2_T3_PNSL_ISQ_E10value_typeET4_T5_PSV_SW_PNS1_23onesweep_lookback_stateEbbT6_jjT7_P12ihipStream_tbENKUlT_T0_SK_SP_E_clIPfSE_SF_SF_EEDaS13_S14_SK_SP_EUlS13_E_NS1_11comp_targetILNS1_3genE5ELNS1_11target_archE942ELNS1_3gpuE9ELNS1_3repE0EEENS1_47radix_sort_onesweep_sort_config_static_selectorELNS0_4arch9wavefront6targetE0EEEvSK_
                                        ; -- End function
	.set _ZN7rocprim17ROCPRIM_400000_NS6detail17trampoline_kernelINS0_14default_configENS1_35radix_sort_onesweep_config_selectorIfNS0_10empty_typeEEEZZNS1_29radix_sort_onesweep_iterationIS3_Lb0EN6thrust23THRUST_200600_302600_NS6detail15normal_iteratorINS9_10device_ptrIfEEEESE_PS5_SF_jNS0_19identity_decomposerENS1_16block_id_wrapperIjLb0EEEEE10hipError_tT1_PNSt15iterator_traitsISK_E10value_typeET2_T3_PNSL_ISQ_E10value_typeET4_T5_PSV_SW_PNS1_23onesweep_lookback_stateEbbT6_jjT7_P12ihipStream_tbENKUlT_T0_SK_SP_E_clIPfSE_SF_SF_EEDaS13_S14_SK_SP_EUlS13_E_NS1_11comp_targetILNS1_3genE5ELNS1_11target_archE942ELNS1_3gpuE9ELNS1_3repE0EEENS1_47radix_sort_onesweep_sort_config_static_selectorELNS0_4arch9wavefront6targetE0EEEvSK_.num_vgpr, 0
	.set _ZN7rocprim17ROCPRIM_400000_NS6detail17trampoline_kernelINS0_14default_configENS1_35radix_sort_onesweep_config_selectorIfNS0_10empty_typeEEEZZNS1_29radix_sort_onesweep_iterationIS3_Lb0EN6thrust23THRUST_200600_302600_NS6detail15normal_iteratorINS9_10device_ptrIfEEEESE_PS5_SF_jNS0_19identity_decomposerENS1_16block_id_wrapperIjLb0EEEEE10hipError_tT1_PNSt15iterator_traitsISK_E10value_typeET2_T3_PNSL_ISQ_E10value_typeET4_T5_PSV_SW_PNS1_23onesweep_lookback_stateEbbT6_jjT7_P12ihipStream_tbENKUlT_T0_SK_SP_E_clIPfSE_SF_SF_EEDaS13_S14_SK_SP_EUlS13_E_NS1_11comp_targetILNS1_3genE5ELNS1_11target_archE942ELNS1_3gpuE9ELNS1_3repE0EEENS1_47radix_sort_onesweep_sort_config_static_selectorELNS0_4arch9wavefront6targetE0EEEvSK_.num_agpr, 0
	.set _ZN7rocprim17ROCPRIM_400000_NS6detail17trampoline_kernelINS0_14default_configENS1_35radix_sort_onesweep_config_selectorIfNS0_10empty_typeEEEZZNS1_29radix_sort_onesweep_iterationIS3_Lb0EN6thrust23THRUST_200600_302600_NS6detail15normal_iteratorINS9_10device_ptrIfEEEESE_PS5_SF_jNS0_19identity_decomposerENS1_16block_id_wrapperIjLb0EEEEE10hipError_tT1_PNSt15iterator_traitsISK_E10value_typeET2_T3_PNSL_ISQ_E10value_typeET4_T5_PSV_SW_PNS1_23onesweep_lookback_stateEbbT6_jjT7_P12ihipStream_tbENKUlT_T0_SK_SP_E_clIPfSE_SF_SF_EEDaS13_S14_SK_SP_EUlS13_E_NS1_11comp_targetILNS1_3genE5ELNS1_11target_archE942ELNS1_3gpuE9ELNS1_3repE0EEENS1_47radix_sort_onesweep_sort_config_static_selectorELNS0_4arch9wavefront6targetE0EEEvSK_.numbered_sgpr, 0
	.set _ZN7rocprim17ROCPRIM_400000_NS6detail17trampoline_kernelINS0_14default_configENS1_35radix_sort_onesweep_config_selectorIfNS0_10empty_typeEEEZZNS1_29radix_sort_onesweep_iterationIS3_Lb0EN6thrust23THRUST_200600_302600_NS6detail15normal_iteratorINS9_10device_ptrIfEEEESE_PS5_SF_jNS0_19identity_decomposerENS1_16block_id_wrapperIjLb0EEEEE10hipError_tT1_PNSt15iterator_traitsISK_E10value_typeET2_T3_PNSL_ISQ_E10value_typeET4_T5_PSV_SW_PNS1_23onesweep_lookback_stateEbbT6_jjT7_P12ihipStream_tbENKUlT_T0_SK_SP_E_clIPfSE_SF_SF_EEDaS13_S14_SK_SP_EUlS13_E_NS1_11comp_targetILNS1_3genE5ELNS1_11target_archE942ELNS1_3gpuE9ELNS1_3repE0EEENS1_47radix_sort_onesweep_sort_config_static_selectorELNS0_4arch9wavefront6targetE0EEEvSK_.num_named_barrier, 0
	.set _ZN7rocprim17ROCPRIM_400000_NS6detail17trampoline_kernelINS0_14default_configENS1_35radix_sort_onesweep_config_selectorIfNS0_10empty_typeEEEZZNS1_29radix_sort_onesweep_iterationIS3_Lb0EN6thrust23THRUST_200600_302600_NS6detail15normal_iteratorINS9_10device_ptrIfEEEESE_PS5_SF_jNS0_19identity_decomposerENS1_16block_id_wrapperIjLb0EEEEE10hipError_tT1_PNSt15iterator_traitsISK_E10value_typeET2_T3_PNSL_ISQ_E10value_typeET4_T5_PSV_SW_PNS1_23onesweep_lookback_stateEbbT6_jjT7_P12ihipStream_tbENKUlT_T0_SK_SP_E_clIPfSE_SF_SF_EEDaS13_S14_SK_SP_EUlS13_E_NS1_11comp_targetILNS1_3genE5ELNS1_11target_archE942ELNS1_3gpuE9ELNS1_3repE0EEENS1_47radix_sort_onesweep_sort_config_static_selectorELNS0_4arch9wavefront6targetE0EEEvSK_.private_seg_size, 0
	.set _ZN7rocprim17ROCPRIM_400000_NS6detail17trampoline_kernelINS0_14default_configENS1_35radix_sort_onesweep_config_selectorIfNS0_10empty_typeEEEZZNS1_29radix_sort_onesweep_iterationIS3_Lb0EN6thrust23THRUST_200600_302600_NS6detail15normal_iteratorINS9_10device_ptrIfEEEESE_PS5_SF_jNS0_19identity_decomposerENS1_16block_id_wrapperIjLb0EEEEE10hipError_tT1_PNSt15iterator_traitsISK_E10value_typeET2_T3_PNSL_ISQ_E10value_typeET4_T5_PSV_SW_PNS1_23onesweep_lookback_stateEbbT6_jjT7_P12ihipStream_tbENKUlT_T0_SK_SP_E_clIPfSE_SF_SF_EEDaS13_S14_SK_SP_EUlS13_E_NS1_11comp_targetILNS1_3genE5ELNS1_11target_archE942ELNS1_3gpuE9ELNS1_3repE0EEENS1_47radix_sort_onesweep_sort_config_static_selectorELNS0_4arch9wavefront6targetE0EEEvSK_.uses_vcc, 0
	.set _ZN7rocprim17ROCPRIM_400000_NS6detail17trampoline_kernelINS0_14default_configENS1_35radix_sort_onesweep_config_selectorIfNS0_10empty_typeEEEZZNS1_29radix_sort_onesweep_iterationIS3_Lb0EN6thrust23THRUST_200600_302600_NS6detail15normal_iteratorINS9_10device_ptrIfEEEESE_PS5_SF_jNS0_19identity_decomposerENS1_16block_id_wrapperIjLb0EEEEE10hipError_tT1_PNSt15iterator_traitsISK_E10value_typeET2_T3_PNSL_ISQ_E10value_typeET4_T5_PSV_SW_PNS1_23onesweep_lookback_stateEbbT6_jjT7_P12ihipStream_tbENKUlT_T0_SK_SP_E_clIPfSE_SF_SF_EEDaS13_S14_SK_SP_EUlS13_E_NS1_11comp_targetILNS1_3genE5ELNS1_11target_archE942ELNS1_3gpuE9ELNS1_3repE0EEENS1_47radix_sort_onesweep_sort_config_static_selectorELNS0_4arch9wavefront6targetE0EEEvSK_.uses_flat_scratch, 0
	.set _ZN7rocprim17ROCPRIM_400000_NS6detail17trampoline_kernelINS0_14default_configENS1_35radix_sort_onesweep_config_selectorIfNS0_10empty_typeEEEZZNS1_29radix_sort_onesweep_iterationIS3_Lb0EN6thrust23THRUST_200600_302600_NS6detail15normal_iteratorINS9_10device_ptrIfEEEESE_PS5_SF_jNS0_19identity_decomposerENS1_16block_id_wrapperIjLb0EEEEE10hipError_tT1_PNSt15iterator_traitsISK_E10value_typeET2_T3_PNSL_ISQ_E10value_typeET4_T5_PSV_SW_PNS1_23onesweep_lookback_stateEbbT6_jjT7_P12ihipStream_tbENKUlT_T0_SK_SP_E_clIPfSE_SF_SF_EEDaS13_S14_SK_SP_EUlS13_E_NS1_11comp_targetILNS1_3genE5ELNS1_11target_archE942ELNS1_3gpuE9ELNS1_3repE0EEENS1_47radix_sort_onesweep_sort_config_static_selectorELNS0_4arch9wavefront6targetE0EEEvSK_.has_dyn_sized_stack, 0
	.set _ZN7rocprim17ROCPRIM_400000_NS6detail17trampoline_kernelINS0_14default_configENS1_35radix_sort_onesweep_config_selectorIfNS0_10empty_typeEEEZZNS1_29radix_sort_onesweep_iterationIS3_Lb0EN6thrust23THRUST_200600_302600_NS6detail15normal_iteratorINS9_10device_ptrIfEEEESE_PS5_SF_jNS0_19identity_decomposerENS1_16block_id_wrapperIjLb0EEEEE10hipError_tT1_PNSt15iterator_traitsISK_E10value_typeET2_T3_PNSL_ISQ_E10value_typeET4_T5_PSV_SW_PNS1_23onesweep_lookback_stateEbbT6_jjT7_P12ihipStream_tbENKUlT_T0_SK_SP_E_clIPfSE_SF_SF_EEDaS13_S14_SK_SP_EUlS13_E_NS1_11comp_targetILNS1_3genE5ELNS1_11target_archE942ELNS1_3gpuE9ELNS1_3repE0EEENS1_47radix_sort_onesweep_sort_config_static_selectorELNS0_4arch9wavefront6targetE0EEEvSK_.has_recursion, 0
	.set _ZN7rocprim17ROCPRIM_400000_NS6detail17trampoline_kernelINS0_14default_configENS1_35radix_sort_onesweep_config_selectorIfNS0_10empty_typeEEEZZNS1_29radix_sort_onesweep_iterationIS3_Lb0EN6thrust23THRUST_200600_302600_NS6detail15normal_iteratorINS9_10device_ptrIfEEEESE_PS5_SF_jNS0_19identity_decomposerENS1_16block_id_wrapperIjLb0EEEEE10hipError_tT1_PNSt15iterator_traitsISK_E10value_typeET2_T3_PNSL_ISQ_E10value_typeET4_T5_PSV_SW_PNS1_23onesweep_lookback_stateEbbT6_jjT7_P12ihipStream_tbENKUlT_T0_SK_SP_E_clIPfSE_SF_SF_EEDaS13_S14_SK_SP_EUlS13_E_NS1_11comp_targetILNS1_3genE5ELNS1_11target_archE942ELNS1_3gpuE9ELNS1_3repE0EEENS1_47radix_sort_onesweep_sort_config_static_selectorELNS0_4arch9wavefront6targetE0EEEvSK_.has_indirect_call, 0
	.section	.AMDGPU.csdata,"",@progbits
; Kernel info:
; codeLenInByte = 0
; TotalNumSgprs: 0
; NumVgprs: 0
; ScratchSize: 0
; MemoryBound: 0
; FloatMode: 240
; IeeeMode: 1
; LDSByteSize: 0 bytes/workgroup (compile time only)
; SGPRBlocks: 0
; VGPRBlocks: 0
; NumSGPRsForWavesPerEU: 1
; NumVGPRsForWavesPerEU: 1
; Occupancy: 16
; WaveLimiterHint : 0
; COMPUTE_PGM_RSRC2:SCRATCH_EN: 0
; COMPUTE_PGM_RSRC2:USER_SGPR: 6
; COMPUTE_PGM_RSRC2:TRAP_HANDLER: 0
; COMPUTE_PGM_RSRC2:TGID_X_EN: 1
; COMPUTE_PGM_RSRC2:TGID_Y_EN: 0
; COMPUTE_PGM_RSRC2:TGID_Z_EN: 0
; COMPUTE_PGM_RSRC2:TIDIG_COMP_CNT: 0
	.section	.text._ZN7rocprim17ROCPRIM_400000_NS6detail17trampoline_kernelINS0_14default_configENS1_35radix_sort_onesweep_config_selectorIfNS0_10empty_typeEEEZZNS1_29radix_sort_onesweep_iterationIS3_Lb0EN6thrust23THRUST_200600_302600_NS6detail15normal_iteratorINS9_10device_ptrIfEEEESE_PS5_SF_jNS0_19identity_decomposerENS1_16block_id_wrapperIjLb0EEEEE10hipError_tT1_PNSt15iterator_traitsISK_E10value_typeET2_T3_PNSL_ISQ_E10value_typeET4_T5_PSV_SW_PNS1_23onesweep_lookback_stateEbbT6_jjT7_P12ihipStream_tbENKUlT_T0_SK_SP_E_clIPfSE_SF_SF_EEDaS13_S14_SK_SP_EUlS13_E_NS1_11comp_targetILNS1_3genE2ELNS1_11target_archE906ELNS1_3gpuE6ELNS1_3repE0EEENS1_47radix_sort_onesweep_sort_config_static_selectorELNS0_4arch9wavefront6targetE0EEEvSK_,"axG",@progbits,_ZN7rocprim17ROCPRIM_400000_NS6detail17trampoline_kernelINS0_14default_configENS1_35radix_sort_onesweep_config_selectorIfNS0_10empty_typeEEEZZNS1_29radix_sort_onesweep_iterationIS3_Lb0EN6thrust23THRUST_200600_302600_NS6detail15normal_iteratorINS9_10device_ptrIfEEEESE_PS5_SF_jNS0_19identity_decomposerENS1_16block_id_wrapperIjLb0EEEEE10hipError_tT1_PNSt15iterator_traitsISK_E10value_typeET2_T3_PNSL_ISQ_E10value_typeET4_T5_PSV_SW_PNS1_23onesweep_lookback_stateEbbT6_jjT7_P12ihipStream_tbENKUlT_T0_SK_SP_E_clIPfSE_SF_SF_EEDaS13_S14_SK_SP_EUlS13_E_NS1_11comp_targetILNS1_3genE2ELNS1_11target_archE906ELNS1_3gpuE6ELNS1_3repE0EEENS1_47radix_sort_onesweep_sort_config_static_selectorELNS0_4arch9wavefront6targetE0EEEvSK_,comdat
	.protected	_ZN7rocprim17ROCPRIM_400000_NS6detail17trampoline_kernelINS0_14default_configENS1_35radix_sort_onesweep_config_selectorIfNS0_10empty_typeEEEZZNS1_29radix_sort_onesweep_iterationIS3_Lb0EN6thrust23THRUST_200600_302600_NS6detail15normal_iteratorINS9_10device_ptrIfEEEESE_PS5_SF_jNS0_19identity_decomposerENS1_16block_id_wrapperIjLb0EEEEE10hipError_tT1_PNSt15iterator_traitsISK_E10value_typeET2_T3_PNSL_ISQ_E10value_typeET4_T5_PSV_SW_PNS1_23onesweep_lookback_stateEbbT6_jjT7_P12ihipStream_tbENKUlT_T0_SK_SP_E_clIPfSE_SF_SF_EEDaS13_S14_SK_SP_EUlS13_E_NS1_11comp_targetILNS1_3genE2ELNS1_11target_archE906ELNS1_3gpuE6ELNS1_3repE0EEENS1_47radix_sort_onesweep_sort_config_static_selectorELNS0_4arch9wavefront6targetE0EEEvSK_ ; -- Begin function _ZN7rocprim17ROCPRIM_400000_NS6detail17trampoline_kernelINS0_14default_configENS1_35radix_sort_onesweep_config_selectorIfNS0_10empty_typeEEEZZNS1_29radix_sort_onesweep_iterationIS3_Lb0EN6thrust23THRUST_200600_302600_NS6detail15normal_iteratorINS9_10device_ptrIfEEEESE_PS5_SF_jNS0_19identity_decomposerENS1_16block_id_wrapperIjLb0EEEEE10hipError_tT1_PNSt15iterator_traitsISK_E10value_typeET2_T3_PNSL_ISQ_E10value_typeET4_T5_PSV_SW_PNS1_23onesweep_lookback_stateEbbT6_jjT7_P12ihipStream_tbENKUlT_T0_SK_SP_E_clIPfSE_SF_SF_EEDaS13_S14_SK_SP_EUlS13_E_NS1_11comp_targetILNS1_3genE2ELNS1_11target_archE906ELNS1_3gpuE6ELNS1_3repE0EEENS1_47radix_sort_onesweep_sort_config_static_selectorELNS0_4arch9wavefront6targetE0EEEvSK_
	.globl	_ZN7rocprim17ROCPRIM_400000_NS6detail17trampoline_kernelINS0_14default_configENS1_35radix_sort_onesweep_config_selectorIfNS0_10empty_typeEEEZZNS1_29radix_sort_onesweep_iterationIS3_Lb0EN6thrust23THRUST_200600_302600_NS6detail15normal_iteratorINS9_10device_ptrIfEEEESE_PS5_SF_jNS0_19identity_decomposerENS1_16block_id_wrapperIjLb0EEEEE10hipError_tT1_PNSt15iterator_traitsISK_E10value_typeET2_T3_PNSL_ISQ_E10value_typeET4_T5_PSV_SW_PNS1_23onesweep_lookback_stateEbbT6_jjT7_P12ihipStream_tbENKUlT_T0_SK_SP_E_clIPfSE_SF_SF_EEDaS13_S14_SK_SP_EUlS13_E_NS1_11comp_targetILNS1_3genE2ELNS1_11target_archE906ELNS1_3gpuE6ELNS1_3repE0EEENS1_47radix_sort_onesweep_sort_config_static_selectorELNS0_4arch9wavefront6targetE0EEEvSK_
	.p2align	8
	.type	_ZN7rocprim17ROCPRIM_400000_NS6detail17trampoline_kernelINS0_14default_configENS1_35radix_sort_onesweep_config_selectorIfNS0_10empty_typeEEEZZNS1_29radix_sort_onesweep_iterationIS3_Lb0EN6thrust23THRUST_200600_302600_NS6detail15normal_iteratorINS9_10device_ptrIfEEEESE_PS5_SF_jNS0_19identity_decomposerENS1_16block_id_wrapperIjLb0EEEEE10hipError_tT1_PNSt15iterator_traitsISK_E10value_typeET2_T3_PNSL_ISQ_E10value_typeET4_T5_PSV_SW_PNS1_23onesweep_lookback_stateEbbT6_jjT7_P12ihipStream_tbENKUlT_T0_SK_SP_E_clIPfSE_SF_SF_EEDaS13_S14_SK_SP_EUlS13_E_NS1_11comp_targetILNS1_3genE2ELNS1_11target_archE906ELNS1_3gpuE6ELNS1_3repE0EEENS1_47radix_sort_onesweep_sort_config_static_selectorELNS0_4arch9wavefront6targetE0EEEvSK_,@function
_ZN7rocprim17ROCPRIM_400000_NS6detail17trampoline_kernelINS0_14default_configENS1_35radix_sort_onesweep_config_selectorIfNS0_10empty_typeEEEZZNS1_29radix_sort_onesweep_iterationIS3_Lb0EN6thrust23THRUST_200600_302600_NS6detail15normal_iteratorINS9_10device_ptrIfEEEESE_PS5_SF_jNS0_19identity_decomposerENS1_16block_id_wrapperIjLb0EEEEE10hipError_tT1_PNSt15iterator_traitsISK_E10value_typeET2_T3_PNSL_ISQ_E10value_typeET4_T5_PSV_SW_PNS1_23onesweep_lookback_stateEbbT6_jjT7_P12ihipStream_tbENKUlT_T0_SK_SP_E_clIPfSE_SF_SF_EEDaS13_S14_SK_SP_EUlS13_E_NS1_11comp_targetILNS1_3genE2ELNS1_11target_archE906ELNS1_3gpuE6ELNS1_3repE0EEENS1_47radix_sort_onesweep_sort_config_static_selectorELNS0_4arch9wavefront6targetE0EEEvSK_: ; @_ZN7rocprim17ROCPRIM_400000_NS6detail17trampoline_kernelINS0_14default_configENS1_35radix_sort_onesweep_config_selectorIfNS0_10empty_typeEEEZZNS1_29radix_sort_onesweep_iterationIS3_Lb0EN6thrust23THRUST_200600_302600_NS6detail15normal_iteratorINS9_10device_ptrIfEEEESE_PS5_SF_jNS0_19identity_decomposerENS1_16block_id_wrapperIjLb0EEEEE10hipError_tT1_PNSt15iterator_traitsISK_E10value_typeET2_T3_PNSL_ISQ_E10value_typeET4_T5_PSV_SW_PNS1_23onesweep_lookback_stateEbbT6_jjT7_P12ihipStream_tbENKUlT_T0_SK_SP_E_clIPfSE_SF_SF_EEDaS13_S14_SK_SP_EUlS13_E_NS1_11comp_targetILNS1_3genE2ELNS1_11target_archE906ELNS1_3gpuE6ELNS1_3repE0EEENS1_47radix_sort_onesweep_sort_config_static_selectorELNS0_4arch9wavefront6targetE0EEEvSK_
; %bb.0:
	.section	.rodata,"a",@progbits
	.p2align	6, 0x0
	.amdhsa_kernel _ZN7rocprim17ROCPRIM_400000_NS6detail17trampoline_kernelINS0_14default_configENS1_35radix_sort_onesweep_config_selectorIfNS0_10empty_typeEEEZZNS1_29radix_sort_onesweep_iterationIS3_Lb0EN6thrust23THRUST_200600_302600_NS6detail15normal_iteratorINS9_10device_ptrIfEEEESE_PS5_SF_jNS0_19identity_decomposerENS1_16block_id_wrapperIjLb0EEEEE10hipError_tT1_PNSt15iterator_traitsISK_E10value_typeET2_T3_PNSL_ISQ_E10value_typeET4_T5_PSV_SW_PNS1_23onesweep_lookback_stateEbbT6_jjT7_P12ihipStream_tbENKUlT_T0_SK_SP_E_clIPfSE_SF_SF_EEDaS13_S14_SK_SP_EUlS13_E_NS1_11comp_targetILNS1_3genE2ELNS1_11target_archE906ELNS1_3gpuE6ELNS1_3repE0EEENS1_47radix_sort_onesweep_sort_config_static_selectorELNS0_4arch9wavefront6targetE0EEEvSK_
		.amdhsa_group_segment_fixed_size 0
		.amdhsa_private_segment_fixed_size 0
		.amdhsa_kernarg_size 88
		.amdhsa_user_sgpr_count 6
		.amdhsa_user_sgpr_private_segment_buffer 1
		.amdhsa_user_sgpr_dispatch_ptr 0
		.amdhsa_user_sgpr_queue_ptr 0
		.amdhsa_user_sgpr_kernarg_segment_ptr 1
		.amdhsa_user_sgpr_dispatch_id 0
		.amdhsa_user_sgpr_flat_scratch_init 0
		.amdhsa_user_sgpr_private_segment_size 0
		.amdhsa_wavefront_size32 1
		.amdhsa_uses_dynamic_stack 0
		.amdhsa_system_sgpr_private_segment_wavefront_offset 0
		.amdhsa_system_sgpr_workgroup_id_x 1
		.amdhsa_system_sgpr_workgroup_id_y 0
		.amdhsa_system_sgpr_workgroup_id_z 0
		.amdhsa_system_sgpr_workgroup_info 0
		.amdhsa_system_vgpr_workitem_id 0
		.amdhsa_next_free_vgpr 1
		.amdhsa_next_free_sgpr 1
		.amdhsa_reserve_vcc 0
		.amdhsa_reserve_flat_scratch 0
		.amdhsa_float_round_mode_32 0
		.amdhsa_float_round_mode_16_64 0
		.amdhsa_float_denorm_mode_32 3
		.amdhsa_float_denorm_mode_16_64 3
		.amdhsa_dx10_clamp 1
		.amdhsa_ieee_mode 1
		.amdhsa_fp16_overflow 0
		.amdhsa_workgroup_processor_mode 1
		.amdhsa_memory_ordered 1
		.amdhsa_forward_progress 1
		.amdhsa_shared_vgpr_count 0
		.amdhsa_exception_fp_ieee_invalid_op 0
		.amdhsa_exception_fp_denorm_src 0
		.amdhsa_exception_fp_ieee_div_zero 0
		.amdhsa_exception_fp_ieee_overflow 0
		.amdhsa_exception_fp_ieee_underflow 0
		.amdhsa_exception_fp_ieee_inexact 0
		.amdhsa_exception_int_div_zero 0
	.end_amdhsa_kernel
	.section	.text._ZN7rocprim17ROCPRIM_400000_NS6detail17trampoline_kernelINS0_14default_configENS1_35radix_sort_onesweep_config_selectorIfNS0_10empty_typeEEEZZNS1_29radix_sort_onesweep_iterationIS3_Lb0EN6thrust23THRUST_200600_302600_NS6detail15normal_iteratorINS9_10device_ptrIfEEEESE_PS5_SF_jNS0_19identity_decomposerENS1_16block_id_wrapperIjLb0EEEEE10hipError_tT1_PNSt15iterator_traitsISK_E10value_typeET2_T3_PNSL_ISQ_E10value_typeET4_T5_PSV_SW_PNS1_23onesweep_lookback_stateEbbT6_jjT7_P12ihipStream_tbENKUlT_T0_SK_SP_E_clIPfSE_SF_SF_EEDaS13_S14_SK_SP_EUlS13_E_NS1_11comp_targetILNS1_3genE2ELNS1_11target_archE906ELNS1_3gpuE6ELNS1_3repE0EEENS1_47radix_sort_onesweep_sort_config_static_selectorELNS0_4arch9wavefront6targetE0EEEvSK_,"axG",@progbits,_ZN7rocprim17ROCPRIM_400000_NS6detail17trampoline_kernelINS0_14default_configENS1_35radix_sort_onesweep_config_selectorIfNS0_10empty_typeEEEZZNS1_29radix_sort_onesweep_iterationIS3_Lb0EN6thrust23THRUST_200600_302600_NS6detail15normal_iteratorINS9_10device_ptrIfEEEESE_PS5_SF_jNS0_19identity_decomposerENS1_16block_id_wrapperIjLb0EEEEE10hipError_tT1_PNSt15iterator_traitsISK_E10value_typeET2_T3_PNSL_ISQ_E10value_typeET4_T5_PSV_SW_PNS1_23onesweep_lookback_stateEbbT6_jjT7_P12ihipStream_tbENKUlT_T0_SK_SP_E_clIPfSE_SF_SF_EEDaS13_S14_SK_SP_EUlS13_E_NS1_11comp_targetILNS1_3genE2ELNS1_11target_archE906ELNS1_3gpuE6ELNS1_3repE0EEENS1_47radix_sort_onesweep_sort_config_static_selectorELNS0_4arch9wavefront6targetE0EEEvSK_,comdat
.Lfunc_end607:
	.size	_ZN7rocprim17ROCPRIM_400000_NS6detail17trampoline_kernelINS0_14default_configENS1_35radix_sort_onesweep_config_selectorIfNS0_10empty_typeEEEZZNS1_29radix_sort_onesweep_iterationIS3_Lb0EN6thrust23THRUST_200600_302600_NS6detail15normal_iteratorINS9_10device_ptrIfEEEESE_PS5_SF_jNS0_19identity_decomposerENS1_16block_id_wrapperIjLb0EEEEE10hipError_tT1_PNSt15iterator_traitsISK_E10value_typeET2_T3_PNSL_ISQ_E10value_typeET4_T5_PSV_SW_PNS1_23onesweep_lookback_stateEbbT6_jjT7_P12ihipStream_tbENKUlT_T0_SK_SP_E_clIPfSE_SF_SF_EEDaS13_S14_SK_SP_EUlS13_E_NS1_11comp_targetILNS1_3genE2ELNS1_11target_archE906ELNS1_3gpuE6ELNS1_3repE0EEENS1_47radix_sort_onesweep_sort_config_static_selectorELNS0_4arch9wavefront6targetE0EEEvSK_, .Lfunc_end607-_ZN7rocprim17ROCPRIM_400000_NS6detail17trampoline_kernelINS0_14default_configENS1_35radix_sort_onesweep_config_selectorIfNS0_10empty_typeEEEZZNS1_29radix_sort_onesweep_iterationIS3_Lb0EN6thrust23THRUST_200600_302600_NS6detail15normal_iteratorINS9_10device_ptrIfEEEESE_PS5_SF_jNS0_19identity_decomposerENS1_16block_id_wrapperIjLb0EEEEE10hipError_tT1_PNSt15iterator_traitsISK_E10value_typeET2_T3_PNSL_ISQ_E10value_typeET4_T5_PSV_SW_PNS1_23onesweep_lookback_stateEbbT6_jjT7_P12ihipStream_tbENKUlT_T0_SK_SP_E_clIPfSE_SF_SF_EEDaS13_S14_SK_SP_EUlS13_E_NS1_11comp_targetILNS1_3genE2ELNS1_11target_archE906ELNS1_3gpuE6ELNS1_3repE0EEENS1_47radix_sort_onesweep_sort_config_static_selectorELNS0_4arch9wavefront6targetE0EEEvSK_
                                        ; -- End function
	.set _ZN7rocprim17ROCPRIM_400000_NS6detail17trampoline_kernelINS0_14default_configENS1_35radix_sort_onesweep_config_selectorIfNS0_10empty_typeEEEZZNS1_29radix_sort_onesweep_iterationIS3_Lb0EN6thrust23THRUST_200600_302600_NS6detail15normal_iteratorINS9_10device_ptrIfEEEESE_PS5_SF_jNS0_19identity_decomposerENS1_16block_id_wrapperIjLb0EEEEE10hipError_tT1_PNSt15iterator_traitsISK_E10value_typeET2_T3_PNSL_ISQ_E10value_typeET4_T5_PSV_SW_PNS1_23onesweep_lookback_stateEbbT6_jjT7_P12ihipStream_tbENKUlT_T0_SK_SP_E_clIPfSE_SF_SF_EEDaS13_S14_SK_SP_EUlS13_E_NS1_11comp_targetILNS1_3genE2ELNS1_11target_archE906ELNS1_3gpuE6ELNS1_3repE0EEENS1_47radix_sort_onesweep_sort_config_static_selectorELNS0_4arch9wavefront6targetE0EEEvSK_.num_vgpr, 0
	.set _ZN7rocprim17ROCPRIM_400000_NS6detail17trampoline_kernelINS0_14default_configENS1_35radix_sort_onesweep_config_selectorIfNS0_10empty_typeEEEZZNS1_29radix_sort_onesweep_iterationIS3_Lb0EN6thrust23THRUST_200600_302600_NS6detail15normal_iteratorINS9_10device_ptrIfEEEESE_PS5_SF_jNS0_19identity_decomposerENS1_16block_id_wrapperIjLb0EEEEE10hipError_tT1_PNSt15iterator_traitsISK_E10value_typeET2_T3_PNSL_ISQ_E10value_typeET4_T5_PSV_SW_PNS1_23onesweep_lookback_stateEbbT6_jjT7_P12ihipStream_tbENKUlT_T0_SK_SP_E_clIPfSE_SF_SF_EEDaS13_S14_SK_SP_EUlS13_E_NS1_11comp_targetILNS1_3genE2ELNS1_11target_archE906ELNS1_3gpuE6ELNS1_3repE0EEENS1_47radix_sort_onesweep_sort_config_static_selectorELNS0_4arch9wavefront6targetE0EEEvSK_.num_agpr, 0
	.set _ZN7rocprim17ROCPRIM_400000_NS6detail17trampoline_kernelINS0_14default_configENS1_35radix_sort_onesweep_config_selectorIfNS0_10empty_typeEEEZZNS1_29radix_sort_onesweep_iterationIS3_Lb0EN6thrust23THRUST_200600_302600_NS6detail15normal_iteratorINS9_10device_ptrIfEEEESE_PS5_SF_jNS0_19identity_decomposerENS1_16block_id_wrapperIjLb0EEEEE10hipError_tT1_PNSt15iterator_traitsISK_E10value_typeET2_T3_PNSL_ISQ_E10value_typeET4_T5_PSV_SW_PNS1_23onesweep_lookback_stateEbbT6_jjT7_P12ihipStream_tbENKUlT_T0_SK_SP_E_clIPfSE_SF_SF_EEDaS13_S14_SK_SP_EUlS13_E_NS1_11comp_targetILNS1_3genE2ELNS1_11target_archE906ELNS1_3gpuE6ELNS1_3repE0EEENS1_47radix_sort_onesweep_sort_config_static_selectorELNS0_4arch9wavefront6targetE0EEEvSK_.numbered_sgpr, 0
	.set _ZN7rocprim17ROCPRIM_400000_NS6detail17trampoline_kernelINS0_14default_configENS1_35radix_sort_onesweep_config_selectorIfNS0_10empty_typeEEEZZNS1_29radix_sort_onesweep_iterationIS3_Lb0EN6thrust23THRUST_200600_302600_NS6detail15normal_iteratorINS9_10device_ptrIfEEEESE_PS5_SF_jNS0_19identity_decomposerENS1_16block_id_wrapperIjLb0EEEEE10hipError_tT1_PNSt15iterator_traitsISK_E10value_typeET2_T3_PNSL_ISQ_E10value_typeET4_T5_PSV_SW_PNS1_23onesweep_lookback_stateEbbT6_jjT7_P12ihipStream_tbENKUlT_T0_SK_SP_E_clIPfSE_SF_SF_EEDaS13_S14_SK_SP_EUlS13_E_NS1_11comp_targetILNS1_3genE2ELNS1_11target_archE906ELNS1_3gpuE6ELNS1_3repE0EEENS1_47radix_sort_onesweep_sort_config_static_selectorELNS0_4arch9wavefront6targetE0EEEvSK_.num_named_barrier, 0
	.set _ZN7rocprim17ROCPRIM_400000_NS6detail17trampoline_kernelINS0_14default_configENS1_35radix_sort_onesweep_config_selectorIfNS0_10empty_typeEEEZZNS1_29radix_sort_onesweep_iterationIS3_Lb0EN6thrust23THRUST_200600_302600_NS6detail15normal_iteratorINS9_10device_ptrIfEEEESE_PS5_SF_jNS0_19identity_decomposerENS1_16block_id_wrapperIjLb0EEEEE10hipError_tT1_PNSt15iterator_traitsISK_E10value_typeET2_T3_PNSL_ISQ_E10value_typeET4_T5_PSV_SW_PNS1_23onesweep_lookback_stateEbbT6_jjT7_P12ihipStream_tbENKUlT_T0_SK_SP_E_clIPfSE_SF_SF_EEDaS13_S14_SK_SP_EUlS13_E_NS1_11comp_targetILNS1_3genE2ELNS1_11target_archE906ELNS1_3gpuE6ELNS1_3repE0EEENS1_47radix_sort_onesweep_sort_config_static_selectorELNS0_4arch9wavefront6targetE0EEEvSK_.private_seg_size, 0
	.set _ZN7rocprim17ROCPRIM_400000_NS6detail17trampoline_kernelINS0_14default_configENS1_35radix_sort_onesweep_config_selectorIfNS0_10empty_typeEEEZZNS1_29radix_sort_onesweep_iterationIS3_Lb0EN6thrust23THRUST_200600_302600_NS6detail15normal_iteratorINS9_10device_ptrIfEEEESE_PS5_SF_jNS0_19identity_decomposerENS1_16block_id_wrapperIjLb0EEEEE10hipError_tT1_PNSt15iterator_traitsISK_E10value_typeET2_T3_PNSL_ISQ_E10value_typeET4_T5_PSV_SW_PNS1_23onesweep_lookback_stateEbbT6_jjT7_P12ihipStream_tbENKUlT_T0_SK_SP_E_clIPfSE_SF_SF_EEDaS13_S14_SK_SP_EUlS13_E_NS1_11comp_targetILNS1_3genE2ELNS1_11target_archE906ELNS1_3gpuE6ELNS1_3repE0EEENS1_47radix_sort_onesweep_sort_config_static_selectorELNS0_4arch9wavefront6targetE0EEEvSK_.uses_vcc, 0
	.set _ZN7rocprim17ROCPRIM_400000_NS6detail17trampoline_kernelINS0_14default_configENS1_35radix_sort_onesweep_config_selectorIfNS0_10empty_typeEEEZZNS1_29radix_sort_onesweep_iterationIS3_Lb0EN6thrust23THRUST_200600_302600_NS6detail15normal_iteratorINS9_10device_ptrIfEEEESE_PS5_SF_jNS0_19identity_decomposerENS1_16block_id_wrapperIjLb0EEEEE10hipError_tT1_PNSt15iterator_traitsISK_E10value_typeET2_T3_PNSL_ISQ_E10value_typeET4_T5_PSV_SW_PNS1_23onesweep_lookback_stateEbbT6_jjT7_P12ihipStream_tbENKUlT_T0_SK_SP_E_clIPfSE_SF_SF_EEDaS13_S14_SK_SP_EUlS13_E_NS1_11comp_targetILNS1_3genE2ELNS1_11target_archE906ELNS1_3gpuE6ELNS1_3repE0EEENS1_47radix_sort_onesweep_sort_config_static_selectorELNS0_4arch9wavefront6targetE0EEEvSK_.uses_flat_scratch, 0
	.set _ZN7rocprim17ROCPRIM_400000_NS6detail17trampoline_kernelINS0_14default_configENS1_35radix_sort_onesweep_config_selectorIfNS0_10empty_typeEEEZZNS1_29radix_sort_onesweep_iterationIS3_Lb0EN6thrust23THRUST_200600_302600_NS6detail15normal_iteratorINS9_10device_ptrIfEEEESE_PS5_SF_jNS0_19identity_decomposerENS1_16block_id_wrapperIjLb0EEEEE10hipError_tT1_PNSt15iterator_traitsISK_E10value_typeET2_T3_PNSL_ISQ_E10value_typeET4_T5_PSV_SW_PNS1_23onesweep_lookback_stateEbbT6_jjT7_P12ihipStream_tbENKUlT_T0_SK_SP_E_clIPfSE_SF_SF_EEDaS13_S14_SK_SP_EUlS13_E_NS1_11comp_targetILNS1_3genE2ELNS1_11target_archE906ELNS1_3gpuE6ELNS1_3repE0EEENS1_47radix_sort_onesweep_sort_config_static_selectorELNS0_4arch9wavefront6targetE0EEEvSK_.has_dyn_sized_stack, 0
	.set _ZN7rocprim17ROCPRIM_400000_NS6detail17trampoline_kernelINS0_14default_configENS1_35radix_sort_onesweep_config_selectorIfNS0_10empty_typeEEEZZNS1_29radix_sort_onesweep_iterationIS3_Lb0EN6thrust23THRUST_200600_302600_NS6detail15normal_iteratorINS9_10device_ptrIfEEEESE_PS5_SF_jNS0_19identity_decomposerENS1_16block_id_wrapperIjLb0EEEEE10hipError_tT1_PNSt15iterator_traitsISK_E10value_typeET2_T3_PNSL_ISQ_E10value_typeET4_T5_PSV_SW_PNS1_23onesweep_lookback_stateEbbT6_jjT7_P12ihipStream_tbENKUlT_T0_SK_SP_E_clIPfSE_SF_SF_EEDaS13_S14_SK_SP_EUlS13_E_NS1_11comp_targetILNS1_3genE2ELNS1_11target_archE906ELNS1_3gpuE6ELNS1_3repE0EEENS1_47radix_sort_onesweep_sort_config_static_selectorELNS0_4arch9wavefront6targetE0EEEvSK_.has_recursion, 0
	.set _ZN7rocprim17ROCPRIM_400000_NS6detail17trampoline_kernelINS0_14default_configENS1_35radix_sort_onesweep_config_selectorIfNS0_10empty_typeEEEZZNS1_29radix_sort_onesweep_iterationIS3_Lb0EN6thrust23THRUST_200600_302600_NS6detail15normal_iteratorINS9_10device_ptrIfEEEESE_PS5_SF_jNS0_19identity_decomposerENS1_16block_id_wrapperIjLb0EEEEE10hipError_tT1_PNSt15iterator_traitsISK_E10value_typeET2_T3_PNSL_ISQ_E10value_typeET4_T5_PSV_SW_PNS1_23onesweep_lookback_stateEbbT6_jjT7_P12ihipStream_tbENKUlT_T0_SK_SP_E_clIPfSE_SF_SF_EEDaS13_S14_SK_SP_EUlS13_E_NS1_11comp_targetILNS1_3genE2ELNS1_11target_archE906ELNS1_3gpuE6ELNS1_3repE0EEENS1_47radix_sort_onesweep_sort_config_static_selectorELNS0_4arch9wavefront6targetE0EEEvSK_.has_indirect_call, 0
	.section	.AMDGPU.csdata,"",@progbits
; Kernel info:
; codeLenInByte = 0
; TotalNumSgprs: 0
; NumVgprs: 0
; ScratchSize: 0
; MemoryBound: 0
; FloatMode: 240
; IeeeMode: 1
; LDSByteSize: 0 bytes/workgroup (compile time only)
; SGPRBlocks: 0
; VGPRBlocks: 0
; NumSGPRsForWavesPerEU: 1
; NumVGPRsForWavesPerEU: 1
; Occupancy: 16
; WaveLimiterHint : 0
; COMPUTE_PGM_RSRC2:SCRATCH_EN: 0
; COMPUTE_PGM_RSRC2:USER_SGPR: 6
; COMPUTE_PGM_RSRC2:TRAP_HANDLER: 0
; COMPUTE_PGM_RSRC2:TGID_X_EN: 1
; COMPUTE_PGM_RSRC2:TGID_Y_EN: 0
; COMPUTE_PGM_RSRC2:TGID_Z_EN: 0
; COMPUTE_PGM_RSRC2:TIDIG_COMP_CNT: 0
	.section	.text._ZN7rocprim17ROCPRIM_400000_NS6detail17trampoline_kernelINS0_14default_configENS1_35radix_sort_onesweep_config_selectorIfNS0_10empty_typeEEEZZNS1_29radix_sort_onesweep_iterationIS3_Lb0EN6thrust23THRUST_200600_302600_NS6detail15normal_iteratorINS9_10device_ptrIfEEEESE_PS5_SF_jNS0_19identity_decomposerENS1_16block_id_wrapperIjLb0EEEEE10hipError_tT1_PNSt15iterator_traitsISK_E10value_typeET2_T3_PNSL_ISQ_E10value_typeET4_T5_PSV_SW_PNS1_23onesweep_lookback_stateEbbT6_jjT7_P12ihipStream_tbENKUlT_T0_SK_SP_E_clIPfSE_SF_SF_EEDaS13_S14_SK_SP_EUlS13_E_NS1_11comp_targetILNS1_3genE4ELNS1_11target_archE910ELNS1_3gpuE8ELNS1_3repE0EEENS1_47radix_sort_onesweep_sort_config_static_selectorELNS0_4arch9wavefront6targetE0EEEvSK_,"axG",@progbits,_ZN7rocprim17ROCPRIM_400000_NS6detail17trampoline_kernelINS0_14default_configENS1_35radix_sort_onesweep_config_selectorIfNS0_10empty_typeEEEZZNS1_29radix_sort_onesweep_iterationIS3_Lb0EN6thrust23THRUST_200600_302600_NS6detail15normal_iteratorINS9_10device_ptrIfEEEESE_PS5_SF_jNS0_19identity_decomposerENS1_16block_id_wrapperIjLb0EEEEE10hipError_tT1_PNSt15iterator_traitsISK_E10value_typeET2_T3_PNSL_ISQ_E10value_typeET4_T5_PSV_SW_PNS1_23onesweep_lookback_stateEbbT6_jjT7_P12ihipStream_tbENKUlT_T0_SK_SP_E_clIPfSE_SF_SF_EEDaS13_S14_SK_SP_EUlS13_E_NS1_11comp_targetILNS1_3genE4ELNS1_11target_archE910ELNS1_3gpuE8ELNS1_3repE0EEENS1_47radix_sort_onesweep_sort_config_static_selectorELNS0_4arch9wavefront6targetE0EEEvSK_,comdat
	.protected	_ZN7rocprim17ROCPRIM_400000_NS6detail17trampoline_kernelINS0_14default_configENS1_35radix_sort_onesweep_config_selectorIfNS0_10empty_typeEEEZZNS1_29radix_sort_onesweep_iterationIS3_Lb0EN6thrust23THRUST_200600_302600_NS6detail15normal_iteratorINS9_10device_ptrIfEEEESE_PS5_SF_jNS0_19identity_decomposerENS1_16block_id_wrapperIjLb0EEEEE10hipError_tT1_PNSt15iterator_traitsISK_E10value_typeET2_T3_PNSL_ISQ_E10value_typeET4_T5_PSV_SW_PNS1_23onesweep_lookback_stateEbbT6_jjT7_P12ihipStream_tbENKUlT_T0_SK_SP_E_clIPfSE_SF_SF_EEDaS13_S14_SK_SP_EUlS13_E_NS1_11comp_targetILNS1_3genE4ELNS1_11target_archE910ELNS1_3gpuE8ELNS1_3repE0EEENS1_47radix_sort_onesweep_sort_config_static_selectorELNS0_4arch9wavefront6targetE0EEEvSK_ ; -- Begin function _ZN7rocprim17ROCPRIM_400000_NS6detail17trampoline_kernelINS0_14default_configENS1_35radix_sort_onesweep_config_selectorIfNS0_10empty_typeEEEZZNS1_29radix_sort_onesweep_iterationIS3_Lb0EN6thrust23THRUST_200600_302600_NS6detail15normal_iteratorINS9_10device_ptrIfEEEESE_PS5_SF_jNS0_19identity_decomposerENS1_16block_id_wrapperIjLb0EEEEE10hipError_tT1_PNSt15iterator_traitsISK_E10value_typeET2_T3_PNSL_ISQ_E10value_typeET4_T5_PSV_SW_PNS1_23onesweep_lookback_stateEbbT6_jjT7_P12ihipStream_tbENKUlT_T0_SK_SP_E_clIPfSE_SF_SF_EEDaS13_S14_SK_SP_EUlS13_E_NS1_11comp_targetILNS1_3genE4ELNS1_11target_archE910ELNS1_3gpuE8ELNS1_3repE0EEENS1_47radix_sort_onesweep_sort_config_static_selectorELNS0_4arch9wavefront6targetE0EEEvSK_
	.globl	_ZN7rocprim17ROCPRIM_400000_NS6detail17trampoline_kernelINS0_14default_configENS1_35radix_sort_onesweep_config_selectorIfNS0_10empty_typeEEEZZNS1_29radix_sort_onesweep_iterationIS3_Lb0EN6thrust23THRUST_200600_302600_NS6detail15normal_iteratorINS9_10device_ptrIfEEEESE_PS5_SF_jNS0_19identity_decomposerENS1_16block_id_wrapperIjLb0EEEEE10hipError_tT1_PNSt15iterator_traitsISK_E10value_typeET2_T3_PNSL_ISQ_E10value_typeET4_T5_PSV_SW_PNS1_23onesweep_lookback_stateEbbT6_jjT7_P12ihipStream_tbENKUlT_T0_SK_SP_E_clIPfSE_SF_SF_EEDaS13_S14_SK_SP_EUlS13_E_NS1_11comp_targetILNS1_3genE4ELNS1_11target_archE910ELNS1_3gpuE8ELNS1_3repE0EEENS1_47radix_sort_onesweep_sort_config_static_selectorELNS0_4arch9wavefront6targetE0EEEvSK_
	.p2align	8
	.type	_ZN7rocprim17ROCPRIM_400000_NS6detail17trampoline_kernelINS0_14default_configENS1_35radix_sort_onesweep_config_selectorIfNS0_10empty_typeEEEZZNS1_29radix_sort_onesweep_iterationIS3_Lb0EN6thrust23THRUST_200600_302600_NS6detail15normal_iteratorINS9_10device_ptrIfEEEESE_PS5_SF_jNS0_19identity_decomposerENS1_16block_id_wrapperIjLb0EEEEE10hipError_tT1_PNSt15iterator_traitsISK_E10value_typeET2_T3_PNSL_ISQ_E10value_typeET4_T5_PSV_SW_PNS1_23onesweep_lookback_stateEbbT6_jjT7_P12ihipStream_tbENKUlT_T0_SK_SP_E_clIPfSE_SF_SF_EEDaS13_S14_SK_SP_EUlS13_E_NS1_11comp_targetILNS1_3genE4ELNS1_11target_archE910ELNS1_3gpuE8ELNS1_3repE0EEENS1_47radix_sort_onesweep_sort_config_static_selectorELNS0_4arch9wavefront6targetE0EEEvSK_,@function
_ZN7rocprim17ROCPRIM_400000_NS6detail17trampoline_kernelINS0_14default_configENS1_35radix_sort_onesweep_config_selectorIfNS0_10empty_typeEEEZZNS1_29radix_sort_onesweep_iterationIS3_Lb0EN6thrust23THRUST_200600_302600_NS6detail15normal_iteratorINS9_10device_ptrIfEEEESE_PS5_SF_jNS0_19identity_decomposerENS1_16block_id_wrapperIjLb0EEEEE10hipError_tT1_PNSt15iterator_traitsISK_E10value_typeET2_T3_PNSL_ISQ_E10value_typeET4_T5_PSV_SW_PNS1_23onesweep_lookback_stateEbbT6_jjT7_P12ihipStream_tbENKUlT_T0_SK_SP_E_clIPfSE_SF_SF_EEDaS13_S14_SK_SP_EUlS13_E_NS1_11comp_targetILNS1_3genE4ELNS1_11target_archE910ELNS1_3gpuE8ELNS1_3repE0EEENS1_47radix_sort_onesweep_sort_config_static_selectorELNS0_4arch9wavefront6targetE0EEEvSK_: ; @_ZN7rocprim17ROCPRIM_400000_NS6detail17trampoline_kernelINS0_14default_configENS1_35radix_sort_onesweep_config_selectorIfNS0_10empty_typeEEEZZNS1_29radix_sort_onesweep_iterationIS3_Lb0EN6thrust23THRUST_200600_302600_NS6detail15normal_iteratorINS9_10device_ptrIfEEEESE_PS5_SF_jNS0_19identity_decomposerENS1_16block_id_wrapperIjLb0EEEEE10hipError_tT1_PNSt15iterator_traitsISK_E10value_typeET2_T3_PNSL_ISQ_E10value_typeET4_T5_PSV_SW_PNS1_23onesweep_lookback_stateEbbT6_jjT7_P12ihipStream_tbENKUlT_T0_SK_SP_E_clIPfSE_SF_SF_EEDaS13_S14_SK_SP_EUlS13_E_NS1_11comp_targetILNS1_3genE4ELNS1_11target_archE910ELNS1_3gpuE8ELNS1_3repE0EEENS1_47radix_sort_onesweep_sort_config_static_selectorELNS0_4arch9wavefront6targetE0EEEvSK_
; %bb.0:
	.section	.rodata,"a",@progbits
	.p2align	6, 0x0
	.amdhsa_kernel _ZN7rocprim17ROCPRIM_400000_NS6detail17trampoline_kernelINS0_14default_configENS1_35radix_sort_onesweep_config_selectorIfNS0_10empty_typeEEEZZNS1_29radix_sort_onesweep_iterationIS3_Lb0EN6thrust23THRUST_200600_302600_NS6detail15normal_iteratorINS9_10device_ptrIfEEEESE_PS5_SF_jNS0_19identity_decomposerENS1_16block_id_wrapperIjLb0EEEEE10hipError_tT1_PNSt15iterator_traitsISK_E10value_typeET2_T3_PNSL_ISQ_E10value_typeET4_T5_PSV_SW_PNS1_23onesweep_lookback_stateEbbT6_jjT7_P12ihipStream_tbENKUlT_T0_SK_SP_E_clIPfSE_SF_SF_EEDaS13_S14_SK_SP_EUlS13_E_NS1_11comp_targetILNS1_3genE4ELNS1_11target_archE910ELNS1_3gpuE8ELNS1_3repE0EEENS1_47radix_sort_onesweep_sort_config_static_selectorELNS0_4arch9wavefront6targetE0EEEvSK_
		.amdhsa_group_segment_fixed_size 0
		.amdhsa_private_segment_fixed_size 0
		.amdhsa_kernarg_size 88
		.amdhsa_user_sgpr_count 6
		.amdhsa_user_sgpr_private_segment_buffer 1
		.amdhsa_user_sgpr_dispatch_ptr 0
		.amdhsa_user_sgpr_queue_ptr 0
		.amdhsa_user_sgpr_kernarg_segment_ptr 1
		.amdhsa_user_sgpr_dispatch_id 0
		.amdhsa_user_sgpr_flat_scratch_init 0
		.amdhsa_user_sgpr_private_segment_size 0
		.amdhsa_wavefront_size32 1
		.amdhsa_uses_dynamic_stack 0
		.amdhsa_system_sgpr_private_segment_wavefront_offset 0
		.amdhsa_system_sgpr_workgroup_id_x 1
		.amdhsa_system_sgpr_workgroup_id_y 0
		.amdhsa_system_sgpr_workgroup_id_z 0
		.amdhsa_system_sgpr_workgroup_info 0
		.amdhsa_system_vgpr_workitem_id 0
		.amdhsa_next_free_vgpr 1
		.amdhsa_next_free_sgpr 1
		.amdhsa_reserve_vcc 0
		.amdhsa_reserve_flat_scratch 0
		.amdhsa_float_round_mode_32 0
		.amdhsa_float_round_mode_16_64 0
		.amdhsa_float_denorm_mode_32 3
		.amdhsa_float_denorm_mode_16_64 3
		.amdhsa_dx10_clamp 1
		.amdhsa_ieee_mode 1
		.amdhsa_fp16_overflow 0
		.amdhsa_workgroup_processor_mode 1
		.amdhsa_memory_ordered 1
		.amdhsa_forward_progress 1
		.amdhsa_shared_vgpr_count 0
		.amdhsa_exception_fp_ieee_invalid_op 0
		.amdhsa_exception_fp_denorm_src 0
		.amdhsa_exception_fp_ieee_div_zero 0
		.amdhsa_exception_fp_ieee_overflow 0
		.amdhsa_exception_fp_ieee_underflow 0
		.amdhsa_exception_fp_ieee_inexact 0
		.amdhsa_exception_int_div_zero 0
	.end_amdhsa_kernel
	.section	.text._ZN7rocprim17ROCPRIM_400000_NS6detail17trampoline_kernelINS0_14default_configENS1_35radix_sort_onesweep_config_selectorIfNS0_10empty_typeEEEZZNS1_29radix_sort_onesweep_iterationIS3_Lb0EN6thrust23THRUST_200600_302600_NS6detail15normal_iteratorINS9_10device_ptrIfEEEESE_PS5_SF_jNS0_19identity_decomposerENS1_16block_id_wrapperIjLb0EEEEE10hipError_tT1_PNSt15iterator_traitsISK_E10value_typeET2_T3_PNSL_ISQ_E10value_typeET4_T5_PSV_SW_PNS1_23onesweep_lookback_stateEbbT6_jjT7_P12ihipStream_tbENKUlT_T0_SK_SP_E_clIPfSE_SF_SF_EEDaS13_S14_SK_SP_EUlS13_E_NS1_11comp_targetILNS1_3genE4ELNS1_11target_archE910ELNS1_3gpuE8ELNS1_3repE0EEENS1_47radix_sort_onesweep_sort_config_static_selectorELNS0_4arch9wavefront6targetE0EEEvSK_,"axG",@progbits,_ZN7rocprim17ROCPRIM_400000_NS6detail17trampoline_kernelINS0_14default_configENS1_35radix_sort_onesweep_config_selectorIfNS0_10empty_typeEEEZZNS1_29radix_sort_onesweep_iterationIS3_Lb0EN6thrust23THRUST_200600_302600_NS6detail15normal_iteratorINS9_10device_ptrIfEEEESE_PS5_SF_jNS0_19identity_decomposerENS1_16block_id_wrapperIjLb0EEEEE10hipError_tT1_PNSt15iterator_traitsISK_E10value_typeET2_T3_PNSL_ISQ_E10value_typeET4_T5_PSV_SW_PNS1_23onesweep_lookback_stateEbbT6_jjT7_P12ihipStream_tbENKUlT_T0_SK_SP_E_clIPfSE_SF_SF_EEDaS13_S14_SK_SP_EUlS13_E_NS1_11comp_targetILNS1_3genE4ELNS1_11target_archE910ELNS1_3gpuE8ELNS1_3repE0EEENS1_47radix_sort_onesweep_sort_config_static_selectorELNS0_4arch9wavefront6targetE0EEEvSK_,comdat
.Lfunc_end608:
	.size	_ZN7rocprim17ROCPRIM_400000_NS6detail17trampoline_kernelINS0_14default_configENS1_35radix_sort_onesweep_config_selectorIfNS0_10empty_typeEEEZZNS1_29radix_sort_onesweep_iterationIS3_Lb0EN6thrust23THRUST_200600_302600_NS6detail15normal_iteratorINS9_10device_ptrIfEEEESE_PS5_SF_jNS0_19identity_decomposerENS1_16block_id_wrapperIjLb0EEEEE10hipError_tT1_PNSt15iterator_traitsISK_E10value_typeET2_T3_PNSL_ISQ_E10value_typeET4_T5_PSV_SW_PNS1_23onesweep_lookback_stateEbbT6_jjT7_P12ihipStream_tbENKUlT_T0_SK_SP_E_clIPfSE_SF_SF_EEDaS13_S14_SK_SP_EUlS13_E_NS1_11comp_targetILNS1_3genE4ELNS1_11target_archE910ELNS1_3gpuE8ELNS1_3repE0EEENS1_47radix_sort_onesweep_sort_config_static_selectorELNS0_4arch9wavefront6targetE0EEEvSK_, .Lfunc_end608-_ZN7rocprim17ROCPRIM_400000_NS6detail17trampoline_kernelINS0_14default_configENS1_35radix_sort_onesweep_config_selectorIfNS0_10empty_typeEEEZZNS1_29radix_sort_onesweep_iterationIS3_Lb0EN6thrust23THRUST_200600_302600_NS6detail15normal_iteratorINS9_10device_ptrIfEEEESE_PS5_SF_jNS0_19identity_decomposerENS1_16block_id_wrapperIjLb0EEEEE10hipError_tT1_PNSt15iterator_traitsISK_E10value_typeET2_T3_PNSL_ISQ_E10value_typeET4_T5_PSV_SW_PNS1_23onesweep_lookback_stateEbbT6_jjT7_P12ihipStream_tbENKUlT_T0_SK_SP_E_clIPfSE_SF_SF_EEDaS13_S14_SK_SP_EUlS13_E_NS1_11comp_targetILNS1_3genE4ELNS1_11target_archE910ELNS1_3gpuE8ELNS1_3repE0EEENS1_47radix_sort_onesweep_sort_config_static_selectorELNS0_4arch9wavefront6targetE0EEEvSK_
                                        ; -- End function
	.set _ZN7rocprim17ROCPRIM_400000_NS6detail17trampoline_kernelINS0_14default_configENS1_35radix_sort_onesweep_config_selectorIfNS0_10empty_typeEEEZZNS1_29radix_sort_onesweep_iterationIS3_Lb0EN6thrust23THRUST_200600_302600_NS6detail15normal_iteratorINS9_10device_ptrIfEEEESE_PS5_SF_jNS0_19identity_decomposerENS1_16block_id_wrapperIjLb0EEEEE10hipError_tT1_PNSt15iterator_traitsISK_E10value_typeET2_T3_PNSL_ISQ_E10value_typeET4_T5_PSV_SW_PNS1_23onesweep_lookback_stateEbbT6_jjT7_P12ihipStream_tbENKUlT_T0_SK_SP_E_clIPfSE_SF_SF_EEDaS13_S14_SK_SP_EUlS13_E_NS1_11comp_targetILNS1_3genE4ELNS1_11target_archE910ELNS1_3gpuE8ELNS1_3repE0EEENS1_47radix_sort_onesweep_sort_config_static_selectorELNS0_4arch9wavefront6targetE0EEEvSK_.num_vgpr, 0
	.set _ZN7rocprim17ROCPRIM_400000_NS6detail17trampoline_kernelINS0_14default_configENS1_35radix_sort_onesweep_config_selectorIfNS0_10empty_typeEEEZZNS1_29radix_sort_onesweep_iterationIS3_Lb0EN6thrust23THRUST_200600_302600_NS6detail15normal_iteratorINS9_10device_ptrIfEEEESE_PS5_SF_jNS0_19identity_decomposerENS1_16block_id_wrapperIjLb0EEEEE10hipError_tT1_PNSt15iterator_traitsISK_E10value_typeET2_T3_PNSL_ISQ_E10value_typeET4_T5_PSV_SW_PNS1_23onesweep_lookback_stateEbbT6_jjT7_P12ihipStream_tbENKUlT_T0_SK_SP_E_clIPfSE_SF_SF_EEDaS13_S14_SK_SP_EUlS13_E_NS1_11comp_targetILNS1_3genE4ELNS1_11target_archE910ELNS1_3gpuE8ELNS1_3repE0EEENS1_47radix_sort_onesweep_sort_config_static_selectorELNS0_4arch9wavefront6targetE0EEEvSK_.num_agpr, 0
	.set _ZN7rocprim17ROCPRIM_400000_NS6detail17trampoline_kernelINS0_14default_configENS1_35radix_sort_onesweep_config_selectorIfNS0_10empty_typeEEEZZNS1_29radix_sort_onesweep_iterationIS3_Lb0EN6thrust23THRUST_200600_302600_NS6detail15normal_iteratorINS9_10device_ptrIfEEEESE_PS5_SF_jNS0_19identity_decomposerENS1_16block_id_wrapperIjLb0EEEEE10hipError_tT1_PNSt15iterator_traitsISK_E10value_typeET2_T3_PNSL_ISQ_E10value_typeET4_T5_PSV_SW_PNS1_23onesweep_lookback_stateEbbT6_jjT7_P12ihipStream_tbENKUlT_T0_SK_SP_E_clIPfSE_SF_SF_EEDaS13_S14_SK_SP_EUlS13_E_NS1_11comp_targetILNS1_3genE4ELNS1_11target_archE910ELNS1_3gpuE8ELNS1_3repE0EEENS1_47radix_sort_onesweep_sort_config_static_selectorELNS0_4arch9wavefront6targetE0EEEvSK_.numbered_sgpr, 0
	.set _ZN7rocprim17ROCPRIM_400000_NS6detail17trampoline_kernelINS0_14default_configENS1_35radix_sort_onesweep_config_selectorIfNS0_10empty_typeEEEZZNS1_29radix_sort_onesweep_iterationIS3_Lb0EN6thrust23THRUST_200600_302600_NS6detail15normal_iteratorINS9_10device_ptrIfEEEESE_PS5_SF_jNS0_19identity_decomposerENS1_16block_id_wrapperIjLb0EEEEE10hipError_tT1_PNSt15iterator_traitsISK_E10value_typeET2_T3_PNSL_ISQ_E10value_typeET4_T5_PSV_SW_PNS1_23onesweep_lookback_stateEbbT6_jjT7_P12ihipStream_tbENKUlT_T0_SK_SP_E_clIPfSE_SF_SF_EEDaS13_S14_SK_SP_EUlS13_E_NS1_11comp_targetILNS1_3genE4ELNS1_11target_archE910ELNS1_3gpuE8ELNS1_3repE0EEENS1_47radix_sort_onesweep_sort_config_static_selectorELNS0_4arch9wavefront6targetE0EEEvSK_.num_named_barrier, 0
	.set _ZN7rocprim17ROCPRIM_400000_NS6detail17trampoline_kernelINS0_14default_configENS1_35radix_sort_onesweep_config_selectorIfNS0_10empty_typeEEEZZNS1_29radix_sort_onesweep_iterationIS3_Lb0EN6thrust23THRUST_200600_302600_NS6detail15normal_iteratorINS9_10device_ptrIfEEEESE_PS5_SF_jNS0_19identity_decomposerENS1_16block_id_wrapperIjLb0EEEEE10hipError_tT1_PNSt15iterator_traitsISK_E10value_typeET2_T3_PNSL_ISQ_E10value_typeET4_T5_PSV_SW_PNS1_23onesweep_lookback_stateEbbT6_jjT7_P12ihipStream_tbENKUlT_T0_SK_SP_E_clIPfSE_SF_SF_EEDaS13_S14_SK_SP_EUlS13_E_NS1_11comp_targetILNS1_3genE4ELNS1_11target_archE910ELNS1_3gpuE8ELNS1_3repE0EEENS1_47radix_sort_onesweep_sort_config_static_selectorELNS0_4arch9wavefront6targetE0EEEvSK_.private_seg_size, 0
	.set _ZN7rocprim17ROCPRIM_400000_NS6detail17trampoline_kernelINS0_14default_configENS1_35radix_sort_onesweep_config_selectorIfNS0_10empty_typeEEEZZNS1_29radix_sort_onesweep_iterationIS3_Lb0EN6thrust23THRUST_200600_302600_NS6detail15normal_iteratorINS9_10device_ptrIfEEEESE_PS5_SF_jNS0_19identity_decomposerENS1_16block_id_wrapperIjLb0EEEEE10hipError_tT1_PNSt15iterator_traitsISK_E10value_typeET2_T3_PNSL_ISQ_E10value_typeET4_T5_PSV_SW_PNS1_23onesweep_lookback_stateEbbT6_jjT7_P12ihipStream_tbENKUlT_T0_SK_SP_E_clIPfSE_SF_SF_EEDaS13_S14_SK_SP_EUlS13_E_NS1_11comp_targetILNS1_3genE4ELNS1_11target_archE910ELNS1_3gpuE8ELNS1_3repE0EEENS1_47radix_sort_onesweep_sort_config_static_selectorELNS0_4arch9wavefront6targetE0EEEvSK_.uses_vcc, 0
	.set _ZN7rocprim17ROCPRIM_400000_NS6detail17trampoline_kernelINS0_14default_configENS1_35radix_sort_onesweep_config_selectorIfNS0_10empty_typeEEEZZNS1_29radix_sort_onesweep_iterationIS3_Lb0EN6thrust23THRUST_200600_302600_NS6detail15normal_iteratorINS9_10device_ptrIfEEEESE_PS5_SF_jNS0_19identity_decomposerENS1_16block_id_wrapperIjLb0EEEEE10hipError_tT1_PNSt15iterator_traitsISK_E10value_typeET2_T3_PNSL_ISQ_E10value_typeET4_T5_PSV_SW_PNS1_23onesweep_lookback_stateEbbT6_jjT7_P12ihipStream_tbENKUlT_T0_SK_SP_E_clIPfSE_SF_SF_EEDaS13_S14_SK_SP_EUlS13_E_NS1_11comp_targetILNS1_3genE4ELNS1_11target_archE910ELNS1_3gpuE8ELNS1_3repE0EEENS1_47radix_sort_onesweep_sort_config_static_selectorELNS0_4arch9wavefront6targetE0EEEvSK_.uses_flat_scratch, 0
	.set _ZN7rocprim17ROCPRIM_400000_NS6detail17trampoline_kernelINS0_14default_configENS1_35radix_sort_onesweep_config_selectorIfNS0_10empty_typeEEEZZNS1_29radix_sort_onesweep_iterationIS3_Lb0EN6thrust23THRUST_200600_302600_NS6detail15normal_iteratorINS9_10device_ptrIfEEEESE_PS5_SF_jNS0_19identity_decomposerENS1_16block_id_wrapperIjLb0EEEEE10hipError_tT1_PNSt15iterator_traitsISK_E10value_typeET2_T3_PNSL_ISQ_E10value_typeET4_T5_PSV_SW_PNS1_23onesweep_lookback_stateEbbT6_jjT7_P12ihipStream_tbENKUlT_T0_SK_SP_E_clIPfSE_SF_SF_EEDaS13_S14_SK_SP_EUlS13_E_NS1_11comp_targetILNS1_3genE4ELNS1_11target_archE910ELNS1_3gpuE8ELNS1_3repE0EEENS1_47radix_sort_onesweep_sort_config_static_selectorELNS0_4arch9wavefront6targetE0EEEvSK_.has_dyn_sized_stack, 0
	.set _ZN7rocprim17ROCPRIM_400000_NS6detail17trampoline_kernelINS0_14default_configENS1_35radix_sort_onesweep_config_selectorIfNS0_10empty_typeEEEZZNS1_29radix_sort_onesweep_iterationIS3_Lb0EN6thrust23THRUST_200600_302600_NS6detail15normal_iteratorINS9_10device_ptrIfEEEESE_PS5_SF_jNS0_19identity_decomposerENS1_16block_id_wrapperIjLb0EEEEE10hipError_tT1_PNSt15iterator_traitsISK_E10value_typeET2_T3_PNSL_ISQ_E10value_typeET4_T5_PSV_SW_PNS1_23onesweep_lookback_stateEbbT6_jjT7_P12ihipStream_tbENKUlT_T0_SK_SP_E_clIPfSE_SF_SF_EEDaS13_S14_SK_SP_EUlS13_E_NS1_11comp_targetILNS1_3genE4ELNS1_11target_archE910ELNS1_3gpuE8ELNS1_3repE0EEENS1_47radix_sort_onesweep_sort_config_static_selectorELNS0_4arch9wavefront6targetE0EEEvSK_.has_recursion, 0
	.set _ZN7rocprim17ROCPRIM_400000_NS6detail17trampoline_kernelINS0_14default_configENS1_35radix_sort_onesweep_config_selectorIfNS0_10empty_typeEEEZZNS1_29radix_sort_onesweep_iterationIS3_Lb0EN6thrust23THRUST_200600_302600_NS6detail15normal_iteratorINS9_10device_ptrIfEEEESE_PS5_SF_jNS0_19identity_decomposerENS1_16block_id_wrapperIjLb0EEEEE10hipError_tT1_PNSt15iterator_traitsISK_E10value_typeET2_T3_PNSL_ISQ_E10value_typeET4_T5_PSV_SW_PNS1_23onesweep_lookback_stateEbbT6_jjT7_P12ihipStream_tbENKUlT_T0_SK_SP_E_clIPfSE_SF_SF_EEDaS13_S14_SK_SP_EUlS13_E_NS1_11comp_targetILNS1_3genE4ELNS1_11target_archE910ELNS1_3gpuE8ELNS1_3repE0EEENS1_47radix_sort_onesweep_sort_config_static_selectorELNS0_4arch9wavefront6targetE0EEEvSK_.has_indirect_call, 0
	.section	.AMDGPU.csdata,"",@progbits
; Kernel info:
; codeLenInByte = 0
; TotalNumSgprs: 0
; NumVgprs: 0
; ScratchSize: 0
; MemoryBound: 0
; FloatMode: 240
; IeeeMode: 1
; LDSByteSize: 0 bytes/workgroup (compile time only)
; SGPRBlocks: 0
; VGPRBlocks: 0
; NumSGPRsForWavesPerEU: 1
; NumVGPRsForWavesPerEU: 1
; Occupancy: 16
; WaveLimiterHint : 0
; COMPUTE_PGM_RSRC2:SCRATCH_EN: 0
; COMPUTE_PGM_RSRC2:USER_SGPR: 6
; COMPUTE_PGM_RSRC2:TRAP_HANDLER: 0
; COMPUTE_PGM_RSRC2:TGID_X_EN: 1
; COMPUTE_PGM_RSRC2:TGID_Y_EN: 0
; COMPUTE_PGM_RSRC2:TGID_Z_EN: 0
; COMPUTE_PGM_RSRC2:TIDIG_COMP_CNT: 0
	.section	.text._ZN7rocprim17ROCPRIM_400000_NS6detail17trampoline_kernelINS0_14default_configENS1_35radix_sort_onesweep_config_selectorIfNS0_10empty_typeEEEZZNS1_29radix_sort_onesweep_iterationIS3_Lb0EN6thrust23THRUST_200600_302600_NS6detail15normal_iteratorINS9_10device_ptrIfEEEESE_PS5_SF_jNS0_19identity_decomposerENS1_16block_id_wrapperIjLb0EEEEE10hipError_tT1_PNSt15iterator_traitsISK_E10value_typeET2_T3_PNSL_ISQ_E10value_typeET4_T5_PSV_SW_PNS1_23onesweep_lookback_stateEbbT6_jjT7_P12ihipStream_tbENKUlT_T0_SK_SP_E_clIPfSE_SF_SF_EEDaS13_S14_SK_SP_EUlS13_E_NS1_11comp_targetILNS1_3genE3ELNS1_11target_archE908ELNS1_3gpuE7ELNS1_3repE0EEENS1_47radix_sort_onesweep_sort_config_static_selectorELNS0_4arch9wavefront6targetE0EEEvSK_,"axG",@progbits,_ZN7rocprim17ROCPRIM_400000_NS6detail17trampoline_kernelINS0_14default_configENS1_35radix_sort_onesweep_config_selectorIfNS0_10empty_typeEEEZZNS1_29radix_sort_onesweep_iterationIS3_Lb0EN6thrust23THRUST_200600_302600_NS6detail15normal_iteratorINS9_10device_ptrIfEEEESE_PS5_SF_jNS0_19identity_decomposerENS1_16block_id_wrapperIjLb0EEEEE10hipError_tT1_PNSt15iterator_traitsISK_E10value_typeET2_T3_PNSL_ISQ_E10value_typeET4_T5_PSV_SW_PNS1_23onesweep_lookback_stateEbbT6_jjT7_P12ihipStream_tbENKUlT_T0_SK_SP_E_clIPfSE_SF_SF_EEDaS13_S14_SK_SP_EUlS13_E_NS1_11comp_targetILNS1_3genE3ELNS1_11target_archE908ELNS1_3gpuE7ELNS1_3repE0EEENS1_47radix_sort_onesweep_sort_config_static_selectorELNS0_4arch9wavefront6targetE0EEEvSK_,comdat
	.protected	_ZN7rocprim17ROCPRIM_400000_NS6detail17trampoline_kernelINS0_14default_configENS1_35radix_sort_onesweep_config_selectorIfNS0_10empty_typeEEEZZNS1_29radix_sort_onesweep_iterationIS3_Lb0EN6thrust23THRUST_200600_302600_NS6detail15normal_iteratorINS9_10device_ptrIfEEEESE_PS5_SF_jNS0_19identity_decomposerENS1_16block_id_wrapperIjLb0EEEEE10hipError_tT1_PNSt15iterator_traitsISK_E10value_typeET2_T3_PNSL_ISQ_E10value_typeET4_T5_PSV_SW_PNS1_23onesweep_lookback_stateEbbT6_jjT7_P12ihipStream_tbENKUlT_T0_SK_SP_E_clIPfSE_SF_SF_EEDaS13_S14_SK_SP_EUlS13_E_NS1_11comp_targetILNS1_3genE3ELNS1_11target_archE908ELNS1_3gpuE7ELNS1_3repE0EEENS1_47radix_sort_onesweep_sort_config_static_selectorELNS0_4arch9wavefront6targetE0EEEvSK_ ; -- Begin function _ZN7rocprim17ROCPRIM_400000_NS6detail17trampoline_kernelINS0_14default_configENS1_35radix_sort_onesweep_config_selectorIfNS0_10empty_typeEEEZZNS1_29radix_sort_onesweep_iterationIS3_Lb0EN6thrust23THRUST_200600_302600_NS6detail15normal_iteratorINS9_10device_ptrIfEEEESE_PS5_SF_jNS0_19identity_decomposerENS1_16block_id_wrapperIjLb0EEEEE10hipError_tT1_PNSt15iterator_traitsISK_E10value_typeET2_T3_PNSL_ISQ_E10value_typeET4_T5_PSV_SW_PNS1_23onesweep_lookback_stateEbbT6_jjT7_P12ihipStream_tbENKUlT_T0_SK_SP_E_clIPfSE_SF_SF_EEDaS13_S14_SK_SP_EUlS13_E_NS1_11comp_targetILNS1_3genE3ELNS1_11target_archE908ELNS1_3gpuE7ELNS1_3repE0EEENS1_47radix_sort_onesweep_sort_config_static_selectorELNS0_4arch9wavefront6targetE0EEEvSK_
	.globl	_ZN7rocprim17ROCPRIM_400000_NS6detail17trampoline_kernelINS0_14default_configENS1_35radix_sort_onesweep_config_selectorIfNS0_10empty_typeEEEZZNS1_29radix_sort_onesweep_iterationIS3_Lb0EN6thrust23THRUST_200600_302600_NS6detail15normal_iteratorINS9_10device_ptrIfEEEESE_PS5_SF_jNS0_19identity_decomposerENS1_16block_id_wrapperIjLb0EEEEE10hipError_tT1_PNSt15iterator_traitsISK_E10value_typeET2_T3_PNSL_ISQ_E10value_typeET4_T5_PSV_SW_PNS1_23onesweep_lookback_stateEbbT6_jjT7_P12ihipStream_tbENKUlT_T0_SK_SP_E_clIPfSE_SF_SF_EEDaS13_S14_SK_SP_EUlS13_E_NS1_11comp_targetILNS1_3genE3ELNS1_11target_archE908ELNS1_3gpuE7ELNS1_3repE0EEENS1_47radix_sort_onesweep_sort_config_static_selectorELNS0_4arch9wavefront6targetE0EEEvSK_
	.p2align	8
	.type	_ZN7rocprim17ROCPRIM_400000_NS6detail17trampoline_kernelINS0_14default_configENS1_35radix_sort_onesweep_config_selectorIfNS0_10empty_typeEEEZZNS1_29radix_sort_onesweep_iterationIS3_Lb0EN6thrust23THRUST_200600_302600_NS6detail15normal_iteratorINS9_10device_ptrIfEEEESE_PS5_SF_jNS0_19identity_decomposerENS1_16block_id_wrapperIjLb0EEEEE10hipError_tT1_PNSt15iterator_traitsISK_E10value_typeET2_T3_PNSL_ISQ_E10value_typeET4_T5_PSV_SW_PNS1_23onesweep_lookback_stateEbbT6_jjT7_P12ihipStream_tbENKUlT_T0_SK_SP_E_clIPfSE_SF_SF_EEDaS13_S14_SK_SP_EUlS13_E_NS1_11comp_targetILNS1_3genE3ELNS1_11target_archE908ELNS1_3gpuE7ELNS1_3repE0EEENS1_47radix_sort_onesweep_sort_config_static_selectorELNS0_4arch9wavefront6targetE0EEEvSK_,@function
_ZN7rocprim17ROCPRIM_400000_NS6detail17trampoline_kernelINS0_14default_configENS1_35radix_sort_onesweep_config_selectorIfNS0_10empty_typeEEEZZNS1_29radix_sort_onesweep_iterationIS3_Lb0EN6thrust23THRUST_200600_302600_NS6detail15normal_iteratorINS9_10device_ptrIfEEEESE_PS5_SF_jNS0_19identity_decomposerENS1_16block_id_wrapperIjLb0EEEEE10hipError_tT1_PNSt15iterator_traitsISK_E10value_typeET2_T3_PNSL_ISQ_E10value_typeET4_T5_PSV_SW_PNS1_23onesweep_lookback_stateEbbT6_jjT7_P12ihipStream_tbENKUlT_T0_SK_SP_E_clIPfSE_SF_SF_EEDaS13_S14_SK_SP_EUlS13_E_NS1_11comp_targetILNS1_3genE3ELNS1_11target_archE908ELNS1_3gpuE7ELNS1_3repE0EEENS1_47radix_sort_onesweep_sort_config_static_selectorELNS0_4arch9wavefront6targetE0EEEvSK_: ; @_ZN7rocprim17ROCPRIM_400000_NS6detail17trampoline_kernelINS0_14default_configENS1_35radix_sort_onesweep_config_selectorIfNS0_10empty_typeEEEZZNS1_29radix_sort_onesweep_iterationIS3_Lb0EN6thrust23THRUST_200600_302600_NS6detail15normal_iteratorINS9_10device_ptrIfEEEESE_PS5_SF_jNS0_19identity_decomposerENS1_16block_id_wrapperIjLb0EEEEE10hipError_tT1_PNSt15iterator_traitsISK_E10value_typeET2_T3_PNSL_ISQ_E10value_typeET4_T5_PSV_SW_PNS1_23onesweep_lookback_stateEbbT6_jjT7_P12ihipStream_tbENKUlT_T0_SK_SP_E_clIPfSE_SF_SF_EEDaS13_S14_SK_SP_EUlS13_E_NS1_11comp_targetILNS1_3genE3ELNS1_11target_archE908ELNS1_3gpuE7ELNS1_3repE0EEENS1_47radix_sort_onesweep_sort_config_static_selectorELNS0_4arch9wavefront6targetE0EEEvSK_
; %bb.0:
	.section	.rodata,"a",@progbits
	.p2align	6, 0x0
	.amdhsa_kernel _ZN7rocprim17ROCPRIM_400000_NS6detail17trampoline_kernelINS0_14default_configENS1_35radix_sort_onesweep_config_selectorIfNS0_10empty_typeEEEZZNS1_29radix_sort_onesweep_iterationIS3_Lb0EN6thrust23THRUST_200600_302600_NS6detail15normal_iteratorINS9_10device_ptrIfEEEESE_PS5_SF_jNS0_19identity_decomposerENS1_16block_id_wrapperIjLb0EEEEE10hipError_tT1_PNSt15iterator_traitsISK_E10value_typeET2_T3_PNSL_ISQ_E10value_typeET4_T5_PSV_SW_PNS1_23onesweep_lookback_stateEbbT6_jjT7_P12ihipStream_tbENKUlT_T0_SK_SP_E_clIPfSE_SF_SF_EEDaS13_S14_SK_SP_EUlS13_E_NS1_11comp_targetILNS1_3genE3ELNS1_11target_archE908ELNS1_3gpuE7ELNS1_3repE0EEENS1_47radix_sort_onesweep_sort_config_static_selectorELNS0_4arch9wavefront6targetE0EEEvSK_
		.amdhsa_group_segment_fixed_size 0
		.amdhsa_private_segment_fixed_size 0
		.amdhsa_kernarg_size 88
		.amdhsa_user_sgpr_count 6
		.amdhsa_user_sgpr_private_segment_buffer 1
		.amdhsa_user_sgpr_dispatch_ptr 0
		.amdhsa_user_sgpr_queue_ptr 0
		.amdhsa_user_sgpr_kernarg_segment_ptr 1
		.amdhsa_user_sgpr_dispatch_id 0
		.amdhsa_user_sgpr_flat_scratch_init 0
		.amdhsa_user_sgpr_private_segment_size 0
		.amdhsa_wavefront_size32 1
		.amdhsa_uses_dynamic_stack 0
		.amdhsa_system_sgpr_private_segment_wavefront_offset 0
		.amdhsa_system_sgpr_workgroup_id_x 1
		.amdhsa_system_sgpr_workgroup_id_y 0
		.amdhsa_system_sgpr_workgroup_id_z 0
		.amdhsa_system_sgpr_workgroup_info 0
		.amdhsa_system_vgpr_workitem_id 0
		.amdhsa_next_free_vgpr 1
		.amdhsa_next_free_sgpr 1
		.amdhsa_reserve_vcc 0
		.amdhsa_reserve_flat_scratch 0
		.amdhsa_float_round_mode_32 0
		.amdhsa_float_round_mode_16_64 0
		.amdhsa_float_denorm_mode_32 3
		.amdhsa_float_denorm_mode_16_64 3
		.amdhsa_dx10_clamp 1
		.amdhsa_ieee_mode 1
		.amdhsa_fp16_overflow 0
		.amdhsa_workgroup_processor_mode 1
		.amdhsa_memory_ordered 1
		.amdhsa_forward_progress 1
		.amdhsa_shared_vgpr_count 0
		.amdhsa_exception_fp_ieee_invalid_op 0
		.amdhsa_exception_fp_denorm_src 0
		.amdhsa_exception_fp_ieee_div_zero 0
		.amdhsa_exception_fp_ieee_overflow 0
		.amdhsa_exception_fp_ieee_underflow 0
		.amdhsa_exception_fp_ieee_inexact 0
		.amdhsa_exception_int_div_zero 0
	.end_amdhsa_kernel
	.section	.text._ZN7rocprim17ROCPRIM_400000_NS6detail17trampoline_kernelINS0_14default_configENS1_35radix_sort_onesweep_config_selectorIfNS0_10empty_typeEEEZZNS1_29radix_sort_onesweep_iterationIS3_Lb0EN6thrust23THRUST_200600_302600_NS6detail15normal_iteratorINS9_10device_ptrIfEEEESE_PS5_SF_jNS0_19identity_decomposerENS1_16block_id_wrapperIjLb0EEEEE10hipError_tT1_PNSt15iterator_traitsISK_E10value_typeET2_T3_PNSL_ISQ_E10value_typeET4_T5_PSV_SW_PNS1_23onesweep_lookback_stateEbbT6_jjT7_P12ihipStream_tbENKUlT_T0_SK_SP_E_clIPfSE_SF_SF_EEDaS13_S14_SK_SP_EUlS13_E_NS1_11comp_targetILNS1_3genE3ELNS1_11target_archE908ELNS1_3gpuE7ELNS1_3repE0EEENS1_47radix_sort_onesweep_sort_config_static_selectorELNS0_4arch9wavefront6targetE0EEEvSK_,"axG",@progbits,_ZN7rocprim17ROCPRIM_400000_NS6detail17trampoline_kernelINS0_14default_configENS1_35radix_sort_onesweep_config_selectorIfNS0_10empty_typeEEEZZNS1_29radix_sort_onesweep_iterationIS3_Lb0EN6thrust23THRUST_200600_302600_NS6detail15normal_iteratorINS9_10device_ptrIfEEEESE_PS5_SF_jNS0_19identity_decomposerENS1_16block_id_wrapperIjLb0EEEEE10hipError_tT1_PNSt15iterator_traitsISK_E10value_typeET2_T3_PNSL_ISQ_E10value_typeET4_T5_PSV_SW_PNS1_23onesweep_lookback_stateEbbT6_jjT7_P12ihipStream_tbENKUlT_T0_SK_SP_E_clIPfSE_SF_SF_EEDaS13_S14_SK_SP_EUlS13_E_NS1_11comp_targetILNS1_3genE3ELNS1_11target_archE908ELNS1_3gpuE7ELNS1_3repE0EEENS1_47radix_sort_onesweep_sort_config_static_selectorELNS0_4arch9wavefront6targetE0EEEvSK_,comdat
.Lfunc_end609:
	.size	_ZN7rocprim17ROCPRIM_400000_NS6detail17trampoline_kernelINS0_14default_configENS1_35radix_sort_onesweep_config_selectorIfNS0_10empty_typeEEEZZNS1_29radix_sort_onesweep_iterationIS3_Lb0EN6thrust23THRUST_200600_302600_NS6detail15normal_iteratorINS9_10device_ptrIfEEEESE_PS5_SF_jNS0_19identity_decomposerENS1_16block_id_wrapperIjLb0EEEEE10hipError_tT1_PNSt15iterator_traitsISK_E10value_typeET2_T3_PNSL_ISQ_E10value_typeET4_T5_PSV_SW_PNS1_23onesweep_lookback_stateEbbT6_jjT7_P12ihipStream_tbENKUlT_T0_SK_SP_E_clIPfSE_SF_SF_EEDaS13_S14_SK_SP_EUlS13_E_NS1_11comp_targetILNS1_3genE3ELNS1_11target_archE908ELNS1_3gpuE7ELNS1_3repE0EEENS1_47radix_sort_onesweep_sort_config_static_selectorELNS0_4arch9wavefront6targetE0EEEvSK_, .Lfunc_end609-_ZN7rocprim17ROCPRIM_400000_NS6detail17trampoline_kernelINS0_14default_configENS1_35radix_sort_onesweep_config_selectorIfNS0_10empty_typeEEEZZNS1_29radix_sort_onesweep_iterationIS3_Lb0EN6thrust23THRUST_200600_302600_NS6detail15normal_iteratorINS9_10device_ptrIfEEEESE_PS5_SF_jNS0_19identity_decomposerENS1_16block_id_wrapperIjLb0EEEEE10hipError_tT1_PNSt15iterator_traitsISK_E10value_typeET2_T3_PNSL_ISQ_E10value_typeET4_T5_PSV_SW_PNS1_23onesweep_lookback_stateEbbT6_jjT7_P12ihipStream_tbENKUlT_T0_SK_SP_E_clIPfSE_SF_SF_EEDaS13_S14_SK_SP_EUlS13_E_NS1_11comp_targetILNS1_3genE3ELNS1_11target_archE908ELNS1_3gpuE7ELNS1_3repE0EEENS1_47radix_sort_onesweep_sort_config_static_selectorELNS0_4arch9wavefront6targetE0EEEvSK_
                                        ; -- End function
	.set _ZN7rocprim17ROCPRIM_400000_NS6detail17trampoline_kernelINS0_14default_configENS1_35radix_sort_onesweep_config_selectorIfNS0_10empty_typeEEEZZNS1_29radix_sort_onesweep_iterationIS3_Lb0EN6thrust23THRUST_200600_302600_NS6detail15normal_iteratorINS9_10device_ptrIfEEEESE_PS5_SF_jNS0_19identity_decomposerENS1_16block_id_wrapperIjLb0EEEEE10hipError_tT1_PNSt15iterator_traitsISK_E10value_typeET2_T3_PNSL_ISQ_E10value_typeET4_T5_PSV_SW_PNS1_23onesweep_lookback_stateEbbT6_jjT7_P12ihipStream_tbENKUlT_T0_SK_SP_E_clIPfSE_SF_SF_EEDaS13_S14_SK_SP_EUlS13_E_NS1_11comp_targetILNS1_3genE3ELNS1_11target_archE908ELNS1_3gpuE7ELNS1_3repE0EEENS1_47radix_sort_onesweep_sort_config_static_selectorELNS0_4arch9wavefront6targetE0EEEvSK_.num_vgpr, 0
	.set _ZN7rocprim17ROCPRIM_400000_NS6detail17trampoline_kernelINS0_14default_configENS1_35radix_sort_onesweep_config_selectorIfNS0_10empty_typeEEEZZNS1_29radix_sort_onesweep_iterationIS3_Lb0EN6thrust23THRUST_200600_302600_NS6detail15normal_iteratorINS9_10device_ptrIfEEEESE_PS5_SF_jNS0_19identity_decomposerENS1_16block_id_wrapperIjLb0EEEEE10hipError_tT1_PNSt15iterator_traitsISK_E10value_typeET2_T3_PNSL_ISQ_E10value_typeET4_T5_PSV_SW_PNS1_23onesweep_lookback_stateEbbT6_jjT7_P12ihipStream_tbENKUlT_T0_SK_SP_E_clIPfSE_SF_SF_EEDaS13_S14_SK_SP_EUlS13_E_NS1_11comp_targetILNS1_3genE3ELNS1_11target_archE908ELNS1_3gpuE7ELNS1_3repE0EEENS1_47radix_sort_onesweep_sort_config_static_selectorELNS0_4arch9wavefront6targetE0EEEvSK_.num_agpr, 0
	.set _ZN7rocprim17ROCPRIM_400000_NS6detail17trampoline_kernelINS0_14default_configENS1_35radix_sort_onesweep_config_selectorIfNS0_10empty_typeEEEZZNS1_29radix_sort_onesweep_iterationIS3_Lb0EN6thrust23THRUST_200600_302600_NS6detail15normal_iteratorINS9_10device_ptrIfEEEESE_PS5_SF_jNS0_19identity_decomposerENS1_16block_id_wrapperIjLb0EEEEE10hipError_tT1_PNSt15iterator_traitsISK_E10value_typeET2_T3_PNSL_ISQ_E10value_typeET4_T5_PSV_SW_PNS1_23onesweep_lookback_stateEbbT6_jjT7_P12ihipStream_tbENKUlT_T0_SK_SP_E_clIPfSE_SF_SF_EEDaS13_S14_SK_SP_EUlS13_E_NS1_11comp_targetILNS1_3genE3ELNS1_11target_archE908ELNS1_3gpuE7ELNS1_3repE0EEENS1_47radix_sort_onesweep_sort_config_static_selectorELNS0_4arch9wavefront6targetE0EEEvSK_.numbered_sgpr, 0
	.set _ZN7rocprim17ROCPRIM_400000_NS6detail17trampoline_kernelINS0_14default_configENS1_35radix_sort_onesweep_config_selectorIfNS0_10empty_typeEEEZZNS1_29radix_sort_onesweep_iterationIS3_Lb0EN6thrust23THRUST_200600_302600_NS6detail15normal_iteratorINS9_10device_ptrIfEEEESE_PS5_SF_jNS0_19identity_decomposerENS1_16block_id_wrapperIjLb0EEEEE10hipError_tT1_PNSt15iterator_traitsISK_E10value_typeET2_T3_PNSL_ISQ_E10value_typeET4_T5_PSV_SW_PNS1_23onesweep_lookback_stateEbbT6_jjT7_P12ihipStream_tbENKUlT_T0_SK_SP_E_clIPfSE_SF_SF_EEDaS13_S14_SK_SP_EUlS13_E_NS1_11comp_targetILNS1_3genE3ELNS1_11target_archE908ELNS1_3gpuE7ELNS1_3repE0EEENS1_47radix_sort_onesweep_sort_config_static_selectorELNS0_4arch9wavefront6targetE0EEEvSK_.num_named_barrier, 0
	.set _ZN7rocprim17ROCPRIM_400000_NS6detail17trampoline_kernelINS0_14default_configENS1_35radix_sort_onesweep_config_selectorIfNS0_10empty_typeEEEZZNS1_29radix_sort_onesweep_iterationIS3_Lb0EN6thrust23THRUST_200600_302600_NS6detail15normal_iteratorINS9_10device_ptrIfEEEESE_PS5_SF_jNS0_19identity_decomposerENS1_16block_id_wrapperIjLb0EEEEE10hipError_tT1_PNSt15iterator_traitsISK_E10value_typeET2_T3_PNSL_ISQ_E10value_typeET4_T5_PSV_SW_PNS1_23onesweep_lookback_stateEbbT6_jjT7_P12ihipStream_tbENKUlT_T0_SK_SP_E_clIPfSE_SF_SF_EEDaS13_S14_SK_SP_EUlS13_E_NS1_11comp_targetILNS1_3genE3ELNS1_11target_archE908ELNS1_3gpuE7ELNS1_3repE0EEENS1_47radix_sort_onesweep_sort_config_static_selectorELNS0_4arch9wavefront6targetE0EEEvSK_.private_seg_size, 0
	.set _ZN7rocprim17ROCPRIM_400000_NS6detail17trampoline_kernelINS0_14default_configENS1_35radix_sort_onesweep_config_selectorIfNS0_10empty_typeEEEZZNS1_29radix_sort_onesweep_iterationIS3_Lb0EN6thrust23THRUST_200600_302600_NS6detail15normal_iteratorINS9_10device_ptrIfEEEESE_PS5_SF_jNS0_19identity_decomposerENS1_16block_id_wrapperIjLb0EEEEE10hipError_tT1_PNSt15iterator_traitsISK_E10value_typeET2_T3_PNSL_ISQ_E10value_typeET4_T5_PSV_SW_PNS1_23onesweep_lookback_stateEbbT6_jjT7_P12ihipStream_tbENKUlT_T0_SK_SP_E_clIPfSE_SF_SF_EEDaS13_S14_SK_SP_EUlS13_E_NS1_11comp_targetILNS1_3genE3ELNS1_11target_archE908ELNS1_3gpuE7ELNS1_3repE0EEENS1_47radix_sort_onesweep_sort_config_static_selectorELNS0_4arch9wavefront6targetE0EEEvSK_.uses_vcc, 0
	.set _ZN7rocprim17ROCPRIM_400000_NS6detail17trampoline_kernelINS0_14default_configENS1_35radix_sort_onesweep_config_selectorIfNS0_10empty_typeEEEZZNS1_29radix_sort_onesweep_iterationIS3_Lb0EN6thrust23THRUST_200600_302600_NS6detail15normal_iteratorINS9_10device_ptrIfEEEESE_PS5_SF_jNS0_19identity_decomposerENS1_16block_id_wrapperIjLb0EEEEE10hipError_tT1_PNSt15iterator_traitsISK_E10value_typeET2_T3_PNSL_ISQ_E10value_typeET4_T5_PSV_SW_PNS1_23onesweep_lookback_stateEbbT6_jjT7_P12ihipStream_tbENKUlT_T0_SK_SP_E_clIPfSE_SF_SF_EEDaS13_S14_SK_SP_EUlS13_E_NS1_11comp_targetILNS1_3genE3ELNS1_11target_archE908ELNS1_3gpuE7ELNS1_3repE0EEENS1_47radix_sort_onesweep_sort_config_static_selectorELNS0_4arch9wavefront6targetE0EEEvSK_.uses_flat_scratch, 0
	.set _ZN7rocprim17ROCPRIM_400000_NS6detail17trampoline_kernelINS0_14default_configENS1_35radix_sort_onesweep_config_selectorIfNS0_10empty_typeEEEZZNS1_29radix_sort_onesweep_iterationIS3_Lb0EN6thrust23THRUST_200600_302600_NS6detail15normal_iteratorINS9_10device_ptrIfEEEESE_PS5_SF_jNS0_19identity_decomposerENS1_16block_id_wrapperIjLb0EEEEE10hipError_tT1_PNSt15iterator_traitsISK_E10value_typeET2_T3_PNSL_ISQ_E10value_typeET4_T5_PSV_SW_PNS1_23onesweep_lookback_stateEbbT6_jjT7_P12ihipStream_tbENKUlT_T0_SK_SP_E_clIPfSE_SF_SF_EEDaS13_S14_SK_SP_EUlS13_E_NS1_11comp_targetILNS1_3genE3ELNS1_11target_archE908ELNS1_3gpuE7ELNS1_3repE0EEENS1_47radix_sort_onesweep_sort_config_static_selectorELNS0_4arch9wavefront6targetE0EEEvSK_.has_dyn_sized_stack, 0
	.set _ZN7rocprim17ROCPRIM_400000_NS6detail17trampoline_kernelINS0_14default_configENS1_35radix_sort_onesweep_config_selectorIfNS0_10empty_typeEEEZZNS1_29radix_sort_onesweep_iterationIS3_Lb0EN6thrust23THRUST_200600_302600_NS6detail15normal_iteratorINS9_10device_ptrIfEEEESE_PS5_SF_jNS0_19identity_decomposerENS1_16block_id_wrapperIjLb0EEEEE10hipError_tT1_PNSt15iterator_traitsISK_E10value_typeET2_T3_PNSL_ISQ_E10value_typeET4_T5_PSV_SW_PNS1_23onesweep_lookback_stateEbbT6_jjT7_P12ihipStream_tbENKUlT_T0_SK_SP_E_clIPfSE_SF_SF_EEDaS13_S14_SK_SP_EUlS13_E_NS1_11comp_targetILNS1_3genE3ELNS1_11target_archE908ELNS1_3gpuE7ELNS1_3repE0EEENS1_47radix_sort_onesweep_sort_config_static_selectorELNS0_4arch9wavefront6targetE0EEEvSK_.has_recursion, 0
	.set _ZN7rocprim17ROCPRIM_400000_NS6detail17trampoline_kernelINS0_14default_configENS1_35radix_sort_onesweep_config_selectorIfNS0_10empty_typeEEEZZNS1_29radix_sort_onesweep_iterationIS3_Lb0EN6thrust23THRUST_200600_302600_NS6detail15normal_iteratorINS9_10device_ptrIfEEEESE_PS5_SF_jNS0_19identity_decomposerENS1_16block_id_wrapperIjLb0EEEEE10hipError_tT1_PNSt15iterator_traitsISK_E10value_typeET2_T3_PNSL_ISQ_E10value_typeET4_T5_PSV_SW_PNS1_23onesweep_lookback_stateEbbT6_jjT7_P12ihipStream_tbENKUlT_T0_SK_SP_E_clIPfSE_SF_SF_EEDaS13_S14_SK_SP_EUlS13_E_NS1_11comp_targetILNS1_3genE3ELNS1_11target_archE908ELNS1_3gpuE7ELNS1_3repE0EEENS1_47radix_sort_onesweep_sort_config_static_selectorELNS0_4arch9wavefront6targetE0EEEvSK_.has_indirect_call, 0
	.section	.AMDGPU.csdata,"",@progbits
; Kernel info:
; codeLenInByte = 0
; TotalNumSgprs: 0
; NumVgprs: 0
; ScratchSize: 0
; MemoryBound: 0
; FloatMode: 240
; IeeeMode: 1
; LDSByteSize: 0 bytes/workgroup (compile time only)
; SGPRBlocks: 0
; VGPRBlocks: 0
; NumSGPRsForWavesPerEU: 1
; NumVGPRsForWavesPerEU: 1
; Occupancy: 16
; WaveLimiterHint : 0
; COMPUTE_PGM_RSRC2:SCRATCH_EN: 0
; COMPUTE_PGM_RSRC2:USER_SGPR: 6
; COMPUTE_PGM_RSRC2:TRAP_HANDLER: 0
; COMPUTE_PGM_RSRC2:TGID_X_EN: 1
; COMPUTE_PGM_RSRC2:TGID_Y_EN: 0
; COMPUTE_PGM_RSRC2:TGID_Z_EN: 0
; COMPUTE_PGM_RSRC2:TIDIG_COMP_CNT: 0
	.section	.text._ZN7rocprim17ROCPRIM_400000_NS6detail17trampoline_kernelINS0_14default_configENS1_35radix_sort_onesweep_config_selectorIfNS0_10empty_typeEEEZZNS1_29radix_sort_onesweep_iterationIS3_Lb0EN6thrust23THRUST_200600_302600_NS6detail15normal_iteratorINS9_10device_ptrIfEEEESE_PS5_SF_jNS0_19identity_decomposerENS1_16block_id_wrapperIjLb0EEEEE10hipError_tT1_PNSt15iterator_traitsISK_E10value_typeET2_T3_PNSL_ISQ_E10value_typeET4_T5_PSV_SW_PNS1_23onesweep_lookback_stateEbbT6_jjT7_P12ihipStream_tbENKUlT_T0_SK_SP_E_clIPfSE_SF_SF_EEDaS13_S14_SK_SP_EUlS13_E_NS1_11comp_targetILNS1_3genE10ELNS1_11target_archE1201ELNS1_3gpuE5ELNS1_3repE0EEENS1_47radix_sort_onesweep_sort_config_static_selectorELNS0_4arch9wavefront6targetE0EEEvSK_,"axG",@progbits,_ZN7rocprim17ROCPRIM_400000_NS6detail17trampoline_kernelINS0_14default_configENS1_35radix_sort_onesweep_config_selectorIfNS0_10empty_typeEEEZZNS1_29radix_sort_onesweep_iterationIS3_Lb0EN6thrust23THRUST_200600_302600_NS6detail15normal_iteratorINS9_10device_ptrIfEEEESE_PS5_SF_jNS0_19identity_decomposerENS1_16block_id_wrapperIjLb0EEEEE10hipError_tT1_PNSt15iterator_traitsISK_E10value_typeET2_T3_PNSL_ISQ_E10value_typeET4_T5_PSV_SW_PNS1_23onesweep_lookback_stateEbbT6_jjT7_P12ihipStream_tbENKUlT_T0_SK_SP_E_clIPfSE_SF_SF_EEDaS13_S14_SK_SP_EUlS13_E_NS1_11comp_targetILNS1_3genE10ELNS1_11target_archE1201ELNS1_3gpuE5ELNS1_3repE0EEENS1_47radix_sort_onesweep_sort_config_static_selectorELNS0_4arch9wavefront6targetE0EEEvSK_,comdat
	.protected	_ZN7rocprim17ROCPRIM_400000_NS6detail17trampoline_kernelINS0_14default_configENS1_35radix_sort_onesweep_config_selectorIfNS0_10empty_typeEEEZZNS1_29radix_sort_onesweep_iterationIS3_Lb0EN6thrust23THRUST_200600_302600_NS6detail15normal_iteratorINS9_10device_ptrIfEEEESE_PS5_SF_jNS0_19identity_decomposerENS1_16block_id_wrapperIjLb0EEEEE10hipError_tT1_PNSt15iterator_traitsISK_E10value_typeET2_T3_PNSL_ISQ_E10value_typeET4_T5_PSV_SW_PNS1_23onesweep_lookback_stateEbbT6_jjT7_P12ihipStream_tbENKUlT_T0_SK_SP_E_clIPfSE_SF_SF_EEDaS13_S14_SK_SP_EUlS13_E_NS1_11comp_targetILNS1_3genE10ELNS1_11target_archE1201ELNS1_3gpuE5ELNS1_3repE0EEENS1_47radix_sort_onesweep_sort_config_static_selectorELNS0_4arch9wavefront6targetE0EEEvSK_ ; -- Begin function _ZN7rocprim17ROCPRIM_400000_NS6detail17trampoline_kernelINS0_14default_configENS1_35radix_sort_onesweep_config_selectorIfNS0_10empty_typeEEEZZNS1_29radix_sort_onesweep_iterationIS3_Lb0EN6thrust23THRUST_200600_302600_NS6detail15normal_iteratorINS9_10device_ptrIfEEEESE_PS5_SF_jNS0_19identity_decomposerENS1_16block_id_wrapperIjLb0EEEEE10hipError_tT1_PNSt15iterator_traitsISK_E10value_typeET2_T3_PNSL_ISQ_E10value_typeET4_T5_PSV_SW_PNS1_23onesweep_lookback_stateEbbT6_jjT7_P12ihipStream_tbENKUlT_T0_SK_SP_E_clIPfSE_SF_SF_EEDaS13_S14_SK_SP_EUlS13_E_NS1_11comp_targetILNS1_3genE10ELNS1_11target_archE1201ELNS1_3gpuE5ELNS1_3repE0EEENS1_47radix_sort_onesweep_sort_config_static_selectorELNS0_4arch9wavefront6targetE0EEEvSK_
	.globl	_ZN7rocprim17ROCPRIM_400000_NS6detail17trampoline_kernelINS0_14default_configENS1_35radix_sort_onesweep_config_selectorIfNS0_10empty_typeEEEZZNS1_29radix_sort_onesweep_iterationIS3_Lb0EN6thrust23THRUST_200600_302600_NS6detail15normal_iteratorINS9_10device_ptrIfEEEESE_PS5_SF_jNS0_19identity_decomposerENS1_16block_id_wrapperIjLb0EEEEE10hipError_tT1_PNSt15iterator_traitsISK_E10value_typeET2_T3_PNSL_ISQ_E10value_typeET4_T5_PSV_SW_PNS1_23onesweep_lookback_stateEbbT6_jjT7_P12ihipStream_tbENKUlT_T0_SK_SP_E_clIPfSE_SF_SF_EEDaS13_S14_SK_SP_EUlS13_E_NS1_11comp_targetILNS1_3genE10ELNS1_11target_archE1201ELNS1_3gpuE5ELNS1_3repE0EEENS1_47radix_sort_onesweep_sort_config_static_selectorELNS0_4arch9wavefront6targetE0EEEvSK_
	.p2align	8
	.type	_ZN7rocprim17ROCPRIM_400000_NS6detail17trampoline_kernelINS0_14default_configENS1_35radix_sort_onesweep_config_selectorIfNS0_10empty_typeEEEZZNS1_29radix_sort_onesweep_iterationIS3_Lb0EN6thrust23THRUST_200600_302600_NS6detail15normal_iteratorINS9_10device_ptrIfEEEESE_PS5_SF_jNS0_19identity_decomposerENS1_16block_id_wrapperIjLb0EEEEE10hipError_tT1_PNSt15iterator_traitsISK_E10value_typeET2_T3_PNSL_ISQ_E10value_typeET4_T5_PSV_SW_PNS1_23onesweep_lookback_stateEbbT6_jjT7_P12ihipStream_tbENKUlT_T0_SK_SP_E_clIPfSE_SF_SF_EEDaS13_S14_SK_SP_EUlS13_E_NS1_11comp_targetILNS1_3genE10ELNS1_11target_archE1201ELNS1_3gpuE5ELNS1_3repE0EEENS1_47radix_sort_onesweep_sort_config_static_selectorELNS0_4arch9wavefront6targetE0EEEvSK_,@function
_ZN7rocprim17ROCPRIM_400000_NS6detail17trampoline_kernelINS0_14default_configENS1_35radix_sort_onesweep_config_selectorIfNS0_10empty_typeEEEZZNS1_29radix_sort_onesweep_iterationIS3_Lb0EN6thrust23THRUST_200600_302600_NS6detail15normal_iteratorINS9_10device_ptrIfEEEESE_PS5_SF_jNS0_19identity_decomposerENS1_16block_id_wrapperIjLb0EEEEE10hipError_tT1_PNSt15iterator_traitsISK_E10value_typeET2_T3_PNSL_ISQ_E10value_typeET4_T5_PSV_SW_PNS1_23onesweep_lookback_stateEbbT6_jjT7_P12ihipStream_tbENKUlT_T0_SK_SP_E_clIPfSE_SF_SF_EEDaS13_S14_SK_SP_EUlS13_E_NS1_11comp_targetILNS1_3genE10ELNS1_11target_archE1201ELNS1_3gpuE5ELNS1_3repE0EEENS1_47radix_sort_onesweep_sort_config_static_selectorELNS0_4arch9wavefront6targetE0EEEvSK_: ; @_ZN7rocprim17ROCPRIM_400000_NS6detail17trampoline_kernelINS0_14default_configENS1_35radix_sort_onesweep_config_selectorIfNS0_10empty_typeEEEZZNS1_29radix_sort_onesweep_iterationIS3_Lb0EN6thrust23THRUST_200600_302600_NS6detail15normal_iteratorINS9_10device_ptrIfEEEESE_PS5_SF_jNS0_19identity_decomposerENS1_16block_id_wrapperIjLb0EEEEE10hipError_tT1_PNSt15iterator_traitsISK_E10value_typeET2_T3_PNSL_ISQ_E10value_typeET4_T5_PSV_SW_PNS1_23onesweep_lookback_stateEbbT6_jjT7_P12ihipStream_tbENKUlT_T0_SK_SP_E_clIPfSE_SF_SF_EEDaS13_S14_SK_SP_EUlS13_E_NS1_11comp_targetILNS1_3genE10ELNS1_11target_archE1201ELNS1_3gpuE5ELNS1_3repE0EEENS1_47radix_sort_onesweep_sort_config_static_selectorELNS0_4arch9wavefront6targetE0EEEvSK_
; %bb.0:
	.section	.rodata,"a",@progbits
	.p2align	6, 0x0
	.amdhsa_kernel _ZN7rocprim17ROCPRIM_400000_NS6detail17trampoline_kernelINS0_14default_configENS1_35radix_sort_onesweep_config_selectorIfNS0_10empty_typeEEEZZNS1_29radix_sort_onesweep_iterationIS3_Lb0EN6thrust23THRUST_200600_302600_NS6detail15normal_iteratorINS9_10device_ptrIfEEEESE_PS5_SF_jNS0_19identity_decomposerENS1_16block_id_wrapperIjLb0EEEEE10hipError_tT1_PNSt15iterator_traitsISK_E10value_typeET2_T3_PNSL_ISQ_E10value_typeET4_T5_PSV_SW_PNS1_23onesweep_lookback_stateEbbT6_jjT7_P12ihipStream_tbENKUlT_T0_SK_SP_E_clIPfSE_SF_SF_EEDaS13_S14_SK_SP_EUlS13_E_NS1_11comp_targetILNS1_3genE10ELNS1_11target_archE1201ELNS1_3gpuE5ELNS1_3repE0EEENS1_47radix_sort_onesweep_sort_config_static_selectorELNS0_4arch9wavefront6targetE0EEEvSK_
		.amdhsa_group_segment_fixed_size 0
		.amdhsa_private_segment_fixed_size 0
		.amdhsa_kernarg_size 88
		.amdhsa_user_sgpr_count 6
		.amdhsa_user_sgpr_private_segment_buffer 1
		.amdhsa_user_sgpr_dispatch_ptr 0
		.amdhsa_user_sgpr_queue_ptr 0
		.amdhsa_user_sgpr_kernarg_segment_ptr 1
		.amdhsa_user_sgpr_dispatch_id 0
		.amdhsa_user_sgpr_flat_scratch_init 0
		.amdhsa_user_sgpr_private_segment_size 0
		.amdhsa_wavefront_size32 1
		.amdhsa_uses_dynamic_stack 0
		.amdhsa_system_sgpr_private_segment_wavefront_offset 0
		.amdhsa_system_sgpr_workgroup_id_x 1
		.amdhsa_system_sgpr_workgroup_id_y 0
		.amdhsa_system_sgpr_workgroup_id_z 0
		.amdhsa_system_sgpr_workgroup_info 0
		.amdhsa_system_vgpr_workitem_id 0
		.amdhsa_next_free_vgpr 1
		.amdhsa_next_free_sgpr 1
		.amdhsa_reserve_vcc 0
		.amdhsa_reserve_flat_scratch 0
		.amdhsa_float_round_mode_32 0
		.amdhsa_float_round_mode_16_64 0
		.amdhsa_float_denorm_mode_32 3
		.amdhsa_float_denorm_mode_16_64 3
		.amdhsa_dx10_clamp 1
		.amdhsa_ieee_mode 1
		.amdhsa_fp16_overflow 0
		.amdhsa_workgroup_processor_mode 1
		.amdhsa_memory_ordered 1
		.amdhsa_forward_progress 1
		.amdhsa_shared_vgpr_count 0
		.amdhsa_exception_fp_ieee_invalid_op 0
		.amdhsa_exception_fp_denorm_src 0
		.amdhsa_exception_fp_ieee_div_zero 0
		.amdhsa_exception_fp_ieee_overflow 0
		.amdhsa_exception_fp_ieee_underflow 0
		.amdhsa_exception_fp_ieee_inexact 0
		.amdhsa_exception_int_div_zero 0
	.end_amdhsa_kernel
	.section	.text._ZN7rocprim17ROCPRIM_400000_NS6detail17trampoline_kernelINS0_14default_configENS1_35radix_sort_onesweep_config_selectorIfNS0_10empty_typeEEEZZNS1_29radix_sort_onesweep_iterationIS3_Lb0EN6thrust23THRUST_200600_302600_NS6detail15normal_iteratorINS9_10device_ptrIfEEEESE_PS5_SF_jNS0_19identity_decomposerENS1_16block_id_wrapperIjLb0EEEEE10hipError_tT1_PNSt15iterator_traitsISK_E10value_typeET2_T3_PNSL_ISQ_E10value_typeET4_T5_PSV_SW_PNS1_23onesweep_lookback_stateEbbT6_jjT7_P12ihipStream_tbENKUlT_T0_SK_SP_E_clIPfSE_SF_SF_EEDaS13_S14_SK_SP_EUlS13_E_NS1_11comp_targetILNS1_3genE10ELNS1_11target_archE1201ELNS1_3gpuE5ELNS1_3repE0EEENS1_47radix_sort_onesweep_sort_config_static_selectorELNS0_4arch9wavefront6targetE0EEEvSK_,"axG",@progbits,_ZN7rocprim17ROCPRIM_400000_NS6detail17trampoline_kernelINS0_14default_configENS1_35radix_sort_onesweep_config_selectorIfNS0_10empty_typeEEEZZNS1_29radix_sort_onesweep_iterationIS3_Lb0EN6thrust23THRUST_200600_302600_NS6detail15normal_iteratorINS9_10device_ptrIfEEEESE_PS5_SF_jNS0_19identity_decomposerENS1_16block_id_wrapperIjLb0EEEEE10hipError_tT1_PNSt15iterator_traitsISK_E10value_typeET2_T3_PNSL_ISQ_E10value_typeET4_T5_PSV_SW_PNS1_23onesweep_lookback_stateEbbT6_jjT7_P12ihipStream_tbENKUlT_T0_SK_SP_E_clIPfSE_SF_SF_EEDaS13_S14_SK_SP_EUlS13_E_NS1_11comp_targetILNS1_3genE10ELNS1_11target_archE1201ELNS1_3gpuE5ELNS1_3repE0EEENS1_47radix_sort_onesweep_sort_config_static_selectorELNS0_4arch9wavefront6targetE0EEEvSK_,comdat
.Lfunc_end610:
	.size	_ZN7rocprim17ROCPRIM_400000_NS6detail17trampoline_kernelINS0_14default_configENS1_35radix_sort_onesweep_config_selectorIfNS0_10empty_typeEEEZZNS1_29radix_sort_onesweep_iterationIS3_Lb0EN6thrust23THRUST_200600_302600_NS6detail15normal_iteratorINS9_10device_ptrIfEEEESE_PS5_SF_jNS0_19identity_decomposerENS1_16block_id_wrapperIjLb0EEEEE10hipError_tT1_PNSt15iterator_traitsISK_E10value_typeET2_T3_PNSL_ISQ_E10value_typeET4_T5_PSV_SW_PNS1_23onesweep_lookback_stateEbbT6_jjT7_P12ihipStream_tbENKUlT_T0_SK_SP_E_clIPfSE_SF_SF_EEDaS13_S14_SK_SP_EUlS13_E_NS1_11comp_targetILNS1_3genE10ELNS1_11target_archE1201ELNS1_3gpuE5ELNS1_3repE0EEENS1_47radix_sort_onesweep_sort_config_static_selectorELNS0_4arch9wavefront6targetE0EEEvSK_, .Lfunc_end610-_ZN7rocprim17ROCPRIM_400000_NS6detail17trampoline_kernelINS0_14default_configENS1_35radix_sort_onesweep_config_selectorIfNS0_10empty_typeEEEZZNS1_29radix_sort_onesweep_iterationIS3_Lb0EN6thrust23THRUST_200600_302600_NS6detail15normal_iteratorINS9_10device_ptrIfEEEESE_PS5_SF_jNS0_19identity_decomposerENS1_16block_id_wrapperIjLb0EEEEE10hipError_tT1_PNSt15iterator_traitsISK_E10value_typeET2_T3_PNSL_ISQ_E10value_typeET4_T5_PSV_SW_PNS1_23onesweep_lookback_stateEbbT6_jjT7_P12ihipStream_tbENKUlT_T0_SK_SP_E_clIPfSE_SF_SF_EEDaS13_S14_SK_SP_EUlS13_E_NS1_11comp_targetILNS1_3genE10ELNS1_11target_archE1201ELNS1_3gpuE5ELNS1_3repE0EEENS1_47radix_sort_onesweep_sort_config_static_selectorELNS0_4arch9wavefront6targetE0EEEvSK_
                                        ; -- End function
	.set _ZN7rocprim17ROCPRIM_400000_NS6detail17trampoline_kernelINS0_14default_configENS1_35radix_sort_onesweep_config_selectorIfNS0_10empty_typeEEEZZNS1_29radix_sort_onesweep_iterationIS3_Lb0EN6thrust23THRUST_200600_302600_NS6detail15normal_iteratorINS9_10device_ptrIfEEEESE_PS5_SF_jNS0_19identity_decomposerENS1_16block_id_wrapperIjLb0EEEEE10hipError_tT1_PNSt15iterator_traitsISK_E10value_typeET2_T3_PNSL_ISQ_E10value_typeET4_T5_PSV_SW_PNS1_23onesweep_lookback_stateEbbT6_jjT7_P12ihipStream_tbENKUlT_T0_SK_SP_E_clIPfSE_SF_SF_EEDaS13_S14_SK_SP_EUlS13_E_NS1_11comp_targetILNS1_3genE10ELNS1_11target_archE1201ELNS1_3gpuE5ELNS1_3repE0EEENS1_47radix_sort_onesweep_sort_config_static_selectorELNS0_4arch9wavefront6targetE0EEEvSK_.num_vgpr, 0
	.set _ZN7rocprim17ROCPRIM_400000_NS6detail17trampoline_kernelINS0_14default_configENS1_35radix_sort_onesweep_config_selectorIfNS0_10empty_typeEEEZZNS1_29radix_sort_onesweep_iterationIS3_Lb0EN6thrust23THRUST_200600_302600_NS6detail15normal_iteratorINS9_10device_ptrIfEEEESE_PS5_SF_jNS0_19identity_decomposerENS1_16block_id_wrapperIjLb0EEEEE10hipError_tT1_PNSt15iterator_traitsISK_E10value_typeET2_T3_PNSL_ISQ_E10value_typeET4_T5_PSV_SW_PNS1_23onesweep_lookback_stateEbbT6_jjT7_P12ihipStream_tbENKUlT_T0_SK_SP_E_clIPfSE_SF_SF_EEDaS13_S14_SK_SP_EUlS13_E_NS1_11comp_targetILNS1_3genE10ELNS1_11target_archE1201ELNS1_3gpuE5ELNS1_3repE0EEENS1_47radix_sort_onesweep_sort_config_static_selectorELNS0_4arch9wavefront6targetE0EEEvSK_.num_agpr, 0
	.set _ZN7rocprim17ROCPRIM_400000_NS6detail17trampoline_kernelINS0_14default_configENS1_35radix_sort_onesweep_config_selectorIfNS0_10empty_typeEEEZZNS1_29radix_sort_onesweep_iterationIS3_Lb0EN6thrust23THRUST_200600_302600_NS6detail15normal_iteratorINS9_10device_ptrIfEEEESE_PS5_SF_jNS0_19identity_decomposerENS1_16block_id_wrapperIjLb0EEEEE10hipError_tT1_PNSt15iterator_traitsISK_E10value_typeET2_T3_PNSL_ISQ_E10value_typeET4_T5_PSV_SW_PNS1_23onesweep_lookback_stateEbbT6_jjT7_P12ihipStream_tbENKUlT_T0_SK_SP_E_clIPfSE_SF_SF_EEDaS13_S14_SK_SP_EUlS13_E_NS1_11comp_targetILNS1_3genE10ELNS1_11target_archE1201ELNS1_3gpuE5ELNS1_3repE0EEENS1_47radix_sort_onesweep_sort_config_static_selectorELNS0_4arch9wavefront6targetE0EEEvSK_.numbered_sgpr, 0
	.set _ZN7rocprim17ROCPRIM_400000_NS6detail17trampoline_kernelINS0_14default_configENS1_35radix_sort_onesweep_config_selectorIfNS0_10empty_typeEEEZZNS1_29radix_sort_onesweep_iterationIS3_Lb0EN6thrust23THRUST_200600_302600_NS6detail15normal_iteratorINS9_10device_ptrIfEEEESE_PS5_SF_jNS0_19identity_decomposerENS1_16block_id_wrapperIjLb0EEEEE10hipError_tT1_PNSt15iterator_traitsISK_E10value_typeET2_T3_PNSL_ISQ_E10value_typeET4_T5_PSV_SW_PNS1_23onesweep_lookback_stateEbbT6_jjT7_P12ihipStream_tbENKUlT_T0_SK_SP_E_clIPfSE_SF_SF_EEDaS13_S14_SK_SP_EUlS13_E_NS1_11comp_targetILNS1_3genE10ELNS1_11target_archE1201ELNS1_3gpuE5ELNS1_3repE0EEENS1_47radix_sort_onesweep_sort_config_static_selectorELNS0_4arch9wavefront6targetE0EEEvSK_.num_named_barrier, 0
	.set _ZN7rocprim17ROCPRIM_400000_NS6detail17trampoline_kernelINS0_14default_configENS1_35radix_sort_onesweep_config_selectorIfNS0_10empty_typeEEEZZNS1_29radix_sort_onesweep_iterationIS3_Lb0EN6thrust23THRUST_200600_302600_NS6detail15normal_iteratorINS9_10device_ptrIfEEEESE_PS5_SF_jNS0_19identity_decomposerENS1_16block_id_wrapperIjLb0EEEEE10hipError_tT1_PNSt15iterator_traitsISK_E10value_typeET2_T3_PNSL_ISQ_E10value_typeET4_T5_PSV_SW_PNS1_23onesweep_lookback_stateEbbT6_jjT7_P12ihipStream_tbENKUlT_T0_SK_SP_E_clIPfSE_SF_SF_EEDaS13_S14_SK_SP_EUlS13_E_NS1_11comp_targetILNS1_3genE10ELNS1_11target_archE1201ELNS1_3gpuE5ELNS1_3repE0EEENS1_47radix_sort_onesweep_sort_config_static_selectorELNS0_4arch9wavefront6targetE0EEEvSK_.private_seg_size, 0
	.set _ZN7rocprim17ROCPRIM_400000_NS6detail17trampoline_kernelINS0_14default_configENS1_35radix_sort_onesweep_config_selectorIfNS0_10empty_typeEEEZZNS1_29radix_sort_onesweep_iterationIS3_Lb0EN6thrust23THRUST_200600_302600_NS6detail15normal_iteratorINS9_10device_ptrIfEEEESE_PS5_SF_jNS0_19identity_decomposerENS1_16block_id_wrapperIjLb0EEEEE10hipError_tT1_PNSt15iterator_traitsISK_E10value_typeET2_T3_PNSL_ISQ_E10value_typeET4_T5_PSV_SW_PNS1_23onesweep_lookback_stateEbbT6_jjT7_P12ihipStream_tbENKUlT_T0_SK_SP_E_clIPfSE_SF_SF_EEDaS13_S14_SK_SP_EUlS13_E_NS1_11comp_targetILNS1_3genE10ELNS1_11target_archE1201ELNS1_3gpuE5ELNS1_3repE0EEENS1_47radix_sort_onesweep_sort_config_static_selectorELNS0_4arch9wavefront6targetE0EEEvSK_.uses_vcc, 0
	.set _ZN7rocprim17ROCPRIM_400000_NS6detail17trampoline_kernelINS0_14default_configENS1_35radix_sort_onesweep_config_selectorIfNS0_10empty_typeEEEZZNS1_29radix_sort_onesweep_iterationIS3_Lb0EN6thrust23THRUST_200600_302600_NS6detail15normal_iteratorINS9_10device_ptrIfEEEESE_PS5_SF_jNS0_19identity_decomposerENS1_16block_id_wrapperIjLb0EEEEE10hipError_tT1_PNSt15iterator_traitsISK_E10value_typeET2_T3_PNSL_ISQ_E10value_typeET4_T5_PSV_SW_PNS1_23onesweep_lookback_stateEbbT6_jjT7_P12ihipStream_tbENKUlT_T0_SK_SP_E_clIPfSE_SF_SF_EEDaS13_S14_SK_SP_EUlS13_E_NS1_11comp_targetILNS1_3genE10ELNS1_11target_archE1201ELNS1_3gpuE5ELNS1_3repE0EEENS1_47radix_sort_onesweep_sort_config_static_selectorELNS0_4arch9wavefront6targetE0EEEvSK_.uses_flat_scratch, 0
	.set _ZN7rocprim17ROCPRIM_400000_NS6detail17trampoline_kernelINS0_14default_configENS1_35radix_sort_onesweep_config_selectorIfNS0_10empty_typeEEEZZNS1_29radix_sort_onesweep_iterationIS3_Lb0EN6thrust23THRUST_200600_302600_NS6detail15normal_iteratorINS9_10device_ptrIfEEEESE_PS5_SF_jNS0_19identity_decomposerENS1_16block_id_wrapperIjLb0EEEEE10hipError_tT1_PNSt15iterator_traitsISK_E10value_typeET2_T3_PNSL_ISQ_E10value_typeET4_T5_PSV_SW_PNS1_23onesweep_lookback_stateEbbT6_jjT7_P12ihipStream_tbENKUlT_T0_SK_SP_E_clIPfSE_SF_SF_EEDaS13_S14_SK_SP_EUlS13_E_NS1_11comp_targetILNS1_3genE10ELNS1_11target_archE1201ELNS1_3gpuE5ELNS1_3repE0EEENS1_47radix_sort_onesweep_sort_config_static_selectorELNS0_4arch9wavefront6targetE0EEEvSK_.has_dyn_sized_stack, 0
	.set _ZN7rocprim17ROCPRIM_400000_NS6detail17trampoline_kernelINS0_14default_configENS1_35radix_sort_onesweep_config_selectorIfNS0_10empty_typeEEEZZNS1_29radix_sort_onesweep_iterationIS3_Lb0EN6thrust23THRUST_200600_302600_NS6detail15normal_iteratorINS9_10device_ptrIfEEEESE_PS5_SF_jNS0_19identity_decomposerENS1_16block_id_wrapperIjLb0EEEEE10hipError_tT1_PNSt15iterator_traitsISK_E10value_typeET2_T3_PNSL_ISQ_E10value_typeET4_T5_PSV_SW_PNS1_23onesweep_lookback_stateEbbT6_jjT7_P12ihipStream_tbENKUlT_T0_SK_SP_E_clIPfSE_SF_SF_EEDaS13_S14_SK_SP_EUlS13_E_NS1_11comp_targetILNS1_3genE10ELNS1_11target_archE1201ELNS1_3gpuE5ELNS1_3repE0EEENS1_47radix_sort_onesweep_sort_config_static_selectorELNS0_4arch9wavefront6targetE0EEEvSK_.has_recursion, 0
	.set _ZN7rocprim17ROCPRIM_400000_NS6detail17trampoline_kernelINS0_14default_configENS1_35radix_sort_onesweep_config_selectorIfNS0_10empty_typeEEEZZNS1_29radix_sort_onesweep_iterationIS3_Lb0EN6thrust23THRUST_200600_302600_NS6detail15normal_iteratorINS9_10device_ptrIfEEEESE_PS5_SF_jNS0_19identity_decomposerENS1_16block_id_wrapperIjLb0EEEEE10hipError_tT1_PNSt15iterator_traitsISK_E10value_typeET2_T3_PNSL_ISQ_E10value_typeET4_T5_PSV_SW_PNS1_23onesweep_lookback_stateEbbT6_jjT7_P12ihipStream_tbENKUlT_T0_SK_SP_E_clIPfSE_SF_SF_EEDaS13_S14_SK_SP_EUlS13_E_NS1_11comp_targetILNS1_3genE10ELNS1_11target_archE1201ELNS1_3gpuE5ELNS1_3repE0EEENS1_47radix_sort_onesweep_sort_config_static_selectorELNS0_4arch9wavefront6targetE0EEEvSK_.has_indirect_call, 0
	.section	.AMDGPU.csdata,"",@progbits
; Kernel info:
; codeLenInByte = 0
; TotalNumSgprs: 0
; NumVgprs: 0
; ScratchSize: 0
; MemoryBound: 0
; FloatMode: 240
; IeeeMode: 1
; LDSByteSize: 0 bytes/workgroup (compile time only)
; SGPRBlocks: 0
; VGPRBlocks: 0
; NumSGPRsForWavesPerEU: 1
; NumVGPRsForWavesPerEU: 1
; Occupancy: 16
; WaveLimiterHint : 0
; COMPUTE_PGM_RSRC2:SCRATCH_EN: 0
; COMPUTE_PGM_RSRC2:USER_SGPR: 6
; COMPUTE_PGM_RSRC2:TRAP_HANDLER: 0
; COMPUTE_PGM_RSRC2:TGID_X_EN: 1
; COMPUTE_PGM_RSRC2:TGID_Y_EN: 0
; COMPUTE_PGM_RSRC2:TGID_Z_EN: 0
; COMPUTE_PGM_RSRC2:TIDIG_COMP_CNT: 0
	.section	.text._ZN7rocprim17ROCPRIM_400000_NS6detail17trampoline_kernelINS0_14default_configENS1_35radix_sort_onesweep_config_selectorIfNS0_10empty_typeEEEZZNS1_29radix_sort_onesweep_iterationIS3_Lb0EN6thrust23THRUST_200600_302600_NS6detail15normal_iteratorINS9_10device_ptrIfEEEESE_PS5_SF_jNS0_19identity_decomposerENS1_16block_id_wrapperIjLb0EEEEE10hipError_tT1_PNSt15iterator_traitsISK_E10value_typeET2_T3_PNSL_ISQ_E10value_typeET4_T5_PSV_SW_PNS1_23onesweep_lookback_stateEbbT6_jjT7_P12ihipStream_tbENKUlT_T0_SK_SP_E_clIPfSE_SF_SF_EEDaS13_S14_SK_SP_EUlS13_E_NS1_11comp_targetILNS1_3genE9ELNS1_11target_archE1100ELNS1_3gpuE3ELNS1_3repE0EEENS1_47radix_sort_onesweep_sort_config_static_selectorELNS0_4arch9wavefront6targetE0EEEvSK_,"axG",@progbits,_ZN7rocprim17ROCPRIM_400000_NS6detail17trampoline_kernelINS0_14default_configENS1_35radix_sort_onesweep_config_selectorIfNS0_10empty_typeEEEZZNS1_29radix_sort_onesweep_iterationIS3_Lb0EN6thrust23THRUST_200600_302600_NS6detail15normal_iteratorINS9_10device_ptrIfEEEESE_PS5_SF_jNS0_19identity_decomposerENS1_16block_id_wrapperIjLb0EEEEE10hipError_tT1_PNSt15iterator_traitsISK_E10value_typeET2_T3_PNSL_ISQ_E10value_typeET4_T5_PSV_SW_PNS1_23onesweep_lookback_stateEbbT6_jjT7_P12ihipStream_tbENKUlT_T0_SK_SP_E_clIPfSE_SF_SF_EEDaS13_S14_SK_SP_EUlS13_E_NS1_11comp_targetILNS1_3genE9ELNS1_11target_archE1100ELNS1_3gpuE3ELNS1_3repE0EEENS1_47radix_sort_onesweep_sort_config_static_selectorELNS0_4arch9wavefront6targetE0EEEvSK_,comdat
	.protected	_ZN7rocprim17ROCPRIM_400000_NS6detail17trampoline_kernelINS0_14default_configENS1_35radix_sort_onesweep_config_selectorIfNS0_10empty_typeEEEZZNS1_29radix_sort_onesweep_iterationIS3_Lb0EN6thrust23THRUST_200600_302600_NS6detail15normal_iteratorINS9_10device_ptrIfEEEESE_PS5_SF_jNS0_19identity_decomposerENS1_16block_id_wrapperIjLb0EEEEE10hipError_tT1_PNSt15iterator_traitsISK_E10value_typeET2_T3_PNSL_ISQ_E10value_typeET4_T5_PSV_SW_PNS1_23onesweep_lookback_stateEbbT6_jjT7_P12ihipStream_tbENKUlT_T0_SK_SP_E_clIPfSE_SF_SF_EEDaS13_S14_SK_SP_EUlS13_E_NS1_11comp_targetILNS1_3genE9ELNS1_11target_archE1100ELNS1_3gpuE3ELNS1_3repE0EEENS1_47radix_sort_onesweep_sort_config_static_selectorELNS0_4arch9wavefront6targetE0EEEvSK_ ; -- Begin function _ZN7rocprim17ROCPRIM_400000_NS6detail17trampoline_kernelINS0_14default_configENS1_35radix_sort_onesweep_config_selectorIfNS0_10empty_typeEEEZZNS1_29radix_sort_onesweep_iterationIS3_Lb0EN6thrust23THRUST_200600_302600_NS6detail15normal_iteratorINS9_10device_ptrIfEEEESE_PS5_SF_jNS0_19identity_decomposerENS1_16block_id_wrapperIjLb0EEEEE10hipError_tT1_PNSt15iterator_traitsISK_E10value_typeET2_T3_PNSL_ISQ_E10value_typeET4_T5_PSV_SW_PNS1_23onesweep_lookback_stateEbbT6_jjT7_P12ihipStream_tbENKUlT_T0_SK_SP_E_clIPfSE_SF_SF_EEDaS13_S14_SK_SP_EUlS13_E_NS1_11comp_targetILNS1_3genE9ELNS1_11target_archE1100ELNS1_3gpuE3ELNS1_3repE0EEENS1_47radix_sort_onesweep_sort_config_static_selectorELNS0_4arch9wavefront6targetE0EEEvSK_
	.globl	_ZN7rocprim17ROCPRIM_400000_NS6detail17trampoline_kernelINS0_14default_configENS1_35radix_sort_onesweep_config_selectorIfNS0_10empty_typeEEEZZNS1_29radix_sort_onesweep_iterationIS3_Lb0EN6thrust23THRUST_200600_302600_NS6detail15normal_iteratorINS9_10device_ptrIfEEEESE_PS5_SF_jNS0_19identity_decomposerENS1_16block_id_wrapperIjLb0EEEEE10hipError_tT1_PNSt15iterator_traitsISK_E10value_typeET2_T3_PNSL_ISQ_E10value_typeET4_T5_PSV_SW_PNS1_23onesweep_lookback_stateEbbT6_jjT7_P12ihipStream_tbENKUlT_T0_SK_SP_E_clIPfSE_SF_SF_EEDaS13_S14_SK_SP_EUlS13_E_NS1_11comp_targetILNS1_3genE9ELNS1_11target_archE1100ELNS1_3gpuE3ELNS1_3repE0EEENS1_47radix_sort_onesweep_sort_config_static_selectorELNS0_4arch9wavefront6targetE0EEEvSK_
	.p2align	8
	.type	_ZN7rocprim17ROCPRIM_400000_NS6detail17trampoline_kernelINS0_14default_configENS1_35radix_sort_onesweep_config_selectorIfNS0_10empty_typeEEEZZNS1_29radix_sort_onesweep_iterationIS3_Lb0EN6thrust23THRUST_200600_302600_NS6detail15normal_iteratorINS9_10device_ptrIfEEEESE_PS5_SF_jNS0_19identity_decomposerENS1_16block_id_wrapperIjLb0EEEEE10hipError_tT1_PNSt15iterator_traitsISK_E10value_typeET2_T3_PNSL_ISQ_E10value_typeET4_T5_PSV_SW_PNS1_23onesweep_lookback_stateEbbT6_jjT7_P12ihipStream_tbENKUlT_T0_SK_SP_E_clIPfSE_SF_SF_EEDaS13_S14_SK_SP_EUlS13_E_NS1_11comp_targetILNS1_3genE9ELNS1_11target_archE1100ELNS1_3gpuE3ELNS1_3repE0EEENS1_47radix_sort_onesweep_sort_config_static_selectorELNS0_4arch9wavefront6targetE0EEEvSK_,@function
_ZN7rocprim17ROCPRIM_400000_NS6detail17trampoline_kernelINS0_14default_configENS1_35radix_sort_onesweep_config_selectorIfNS0_10empty_typeEEEZZNS1_29radix_sort_onesweep_iterationIS3_Lb0EN6thrust23THRUST_200600_302600_NS6detail15normal_iteratorINS9_10device_ptrIfEEEESE_PS5_SF_jNS0_19identity_decomposerENS1_16block_id_wrapperIjLb0EEEEE10hipError_tT1_PNSt15iterator_traitsISK_E10value_typeET2_T3_PNSL_ISQ_E10value_typeET4_T5_PSV_SW_PNS1_23onesweep_lookback_stateEbbT6_jjT7_P12ihipStream_tbENKUlT_T0_SK_SP_E_clIPfSE_SF_SF_EEDaS13_S14_SK_SP_EUlS13_E_NS1_11comp_targetILNS1_3genE9ELNS1_11target_archE1100ELNS1_3gpuE3ELNS1_3repE0EEENS1_47radix_sort_onesweep_sort_config_static_selectorELNS0_4arch9wavefront6targetE0EEEvSK_: ; @_ZN7rocprim17ROCPRIM_400000_NS6detail17trampoline_kernelINS0_14default_configENS1_35radix_sort_onesweep_config_selectorIfNS0_10empty_typeEEEZZNS1_29radix_sort_onesweep_iterationIS3_Lb0EN6thrust23THRUST_200600_302600_NS6detail15normal_iteratorINS9_10device_ptrIfEEEESE_PS5_SF_jNS0_19identity_decomposerENS1_16block_id_wrapperIjLb0EEEEE10hipError_tT1_PNSt15iterator_traitsISK_E10value_typeET2_T3_PNSL_ISQ_E10value_typeET4_T5_PSV_SW_PNS1_23onesweep_lookback_stateEbbT6_jjT7_P12ihipStream_tbENKUlT_T0_SK_SP_E_clIPfSE_SF_SF_EEDaS13_S14_SK_SP_EUlS13_E_NS1_11comp_targetILNS1_3genE9ELNS1_11target_archE1100ELNS1_3gpuE3ELNS1_3repE0EEENS1_47radix_sort_onesweep_sort_config_static_selectorELNS0_4arch9wavefront6targetE0EEEvSK_
; %bb.0:
	.section	.rodata,"a",@progbits
	.p2align	6, 0x0
	.amdhsa_kernel _ZN7rocprim17ROCPRIM_400000_NS6detail17trampoline_kernelINS0_14default_configENS1_35radix_sort_onesweep_config_selectorIfNS0_10empty_typeEEEZZNS1_29radix_sort_onesweep_iterationIS3_Lb0EN6thrust23THRUST_200600_302600_NS6detail15normal_iteratorINS9_10device_ptrIfEEEESE_PS5_SF_jNS0_19identity_decomposerENS1_16block_id_wrapperIjLb0EEEEE10hipError_tT1_PNSt15iterator_traitsISK_E10value_typeET2_T3_PNSL_ISQ_E10value_typeET4_T5_PSV_SW_PNS1_23onesweep_lookback_stateEbbT6_jjT7_P12ihipStream_tbENKUlT_T0_SK_SP_E_clIPfSE_SF_SF_EEDaS13_S14_SK_SP_EUlS13_E_NS1_11comp_targetILNS1_3genE9ELNS1_11target_archE1100ELNS1_3gpuE3ELNS1_3repE0EEENS1_47radix_sort_onesweep_sort_config_static_selectorELNS0_4arch9wavefront6targetE0EEEvSK_
		.amdhsa_group_segment_fixed_size 0
		.amdhsa_private_segment_fixed_size 0
		.amdhsa_kernarg_size 88
		.amdhsa_user_sgpr_count 6
		.amdhsa_user_sgpr_private_segment_buffer 1
		.amdhsa_user_sgpr_dispatch_ptr 0
		.amdhsa_user_sgpr_queue_ptr 0
		.amdhsa_user_sgpr_kernarg_segment_ptr 1
		.amdhsa_user_sgpr_dispatch_id 0
		.amdhsa_user_sgpr_flat_scratch_init 0
		.amdhsa_user_sgpr_private_segment_size 0
		.amdhsa_wavefront_size32 1
		.amdhsa_uses_dynamic_stack 0
		.amdhsa_system_sgpr_private_segment_wavefront_offset 0
		.amdhsa_system_sgpr_workgroup_id_x 1
		.amdhsa_system_sgpr_workgroup_id_y 0
		.amdhsa_system_sgpr_workgroup_id_z 0
		.amdhsa_system_sgpr_workgroup_info 0
		.amdhsa_system_vgpr_workitem_id 0
		.amdhsa_next_free_vgpr 1
		.amdhsa_next_free_sgpr 1
		.amdhsa_reserve_vcc 0
		.amdhsa_reserve_flat_scratch 0
		.amdhsa_float_round_mode_32 0
		.amdhsa_float_round_mode_16_64 0
		.amdhsa_float_denorm_mode_32 3
		.amdhsa_float_denorm_mode_16_64 3
		.amdhsa_dx10_clamp 1
		.amdhsa_ieee_mode 1
		.amdhsa_fp16_overflow 0
		.amdhsa_workgroup_processor_mode 1
		.amdhsa_memory_ordered 1
		.amdhsa_forward_progress 1
		.amdhsa_shared_vgpr_count 0
		.amdhsa_exception_fp_ieee_invalid_op 0
		.amdhsa_exception_fp_denorm_src 0
		.amdhsa_exception_fp_ieee_div_zero 0
		.amdhsa_exception_fp_ieee_overflow 0
		.amdhsa_exception_fp_ieee_underflow 0
		.amdhsa_exception_fp_ieee_inexact 0
		.amdhsa_exception_int_div_zero 0
	.end_amdhsa_kernel
	.section	.text._ZN7rocprim17ROCPRIM_400000_NS6detail17trampoline_kernelINS0_14default_configENS1_35radix_sort_onesweep_config_selectorIfNS0_10empty_typeEEEZZNS1_29radix_sort_onesweep_iterationIS3_Lb0EN6thrust23THRUST_200600_302600_NS6detail15normal_iteratorINS9_10device_ptrIfEEEESE_PS5_SF_jNS0_19identity_decomposerENS1_16block_id_wrapperIjLb0EEEEE10hipError_tT1_PNSt15iterator_traitsISK_E10value_typeET2_T3_PNSL_ISQ_E10value_typeET4_T5_PSV_SW_PNS1_23onesweep_lookback_stateEbbT6_jjT7_P12ihipStream_tbENKUlT_T0_SK_SP_E_clIPfSE_SF_SF_EEDaS13_S14_SK_SP_EUlS13_E_NS1_11comp_targetILNS1_3genE9ELNS1_11target_archE1100ELNS1_3gpuE3ELNS1_3repE0EEENS1_47radix_sort_onesweep_sort_config_static_selectorELNS0_4arch9wavefront6targetE0EEEvSK_,"axG",@progbits,_ZN7rocprim17ROCPRIM_400000_NS6detail17trampoline_kernelINS0_14default_configENS1_35radix_sort_onesweep_config_selectorIfNS0_10empty_typeEEEZZNS1_29radix_sort_onesweep_iterationIS3_Lb0EN6thrust23THRUST_200600_302600_NS6detail15normal_iteratorINS9_10device_ptrIfEEEESE_PS5_SF_jNS0_19identity_decomposerENS1_16block_id_wrapperIjLb0EEEEE10hipError_tT1_PNSt15iterator_traitsISK_E10value_typeET2_T3_PNSL_ISQ_E10value_typeET4_T5_PSV_SW_PNS1_23onesweep_lookback_stateEbbT6_jjT7_P12ihipStream_tbENKUlT_T0_SK_SP_E_clIPfSE_SF_SF_EEDaS13_S14_SK_SP_EUlS13_E_NS1_11comp_targetILNS1_3genE9ELNS1_11target_archE1100ELNS1_3gpuE3ELNS1_3repE0EEENS1_47radix_sort_onesweep_sort_config_static_selectorELNS0_4arch9wavefront6targetE0EEEvSK_,comdat
.Lfunc_end611:
	.size	_ZN7rocprim17ROCPRIM_400000_NS6detail17trampoline_kernelINS0_14default_configENS1_35radix_sort_onesweep_config_selectorIfNS0_10empty_typeEEEZZNS1_29radix_sort_onesweep_iterationIS3_Lb0EN6thrust23THRUST_200600_302600_NS6detail15normal_iteratorINS9_10device_ptrIfEEEESE_PS5_SF_jNS0_19identity_decomposerENS1_16block_id_wrapperIjLb0EEEEE10hipError_tT1_PNSt15iterator_traitsISK_E10value_typeET2_T3_PNSL_ISQ_E10value_typeET4_T5_PSV_SW_PNS1_23onesweep_lookback_stateEbbT6_jjT7_P12ihipStream_tbENKUlT_T0_SK_SP_E_clIPfSE_SF_SF_EEDaS13_S14_SK_SP_EUlS13_E_NS1_11comp_targetILNS1_3genE9ELNS1_11target_archE1100ELNS1_3gpuE3ELNS1_3repE0EEENS1_47radix_sort_onesweep_sort_config_static_selectorELNS0_4arch9wavefront6targetE0EEEvSK_, .Lfunc_end611-_ZN7rocprim17ROCPRIM_400000_NS6detail17trampoline_kernelINS0_14default_configENS1_35radix_sort_onesweep_config_selectorIfNS0_10empty_typeEEEZZNS1_29radix_sort_onesweep_iterationIS3_Lb0EN6thrust23THRUST_200600_302600_NS6detail15normal_iteratorINS9_10device_ptrIfEEEESE_PS5_SF_jNS0_19identity_decomposerENS1_16block_id_wrapperIjLb0EEEEE10hipError_tT1_PNSt15iterator_traitsISK_E10value_typeET2_T3_PNSL_ISQ_E10value_typeET4_T5_PSV_SW_PNS1_23onesweep_lookback_stateEbbT6_jjT7_P12ihipStream_tbENKUlT_T0_SK_SP_E_clIPfSE_SF_SF_EEDaS13_S14_SK_SP_EUlS13_E_NS1_11comp_targetILNS1_3genE9ELNS1_11target_archE1100ELNS1_3gpuE3ELNS1_3repE0EEENS1_47radix_sort_onesweep_sort_config_static_selectorELNS0_4arch9wavefront6targetE0EEEvSK_
                                        ; -- End function
	.set _ZN7rocprim17ROCPRIM_400000_NS6detail17trampoline_kernelINS0_14default_configENS1_35radix_sort_onesweep_config_selectorIfNS0_10empty_typeEEEZZNS1_29radix_sort_onesweep_iterationIS3_Lb0EN6thrust23THRUST_200600_302600_NS6detail15normal_iteratorINS9_10device_ptrIfEEEESE_PS5_SF_jNS0_19identity_decomposerENS1_16block_id_wrapperIjLb0EEEEE10hipError_tT1_PNSt15iterator_traitsISK_E10value_typeET2_T3_PNSL_ISQ_E10value_typeET4_T5_PSV_SW_PNS1_23onesweep_lookback_stateEbbT6_jjT7_P12ihipStream_tbENKUlT_T0_SK_SP_E_clIPfSE_SF_SF_EEDaS13_S14_SK_SP_EUlS13_E_NS1_11comp_targetILNS1_3genE9ELNS1_11target_archE1100ELNS1_3gpuE3ELNS1_3repE0EEENS1_47radix_sort_onesweep_sort_config_static_selectorELNS0_4arch9wavefront6targetE0EEEvSK_.num_vgpr, 0
	.set _ZN7rocprim17ROCPRIM_400000_NS6detail17trampoline_kernelINS0_14default_configENS1_35radix_sort_onesweep_config_selectorIfNS0_10empty_typeEEEZZNS1_29radix_sort_onesweep_iterationIS3_Lb0EN6thrust23THRUST_200600_302600_NS6detail15normal_iteratorINS9_10device_ptrIfEEEESE_PS5_SF_jNS0_19identity_decomposerENS1_16block_id_wrapperIjLb0EEEEE10hipError_tT1_PNSt15iterator_traitsISK_E10value_typeET2_T3_PNSL_ISQ_E10value_typeET4_T5_PSV_SW_PNS1_23onesweep_lookback_stateEbbT6_jjT7_P12ihipStream_tbENKUlT_T0_SK_SP_E_clIPfSE_SF_SF_EEDaS13_S14_SK_SP_EUlS13_E_NS1_11comp_targetILNS1_3genE9ELNS1_11target_archE1100ELNS1_3gpuE3ELNS1_3repE0EEENS1_47radix_sort_onesweep_sort_config_static_selectorELNS0_4arch9wavefront6targetE0EEEvSK_.num_agpr, 0
	.set _ZN7rocprim17ROCPRIM_400000_NS6detail17trampoline_kernelINS0_14default_configENS1_35radix_sort_onesweep_config_selectorIfNS0_10empty_typeEEEZZNS1_29radix_sort_onesweep_iterationIS3_Lb0EN6thrust23THRUST_200600_302600_NS6detail15normal_iteratorINS9_10device_ptrIfEEEESE_PS5_SF_jNS0_19identity_decomposerENS1_16block_id_wrapperIjLb0EEEEE10hipError_tT1_PNSt15iterator_traitsISK_E10value_typeET2_T3_PNSL_ISQ_E10value_typeET4_T5_PSV_SW_PNS1_23onesweep_lookback_stateEbbT6_jjT7_P12ihipStream_tbENKUlT_T0_SK_SP_E_clIPfSE_SF_SF_EEDaS13_S14_SK_SP_EUlS13_E_NS1_11comp_targetILNS1_3genE9ELNS1_11target_archE1100ELNS1_3gpuE3ELNS1_3repE0EEENS1_47radix_sort_onesweep_sort_config_static_selectorELNS0_4arch9wavefront6targetE0EEEvSK_.numbered_sgpr, 0
	.set _ZN7rocprim17ROCPRIM_400000_NS6detail17trampoline_kernelINS0_14default_configENS1_35radix_sort_onesweep_config_selectorIfNS0_10empty_typeEEEZZNS1_29radix_sort_onesweep_iterationIS3_Lb0EN6thrust23THRUST_200600_302600_NS6detail15normal_iteratorINS9_10device_ptrIfEEEESE_PS5_SF_jNS0_19identity_decomposerENS1_16block_id_wrapperIjLb0EEEEE10hipError_tT1_PNSt15iterator_traitsISK_E10value_typeET2_T3_PNSL_ISQ_E10value_typeET4_T5_PSV_SW_PNS1_23onesweep_lookback_stateEbbT6_jjT7_P12ihipStream_tbENKUlT_T0_SK_SP_E_clIPfSE_SF_SF_EEDaS13_S14_SK_SP_EUlS13_E_NS1_11comp_targetILNS1_3genE9ELNS1_11target_archE1100ELNS1_3gpuE3ELNS1_3repE0EEENS1_47radix_sort_onesweep_sort_config_static_selectorELNS0_4arch9wavefront6targetE0EEEvSK_.num_named_barrier, 0
	.set _ZN7rocprim17ROCPRIM_400000_NS6detail17trampoline_kernelINS0_14default_configENS1_35radix_sort_onesweep_config_selectorIfNS0_10empty_typeEEEZZNS1_29radix_sort_onesweep_iterationIS3_Lb0EN6thrust23THRUST_200600_302600_NS6detail15normal_iteratorINS9_10device_ptrIfEEEESE_PS5_SF_jNS0_19identity_decomposerENS1_16block_id_wrapperIjLb0EEEEE10hipError_tT1_PNSt15iterator_traitsISK_E10value_typeET2_T3_PNSL_ISQ_E10value_typeET4_T5_PSV_SW_PNS1_23onesweep_lookback_stateEbbT6_jjT7_P12ihipStream_tbENKUlT_T0_SK_SP_E_clIPfSE_SF_SF_EEDaS13_S14_SK_SP_EUlS13_E_NS1_11comp_targetILNS1_3genE9ELNS1_11target_archE1100ELNS1_3gpuE3ELNS1_3repE0EEENS1_47radix_sort_onesweep_sort_config_static_selectorELNS0_4arch9wavefront6targetE0EEEvSK_.private_seg_size, 0
	.set _ZN7rocprim17ROCPRIM_400000_NS6detail17trampoline_kernelINS0_14default_configENS1_35radix_sort_onesweep_config_selectorIfNS0_10empty_typeEEEZZNS1_29radix_sort_onesweep_iterationIS3_Lb0EN6thrust23THRUST_200600_302600_NS6detail15normal_iteratorINS9_10device_ptrIfEEEESE_PS5_SF_jNS0_19identity_decomposerENS1_16block_id_wrapperIjLb0EEEEE10hipError_tT1_PNSt15iterator_traitsISK_E10value_typeET2_T3_PNSL_ISQ_E10value_typeET4_T5_PSV_SW_PNS1_23onesweep_lookback_stateEbbT6_jjT7_P12ihipStream_tbENKUlT_T0_SK_SP_E_clIPfSE_SF_SF_EEDaS13_S14_SK_SP_EUlS13_E_NS1_11comp_targetILNS1_3genE9ELNS1_11target_archE1100ELNS1_3gpuE3ELNS1_3repE0EEENS1_47radix_sort_onesweep_sort_config_static_selectorELNS0_4arch9wavefront6targetE0EEEvSK_.uses_vcc, 0
	.set _ZN7rocprim17ROCPRIM_400000_NS6detail17trampoline_kernelINS0_14default_configENS1_35radix_sort_onesweep_config_selectorIfNS0_10empty_typeEEEZZNS1_29radix_sort_onesweep_iterationIS3_Lb0EN6thrust23THRUST_200600_302600_NS6detail15normal_iteratorINS9_10device_ptrIfEEEESE_PS5_SF_jNS0_19identity_decomposerENS1_16block_id_wrapperIjLb0EEEEE10hipError_tT1_PNSt15iterator_traitsISK_E10value_typeET2_T3_PNSL_ISQ_E10value_typeET4_T5_PSV_SW_PNS1_23onesweep_lookback_stateEbbT6_jjT7_P12ihipStream_tbENKUlT_T0_SK_SP_E_clIPfSE_SF_SF_EEDaS13_S14_SK_SP_EUlS13_E_NS1_11comp_targetILNS1_3genE9ELNS1_11target_archE1100ELNS1_3gpuE3ELNS1_3repE0EEENS1_47radix_sort_onesweep_sort_config_static_selectorELNS0_4arch9wavefront6targetE0EEEvSK_.uses_flat_scratch, 0
	.set _ZN7rocprim17ROCPRIM_400000_NS6detail17trampoline_kernelINS0_14default_configENS1_35radix_sort_onesweep_config_selectorIfNS0_10empty_typeEEEZZNS1_29radix_sort_onesweep_iterationIS3_Lb0EN6thrust23THRUST_200600_302600_NS6detail15normal_iteratorINS9_10device_ptrIfEEEESE_PS5_SF_jNS0_19identity_decomposerENS1_16block_id_wrapperIjLb0EEEEE10hipError_tT1_PNSt15iterator_traitsISK_E10value_typeET2_T3_PNSL_ISQ_E10value_typeET4_T5_PSV_SW_PNS1_23onesweep_lookback_stateEbbT6_jjT7_P12ihipStream_tbENKUlT_T0_SK_SP_E_clIPfSE_SF_SF_EEDaS13_S14_SK_SP_EUlS13_E_NS1_11comp_targetILNS1_3genE9ELNS1_11target_archE1100ELNS1_3gpuE3ELNS1_3repE0EEENS1_47radix_sort_onesweep_sort_config_static_selectorELNS0_4arch9wavefront6targetE0EEEvSK_.has_dyn_sized_stack, 0
	.set _ZN7rocprim17ROCPRIM_400000_NS6detail17trampoline_kernelINS0_14default_configENS1_35radix_sort_onesweep_config_selectorIfNS0_10empty_typeEEEZZNS1_29radix_sort_onesweep_iterationIS3_Lb0EN6thrust23THRUST_200600_302600_NS6detail15normal_iteratorINS9_10device_ptrIfEEEESE_PS5_SF_jNS0_19identity_decomposerENS1_16block_id_wrapperIjLb0EEEEE10hipError_tT1_PNSt15iterator_traitsISK_E10value_typeET2_T3_PNSL_ISQ_E10value_typeET4_T5_PSV_SW_PNS1_23onesweep_lookback_stateEbbT6_jjT7_P12ihipStream_tbENKUlT_T0_SK_SP_E_clIPfSE_SF_SF_EEDaS13_S14_SK_SP_EUlS13_E_NS1_11comp_targetILNS1_3genE9ELNS1_11target_archE1100ELNS1_3gpuE3ELNS1_3repE0EEENS1_47radix_sort_onesweep_sort_config_static_selectorELNS0_4arch9wavefront6targetE0EEEvSK_.has_recursion, 0
	.set _ZN7rocprim17ROCPRIM_400000_NS6detail17trampoline_kernelINS0_14default_configENS1_35radix_sort_onesweep_config_selectorIfNS0_10empty_typeEEEZZNS1_29radix_sort_onesweep_iterationIS3_Lb0EN6thrust23THRUST_200600_302600_NS6detail15normal_iteratorINS9_10device_ptrIfEEEESE_PS5_SF_jNS0_19identity_decomposerENS1_16block_id_wrapperIjLb0EEEEE10hipError_tT1_PNSt15iterator_traitsISK_E10value_typeET2_T3_PNSL_ISQ_E10value_typeET4_T5_PSV_SW_PNS1_23onesweep_lookback_stateEbbT6_jjT7_P12ihipStream_tbENKUlT_T0_SK_SP_E_clIPfSE_SF_SF_EEDaS13_S14_SK_SP_EUlS13_E_NS1_11comp_targetILNS1_3genE9ELNS1_11target_archE1100ELNS1_3gpuE3ELNS1_3repE0EEENS1_47radix_sort_onesweep_sort_config_static_selectorELNS0_4arch9wavefront6targetE0EEEvSK_.has_indirect_call, 0
	.section	.AMDGPU.csdata,"",@progbits
; Kernel info:
; codeLenInByte = 0
; TotalNumSgprs: 0
; NumVgprs: 0
; ScratchSize: 0
; MemoryBound: 0
; FloatMode: 240
; IeeeMode: 1
; LDSByteSize: 0 bytes/workgroup (compile time only)
; SGPRBlocks: 0
; VGPRBlocks: 0
; NumSGPRsForWavesPerEU: 1
; NumVGPRsForWavesPerEU: 1
; Occupancy: 16
; WaveLimiterHint : 0
; COMPUTE_PGM_RSRC2:SCRATCH_EN: 0
; COMPUTE_PGM_RSRC2:USER_SGPR: 6
; COMPUTE_PGM_RSRC2:TRAP_HANDLER: 0
; COMPUTE_PGM_RSRC2:TGID_X_EN: 1
; COMPUTE_PGM_RSRC2:TGID_Y_EN: 0
; COMPUTE_PGM_RSRC2:TGID_Z_EN: 0
; COMPUTE_PGM_RSRC2:TIDIG_COMP_CNT: 0
	.section	.text._ZN7rocprim17ROCPRIM_400000_NS6detail17trampoline_kernelINS0_14default_configENS1_35radix_sort_onesweep_config_selectorIfNS0_10empty_typeEEEZZNS1_29radix_sort_onesweep_iterationIS3_Lb0EN6thrust23THRUST_200600_302600_NS6detail15normal_iteratorINS9_10device_ptrIfEEEESE_PS5_SF_jNS0_19identity_decomposerENS1_16block_id_wrapperIjLb0EEEEE10hipError_tT1_PNSt15iterator_traitsISK_E10value_typeET2_T3_PNSL_ISQ_E10value_typeET4_T5_PSV_SW_PNS1_23onesweep_lookback_stateEbbT6_jjT7_P12ihipStream_tbENKUlT_T0_SK_SP_E_clIPfSE_SF_SF_EEDaS13_S14_SK_SP_EUlS13_E_NS1_11comp_targetILNS1_3genE8ELNS1_11target_archE1030ELNS1_3gpuE2ELNS1_3repE0EEENS1_47radix_sort_onesweep_sort_config_static_selectorELNS0_4arch9wavefront6targetE0EEEvSK_,"axG",@progbits,_ZN7rocprim17ROCPRIM_400000_NS6detail17trampoline_kernelINS0_14default_configENS1_35radix_sort_onesweep_config_selectorIfNS0_10empty_typeEEEZZNS1_29radix_sort_onesweep_iterationIS3_Lb0EN6thrust23THRUST_200600_302600_NS6detail15normal_iteratorINS9_10device_ptrIfEEEESE_PS5_SF_jNS0_19identity_decomposerENS1_16block_id_wrapperIjLb0EEEEE10hipError_tT1_PNSt15iterator_traitsISK_E10value_typeET2_T3_PNSL_ISQ_E10value_typeET4_T5_PSV_SW_PNS1_23onesweep_lookback_stateEbbT6_jjT7_P12ihipStream_tbENKUlT_T0_SK_SP_E_clIPfSE_SF_SF_EEDaS13_S14_SK_SP_EUlS13_E_NS1_11comp_targetILNS1_3genE8ELNS1_11target_archE1030ELNS1_3gpuE2ELNS1_3repE0EEENS1_47radix_sort_onesweep_sort_config_static_selectorELNS0_4arch9wavefront6targetE0EEEvSK_,comdat
	.protected	_ZN7rocprim17ROCPRIM_400000_NS6detail17trampoline_kernelINS0_14default_configENS1_35radix_sort_onesweep_config_selectorIfNS0_10empty_typeEEEZZNS1_29radix_sort_onesweep_iterationIS3_Lb0EN6thrust23THRUST_200600_302600_NS6detail15normal_iteratorINS9_10device_ptrIfEEEESE_PS5_SF_jNS0_19identity_decomposerENS1_16block_id_wrapperIjLb0EEEEE10hipError_tT1_PNSt15iterator_traitsISK_E10value_typeET2_T3_PNSL_ISQ_E10value_typeET4_T5_PSV_SW_PNS1_23onesweep_lookback_stateEbbT6_jjT7_P12ihipStream_tbENKUlT_T0_SK_SP_E_clIPfSE_SF_SF_EEDaS13_S14_SK_SP_EUlS13_E_NS1_11comp_targetILNS1_3genE8ELNS1_11target_archE1030ELNS1_3gpuE2ELNS1_3repE0EEENS1_47radix_sort_onesweep_sort_config_static_selectorELNS0_4arch9wavefront6targetE0EEEvSK_ ; -- Begin function _ZN7rocprim17ROCPRIM_400000_NS6detail17trampoline_kernelINS0_14default_configENS1_35radix_sort_onesweep_config_selectorIfNS0_10empty_typeEEEZZNS1_29radix_sort_onesweep_iterationIS3_Lb0EN6thrust23THRUST_200600_302600_NS6detail15normal_iteratorINS9_10device_ptrIfEEEESE_PS5_SF_jNS0_19identity_decomposerENS1_16block_id_wrapperIjLb0EEEEE10hipError_tT1_PNSt15iterator_traitsISK_E10value_typeET2_T3_PNSL_ISQ_E10value_typeET4_T5_PSV_SW_PNS1_23onesweep_lookback_stateEbbT6_jjT7_P12ihipStream_tbENKUlT_T0_SK_SP_E_clIPfSE_SF_SF_EEDaS13_S14_SK_SP_EUlS13_E_NS1_11comp_targetILNS1_3genE8ELNS1_11target_archE1030ELNS1_3gpuE2ELNS1_3repE0EEENS1_47radix_sort_onesweep_sort_config_static_selectorELNS0_4arch9wavefront6targetE0EEEvSK_
	.globl	_ZN7rocprim17ROCPRIM_400000_NS6detail17trampoline_kernelINS0_14default_configENS1_35radix_sort_onesweep_config_selectorIfNS0_10empty_typeEEEZZNS1_29radix_sort_onesweep_iterationIS3_Lb0EN6thrust23THRUST_200600_302600_NS6detail15normal_iteratorINS9_10device_ptrIfEEEESE_PS5_SF_jNS0_19identity_decomposerENS1_16block_id_wrapperIjLb0EEEEE10hipError_tT1_PNSt15iterator_traitsISK_E10value_typeET2_T3_PNSL_ISQ_E10value_typeET4_T5_PSV_SW_PNS1_23onesweep_lookback_stateEbbT6_jjT7_P12ihipStream_tbENKUlT_T0_SK_SP_E_clIPfSE_SF_SF_EEDaS13_S14_SK_SP_EUlS13_E_NS1_11comp_targetILNS1_3genE8ELNS1_11target_archE1030ELNS1_3gpuE2ELNS1_3repE0EEENS1_47radix_sort_onesweep_sort_config_static_selectorELNS0_4arch9wavefront6targetE0EEEvSK_
	.p2align	8
	.type	_ZN7rocprim17ROCPRIM_400000_NS6detail17trampoline_kernelINS0_14default_configENS1_35radix_sort_onesweep_config_selectorIfNS0_10empty_typeEEEZZNS1_29radix_sort_onesweep_iterationIS3_Lb0EN6thrust23THRUST_200600_302600_NS6detail15normal_iteratorINS9_10device_ptrIfEEEESE_PS5_SF_jNS0_19identity_decomposerENS1_16block_id_wrapperIjLb0EEEEE10hipError_tT1_PNSt15iterator_traitsISK_E10value_typeET2_T3_PNSL_ISQ_E10value_typeET4_T5_PSV_SW_PNS1_23onesweep_lookback_stateEbbT6_jjT7_P12ihipStream_tbENKUlT_T0_SK_SP_E_clIPfSE_SF_SF_EEDaS13_S14_SK_SP_EUlS13_E_NS1_11comp_targetILNS1_3genE8ELNS1_11target_archE1030ELNS1_3gpuE2ELNS1_3repE0EEENS1_47radix_sort_onesweep_sort_config_static_selectorELNS0_4arch9wavefront6targetE0EEEvSK_,@function
_ZN7rocprim17ROCPRIM_400000_NS6detail17trampoline_kernelINS0_14default_configENS1_35radix_sort_onesweep_config_selectorIfNS0_10empty_typeEEEZZNS1_29radix_sort_onesweep_iterationIS3_Lb0EN6thrust23THRUST_200600_302600_NS6detail15normal_iteratorINS9_10device_ptrIfEEEESE_PS5_SF_jNS0_19identity_decomposerENS1_16block_id_wrapperIjLb0EEEEE10hipError_tT1_PNSt15iterator_traitsISK_E10value_typeET2_T3_PNSL_ISQ_E10value_typeET4_T5_PSV_SW_PNS1_23onesweep_lookback_stateEbbT6_jjT7_P12ihipStream_tbENKUlT_T0_SK_SP_E_clIPfSE_SF_SF_EEDaS13_S14_SK_SP_EUlS13_E_NS1_11comp_targetILNS1_3genE8ELNS1_11target_archE1030ELNS1_3gpuE2ELNS1_3repE0EEENS1_47radix_sort_onesweep_sort_config_static_selectorELNS0_4arch9wavefront6targetE0EEEvSK_: ; @_ZN7rocprim17ROCPRIM_400000_NS6detail17trampoline_kernelINS0_14default_configENS1_35radix_sort_onesweep_config_selectorIfNS0_10empty_typeEEEZZNS1_29radix_sort_onesweep_iterationIS3_Lb0EN6thrust23THRUST_200600_302600_NS6detail15normal_iteratorINS9_10device_ptrIfEEEESE_PS5_SF_jNS0_19identity_decomposerENS1_16block_id_wrapperIjLb0EEEEE10hipError_tT1_PNSt15iterator_traitsISK_E10value_typeET2_T3_PNSL_ISQ_E10value_typeET4_T5_PSV_SW_PNS1_23onesweep_lookback_stateEbbT6_jjT7_P12ihipStream_tbENKUlT_T0_SK_SP_E_clIPfSE_SF_SF_EEDaS13_S14_SK_SP_EUlS13_E_NS1_11comp_targetILNS1_3genE8ELNS1_11target_archE1030ELNS1_3gpuE2ELNS1_3repE0EEENS1_47radix_sort_onesweep_sort_config_static_selectorELNS0_4arch9wavefront6targetE0EEEvSK_
; %bb.0:
	s_clause 0x3
	s_load_dwordx4 s[20:23], s[4:5], 0x44
	s_load_dwordx2 s[10:11], s[4:5], 0x38
	s_load_dwordx4 s[16:19], s[4:5], 0x0
	s_load_dwordx4 s[12:15], s[4:5], 0x28
	v_mbcnt_lo_u32_b32 v11, -1, 0
	v_and_b32_e32 v12, 0x3e0, v0
	s_mov_b32 s0, -1
	s_mul_i32 s24, s6, 0x1800
	s_waitcnt lgkmcnt(0)
	s_cmp_ge_u32 s6, s22
	s_cbranch_scc0 .LBB612_60
; %bb.1:
	s_load_dword s9, s[4:5], 0x20
	s_mov_b32 s25, 0
	s_mul_i32 s2, s22, 0xffffe800
	v_mul_u32_u24_e32 v4, 6, v12
	v_lshlrev_b32_e32 v8, 2, v11
	s_lshl_b64 s[0:1], s[24:25], 2
	v_bfrev_b32_e32 v3, -2
	v_lshlrev_b32_e32 v9, 2, v4
	v_or_b32_e32 v13, v11, v4
	v_mov_b32_e32 v4, v3
	v_mov_b32_e32 v5, v3
	;; [unrolled: 1-line block ×4, first 2 shown]
	s_waitcnt lgkmcnt(0)
	s_add_i32 s9, s9, s2
	s_add_u32 s0, s16, s0
	s_addc_u32 s1, s17, s1
	v_add_co_u32 v8, s0, s0, v8
	v_add_co_ci_u32_e64 v10, null, s1, 0, s0
	v_add_co_u32 v9, s0, v8, v9
	v_add_co_ci_u32_e64 v10, null, 0, v10, s0
	v_mov_b32_e32 v8, v3
	s_mov_b32 s0, exec_lo
	v_cmpx_gt_u32_e64 s9, v13
	s_cbranch_execz .LBB612_3
; %bb.2:
	global_load_dword v14, v[9:10], off
	v_mov_b32_e32 v15, v3
	v_mov_b32_e32 v16, v3
	;; [unrolled: 1-line block ×5, first 2 shown]
	s_waitcnt vmcnt(0)
	v_mov_b32_e32 v3, v14
	v_mov_b32_e32 v4, v15
	;; [unrolled: 1-line block ×6, first 2 shown]
.LBB612_3:
	s_or_b32 exec_lo, exec_lo, s0
	v_or_b32_e32 v14, 32, v13
	s_mov_b32 s0, exec_lo
	v_cmpx_gt_u32_e64 s9, v14
	s_cbranch_execz .LBB612_5
; %bb.4:
	global_load_dword v4, v[9:10], off offset:128
.LBB612_5:
	s_or_b32 exec_lo, exec_lo, s0
	v_add_nc_u32_e32 v14, 64, v13
	s_mov_b32 s0, exec_lo
	v_cmpx_gt_u32_e64 s9, v14
	s_cbranch_execz .LBB612_7
; %bb.6:
	global_load_dword v5, v[9:10], off offset:256
.LBB612_7:
	s_or_b32 exec_lo, exec_lo, s0
	v_add_nc_u32_e32 v14, 0x60, v13
	;; [unrolled: 8-line block ×4, first 2 shown]
	s_mov_b32 s0, exec_lo
	v_cmpx_gt_u32_e64 s9, v13
	s_cbranch_execz .LBB612_13
; %bb.12:
	global_load_dword v8, v[9:10], off offset:640
.LBB612_13:
	s_or_b32 exec_lo, exec_lo, s0
	s_clause 0x1
	s_load_dword s0, s[4:5], 0x64
	s_load_dword s22, s[4:5], 0x58
	s_add_u32 s1, s4, 0x58
	s_addc_u32 s2, s5, 0
	v_mov_b32_e32 v10, 0
	v_cmp_lt_i32_e32 vcc_lo, -1, v3
	v_cndmask_b32_e64 v13, -1, 0x80000000, vcc_lo
	v_xor_b32_e32 v13, v13, v3
	v_cmp_ne_u32_e32 vcc_lo, 0x7fffffff, v13
	s_waitcnt lgkmcnt(0)
	s_lshr_b32 s3, s0, 16
	s_cmp_lt_u32 s6, s22
	s_cselect_b32 s0, 12, 18
	v_cndmask_b32_e32 v3, 0x80000000, v13, vcc_lo
	s_add_u32 s0, s1, s0
	s_addc_u32 s1, s2, 0
	global_load_ushort v9, v10, s[0:1]
	v_lshrrev_b32_e32 v3, s20, v3
	s_lshl_b32 s0, -1, s21
	s_not_b32 s23, s0
	v_and_b32_e32 v3, s23, v3
	v_and_b32_e32 v14, 1, v3
	v_lshlrev_b32_e32 v15, 30, v3
	v_lshlrev_b32_e32 v16, 29, v3
	;; [unrolled: 1-line block ×4, first 2 shown]
	v_add_co_u32 v14, s0, v14, -1
	v_cndmask_b32_e64 v17, 0, 1, s0
	v_not_b32_e32 v21, v15
	v_cmp_gt_i32_e64 s0, 0, v15
	v_not_b32_e32 v15, v16
	v_lshlrev_b32_e32 v20, 26, v3
	v_cmp_ne_u32_e32 vcc_lo, 0, v17
	v_ashrrev_i32_e32 v21, 31, v21
	v_lshlrev_b32_e32 v17, 25, v3
	v_ashrrev_i32_e32 v15, 31, v15
	v_xor_b32_e32 v14, vcc_lo, v14
	v_cmp_gt_i32_e32 vcc_lo, 0, v16
	v_not_b32_e32 v16, v18
	v_xor_b32_e32 v21, s0, v21
	v_cmp_gt_i32_e64 s0, 0, v18
	v_and_b32_e32 v14, exec_lo, v14
	v_not_b32_e32 v18, v19
	v_ashrrev_i32_e32 v16, 31, v16
	v_xor_b32_e32 v15, vcc_lo, v15
	v_cmp_gt_i32_e32 vcc_lo, 0, v19
	v_and_b32_e32 v14, v14, v21
	v_not_b32_e32 v19, v20
	v_ashrrev_i32_e32 v18, 31, v18
	v_xor_b32_e32 v16, s0, v16
	v_cmp_gt_i32_e64 s0, 0, v20
	v_and_b32_e32 v14, v14, v15
	v_not_b32_e32 v15, v17
	v_ashrrev_i32_e32 v19, 31, v19
	v_xor_b32_e32 v18, vcc_lo, v18
	v_cmp_gt_i32_e32 vcc_lo, 0, v17
	v_and_b32_e32 v14, v14, v16
	v_lshlrev_b32_e32 v16, 24, v3
	v_ashrrev_i32_e32 v15, 31, v15
	v_xor_b32_e32 v17, s0, v19
	v_and_b32_e32 v14, v14, v18
	v_not_b32_e32 v18, v16
	v_xor_b32_e32 v15, vcc_lo, v15
	v_cmp_gt_i32_e32 vcc_lo, 0, v16
	v_mul_u32_u24_e32 v16, 36, v0
	v_and_b32_e32 v14, v14, v17
	v_mad_u32_u24 v17, v2, s3, v1
	v_ashrrev_i32_e32 v18, 31, v18
	ds_write2_b32 v16, v10, v10 offset0:32 offset1:33
	v_and_b32_e32 v19, v14, v15
	ds_write2_b32 v16, v10, v10 offset0:34 offset1:35
	ds_write2_b32 v16, v10, v10 offset0:36 offset1:37
	;; [unrolled: 1-line block ×3, first 2 shown]
	ds_write_b32 v16, v10 offset:160
	s_waitcnt vmcnt(0) lgkmcnt(0)
	s_barrier
	buffer_gl0_inv
	; wave barrier
	v_mad_u64_u32 v[14:15], null, v17, v9, v[0:1]
	v_xor_b32_e32 v9, vcc_lo, v18
	v_mul_lo_u32 v17, 0x84, v3
	v_and_b32_e32 v9, v19, v9
	v_lshrrev_b32_e32 v14, 3, v14
	v_mbcnt_lo_u32_b32 v15, v9, 0
	v_and_b32_e32 v3, 0x1ffffffc, v14
	v_cmp_ne_u32_e64 s0, 0, v9
	v_cmp_eq_u32_e32 vcc_lo, 0, v15
	v_add_nc_u32_e32 v17, v3, v17
	s_and_b32 s1, s0, vcc_lo
	s_and_saveexec_b32 s0, s1
; %bb.14:
	v_bcnt_u32_b32 v9, v9, 0
	ds_write_b32 v17, v9 offset:128
; %bb.15:
	s_or_b32 exec_lo, exec_lo, s0
	v_cmp_lt_i32_e32 vcc_lo, -1, v4
	; wave barrier
	v_cndmask_b32_e64 v9, -1, 0x80000000, vcc_lo
	v_xor_b32_e32 v14, v9, v4
	v_cmp_ne_u32_e32 vcc_lo, 0x7fffffff, v14
	v_cndmask_b32_e32 v4, 0x80000000, v14, vcc_lo
	v_lshrrev_b32_e32 v4, s20, v4
	v_and_b32_e32 v4, s23, v4
	v_and_b32_e32 v10, 1, v4
	v_lshlrev_b32_e32 v18, 30, v4
	v_lshlrev_b32_e32 v19, 29, v4
	;; [unrolled: 1-line block ×4, first 2 shown]
	v_add_co_u32 v10, s0, v10, -1
	v_cndmask_b32_e64 v21, 0, 1, s0
	v_not_b32_e32 v25, v18
	v_cmp_gt_i32_e64 s0, 0, v18
	v_not_b32_e32 v18, v19
	v_lshlrev_b32_e32 v23, 26, v4
	v_cmp_ne_u32_e32 vcc_lo, 0, v21
	v_ashrrev_i32_e32 v21, 31, v25
	v_lshlrev_b32_e32 v24, 25, v4
	v_ashrrev_i32_e32 v18, 31, v18
	v_mul_lo_u32 v9, 0x84, v4
	v_xor_b32_e32 v10, vcc_lo, v10
	v_cmp_gt_i32_e32 vcc_lo, 0, v19
	v_not_b32_e32 v19, v20
	v_xor_b32_e32 v21, s0, v21
	v_cmp_gt_i32_e64 s0, 0, v20
	v_and_b32_e32 v10, exec_lo, v10
	v_not_b32_e32 v20, v22
	v_ashrrev_i32_e32 v19, 31, v19
	v_xor_b32_e32 v18, vcc_lo, v18
	v_cmp_gt_i32_e32 vcc_lo, 0, v22
	v_and_b32_e32 v10, v10, v21
	v_not_b32_e32 v21, v23
	v_ashrrev_i32_e32 v20, 31, v20
	v_xor_b32_e32 v19, s0, v19
	v_lshlrev_b32_e32 v4, 24, v4
	v_and_b32_e32 v10, v10, v18
	v_cmp_gt_i32_e64 s0, 0, v23
	v_not_b32_e32 v18, v24
	v_ashrrev_i32_e32 v21, 31, v21
	v_xor_b32_e32 v20, vcc_lo, v20
	v_and_b32_e32 v10, v10, v19
	v_cmp_gt_i32_e32 vcc_lo, 0, v24
	v_not_b32_e32 v19, v4
	v_ashrrev_i32_e32 v18, 31, v18
	v_xor_b32_e32 v21, s0, v21
	v_and_b32_e32 v10, v10, v20
	v_cmp_gt_i32_e64 s0, 0, v4
	v_ashrrev_i32_e32 v4, 31, v19
	v_xor_b32_e32 v18, vcc_lo, v18
	v_and_b32_e32 v10, v10, v21
	v_add_nc_u32_e32 v21, v3, v9
	v_xor_b32_e32 v4, s0, v4
	v_and_b32_e32 v9, v10, v18
	ds_read_b32 v19, v21 offset:128
	; wave barrier
	v_and_b32_e32 v4, v9, v4
	v_mbcnt_lo_u32_b32 v20, v4, 0
	v_cmp_ne_u32_e64 s0, 0, v4
	v_cmp_eq_u32_e32 vcc_lo, 0, v20
	s_and_b32 s1, s0, vcc_lo
	s_and_saveexec_b32 s0, s1
	s_cbranch_execz .LBB612_17
; %bb.16:
	s_waitcnt lgkmcnt(0)
	v_bcnt_u32_b32 v4, v4, v19
	ds_write_b32 v21, v4 offset:128
.LBB612_17:
	s_or_b32 exec_lo, exec_lo, s0
	v_cmp_lt_i32_e32 vcc_lo, -1, v5
	; wave barrier
	v_cndmask_b32_e64 v4, -1, 0x80000000, vcc_lo
	v_xor_b32_e32 v18, v4, v5
	v_cmp_ne_u32_e32 vcc_lo, 0x7fffffff, v18
	v_cndmask_b32_e32 v4, 0x80000000, v18, vcc_lo
	v_lshrrev_b32_e32 v4, s20, v4
	v_and_b32_e32 v4, s23, v4
	v_and_b32_e32 v9, 1, v4
	v_lshlrev_b32_e32 v10, 30, v4
	v_lshlrev_b32_e32 v22, 29, v4
	v_lshlrev_b32_e32 v23, 28, v4
	v_lshlrev_b32_e32 v25, 27, v4
	v_add_co_u32 v9, s0, v9, -1
	v_cndmask_b32_e64 v24, 0, 1, s0
	v_not_b32_e32 v28, v10
	v_cmp_gt_i32_e64 s0, 0, v10
	v_not_b32_e32 v10, v22
	v_lshlrev_b32_e32 v26, 26, v4
	v_cmp_ne_u32_e32 vcc_lo, 0, v24
	v_ashrrev_i32_e32 v24, 31, v28
	v_lshlrev_b32_e32 v27, 25, v4
	v_ashrrev_i32_e32 v10, 31, v10
	v_mul_lo_u32 v5, 0x84, v4
	v_xor_b32_e32 v9, vcc_lo, v9
	v_cmp_gt_i32_e32 vcc_lo, 0, v22
	v_not_b32_e32 v22, v23
	v_xor_b32_e32 v24, s0, v24
	v_cmp_gt_i32_e64 s0, 0, v23
	v_and_b32_e32 v9, exec_lo, v9
	v_not_b32_e32 v23, v25
	v_ashrrev_i32_e32 v22, 31, v22
	v_xor_b32_e32 v10, vcc_lo, v10
	v_cmp_gt_i32_e32 vcc_lo, 0, v25
	v_and_b32_e32 v9, v9, v24
	v_not_b32_e32 v24, v26
	v_ashrrev_i32_e32 v23, 31, v23
	v_xor_b32_e32 v22, s0, v22
	v_lshlrev_b32_e32 v4, 24, v4
	v_and_b32_e32 v9, v9, v10
	v_cmp_gt_i32_e64 s0, 0, v26
	v_not_b32_e32 v10, v27
	v_ashrrev_i32_e32 v24, 31, v24
	v_xor_b32_e32 v23, vcc_lo, v23
	v_and_b32_e32 v9, v9, v22
	v_cmp_gt_i32_e32 vcc_lo, 0, v27
	v_not_b32_e32 v22, v4
	v_ashrrev_i32_e32 v10, 31, v10
	v_xor_b32_e32 v24, s0, v24
	v_and_b32_e32 v9, v9, v23
	v_cmp_gt_i32_e64 s0, 0, v4
	v_ashrrev_i32_e32 v4, 31, v22
	v_xor_b32_e32 v10, vcc_lo, v10
	v_add_nc_u32_e32 v25, v3, v5
	v_and_b32_e32 v9, v9, v24
	v_xor_b32_e32 v4, s0, v4
	ds_read_b32 v23, v25 offset:128
	v_and_b32_e32 v5, v9, v10
	; wave barrier
	v_and_b32_e32 v4, v5, v4
	v_mbcnt_lo_u32_b32 v24, v4, 0
	v_cmp_ne_u32_e64 s0, 0, v4
	v_cmp_eq_u32_e32 vcc_lo, 0, v24
	s_and_b32 s1, s0, vcc_lo
	s_and_saveexec_b32 s0, s1
	s_cbranch_execz .LBB612_19
; %bb.18:
	s_waitcnt lgkmcnt(0)
	v_bcnt_u32_b32 v4, v4, v23
	ds_write_b32 v25, v4 offset:128
.LBB612_19:
	s_or_b32 exec_lo, exec_lo, s0
	v_cmp_lt_i32_e32 vcc_lo, -1, v6
	; wave barrier
	v_cndmask_b32_e64 v4, -1, 0x80000000, vcc_lo
	v_xor_b32_e32 v22, v4, v6
	v_cmp_ne_u32_e32 vcc_lo, 0x7fffffff, v22
	v_cndmask_b32_e32 v4, 0x80000000, v22, vcc_lo
	v_lshrrev_b32_e32 v4, s20, v4
	v_and_b32_e32 v4, s23, v4
	v_and_b32_e32 v6, 1, v4
	v_lshlrev_b32_e32 v9, 30, v4
	v_lshlrev_b32_e32 v10, 29, v4
	;; [unrolled: 1-line block ×4, first 2 shown]
	v_add_co_u32 v6, s0, v6, -1
	v_cndmask_b32_e64 v27, 0, 1, s0
	v_not_b32_e32 v31, v9
	v_cmp_gt_i32_e64 s0, 0, v9
	v_not_b32_e32 v9, v10
	v_lshlrev_b32_e32 v29, 26, v4
	v_cmp_ne_u32_e32 vcc_lo, 0, v27
	v_ashrrev_i32_e32 v27, 31, v31
	v_lshlrev_b32_e32 v30, 25, v4
	v_ashrrev_i32_e32 v9, 31, v9
	v_mul_lo_u32 v5, 0x84, v4
	v_xor_b32_e32 v6, vcc_lo, v6
	v_cmp_gt_i32_e32 vcc_lo, 0, v10
	v_not_b32_e32 v10, v26
	v_xor_b32_e32 v27, s0, v27
	v_cmp_gt_i32_e64 s0, 0, v26
	v_and_b32_e32 v6, exec_lo, v6
	v_not_b32_e32 v26, v28
	v_ashrrev_i32_e32 v10, 31, v10
	v_xor_b32_e32 v9, vcc_lo, v9
	v_cmp_gt_i32_e32 vcc_lo, 0, v28
	v_and_b32_e32 v6, v6, v27
	v_not_b32_e32 v27, v29
	v_ashrrev_i32_e32 v26, 31, v26
	v_xor_b32_e32 v10, s0, v10
	v_lshlrev_b32_e32 v4, 24, v4
	v_and_b32_e32 v6, v6, v9
	v_cmp_gt_i32_e64 s0, 0, v29
	v_not_b32_e32 v9, v30
	v_ashrrev_i32_e32 v27, 31, v27
	v_xor_b32_e32 v26, vcc_lo, v26
	v_and_b32_e32 v6, v6, v10
	v_cmp_gt_i32_e32 vcc_lo, 0, v30
	v_not_b32_e32 v10, v4
	v_ashrrev_i32_e32 v9, 31, v9
	v_xor_b32_e32 v27, s0, v27
	v_and_b32_e32 v6, v6, v26
	v_cmp_gt_i32_e64 s0, 0, v4
	v_ashrrev_i32_e32 v4, 31, v10
	v_xor_b32_e32 v9, vcc_lo, v9
	v_add_nc_u32_e32 v29, v3, v5
	v_and_b32_e32 v6, v6, v27
	v_xor_b32_e32 v4, s0, v4
	ds_read_b32 v26, v29 offset:128
	v_and_b32_e32 v5, v6, v9
	; wave barrier
	v_and_b32_e32 v4, v5, v4
	v_mbcnt_lo_u32_b32 v28, v4, 0
	v_cmp_ne_u32_e64 s0, 0, v4
	v_cmp_eq_u32_e32 vcc_lo, 0, v28
	s_and_b32 s1, s0, vcc_lo
	s_and_saveexec_b32 s0, s1
	s_cbranch_execz .LBB612_21
; %bb.20:
	s_waitcnt lgkmcnt(0)
	v_bcnt_u32_b32 v4, v4, v26
	ds_write_b32 v29, v4 offset:128
.LBB612_21:
	s_or_b32 exec_lo, exec_lo, s0
	v_cmp_lt_i32_e32 vcc_lo, -1, v7
	; wave barrier
	v_cndmask_b32_e64 v4, -1, 0x80000000, vcc_lo
	v_xor_b32_e32 v27, v4, v7
	v_cmp_ne_u32_e32 vcc_lo, 0x7fffffff, v27
	v_cndmask_b32_e32 v4, 0x80000000, v27, vcc_lo
	v_lshrrev_b32_e32 v4, s20, v4
	v_and_b32_e32 v4, s23, v4
	v_and_b32_e32 v6, 1, v4
	v_lshlrev_b32_e32 v7, 30, v4
	v_lshlrev_b32_e32 v9, 29, v4
	;; [unrolled: 1-line block ×4, first 2 shown]
	v_add_co_u32 v6, s0, v6, -1
	v_cndmask_b32_e64 v30, 0, 1, s0
	v_not_b32_e32 v34, v7
	v_cmp_gt_i32_e64 s0, 0, v7
	v_not_b32_e32 v7, v9
	v_lshlrev_b32_e32 v32, 26, v4
	v_cmp_ne_u32_e32 vcc_lo, 0, v30
	v_ashrrev_i32_e32 v30, 31, v34
	v_lshlrev_b32_e32 v33, 25, v4
	v_ashrrev_i32_e32 v7, 31, v7
	v_mul_lo_u32 v5, 0x84, v4
	v_xor_b32_e32 v6, vcc_lo, v6
	v_cmp_gt_i32_e32 vcc_lo, 0, v9
	v_not_b32_e32 v9, v10
	v_xor_b32_e32 v30, s0, v30
	v_cmp_gt_i32_e64 s0, 0, v10
	v_and_b32_e32 v6, exec_lo, v6
	v_not_b32_e32 v10, v31
	v_ashrrev_i32_e32 v9, 31, v9
	v_xor_b32_e32 v7, vcc_lo, v7
	v_cmp_gt_i32_e32 vcc_lo, 0, v31
	v_and_b32_e32 v6, v6, v30
	v_not_b32_e32 v30, v32
	v_ashrrev_i32_e32 v10, 31, v10
	v_xor_b32_e32 v9, s0, v9
	v_lshlrev_b32_e32 v4, 24, v4
	v_and_b32_e32 v6, v6, v7
	v_cmp_gt_i32_e64 s0, 0, v32
	v_not_b32_e32 v7, v33
	v_ashrrev_i32_e32 v30, 31, v30
	v_xor_b32_e32 v10, vcc_lo, v10
	v_and_b32_e32 v6, v6, v9
	v_cmp_gt_i32_e32 vcc_lo, 0, v33
	v_not_b32_e32 v9, v4
	v_ashrrev_i32_e32 v7, 31, v7
	v_xor_b32_e32 v30, s0, v30
	v_and_b32_e32 v6, v6, v10
	v_cmp_gt_i32_e64 s0, 0, v4
	v_ashrrev_i32_e32 v4, 31, v9
	v_xor_b32_e32 v7, vcc_lo, v7
	v_add_nc_u32_e32 v33, v3, v5
	v_and_b32_e32 v6, v6, v30
	v_xor_b32_e32 v4, s0, v4
	ds_read_b32 v30, v33 offset:128
	v_and_b32_e32 v5, v6, v7
	; wave barrier
	v_and_b32_e32 v4, v5, v4
	v_mbcnt_lo_u32_b32 v31, v4, 0
	v_cmp_ne_u32_e64 s0, 0, v4
	v_cmp_eq_u32_e32 vcc_lo, 0, v31
	s_and_b32 s1, s0, vcc_lo
	s_and_saveexec_b32 s0, s1
	s_cbranch_execz .LBB612_23
; %bb.22:
	s_waitcnt lgkmcnt(0)
	v_bcnt_u32_b32 v4, v4, v30
	ds_write_b32 v33, v4 offset:128
.LBB612_23:
	s_or_b32 exec_lo, exec_lo, s0
	v_cmp_lt_i32_e32 vcc_lo, -1, v8
	; wave barrier
	v_cndmask_b32_e64 v4, -1, 0x80000000, vcc_lo
	v_xor_b32_e32 v32, v4, v8
	v_cmp_ne_u32_e32 vcc_lo, 0x7fffffff, v32
	v_cndmask_b32_e32 v4, 0x80000000, v32, vcc_lo
	v_lshrrev_b32_e32 v4, s20, v4
	v_and_b32_e32 v4, s23, v4
	v_and_b32_e32 v6, 1, v4
	v_lshlrev_b32_e32 v7, 30, v4
	v_lshlrev_b32_e32 v8, 29, v4
	;; [unrolled: 1-line block ×4, first 2 shown]
	v_add_co_u32 v6, s0, v6, -1
	v_cndmask_b32_e64 v10, 0, 1, s0
	v_not_b32_e32 v37, v7
	v_cmp_gt_i32_e64 s0, 0, v7
	v_not_b32_e32 v7, v8
	v_lshlrev_b32_e32 v35, 26, v4
	v_cmp_ne_u32_e32 vcc_lo, 0, v10
	v_ashrrev_i32_e32 v10, 31, v37
	v_lshlrev_b32_e32 v36, 25, v4
	v_ashrrev_i32_e32 v7, 31, v7
	v_mul_lo_u32 v5, 0x84, v4
	v_xor_b32_e32 v6, vcc_lo, v6
	v_cmp_gt_i32_e32 vcc_lo, 0, v8
	v_not_b32_e32 v8, v9
	v_xor_b32_e32 v10, s0, v10
	v_cmp_gt_i32_e64 s0, 0, v9
	v_and_b32_e32 v6, exec_lo, v6
	v_not_b32_e32 v9, v34
	v_ashrrev_i32_e32 v8, 31, v8
	v_xor_b32_e32 v7, vcc_lo, v7
	v_cmp_gt_i32_e32 vcc_lo, 0, v34
	v_and_b32_e32 v6, v6, v10
	v_not_b32_e32 v10, v35
	v_ashrrev_i32_e32 v9, 31, v9
	v_xor_b32_e32 v8, s0, v8
	v_lshlrev_b32_e32 v4, 24, v4
	v_and_b32_e32 v6, v6, v7
	v_cmp_gt_i32_e64 s0, 0, v35
	v_not_b32_e32 v7, v36
	v_ashrrev_i32_e32 v10, 31, v10
	v_xor_b32_e32 v9, vcc_lo, v9
	v_and_b32_e32 v6, v6, v8
	v_cmp_gt_i32_e32 vcc_lo, 0, v36
	v_not_b32_e32 v8, v4
	v_ashrrev_i32_e32 v7, 31, v7
	v_xor_b32_e32 v10, s0, v10
	v_and_b32_e32 v6, v6, v9
	v_cmp_gt_i32_e64 s0, 0, v4
	v_ashrrev_i32_e32 v4, 31, v8
	v_xor_b32_e32 v7, vcc_lo, v7
	v_add_nc_u32_e32 v36, v3, v5
	v_and_b32_e32 v6, v6, v10
	v_xor_b32_e32 v3, s0, v4
	ds_read_b32 v34, v36 offset:128
	v_and_b32_e32 v4, v6, v7
	; wave barrier
	v_and_b32_e32 v3, v4, v3
	v_mbcnt_lo_u32_b32 v35, v3, 0
	v_cmp_ne_u32_e64 s0, 0, v3
	v_cmp_eq_u32_e32 vcc_lo, 0, v35
	s_and_b32 s1, s0, vcc_lo
	s_and_saveexec_b32 s0, s1
	s_cbranch_execz .LBB612_25
; %bb.24:
	s_waitcnt lgkmcnt(0)
	v_bcnt_u32_b32 v3, v3, v34
	ds_write_b32 v36, v3 offset:128
.LBB612_25:
	s_or_b32 exec_lo, exec_lo, s0
	; wave barrier
	s_waitcnt lgkmcnt(0)
	s_barrier
	buffer_gl0_inv
	ds_read2_b32 v[9:10], v16 offset0:32 offset1:33
	ds_read2_b32 v[7:8], v16 offset0:34 offset1:35
	;; [unrolled: 1-line block ×4, first 2 shown]
	ds_read_b32 v37, v16 offset:160
	v_and_b32_e32 v40, 16, v11
	v_and_b32_e32 v41, 31, v0
	s_mov_b32 s8, exec_lo
	v_cmp_eq_u32_e64 s3, 0, v40
	s_waitcnt lgkmcnt(3)
	v_add3_u32 v38, v10, v9, v7
	s_waitcnt lgkmcnt(2)
	v_add3_u32 v38, v38, v8, v5
	;; [unrolled: 2-line block ×4, first 2 shown]
	v_and_b32_e32 v38, 15, v11
	v_mov_b32_dpp v39, v37 row_shr:1 row_mask:0xf bank_mask:0xf
	v_cmp_eq_u32_e32 vcc_lo, 0, v38
	v_cmp_lt_u32_e64 s0, 1, v38
	v_cmp_lt_u32_e64 s1, 3, v38
	;; [unrolled: 1-line block ×3, first 2 shown]
	v_cndmask_b32_e64 v39, v39, 0, vcc_lo
	v_add_nc_u32_e32 v37, v39, v37
	v_mov_b32_dpp v39, v37 row_shr:2 row_mask:0xf bank_mask:0xf
	v_cndmask_b32_e64 v39, 0, v39, s0
	v_add_nc_u32_e32 v37, v37, v39
	v_mov_b32_dpp v39, v37 row_shr:4 row_mask:0xf bank_mask:0xf
	v_cndmask_b32_e64 v39, 0, v39, s1
	;; [unrolled: 3-line block ×3, first 2 shown]
	v_bfe_i32 v39, v11, 4, 1
	v_add_nc_u32_e32 v37, v37, v38
	ds_swizzle_b32 v38, v37 offset:swizzle(BROADCAST,32,15)
	s_waitcnt lgkmcnt(0)
	v_and_b32_e32 v39, v39, v38
	v_lshrrev_b32_e32 v38, 5, v0
	v_add_nc_u32_e32 v37, v37, v39
	v_cmpx_eq_u32_e32 31, v41
; %bb.26:
	v_lshlrev_b32_e32 v39, 2, v38
	ds_write_b32 v39, v37
; %bb.27:
	s_or_b32 exec_lo, exec_lo, s8
	v_cmp_lt_u32_e64 s7, 31, v0
	s_mov_b32 s25, exec_lo
	s_waitcnt lgkmcnt(0)
	s_barrier
	buffer_gl0_inv
	v_cmpx_gt_u32_e32 32, v0
	s_cbranch_execz .LBB612_29
; %bb.28:
	v_lshlrev_b32_e32 v39, 2, v0
	ds_read_b32 v40, v39
	s_waitcnt lgkmcnt(0)
	v_mov_b32_dpp v41, v40 row_shr:1 row_mask:0xf bank_mask:0xf
	v_cndmask_b32_e64 v41, v41, 0, vcc_lo
	v_add_nc_u32_e32 v40, v41, v40
	v_mov_b32_dpp v41, v40 row_shr:2 row_mask:0xf bank_mask:0xf
	v_cndmask_b32_e64 v41, 0, v41, s0
	v_add_nc_u32_e32 v40, v40, v41
	v_mov_b32_dpp v41, v40 row_shr:4 row_mask:0xf bank_mask:0xf
	v_cndmask_b32_e64 v41, 0, v41, s1
	v_add_nc_u32_e32 v40, v40, v41
	v_mov_b32_dpp v41, v40 row_shr:8 row_mask:0xf bank_mask:0xf
	v_cndmask_b32_e64 v41, 0, v41, s2
	v_add_nc_u32_e32 v40, v40, v41
	ds_swizzle_b32 v41, v40 offset:swizzle(BROADCAST,32,15)
	s_waitcnt lgkmcnt(0)
	v_cndmask_b32_e64 v41, v41, 0, s3
	v_add_nc_u32_e32 v40, v40, v41
	ds_write_b32 v39, v40
.LBB612_29:
	s_or_b32 exec_lo, exec_lo, s25
	v_mov_b32_e32 v39, 0
	s_waitcnt lgkmcnt(0)
	s_barrier
	buffer_gl0_inv
	s_and_saveexec_b32 s0, s7
; %bb.30:
	v_lshl_add_u32 v38, v38, 2, -4
	ds_read_b32 v39, v38
; %bb.31:
	s_or_b32 exec_lo, exec_lo, s0
	v_sub_co_u32 v38, vcc_lo, v11, 1
	s_waitcnt lgkmcnt(0)
	v_add_nc_u32_e32 v37, v39, v37
	v_cmp_gt_i32_e64 s0, 0, v38
	v_cndmask_b32_e64 v38, v38, v11, s0
	v_cmp_gt_u32_e64 s0, 0x100, v0
	v_lshlrev_b32_e32 v38, 2, v38
	ds_bpermute_b32 v37, v38, v37
	s_waitcnt lgkmcnt(0)
	v_cndmask_b32_e32 v37, v37, v39, vcc_lo
	v_cmp_ne_u32_e32 vcc_lo, 0, v0
	v_cndmask_b32_e32 v37, 0, v37, vcc_lo
	v_cmp_lt_u32_e32 vcc_lo, 0xff, v0
	v_add_nc_u32_e32 v9, v37, v9
	v_add_nc_u32_e32 v10, v9, v10
	;; [unrolled: 1-line block ×8, first 2 shown]
	ds_write2_b32 v16, v37, v9 offset0:32 offset1:33
	ds_write2_b32 v16, v10, v7 offset0:34 offset1:35
	;; [unrolled: 1-line block ×4, first 2 shown]
	ds_write_b32 v16, v4 offset:160
	s_waitcnt lgkmcnt(0)
	s_barrier
	buffer_gl0_inv
	ds_read_b32 v7, v17 offset:128
	ds_read_b32 v8, v21 offset:128
	;; [unrolled: 1-line block ×6, first 2 shown]
                                        ; implicit-def: $vgpr9
                                        ; implicit-def: $vgpr10
	s_and_saveexec_b32 s2, s0
	s_cbranch_execz .LBB612_35
; %bb.32:
	v_mul_u32_u24_e32 v9, 0x84, v0
	v_add_nc_u32_e32 v16, 1, v0
	v_mov_b32_e32 v10, 0x1800
	s_mov_b32 s3, exec_lo
	ds_read_b32 v9, v9 offset:128
	v_cmpx_ne_u32_e32 0x100, v16
; %bb.33:
	v_mul_u32_u24_e32 v10, 0x84, v16
	ds_read_b32 v10, v10 offset:128
; %bb.34:
	s_or_b32 exec_lo, exec_lo, s3
	s_waitcnt lgkmcnt(0)
	v_sub_nc_u32_e32 v10, v10, v9
.LBB612_35:
	s_or_b32 exec_lo, exec_lo, s2
	v_lshlrev_b32_e32 v15, 2, v15
	s_waitcnt lgkmcnt(4)
	v_lshlrev_b32_e32 v8, 2, v8
	v_lshlrev_b32_e32 v16, 2, v20
	;; [unrolled: 1-line block ×3, first 2 shown]
	s_waitcnt lgkmcnt(0)
	v_lshl_add_u32 v7, v7, 2, v15
	s_barrier
	buffer_gl0_inv
	v_lshlrev_b32_e32 v6, 2, v6
	v_add3_u32 v8, v8, v16, v17
	ds_write_b32 v7, v13 offset:1024
	v_lshlrev_b32_e32 v7, 2, v24
	v_lshlrev_b32_e32 v13, 2, v23
	;; [unrolled: 1-line block ×11, first 2 shown]
	v_add3_u32 v6, v6, v7, v13
	v_add3_u32 v7, v4, v17, v19
	v_mov_b32_e32 v4, 0
	v_lshlrev_b32_e32 v13, 2, v0
	v_add3_u32 v5, v5, v15, v16
	v_add3_u32 v3, v3, v20, v21
	ds_write_b32 v8, v14 offset:1024
	ds_write_b32 v6, v18 offset:1024
	;; [unrolled: 1-line block ×5, first 2 shown]
	s_and_saveexec_b32 s1, s0
	s_cbranch_execz .LBB612_45
; %bb.36:
	v_lshl_add_u32 v3, s6, 8, v0
	v_mov_b32_e32 v14, 0
	s_mov_b32 s2, 0
	s_mov_b32 s3, s6
	v_lshlrev_b64 v[5:6], 2, v[3:4]
	v_or_b32_e32 v3, 2.0, v10
	v_add_co_u32 v5, s0, s10, v5
	v_add_co_ci_u32_e64 v6, null, s11, v6, s0
                                        ; implicit-def: $sgpr0
	global_store_dword v[5:6], v3, off
	s_branch .LBB612_39
	.p2align	6
.LBB612_37:                             ;   in Loop: Header=BB612_39 Depth=1
	s_or_b32 exec_lo, exec_lo, s8
.LBB612_38:                             ;   in Loop: Header=BB612_39 Depth=1
	s_or_b32 exec_lo, exec_lo, s7
	v_and_b32_e32 v7, 0x3fffffff, v3
	v_cmp_gt_i32_e64 s0, -2.0, v3
	v_add_nc_u32_e32 v14, v7, v14
	s_and_b32 s7, exec_lo, s0
	s_or_b32 s2, s7, s2
	s_andn2_b32 exec_lo, exec_lo, s2
	s_cbranch_execz .LBB612_44
.LBB612_39:                             ; =>This Loop Header: Depth=1
                                        ;     Child Loop BB612_42 Depth 2
	s_or_b32 s0, s0, exec_lo
	s_cmp_eq_u32 s3, 0
	s_cbranch_scc1 .LBB612_43
; %bb.40:                               ;   in Loop: Header=BB612_39 Depth=1
	s_add_i32 s3, s3, -1
	s_mov_b32 s7, exec_lo
	v_lshl_or_b32 v3, s3, 8, v0
	v_lshlrev_b64 v[7:8], 2, v[3:4]
	v_add_co_u32 v7, s0, s10, v7
	v_add_co_ci_u32_e64 v8, null, s11, v8, s0
	global_load_dword v3, v[7:8], off glc dlc
	s_waitcnt vmcnt(0)
	v_cmpx_gt_u32_e32 2.0, v3
	s_cbranch_execz .LBB612_38
; %bb.41:                               ;   in Loop: Header=BB612_39 Depth=1
	s_mov_b32 s8, 0
.LBB612_42:                             ;   Parent Loop BB612_39 Depth=1
                                        ; =>  This Inner Loop Header: Depth=2
	global_load_dword v3, v[7:8], off glc dlc
	s_waitcnt vmcnt(0)
	v_cmp_lt_u32_e64 s0, 0x3fffffff, v3
	s_or_b32 s8, s0, s8
	s_andn2_b32 exec_lo, exec_lo, s8
	s_cbranch_execnz .LBB612_42
	s_branch .LBB612_37
.LBB612_43:                             ;   in Loop: Header=BB612_39 Depth=1
                                        ; implicit-def: $sgpr3
	s_and_b32 s7, exec_lo, s0
	s_or_b32 s2, s7, s2
	s_andn2_b32 exec_lo, exec_lo, s2
	s_cbranch_execnz .LBB612_39
.LBB612_44:
	s_or_b32 exec_lo, exec_lo, s2
	v_add_nc_u32_e32 v3, v14, v10
	v_sub_nc_u32_e32 v4, v14, v9
	v_or_b32_e32 v3, 0x80000000, v3
	global_store_dword v[5:6], v3, off
	global_load_dword v3, v13, s[12:13]
	s_waitcnt vmcnt(0)
	v_add_nc_u32_e32 v3, v4, v3
	ds_write_b32 v13, v3
.LBB612_45:
	s_or_b32 exec_lo, exec_lo, s1
	s_mov_b32 s1, exec_lo
	s_waitcnt lgkmcnt(0)
	s_waitcnt_vscnt null, 0x0
	s_barrier
	buffer_gl0_inv
	v_cmpx_gt_u32_e64 s9, v0
	s_cbranch_execz .LBB612_47
; %bb.46:
	ds_read_b32 v5, v13 offset:1024
	v_mov_b32_e32 v4, 0
	s_waitcnt lgkmcnt(0)
	v_cmp_ne_u32_e64 s0, 0x7fffffff, v5
	v_cndmask_b32_e64 v3, 0x80000000, v5, s0
	v_cmp_lt_i32_e64 s0, -1, v5
	v_lshrrev_b32_e32 v3, s20, v3
	v_cndmask_b32_e64 v6, 0x80000000, -1, s0
	v_and_b32_e32 v3, s23, v3
	v_xor_b32_e32 v5, v6, v5
	v_lshlrev_b32_e32 v3, 2, v3
	ds_read_b32 v3, v3
	s_waitcnt lgkmcnt(0)
	v_add_nc_u32_e32 v3, v3, v0
	v_lshlrev_b64 v[3:4], 2, v[3:4]
	v_add_co_u32 v3, s0, s18, v3
	v_add_co_ci_u32_e64 v4, null, s19, v4, s0
	global_store_dword v[3:4], v5, off
.LBB612_47:
	s_or_b32 exec_lo, exec_lo, s1
	v_or_b32_e32 v3, 0x400, v0
	s_mov_b32 s1, exec_lo
	v_cmpx_gt_u32_e64 s9, v3
	s_cbranch_execz .LBB612_49
; %bb.48:
	ds_read_b32 v5, v13 offset:5120
	s_waitcnt lgkmcnt(0)
	v_cmp_ne_u32_e64 s0, 0x7fffffff, v5
	v_cndmask_b32_e64 v4, 0x80000000, v5, s0
	v_cmp_lt_i32_e64 s0, -1, v5
	v_lshrrev_b32_e32 v4, s20, v4
	v_and_b32_e32 v4, s23, v4
	v_lshlrev_b32_e32 v4, 2, v4
	ds_read_b32 v6, v4
	v_mov_b32_e32 v4, 0
	s_waitcnt lgkmcnt(0)
	v_add_nc_u32_e32 v3, v6, v3
	v_cndmask_b32_e64 v6, 0x80000000, -1, s0
	v_lshlrev_b64 v[3:4], 2, v[3:4]
	v_xor_b32_e32 v5, v6, v5
	v_add_co_u32 v3, s0, s18, v3
	v_add_co_ci_u32_e64 v4, null, s19, v4, s0
	global_store_dword v[3:4], v5, off
.LBB612_49:
	s_or_b32 exec_lo, exec_lo, s1
	v_or_b32_e32 v3, 0x800, v0
	s_mov_b32 s1, exec_lo
	v_cmpx_gt_u32_e64 s9, v3
	s_cbranch_execz .LBB612_51
; %bb.50:
	ds_read_b32 v5, v13 offset:9216
	s_waitcnt lgkmcnt(0)
	v_cmp_ne_u32_e64 s0, 0x7fffffff, v5
	v_cndmask_b32_e64 v4, 0x80000000, v5, s0
	v_cmp_lt_i32_e64 s0, -1, v5
	v_lshrrev_b32_e32 v4, s20, v4
	v_and_b32_e32 v4, s23, v4
	v_lshlrev_b32_e32 v4, 2, v4
	ds_read_b32 v6, v4
	v_mov_b32_e32 v4, 0
	s_waitcnt lgkmcnt(0)
	v_add_nc_u32_e32 v3, v6, v3
	v_cndmask_b32_e64 v6, 0x80000000, -1, s0
	v_lshlrev_b64 v[3:4], 2, v[3:4]
	v_xor_b32_e32 v5, v6, v5
	v_add_co_u32 v3, s0, s18, v3
	v_add_co_ci_u32_e64 v4, null, s19, v4, s0
	global_store_dword v[3:4], v5, off
.LBB612_51:
	;; [unrolled: 25-line block ×5, first 2 shown]
	s_or_b32 exec_lo, exec_lo, s1
	s_add_i32 s22, s22, -1
	s_cmp_eq_u32 s6, s22
	s_cselect_b32 s0, -1, 0
	s_xor_b32 s1, vcc_lo, -1
	s_and_b32 s1, s1, s0
	s_and_saveexec_b32 s0, s1
	s_cbranch_execz .LBB612_59
; %bb.58:
	ds_read_b32 v3, v13
	s_waitcnt lgkmcnt(0)
	v_add3_u32 v3, v9, v10, v3
	global_store_dword v13, v3, s[14:15]
.LBB612_59:
	s_or_b32 exec_lo, exec_lo, s0
	s_mov_b32 s0, 0
.LBB612_60:
	s_and_b32 vcc_lo, exec_lo, s0
	s_cbranch_vccz .LBB612_95
; %bb.61:
	s_mov_b32 s25, 0
	v_mul_u32_u24_e32 v3, 6, v12
	v_lshlrev_b32_e32 v4, 2, v11
	s_lshl_b64 s[0:1], s[24:25], 2
	v_mov_b32_e32 v14, 0
	s_add_u32 s0, s16, s0
	s_addc_u32 s1, s17, s1
	v_lshlrev_b32_e32 v3, 2, v3
	v_add_co_u32 v4, s0, s0, v4
	v_add_co_ci_u32_e64 v5, null, s1, 0, s0
	s_add_u32 s1, s4, 0x58
	v_add_co_u32 v8, vcc_lo, v4, v3
	v_add_co_ci_u32_e64 v9, null, 0, v5, vcc_lo
	s_addc_u32 s2, s5, 0
	global_load_dword v10, v[8:9], off
	s_clause 0x1
	s_load_dword s0, s[4:5], 0x64
	s_load_dword s7, s[4:5], 0x58
	s_waitcnt lgkmcnt(0)
	s_lshr_b32 s3, s0, 16
	s_cmp_lt_u32 s6, s7
	v_mad_u32_u24 v1, v2, s3, v1
	s_cselect_b32 s0, 12, 18
	s_add_u32 s0, s1, s0
	s_addc_u32 s1, s2, 0
	global_load_ushort v12, v14, s[0:1]
	s_clause 0x4
	global_load_dword v7, v[8:9], off offset:128
	global_load_dword v6, v[8:9], off offset:256
	;; [unrolled: 1-line block ×5, first 2 shown]
	s_lshl_b32 s0, -1, s21
	s_not_b32 s8, s0
	s_waitcnt vmcnt(6)
	v_cmp_lt_i32_e32 vcc_lo, -1, v10
	v_cndmask_b32_e64 v8, -1, 0x80000000, vcc_lo
	v_xor_b32_e32 v9, v8, v10
	v_cmp_ne_u32_e32 vcc_lo, 0x7fffffff, v9
	v_cndmask_b32_e32 v8, 0x80000000, v9, vcc_lo
	s_waitcnt vmcnt(5)
	v_mad_u64_u32 v[1:2], null, v1, v12, v[0:1]
	v_lshrrev_b32_e32 v8, s20, v8
	v_and_b32_e32 v8, s8, v8
	v_lshrrev_b32_e32 v1, 3, v1
	v_and_b32_e32 v10, 1, v8
	v_lshlrev_b32_e32 v13, 30, v8
	v_lshlrev_b32_e32 v15, 29, v8
	;; [unrolled: 1-line block ×4, first 2 shown]
	v_add_co_u32 v10, s0, v10, -1
	v_cndmask_b32_e64 v17, 0, 1, s0
	v_not_b32_e32 v21, v13
	v_cmp_gt_i32_e64 s0, 0, v13
	v_not_b32_e32 v13, v15
	v_lshlrev_b32_e32 v19, 26, v8
	v_cmp_ne_u32_e32 vcc_lo, 0, v17
	v_ashrrev_i32_e32 v21, 31, v21
	v_lshlrev_b32_e32 v20, 25, v8
	v_ashrrev_i32_e32 v13, 31, v13
	v_lshlrev_b32_e32 v17, 24, v8
	v_xor_b32_e32 v10, vcc_lo, v10
	v_cmp_gt_i32_e32 vcc_lo, 0, v15
	v_not_b32_e32 v15, v16
	v_xor_b32_e32 v21, s0, v21
	v_cmp_gt_i32_e64 s0, 0, v16
	v_and_b32_e32 v10, exec_lo, v10
	v_not_b32_e32 v16, v18
	v_ashrrev_i32_e32 v15, 31, v15
	v_xor_b32_e32 v13, vcc_lo, v13
	v_cmp_gt_i32_e32 vcc_lo, 0, v18
	v_and_b32_e32 v10, v10, v21
	v_not_b32_e32 v18, v19
	v_ashrrev_i32_e32 v16, 31, v16
	v_xor_b32_e32 v15, s0, v15
	v_cmp_gt_i32_e64 s0, 0, v19
	v_and_b32_e32 v10, v10, v13
	v_not_b32_e32 v13, v20
	v_ashrrev_i32_e32 v18, 31, v18
	v_xor_b32_e32 v16, vcc_lo, v16
	v_cmp_gt_i32_e32 vcc_lo, 0, v20
	v_and_b32_e32 v10, v10, v15
	v_not_b32_e32 v15, v17
	v_ashrrev_i32_e32 v13, 31, v13
	v_xor_b32_e32 v18, s0, v18
	v_cmp_gt_i32_e64 s0, 0, v17
	v_and_b32_e32 v10, v10, v16
	v_ashrrev_i32_e32 v15, 31, v15
	v_xor_b32_e32 v16, vcc_lo, v13
	v_mul_lo_u32 v8, 0x84, v8
	v_mul_u32_u24_e32 v13, 36, v0
	v_and_b32_e32 v10, v10, v18
	v_xor_b32_e32 v2, s0, v15
	v_and_b32_e32 v1, 0x1ffffffc, v1
	ds_write2_b32 v13, v14, v14 offset0:32 offset1:33
	v_and_b32_e32 v10, v10, v16
	ds_write2_b32 v13, v14, v14 offset0:34 offset1:35
	ds_write2_b32 v13, v14, v14 offset0:36 offset1:37
	;; [unrolled: 1-line block ×3, first 2 shown]
	ds_write_b32 v13, v14 offset:160
	v_add_nc_u32_e32 v14, v1, v8
	s_waitcnt vmcnt(0) lgkmcnt(0)
	s_waitcnt_vscnt null, 0x0
	v_and_b32_e32 v2, v10, v2
	s_barrier
	buffer_gl0_inv
	; wave barrier
	v_mbcnt_lo_u32_b32 v12, v2, 0
	v_cmp_ne_u32_e64 s0, 0, v2
	v_cmp_eq_u32_e32 vcc_lo, 0, v12
	s_and_b32 s1, s0, vcc_lo
	s_and_saveexec_b32 s0, s1
; %bb.62:
	v_bcnt_u32_b32 v2, v2, 0
	ds_write_b32 v14, v2 offset:128
; %bb.63:
	s_or_b32 exec_lo, exec_lo, s0
	v_cmp_lt_i32_e32 vcc_lo, -1, v7
	; wave barrier
	v_cndmask_b32_e64 v2, -1, 0x80000000, vcc_lo
	v_xor_b32_e32 v10, v2, v7
	v_cmp_ne_u32_e32 vcc_lo, 0x7fffffff, v10
	v_cndmask_b32_e32 v2, 0x80000000, v10, vcc_lo
	v_lshrrev_b32_e32 v2, s20, v2
	v_and_b32_e32 v2, s8, v2
	v_and_b32_e32 v8, 1, v2
	v_lshlrev_b32_e32 v15, 30, v2
	v_lshlrev_b32_e32 v16, 29, v2
	;; [unrolled: 1-line block ×4, first 2 shown]
	v_add_co_u32 v8, s0, v8, -1
	v_cndmask_b32_e64 v18, 0, 1, s0
	v_not_b32_e32 v22, v15
	v_cmp_gt_i32_e64 s0, 0, v15
	v_not_b32_e32 v15, v16
	v_lshlrev_b32_e32 v20, 26, v2
	v_cmp_ne_u32_e32 vcc_lo, 0, v18
	v_ashrrev_i32_e32 v18, 31, v22
	v_lshlrev_b32_e32 v21, 25, v2
	v_ashrrev_i32_e32 v15, 31, v15
	v_mul_lo_u32 v7, 0x84, v2
	v_xor_b32_e32 v8, vcc_lo, v8
	v_cmp_gt_i32_e32 vcc_lo, 0, v16
	v_not_b32_e32 v16, v17
	v_xor_b32_e32 v18, s0, v18
	v_cmp_gt_i32_e64 s0, 0, v17
	v_and_b32_e32 v8, exec_lo, v8
	v_not_b32_e32 v17, v19
	v_ashrrev_i32_e32 v16, 31, v16
	v_xor_b32_e32 v15, vcc_lo, v15
	v_cmp_gt_i32_e32 vcc_lo, 0, v19
	v_and_b32_e32 v8, v8, v18
	v_not_b32_e32 v18, v20
	v_ashrrev_i32_e32 v17, 31, v17
	v_xor_b32_e32 v16, s0, v16
	v_lshlrev_b32_e32 v2, 24, v2
	v_and_b32_e32 v8, v8, v15
	v_cmp_gt_i32_e64 s0, 0, v20
	v_not_b32_e32 v15, v21
	v_ashrrev_i32_e32 v18, 31, v18
	v_xor_b32_e32 v17, vcc_lo, v17
	v_and_b32_e32 v8, v8, v16
	v_cmp_gt_i32_e32 vcc_lo, 0, v21
	v_not_b32_e32 v16, v2
	v_ashrrev_i32_e32 v15, 31, v15
	v_xor_b32_e32 v18, s0, v18
	v_and_b32_e32 v8, v8, v17
	v_cmp_gt_i32_e64 s0, 0, v2
	v_ashrrev_i32_e32 v2, 31, v16
	v_xor_b32_e32 v15, vcc_lo, v15
	v_and_b32_e32 v8, v8, v18
	v_add_nc_u32_e32 v18, v1, v7
	v_xor_b32_e32 v2, s0, v2
	v_and_b32_e32 v7, v8, v15
	ds_read_b32 v16, v18 offset:128
	; wave barrier
	v_and_b32_e32 v2, v7, v2
	v_mbcnt_lo_u32_b32 v17, v2, 0
	v_cmp_ne_u32_e64 s0, 0, v2
	v_cmp_eq_u32_e32 vcc_lo, 0, v17
	s_and_b32 s1, s0, vcc_lo
	s_and_saveexec_b32 s0, s1
	s_cbranch_execz .LBB612_65
; %bb.64:
	s_waitcnt lgkmcnt(0)
	v_bcnt_u32_b32 v2, v2, v16
	ds_write_b32 v18, v2 offset:128
.LBB612_65:
	s_or_b32 exec_lo, exec_lo, s0
	v_cmp_lt_i32_e32 vcc_lo, -1, v6
	; wave barrier
	v_cndmask_b32_e64 v2, -1, 0x80000000, vcc_lo
	v_xor_b32_e32 v15, v2, v6
	v_cmp_ne_u32_e32 vcc_lo, 0x7fffffff, v15
	v_cndmask_b32_e32 v2, 0x80000000, v15, vcc_lo
	v_lshrrev_b32_e32 v2, s20, v2
	v_and_b32_e32 v2, s8, v2
	v_and_b32_e32 v7, 1, v2
	v_lshlrev_b32_e32 v8, 30, v2
	v_lshlrev_b32_e32 v19, 29, v2
	v_lshlrev_b32_e32 v20, 28, v2
	v_lshlrev_b32_e32 v22, 27, v2
	v_add_co_u32 v7, s0, v7, -1
	v_cndmask_b32_e64 v21, 0, 1, s0
	v_not_b32_e32 v25, v8
	v_cmp_gt_i32_e64 s0, 0, v8
	v_not_b32_e32 v8, v19
	v_lshlrev_b32_e32 v23, 26, v2
	v_cmp_ne_u32_e32 vcc_lo, 0, v21
	v_ashrrev_i32_e32 v21, 31, v25
	v_lshlrev_b32_e32 v24, 25, v2
	v_ashrrev_i32_e32 v8, 31, v8
	v_mul_lo_u32 v6, 0x84, v2
	v_xor_b32_e32 v7, vcc_lo, v7
	v_cmp_gt_i32_e32 vcc_lo, 0, v19
	v_not_b32_e32 v19, v20
	v_xor_b32_e32 v21, s0, v21
	v_cmp_gt_i32_e64 s0, 0, v20
	v_and_b32_e32 v7, exec_lo, v7
	v_not_b32_e32 v20, v22
	v_ashrrev_i32_e32 v19, 31, v19
	v_xor_b32_e32 v8, vcc_lo, v8
	v_cmp_gt_i32_e32 vcc_lo, 0, v22
	v_and_b32_e32 v7, v7, v21
	v_not_b32_e32 v21, v23
	v_ashrrev_i32_e32 v20, 31, v20
	v_xor_b32_e32 v19, s0, v19
	v_lshlrev_b32_e32 v2, 24, v2
	v_and_b32_e32 v7, v7, v8
	v_cmp_gt_i32_e64 s0, 0, v23
	v_not_b32_e32 v8, v24
	v_ashrrev_i32_e32 v21, 31, v21
	v_xor_b32_e32 v20, vcc_lo, v20
	v_and_b32_e32 v7, v7, v19
	v_cmp_gt_i32_e32 vcc_lo, 0, v24
	v_not_b32_e32 v19, v2
	v_ashrrev_i32_e32 v8, 31, v8
	v_xor_b32_e32 v21, s0, v21
	v_and_b32_e32 v7, v7, v20
	v_cmp_gt_i32_e64 s0, 0, v2
	v_ashrrev_i32_e32 v2, 31, v19
	v_xor_b32_e32 v8, vcc_lo, v8
	v_add_nc_u32_e32 v22, v1, v6
	v_and_b32_e32 v7, v7, v21
	v_xor_b32_e32 v2, s0, v2
	ds_read_b32 v19, v22 offset:128
	v_and_b32_e32 v6, v7, v8
	; wave barrier
	v_and_b32_e32 v2, v6, v2
	v_mbcnt_lo_u32_b32 v21, v2, 0
	v_cmp_ne_u32_e64 s0, 0, v2
	v_cmp_eq_u32_e32 vcc_lo, 0, v21
	s_and_b32 s1, s0, vcc_lo
	s_and_saveexec_b32 s0, s1
	s_cbranch_execz .LBB612_67
; %bb.66:
	s_waitcnt lgkmcnt(0)
	v_bcnt_u32_b32 v2, v2, v19
	ds_write_b32 v22, v2 offset:128
.LBB612_67:
	s_or_b32 exec_lo, exec_lo, s0
	v_cmp_lt_i32_e32 vcc_lo, -1, v5
	; wave barrier
	v_cndmask_b32_e64 v2, -1, 0x80000000, vcc_lo
	v_xor_b32_e32 v20, v2, v5
	v_cmp_ne_u32_e32 vcc_lo, 0x7fffffff, v20
	v_cndmask_b32_e32 v2, 0x80000000, v20, vcc_lo
	v_lshrrev_b32_e32 v2, s20, v2
	v_and_b32_e32 v2, s8, v2
	v_and_b32_e32 v6, 1, v2
	v_lshlrev_b32_e32 v7, 30, v2
	v_lshlrev_b32_e32 v8, 29, v2
	;; [unrolled: 1-line block ×4, first 2 shown]
	v_add_co_u32 v6, s0, v6, -1
	v_cndmask_b32_e64 v24, 0, 1, s0
	v_not_b32_e32 v28, v7
	v_cmp_gt_i32_e64 s0, 0, v7
	v_not_b32_e32 v7, v8
	v_lshlrev_b32_e32 v26, 26, v2
	v_cmp_ne_u32_e32 vcc_lo, 0, v24
	v_ashrrev_i32_e32 v24, 31, v28
	v_lshlrev_b32_e32 v27, 25, v2
	v_ashrrev_i32_e32 v7, 31, v7
	v_mul_lo_u32 v5, 0x84, v2
	v_xor_b32_e32 v6, vcc_lo, v6
	v_cmp_gt_i32_e32 vcc_lo, 0, v8
	v_not_b32_e32 v8, v23
	v_xor_b32_e32 v24, s0, v24
	v_cmp_gt_i32_e64 s0, 0, v23
	v_and_b32_e32 v6, exec_lo, v6
	v_not_b32_e32 v23, v25
	v_ashrrev_i32_e32 v8, 31, v8
	v_xor_b32_e32 v7, vcc_lo, v7
	v_cmp_gt_i32_e32 vcc_lo, 0, v25
	v_and_b32_e32 v6, v6, v24
	v_not_b32_e32 v24, v26
	v_ashrrev_i32_e32 v23, 31, v23
	v_xor_b32_e32 v8, s0, v8
	v_lshlrev_b32_e32 v2, 24, v2
	v_and_b32_e32 v6, v6, v7
	v_cmp_gt_i32_e64 s0, 0, v26
	v_not_b32_e32 v7, v27
	v_ashrrev_i32_e32 v24, 31, v24
	v_xor_b32_e32 v23, vcc_lo, v23
	v_and_b32_e32 v6, v6, v8
	v_cmp_gt_i32_e32 vcc_lo, 0, v27
	v_not_b32_e32 v8, v2
	v_ashrrev_i32_e32 v7, 31, v7
	v_xor_b32_e32 v24, s0, v24
	v_and_b32_e32 v6, v6, v23
	v_cmp_gt_i32_e64 s0, 0, v2
	v_ashrrev_i32_e32 v2, 31, v8
	v_xor_b32_e32 v7, vcc_lo, v7
	v_add_nc_u32_e32 v27, v1, v5
	v_and_b32_e32 v6, v6, v24
	v_xor_b32_e32 v2, s0, v2
	ds_read_b32 v24, v27 offset:128
	v_and_b32_e32 v5, v6, v7
	; wave barrier
	v_and_b32_e32 v2, v5, v2
	v_mbcnt_lo_u32_b32 v26, v2, 0
	v_cmp_ne_u32_e64 s0, 0, v2
	v_cmp_eq_u32_e32 vcc_lo, 0, v26
	s_and_b32 s1, s0, vcc_lo
	s_and_saveexec_b32 s0, s1
	s_cbranch_execz .LBB612_69
; %bb.68:
	s_waitcnt lgkmcnt(0)
	v_bcnt_u32_b32 v2, v2, v24
	ds_write_b32 v27, v2 offset:128
.LBB612_69:
	s_or_b32 exec_lo, exec_lo, s0
	v_cmp_lt_i32_e32 vcc_lo, -1, v4
	; wave barrier
	v_cndmask_b32_e64 v2, -1, 0x80000000, vcc_lo
	v_xor_b32_e32 v25, v2, v4
	v_cmp_ne_u32_e32 vcc_lo, 0x7fffffff, v25
	v_cndmask_b32_e32 v2, 0x80000000, v25, vcc_lo
	v_lshrrev_b32_e32 v2, s20, v2
	v_and_b32_e32 v2, s8, v2
	v_and_b32_e32 v5, 1, v2
	v_lshlrev_b32_e32 v6, 30, v2
	v_lshlrev_b32_e32 v7, 29, v2
	;; [unrolled: 1-line block ×4, first 2 shown]
	v_add_co_u32 v5, s0, v5, -1
	v_cndmask_b32_e64 v23, 0, 1, s0
	v_not_b32_e32 v31, v6
	v_cmp_gt_i32_e64 s0, 0, v6
	v_not_b32_e32 v6, v7
	v_lshlrev_b32_e32 v29, 26, v2
	v_cmp_ne_u32_e32 vcc_lo, 0, v23
	v_ashrrev_i32_e32 v23, 31, v31
	v_lshlrev_b32_e32 v30, 25, v2
	v_ashrrev_i32_e32 v6, 31, v6
	v_mul_lo_u32 v4, 0x84, v2
	v_xor_b32_e32 v5, vcc_lo, v5
	v_cmp_gt_i32_e32 vcc_lo, 0, v7
	v_not_b32_e32 v7, v8
	v_xor_b32_e32 v23, s0, v23
	v_cmp_gt_i32_e64 s0, 0, v8
	v_and_b32_e32 v5, exec_lo, v5
	v_not_b32_e32 v8, v28
	v_ashrrev_i32_e32 v7, 31, v7
	v_xor_b32_e32 v6, vcc_lo, v6
	v_cmp_gt_i32_e32 vcc_lo, 0, v28
	v_and_b32_e32 v5, v5, v23
	v_not_b32_e32 v23, v29
	v_ashrrev_i32_e32 v8, 31, v8
	v_xor_b32_e32 v7, s0, v7
	v_lshlrev_b32_e32 v2, 24, v2
	v_and_b32_e32 v5, v5, v6
	v_cmp_gt_i32_e64 s0, 0, v29
	v_not_b32_e32 v6, v30
	v_ashrrev_i32_e32 v23, 31, v23
	v_xor_b32_e32 v8, vcc_lo, v8
	v_and_b32_e32 v5, v5, v7
	v_cmp_gt_i32_e32 vcc_lo, 0, v30
	v_not_b32_e32 v7, v2
	v_ashrrev_i32_e32 v6, 31, v6
	v_xor_b32_e32 v23, s0, v23
	v_and_b32_e32 v5, v5, v8
	v_cmp_gt_i32_e64 s0, 0, v2
	v_ashrrev_i32_e32 v2, 31, v7
	v_xor_b32_e32 v6, vcc_lo, v6
	v_add_nc_u32_e32 v31, v1, v4
	v_and_b32_e32 v5, v5, v23
	v_xor_b32_e32 v2, s0, v2
	ds_read_b32 v28, v31 offset:128
	v_and_b32_e32 v4, v5, v6
	; wave barrier
	v_and_b32_e32 v2, v4, v2
	v_mbcnt_lo_u32_b32 v29, v2, 0
	v_cmp_ne_u32_e64 s0, 0, v2
	v_cmp_eq_u32_e32 vcc_lo, 0, v29
	s_and_b32 s1, s0, vcc_lo
	s_and_saveexec_b32 s0, s1
	s_cbranch_execz .LBB612_71
; %bb.70:
	s_waitcnt lgkmcnt(0)
	v_bcnt_u32_b32 v2, v2, v28
	ds_write_b32 v31, v2 offset:128
.LBB612_71:
	s_or_b32 exec_lo, exec_lo, s0
	v_cmp_lt_i32_e32 vcc_lo, -1, v3
	; wave barrier
	v_cndmask_b32_e64 v2, -1, 0x80000000, vcc_lo
	v_xor_b32_e32 v30, v2, v3
	v_cmp_ne_u32_e32 vcc_lo, 0x7fffffff, v30
	v_cndmask_b32_e32 v2, 0x80000000, v30, vcc_lo
	v_lshrrev_b32_e32 v2, s20, v2
	v_and_b32_e32 v2, s8, v2
	v_and_b32_e32 v4, 1, v2
	v_lshlrev_b32_e32 v5, 30, v2
	v_lshlrev_b32_e32 v6, 29, v2
	;; [unrolled: 1-line block ×4, first 2 shown]
	v_add_co_u32 v4, s0, v4, -1
	v_cndmask_b32_e64 v8, 0, 1, s0
	v_not_b32_e32 v34, v5
	v_cmp_gt_i32_e64 s0, 0, v5
	v_not_b32_e32 v5, v6
	v_lshlrev_b32_e32 v32, 26, v2
	v_cmp_ne_u32_e32 vcc_lo, 0, v8
	v_ashrrev_i32_e32 v8, 31, v34
	v_lshlrev_b32_e32 v33, 25, v2
	v_ashrrev_i32_e32 v5, 31, v5
	v_mul_lo_u32 v3, 0x84, v2
	v_xor_b32_e32 v4, vcc_lo, v4
	v_cmp_gt_i32_e32 vcc_lo, 0, v6
	v_not_b32_e32 v6, v7
	v_xor_b32_e32 v8, s0, v8
	v_cmp_gt_i32_e64 s0, 0, v7
	v_and_b32_e32 v4, exec_lo, v4
	v_not_b32_e32 v7, v23
	v_ashrrev_i32_e32 v6, 31, v6
	v_xor_b32_e32 v5, vcc_lo, v5
	v_cmp_gt_i32_e32 vcc_lo, 0, v23
	v_and_b32_e32 v4, v4, v8
	v_not_b32_e32 v8, v32
	v_ashrrev_i32_e32 v7, 31, v7
	v_xor_b32_e32 v6, s0, v6
	v_lshlrev_b32_e32 v2, 24, v2
	v_and_b32_e32 v4, v4, v5
	v_cmp_gt_i32_e64 s0, 0, v32
	v_not_b32_e32 v5, v33
	v_ashrrev_i32_e32 v8, 31, v8
	v_xor_b32_e32 v7, vcc_lo, v7
	v_and_b32_e32 v4, v4, v6
	v_cmp_gt_i32_e32 vcc_lo, 0, v33
	v_not_b32_e32 v6, v2
	v_ashrrev_i32_e32 v5, 31, v5
	v_xor_b32_e32 v8, s0, v8
	v_and_b32_e32 v4, v4, v7
	v_cmp_gt_i32_e64 s0, 0, v2
	v_ashrrev_i32_e32 v2, 31, v6
	v_xor_b32_e32 v5, vcc_lo, v5
	v_add_nc_u32_e32 v34, v1, v3
	v_and_b32_e32 v4, v4, v8
	v_xor_b32_e32 v1, s0, v2
	ds_read_b32 v32, v34 offset:128
	v_and_b32_e32 v2, v4, v5
	; wave barrier
	v_and_b32_e32 v1, v2, v1
	v_mbcnt_lo_u32_b32 v33, v1, 0
	v_cmp_ne_u32_e64 s0, 0, v1
	v_cmp_eq_u32_e32 vcc_lo, 0, v33
	s_and_b32 s1, s0, vcc_lo
	s_and_saveexec_b32 s0, s1
	s_cbranch_execz .LBB612_73
; %bb.72:
	s_waitcnt lgkmcnt(0)
	v_bcnt_u32_b32 v1, v1, v32
	ds_write_b32 v34, v1 offset:128
.LBB612_73:
	s_or_b32 exec_lo, exec_lo, s0
	; wave barrier
	s_waitcnt lgkmcnt(0)
	s_barrier
	buffer_gl0_inv
	ds_read2_b32 v[7:8], v13 offset0:32 offset1:33
	ds_read2_b32 v[5:6], v13 offset0:34 offset1:35
	;; [unrolled: 1-line block ×4, first 2 shown]
	ds_read_b32 v23, v13 offset:160
	v_and_b32_e32 v37, 16, v11
	v_and_b32_e32 v38, 31, v0
	s_mov_b32 s5, exec_lo
	v_cmp_eq_u32_e64 s3, 0, v37
	s_waitcnt lgkmcnt(3)
	v_add3_u32 v35, v8, v7, v5
	s_waitcnt lgkmcnt(2)
	v_add3_u32 v35, v35, v6, v3
	;; [unrolled: 2-line block ×4, first 2 shown]
	v_and_b32_e32 v35, 15, v11
	v_mov_b32_dpp v36, v23 row_shr:1 row_mask:0xf bank_mask:0xf
	v_cmp_eq_u32_e32 vcc_lo, 0, v35
	v_cmp_lt_u32_e64 s0, 1, v35
	v_cmp_lt_u32_e64 s1, 3, v35
	v_cmp_lt_u32_e64 s2, 7, v35
	v_cndmask_b32_e64 v36, v36, 0, vcc_lo
	v_add_nc_u32_e32 v23, v36, v23
	v_mov_b32_dpp v36, v23 row_shr:2 row_mask:0xf bank_mask:0xf
	v_cndmask_b32_e64 v36, 0, v36, s0
	v_add_nc_u32_e32 v23, v23, v36
	v_mov_b32_dpp v36, v23 row_shr:4 row_mask:0xf bank_mask:0xf
	v_cndmask_b32_e64 v36, 0, v36, s1
	;; [unrolled: 3-line block ×3, first 2 shown]
	v_bfe_i32 v36, v11, 4, 1
	v_add_nc_u32_e32 v23, v23, v35
	ds_swizzle_b32 v35, v23 offset:swizzle(BROADCAST,32,15)
	s_waitcnt lgkmcnt(0)
	v_and_b32_e32 v35, v36, v35
	v_lshrrev_b32_e32 v36, 5, v0
	v_add_nc_u32_e32 v35, v23, v35
	v_cmpx_eq_u32_e32 31, v38
; %bb.74:
	v_lshlrev_b32_e32 v23, 2, v36
	ds_write_b32 v23, v35
; %bb.75:
	s_or_b32 exec_lo, exec_lo, s5
	v_cmp_lt_u32_e64 s4, 31, v0
	v_lshlrev_b32_e32 v23, 2, v0
	s_mov_b32 s9, exec_lo
	s_waitcnt lgkmcnt(0)
	s_barrier
	buffer_gl0_inv
	v_cmpx_gt_u32_e32 32, v0
	s_cbranch_execz .LBB612_77
; %bb.76:
	ds_read_b32 v37, v23
	s_waitcnt lgkmcnt(0)
	v_mov_b32_dpp v38, v37 row_shr:1 row_mask:0xf bank_mask:0xf
	v_cndmask_b32_e64 v38, v38, 0, vcc_lo
	v_add_nc_u32_e32 v37, v38, v37
	v_mov_b32_dpp v38, v37 row_shr:2 row_mask:0xf bank_mask:0xf
	v_cndmask_b32_e64 v38, 0, v38, s0
	v_add_nc_u32_e32 v37, v37, v38
	v_mov_b32_dpp v38, v37 row_shr:4 row_mask:0xf bank_mask:0xf
	v_cndmask_b32_e64 v38, 0, v38, s1
	;; [unrolled: 3-line block ×3, first 2 shown]
	v_add_nc_u32_e32 v37, v37, v38
	ds_swizzle_b32 v38, v37 offset:swizzle(BROADCAST,32,15)
	s_waitcnt lgkmcnt(0)
	v_cndmask_b32_e64 v38, v38, 0, s3
	v_add_nc_u32_e32 v37, v37, v38
	ds_write_b32 v23, v37
.LBB612_77:
	s_or_b32 exec_lo, exec_lo, s9
	v_mov_b32_e32 v37, 0
	s_waitcnt lgkmcnt(0)
	s_barrier
	buffer_gl0_inv
	s_and_saveexec_b32 s0, s4
; %bb.78:
	v_lshl_add_u32 v36, v36, 2, -4
	ds_read_b32 v37, v36
; %bb.79:
	s_or_b32 exec_lo, exec_lo, s0
	v_sub_co_u32 v36, vcc_lo, v11, 1
	s_waitcnt lgkmcnt(0)
	v_add_nc_u32_e32 v35, v37, v35
	v_cmp_gt_i32_e64 s0, 0, v36
	v_cndmask_b32_e64 v11, v36, v11, s0
	v_cmp_gt_u32_e64 s0, 0x100, v0
	v_lshlrev_b32_e32 v11, 2, v11
	ds_bpermute_b32 v11, v11, v35
	s_waitcnt lgkmcnt(0)
	v_cndmask_b32_e32 v11, v11, v37, vcc_lo
	v_cmp_ne_u32_e32 vcc_lo, 0, v0
	v_cndmask_b32_e32 v11, 0, v11, vcc_lo
	v_cmp_lt_u32_e32 vcc_lo, 0xff, v0
	v_add_nc_u32_e32 v7, v11, v7
	v_add_nc_u32_e32 v8, v7, v8
	;; [unrolled: 1-line block ×8, first 2 shown]
	ds_write2_b32 v13, v11, v7 offset0:32 offset1:33
	ds_write2_b32 v13, v8, v5 offset0:34 offset1:35
	;; [unrolled: 1-line block ×4, first 2 shown]
	ds_write_b32 v13, v2 offset:160
	s_waitcnt lgkmcnt(0)
	s_barrier
	buffer_gl0_inv
	ds_read_b32 v5, v14 offset:128
	ds_read_b32 v6, v18 offset:128
	;; [unrolled: 1-line block ×6, first 2 shown]
                                        ; implicit-def: $vgpr7
                                        ; implicit-def: $vgpr8
	s_and_saveexec_b32 s2, s0
	s_cbranch_execz .LBB612_83
; %bb.80:
	v_mul_u32_u24_e32 v7, 0x84, v0
	v_add_nc_u32_e32 v11, 1, v0
	v_mov_b32_e32 v8, 0x1800
	s_mov_b32 s3, exec_lo
	ds_read_b32 v7, v7 offset:128
	v_cmpx_ne_u32_e32 0x100, v11
; %bb.81:
	v_mul_u32_u24_e32 v8, 0x84, v11
	ds_read_b32 v8, v8 offset:128
; %bb.82:
	s_or_b32 exec_lo, exec_lo, s3
	s_waitcnt lgkmcnt(0)
	v_sub_nc_u32_e32 v8, v8, v7
.LBB612_83:
	s_or_b32 exec_lo, exec_lo, s2
	v_lshlrev_b32_e32 v11, 2, v12
	s_waitcnt lgkmcnt(4)
	v_lshlrev_b32_e32 v6, 2, v6
	v_lshlrev_b32_e32 v12, 2, v17
	;; [unrolled: 1-line block ×3, first 2 shown]
	s_waitcnt lgkmcnt(0)
	v_lshl_add_u32 v5, v5, 2, v11
	s_barrier
	buffer_gl0_inv
	v_lshlrev_b32_e32 v4, 2, v4
	v_add3_u32 v6, v6, v12, v13
	ds_write_b32 v5, v9 offset:1024
	v_lshlrev_b32_e32 v5, 2, v21
	v_lshlrev_b32_e32 v9, 2, v19
	;; [unrolled: 1-line block ×11, first 2 shown]
	v_add3_u32 v4, v4, v5, v9
	v_add3_u32 v5, v2, v13, v14
	v_mov_b32_e32 v2, 0
	v_add3_u32 v3, v3, v11, v12
	v_add3_u32 v1, v1, v16, v17
	ds_write_b32 v6, v10 offset:1024
	ds_write_b32 v4, v15 offset:1024
	;; [unrolled: 1-line block ×5, first 2 shown]
	s_and_saveexec_b32 s1, s0
	s_cbranch_execz .LBB612_93
; %bb.84:
	v_lshl_add_u32 v1, s6, 8, v0
	v_mov_b32_e32 v9, 0
	s_mov_b32 s2, 0
	s_mov_b32 s3, s6
	v_lshlrev_b64 v[3:4], 2, v[1:2]
	v_or_b32_e32 v1, 2.0, v8
	v_add_co_u32 v3, s0, s10, v3
	v_add_co_ci_u32_e64 v4, null, s11, v4, s0
                                        ; implicit-def: $sgpr0
	global_store_dword v[3:4], v1, off
	s_branch .LBB612_87
	.p2align	6
.LBB612_85:                             ;   in Loop: Header=BB612_87 Depth=1
	s_or_b32 exec_lo, exec_lo, s5
.LBB612_86:                             ;   in Loop: Header=BB612_87 Depth=1
	s_or_b32 exec_lo, exec_lo, s4
	v_and_b32_e32 v5, 0x3fffffff, v1
	v_cmp_gt_i32_e64 s0, -2.0, v1
	v_add_nc_u32_e32 v9, v5, v9
	s_and_b32 s4, exec_lo, s0
	s_or_b32 s2, s4, s2
	s_andn2_b32 exec_lo, exec_lo, s2
	s_cbranch_execz .LBB612_92
.LBB612_87:                             ; =>This Loop Header: Depth=1
                                        ;     Child Loop BB612_90 Depth 2
	s_or_b32 s0, s0, exec_lo
	s_cmp_eq_u32 s3, 0
	s_cbranch_scc1 .LBB612_91
; %bb.88:                               ;   in Loop: Header=BB612_87 Depth=1
	s_add_i32 s3, s3, -1
	s_mov_b32 s4, exec_lo
	v_lshl_or_b32 v1, s3, 8, v0
	v_lshlrev_b64 v[5:6], 2, v[1:2]
	v_add_co_u32 v5, s0, s10, v5
	v_add_co_ci_u32_e64 v6, null, s11, v6, s0
	global_load_dword v1, v[5:6], off glc dlc
	s_waitcnt vmcnt(0)
	v_cmpx_gt_u32_e32 2.0, v1
	s_cbranch_execz .LBB612_86
; %bb.89:                               ;   in Loop: Header=BB612_87 Depth=1
	s_mov_b32 s5, 0
.LBB612_90:                             ;   Parent Loop BB612_87 Depth=1
                                        ; =>  This Inner Loop Header: Depth=2
	global_load_dword v1, v[5:6], off glc dlc
	s_waitcnt vmcnt(0)
	v_cmp_lt_u32_e64 s0, 0x3fffffff, v1
	s_or_b32 s5, s0, s5
	s_andn2_b32 exec_lo, exec_lo, s5
	s_cbranch_execnz .LBB612_90
	s_branch .LBB612_85
.LBB612_91:                             ;   in Loop: Header=BB612_87 Depth=1
                                        ; implicit-def: $sgpr3
	s_and_b32 s4, exec_lo, s0
	s_or_b32 s2, s4, s2
	s_andn2_b32 exec_lo, exec_lo, s2
	s_cbranch_execnz .LBB612_87
.LBB612_92:
	s_or_b32 exec_lo, exec_lo, s2
	v_add_nc_u32_e32 v1, v9, v8
	v_sub_nc_u32_e32 v2, v9, v7
	v_or_b32_e32 v1, 0x80000000, v1
	global_store_dword v[3:4], v1, off
	global_load_dword v1, v23, s[12:13]
	s_waitcnt vmcnt(0)
	v_add_nc_u32_e32 v1, v2, v1
	ds_write_b32 v23, v1
.LBB612_93:
	s_or_b32 exec_lo, exec_lo, s1
	s_waitcnt lgkmcnt(0)
	s_waitcnt_vscnt null, 0x0
	s_barrier
	buffer_gl0_inv
	ds_read2st64_b32 v[1:2], v23 offset0:4 offset1:20
	ds_read2st64_b32 v[3:4], v23 offset0:36 offset1:52
	;; [unrolled: 1-line block ×3, first 2 shown]
	v_mov_b32_e32 v10, 0
	s_add_i32 s7, s7, -1
	s_cmp_eq_u32 s6, s7
	s_waitcnt lgkmcnt(2)
	v_cmp_ne_u32_e64 s0, 0x7fffffff, v1
	v_cndmask_b32_e64 v9, 0x80000000, v1, s0
	v_cmp_lt_i32_e64 s0, -1, v1
	v_lshrrev_b32_e32 v9, s20, v9
	v_cndmask_b32_e64 v11, 0x80000000, -1, s0
	v_cmp_ne_u32_e64 s0, 0x7fffffff, v2
	v_and_b32_e32 v9, s8, v9
	v_xor_b32_e32 v24, v11, v1
	v_cndmask_b32_e64 v12, 0x80000000, v2, s0
	v_cmp_lt_i32_e64 s0, -1, v2
	v_lshlrev_b32_e32 v9, 2, v9
	v_lshrrev_b32_e32 v12, s20, v12
	v_cndmask_b32_e64 v13, 0x80000000, -1, s0
	s_waitcnt lgkmcnt(1)
	v_cmp_ne_u32_e64 s0, 0x7fffffff, v3
	ds_read_b32 v9, v9
	v_and_b32_e32 v12, s8, v12
	v_cndmask_b32_e64 v14, 0x80000000, v3, s0
	v_cmp_ne_u32_e64 s0, 0x7fffffff, v4
	v_lshlrev_b32_e32 v12, 2, v12
	v_lshrrev_b32_e32 v14, s20, v14
	v_cndmask_b32_e64 v15, 0x80000000, v4, s0
	s_waitcnt lgkmcnt(1)
	v_cmp_ne_u32_e64 s0, 0x7fffffff, v5
	ds_read_b32 v18, v12
	v_and_b32_e32 v14, s8, v14
	v_lshrrev_b32_e32 v15, s20, v15
	v_cndmask_b32_e64 v16, 0x80000000, v5, s0
	v_cmp_ne_u32_e64 s0, 0x7fffffff, v6
	v_lshlrev_b32_e32 v12, 2, v14
	v_and_b32_e32 v15, s8, v15
	v_lshrrev_b32_e32 v16, s20, v16
	v_cndmask_b32_e64 v17, 0x80000000, v6, s0
	v_cmp_lt_i32_e64 s0, -1, v3
	ds_read_b32 v19, v12
	v_lshlrev_b32_e32 v15, 2, v15
	v_and_b32_e32 v16, s8, v16
	v_lshrrev_b32_e32 v17, s20, v17
	v_cndmask_b32_e64 v14, 0x80000000, -1, s0
	v_cmp_lt_i32_e64 s0, -1, v4
	s_waitcnt lgkmcnt(2)
	v_add_nc_u32_e32 v9, v9, v0
	v_lshlrev_b32_e32 v16, 2, v16
	v_and_b32_e32 v17, s8, v17
	v_xor_b32_e32 v25, v14, v3
	v_lshlrev_b32_e32 v12, 2, v17
	ds_read_b32 v15, v15
	ds_read_b32 v16, v16
	;; [unrolled: 1-line block ×3, first 2 shown]
	v_cndmask_b32_e64 v17, 0x80000000, -1, s0
	v_cmp_lt_i32_e64 s0, -1, v5
	v_lshlrev_b64 v[11:12], 2, v[9:10]
	s_waitcnt lgkmcnt(4)
	v_add3_u32 v9, v18, v0, 0x400
	v_xor_b32_e32 v18, v13, v2
	v_xor_b32_e32 v17, v17, v4
	v_cndmask_b32_e64 v21, 0x80000000, -1, s0
	v_cmp_lt_i32_e64 s0, -1, v6
	v_lshlrev_b64 v[1:2], 2, v[9:10]
	s_waitcnt lgkmcnt(3)
	v_add3_u32 v9, v19, v0, 0x800
	v_xor_b32_e32 v5, v21, v5
	v_cndmask_b32_e64 v22, 0x80000000, -1, s0
	v_add_co_u32 v3, s0, s18, v11
	v_add_co_ci_u32_e64 v4, null, s19, v12, s0
	v_lshlrev_b64 v[11:12], 2, v[9:10]
	s_waitcnt lgkmcnt(2)
	v_add3_u32 v9, v15, v0, 0xc00
	v_add_co_u32 v1, s0, s18, v1
	v_add_co_ci_u32_e64 v2, null, s19, v2, s0
	v_lshlrev_b64 v[13:14], 2, v[9:10]
	s_waitcnt lgkmcnt(1)
	v_add3_u32 v9, v16, v0, 0x1000
	;; [unrolled: 5-line block ×3, first 2 shown]
	global_store_dword v[3:4], v24, off
	global_store_dword v[1:2], v18, off
	;; [unrolled: 1-line block ×3, first 2 shown]
	v_add_co_u32 v13, s0, s18, v13
	v_add_co_ci_u32_e64 v14, null, s19, v14, s0
	v_lshlrev_b64 v[0:1], 2, v[9:10]
	v_add_co_u32 v2, s0, s18, v15
	v_add_co_ci_u32_e64 v3, null, s19, v16, s0
	v_xor_b32_e32 v4, v22, v6
	v_add_co_u32 v0, s0, s18, v0
	v_add_co_ci_u32_e64 v1, null, s19, v1, s0
	s_cselect_b32 s0, -1, 0
	s_xor_b32 s1, vcc_lo, -1
	global_store_dword v[13:14], v17, off
	s_and_b32 s0, s1, s0
	global_store_dword v[2:3], v5, off
	global_store_dword v[0:1], v4, off
	s_and_saveexec_b32 s1, s0
	s_cbranch_execz .LBB612_95
; %bb.94:
	ds_read_b32 v0, v23
	s_waitcnt lgkmcnt(0)
	v_add3_u32 v0, v7, v8, v0
	global_store_dword v23, v0, s[14:15]
.LBB612_95:
	s_endpgm
	.section	.rodata,"a",@progbits
	.p2align	6, 0x0
	.amdhsa_kernel _ZN7rocprim17ROCPRIM_400000_NS6detail17trampoline_kernelINS0_14default_configENS1_35radix_sort_onesweep_config_selectorIfNS0_10empty_typeEEEZZNS1_29radix_sort_onesweep_iterationIS3_Lb0EN6thrust23THRUST_200600_302600_NS6detail15normal_iteratorINS9_10device_ptrIfEEEESE_PS5_SF_jNS0_19identity_decomposerENS1_16block_id_wrapperIjLb0EEEEE10hipError_tT1_PNSt15iterator_traitsISK_E10value_typeET2_T3_PNSL_ISQ_E10value_typeET4_T5_PSV_SW_PNS1_23onesweep_lookback_stateEbbT6_jjT7_P12ihipStream_tbENKUlT_T0_SK_SP_E_clIPfSE_SF_SF_EEDaS13_S14_SK_SP_EUlS13_E_NS1_11comp_targetILNS1_3genE8ELNS1_11target_archE1030ELNS1_3gpuE2ELNS1_3repE0EEENS1_47radix_sort_onesweep_sort_config_static_selectorELNS0_4arch9wavefront6targetE0EEEvSK_
		.amdhsa_group_segment_fixed_size 37000
		.amdhsa_private_segment_fixed_size 0
		.amdhsa_kernarg_size 344
		.amdhsa_user_sgpr_count 6
		.amdhsa_user_sgpr_private_segment_buffer 1
		.amdhsa_user_sgpr_dispatch_ptr 0
		.amdhsa_user_sgpr_queue_ptr 0
		.amdhsa_user_sgpr_kernarg_segment_ptr 1
		.amdhsa_user_sgpr_dispatch_id 0
		.amdhsa_user_sgpr_flat_scratch_init 0
		.amdhsa_user_sgpr_private_segment_size 0
		.amdhsa_wavefront_size32 1
		.amdhsa_uses_dynamic_stack 0
		.amdhsa_system_sgpr_private_segment_wavefront_offset 0
		.amdhsa_system_sgpr_workgroup_id_x 1
		.amdhsa_system_sgpr_workgroup_id_y 0
		.amdhsa_system_sgpr_workgroup_id_z 0
		.amdhsa_system_sgpr_workgroup_info 0
		.amdhsa_system_vgpr_workitem_id 2
		.amdhsa_next_free_vgpr 42
		.amdhsa_next_free_sgpr 26
		.amdhsa_reserve_vcc 1
		.amdhsa_reserve_flat_scratch 0
		.amdhsa_float_round_mode_32 0
		.amdhsa_float_round_mode_16_64 0
		.amdhsa_float_denorm_mode_32 3
		.amdhsa_float_denorm_mode_16_64 3
		.amdhsa_dx10_clamp 1
		.amdhsa_ieee_mode 1
		.amdhsa_fp16_overflow 0
		.amdhsa_workgroup_processor_mode 1
		.amdhsa_memory_ordered 1
		.amdhsa_forward_progress 1
		.amdhsa_shared_vgpr_count 0
		.amdhsa_exception_fp_ieee_invalid_op 0
		.amdhsa_exception_fp_denorm_src 0
		.amdhsa_exception_fp_ieee_div_zero 0
		.amdhsa_exception_fp_ieee_overflow 0
		.amdhsa_exception_fp_ieee_underflow 0
		.amdhsa_exception_fp_ieee_inexact 0
		.amdhsa_exception_int_div_zero 0
	.end_amdhsa_kernel
	.section	.text._ZN7rocprim17ROCPRIM_400000_NS6detail17trampoline_kernelINS0_14default_configENS1_35radix_sort_onesweep_config_selectorIfNS0_10empty_typeEEEZZNS1_29radix_sort_onesweep_iterationIS3_Lb0EN6thrust23THRUST_200600_302600_NS6detail15normal_iteratorINS9_10device_ptrIfEEEESE_PS5_SF_jNS0_19identity_decomposerENS1_16block_id_wrapperIjLb0EEEEE10hipError_tT1_PNSt15iterator_traitsISK_E10value_typeET2_T3_PNSL_ISQ_E10value_typeET4_T5_PSV_SW_PNS1_23onesweep_lookback_stateEbbT6_jjT7_P12ihipStream_tbENKUlT_T0_SK_SP_E_clIPfSE_SF_SF_EEDaS13_S14_SK_SP_EUlS13_E_NS1_11comp_targetILNS1_3genE8ELNS1_11target_archE1030ELNS1_3gpuE2ELNS1_3repE0EEENS1_47radix_sort_onesweep_sort_config_static_selectorELNS0_4arch9wavefront6targetE0EEEvSK_,"axG",@progbits,_ZN7rocprim17ROCPRIM_400000_NS6detail17trampoline_kernelINS0_14default_configENS1_35radix_sort_onesweep_config_selectorIfNS0_10empty_typeEEEZZNS1_29radix_sort_onesweep_iterationIS3_Lb0EN6thrust23THRUST_200600_302600_NS6detail15normal_iteratorINS9_10device_ptrIfEEEESE_PS5_SF_jNS0_19identity_decomposerENS1_16block_id_wrapperIjLb0EEEEE10hipError_tT1_PNSt15iterator_traitsISK_E10value_typeET2_T3_PNSL_ISQ_E10value_typeET4_T5_PSV_SW_PNS1_23onesweep_lookback_stateEbbT6_jjT7_P12ihipStream_tbENKUlT_T0_SK_SP_E_clIPfSE_SF_SF_EEDaS13_S14_SK_SP_EUlS13_E_NS1_11comp_targetILNS1_3genE8ELNS1_11target_archE1030ELNS1_3gpuE2ELNS1_3repE0EEENS1_47radix_sort_onesweep_sort_config_static_selectorELNS0_4arch9wavefront6targetE0EEEvSK_,comdat
.Lfunc_end612:
	.size	_ZN7rocprim17ROCPRIM_400000_NS6detail17trampoline_kernelINS0_14default_configENS1_35radix_sort_onesweep_config_selectorIfNS0_10empty_typeEEEZZNS1_29radix_sort_onesweep_iterationIS3_Lb0EN6thrust23THRUST_200600_302600_NS6detail15normal_iteratorINS9_10device_ptrIfEEEESE_PS5_SF_jNS0_19identity_decomposerENS1_16block_id_wrapperIjLb0EEEEE10hipError_tT1_PNSt15iterator_traitsISK_E10value_typeET2_T3_PNSL_ISQ_E10value_typeET4_T5_PSV_SW_PNS1_23onesweep_lookback_stateEbbT6_jjT7_P12ihipStream_tbENKUlT_T0_SK_SP_E_clIPfSE_SF_SF_EEDaS13_S14_SK_SP_EUlS13_E_NS1_11comp_targetILNS1_3genE8ELNS1_11target_archE1030ELNS1_3gpuE2ELNS1_3repE0EEENS1_47radix_sort_onesweep_sort_config_static_selectorELNS0_4arch9wavefront6targetE0EEEvSK_, .Lfunc_end612-_ZN7rocprim17ROCPRIM_400000_NS6detail17trampoline_kernelINS0_14default_configENS1_35radix_sort_onesweep_config_selectorIfNS0_10empty_typeEEEZZNS1_29radix_sort_onesweep_iterationIS3_Lb0EN6thrust23THRUST_200600_302600_NS6detail15normal_iteratorINS9_10device_ptrIfEEEESE_PS5_SF_jNS0_19identity_decomposerENS1_16block_id_wrapperIjLb0EEEEE10hipError_tT1_PNSt15iterator_traitsISK_E10value_typeET2_T3_PNSL_ISQ_E10value_typeET4_T5_PSV_SW_PNS1_23onesweep_lookback_stateEbbT6_jjT7_P12ihipStream_tbENKUlT_T0_SK_SP_E_clIPfSE_SF_SF_EEDaS13_S14_SK_SP_EUlS13_E_NS1_11comp_targetILNS1_3genE8ELNS1_11target_archE1030ELNS1_3gpuE2ELNS1_3repE0EEENS1_47radix_sort_onesweep_sort_config_static_selectorELNS0_4arch9wavefront6targetE0EEEvSK_
                                        ; -- End function
	.set _ZN7rocprim17ROCPRIM_400000_NS6detail17trampoline_kernelINS0_14default_configENS1_35radix_sort_onesweep_config_selectorIfNS0_10empty_typeEEEZZNS1_29radix_sort_onesweep_iterationIS3_Lb0EN6thrust23THRUST_200600_302600_NS6detail15normal_iteratorINS9_10device_ptrIfEEEESE_PS5_SF_jNS0_19identity_decomposerENS1_16block_id_wrapperIjLb0EEEEE10hipError_tT1_PNSt15iterator_traitsISK_E10value_typeET2_T3_PNSL_ISQ_E10value_typeET4_T5_PSV_SW_PNS1_23onesweep_lookback_stateEbbT6_jjT7_P12ihipStream_tbENKUlT_T0_SK_SP_E_clIPfSE_SF_SF_EEDaS13_S14_SK_SP_EUlS13_E_NS1_11comp_targetILNS1_3genE8ELNS1_11target_archE1030ELNS1_3gpuE2ELNS1_3repE0EEENS1_47radix_sort_onesweep_sort_config_static_selectorELNS0_4arch9wavefront6targetE0EEEvSK_.num_vgpr, 42
	.set _ZN7rocprim17ROCPRIM_400000_NS6detail17trampoline_kernelINS0_14default_configENS1_35radix_sort_onesweep_config_selectorIfNS0_10empty_typeEEEZZNS1_29radix_sort_onesweep_iterationIS3_Lb0EN6thrust23THRUST_200600_302600_NS6detail15normal_iteratorINS9_10device_ptrIfEEEESE_PS5_SF_jNS0_19identity_decomposerENS1_16block_id_wrapperIjLb0EEEEE10hipError_tT1_PNSt15iterator_traitsISK_E10value_typeET2_T3_PNSL_ISQ_E10value_typeET4_T5_PSV_SW_PNS1_23onesweep_lookback_stateEbbT6_jjT7_P12ihipStream_tbENKUlT_T0_SK_SP_E_clIPfSE_SF_SF_EEDaS13_S14_SK_SP_EUlS13_E_NS1_11comp_targetILNS1_3genE8ELNS1_11target_archE1030ELNS1_3gpuE2ELNS1_3repE0EEENS1_47radix_sort_onesweep_sort_config_static_selectorELNS0_4arch9wavefront6targetE0EEEvSK_.num_agpr, 0
	.set _ZN7rocprim17ROCPRIM_400000_NS6detail17trampoline_kernelINS0_14default_configENS1_35radix_sort_onesweep_config_selectorIfNS0_10empty_typeEEEZZNS1_29radix_sort_onesweep_iterationIS3_Lb0EN6thrust23THRUST_200600_302600_NS6detail15normal_iteratorINS9_10device_ptrIfEEEESE_PS5_SF_jNS0_19identity_decomposerENS1_16block_id_wrapperIjLb0EEEEE10hipError_tT1_PNSt15iterator_traitsISK_E10value_typeET2_T3_PNSL_ISQ_E10value_typeET4_T5_PSV_SW_PNS1_23onesweep_lookback_stateEbbT6_jjT7_P12ihipStream_tbENKUlT_T0_SK_SP_E_clIPfSE_SF_SF_EEDaS13_S14_SK_SP_EUlS13_E_NS1_11comp_targetILNS1_3genE8ELNS1_11target_archE1030ELNS1_3gpuE2ELNS1_3repE0EEENS1_47radix_sort_onesweep_sort_config_static_selectorELNS0_4arch9wavefront6targetE0EEEvSK_.numbered_sgpr, 26
	.set _ZN7rocprim17ROCPRIM_400000_NS6detail17trampoline_kernelINS0_14default_configENS1_35radix_sort_onesweep_config_selectorIfNS0_10empty_typeEEEZZNS1_29radix_sort_onesweep_iterationIS3_Lb0EN6thrust23THRUST_200600_302600_NS6detail15normal_iteratorINS9_10device_ptrIfEEEESE_PS5_SF_jNS0_19identity_decomposerENS1_16block_id_wrapperIjLb0EEEEE10hipError_tT1_PNSt15iterator_traitsISK_E10value_typeET2_T3_PNSL_ISQ_E10value_typeET4_T5_PSV_SW_PNS1_23onesweep_lookback_stateEbbT6_jjT7_P12ihipStream_tbENKUlT_T0_SK_SP_E_clIPfSE_SF_SF_EEDaS13_S14_SK_SP_EUlS13_E_NS1_11comp_targetILNS1_3genE8ELNS1_11target_archE1030ELNS1_3gpuE2ELNS1_3repE0EEENS1_47radix_sort_onesweep_sort_config_static_selectorELNS0_4arch9wavefront6targetE0EEEvSK_.num_named_barrier, 0
	.set _ZN7rocprim17ROCPRIM_400000_NS6detail17trampoline_kernelINS0_14default_configENS1_35radix_sort_onesweep_config_selectorIfNS0_10empty_typeEEEZZNS1_29radix_sort_onesweep_iterationIS3_Lb0EN6thrust23THRUST_200600_302600_NS6detail15normal_iteratorINS9_10device_ptrIfEEEESE_PS5_SF_jNS0_19identity_decomposerENS1_16block_id_wrapperIjLb0EEEEE10hipError_tT1_PNSt15iterator_traitsISK_E10value_typeET2_T3_PNSL_ISQ_E10value_typeET4_T5_PSV_SW_PNS1_23onesweep_lookback_stateEbbT6_jjT7_P12ihipStream_tbENKUlT_T0_SK_SP_E_clIPfSE_SF_SF_EEDaS13_S14_SK_SP_EUlS13_E_NS1_11comp_targetILNS1_3genE8ELNS1_11target_archE1030ELNS1_3gpuE2ELNS1_3repE0EEENS1_47radix_sort_onesweep_sort_config_static_selectorELNS0_4arch9wavefront6targetE0EEEvSK_.private_seg_size, 0
	.set _ZN7rocprim17ROCPRIM_400000_NS6detail17trampoline_kernelINS0_14default_configENS1_35radix_sort_onesweep_config_selectorIfNS0_10empty_typeEEEZZNS1_29radix_sort_onesweep_iterationIS3_Lb0EN6thrust23THRUST_200600_302600_NS6detail15normal_iteratorINS9_10device_ptrIfEEEESE_PS5_SF_jNS0_19identity_decomposerENS1_16block_id_wrapperIjLb0EEEEE10hipError_tT1_PNSt15iterator_traitsISK_E10value_typeET2_T3_PNSL_ISQ_E10value_typeET4_T5_PSV_SW_PNS1_23onesweep_lookback_stateEbbT6_jjT7_P12ihipStream_tbENKUlT_T0_SK_SP_E_clIPfSE_SF_SF_EEDaS13_S14_SK_SP_EUlS13_E_NS1_11comp_targetILNS1_3genE8ELNS1_11target_archE1030ELNS1_3gpuE2ELNS1_3repE0EEENS1_47radix_sort_onesweep_sort_config_static_selectorELNS0_4arch9wavefront6targetE0EEEvSK_.uses_vcc, 1
	.set _ZN7rocprim17ROCPRIM_400000_NS6detail17trampoline_kernelINS0_14default_configENS1_35radix_sort_onesweep_config_selectorIfNS0_10empty_typeEEEZZNS1_29radix_sort_onesweep_iterationIS3_Lb0EN6thrust23THRUST_200600_302600_NS6detail15normal_iteratorINS9_10device_ptrIfEEEESE_PS5_SF_jNS0_19identity_decomposerENS1_16block_id_wrapperIjLb0EEEEE10hipError_tT1_PNSt15iterator_traitsISK_E10value_typeET2_T3_PNSL_ISQ_E10value_typeET4_T5_PSV_SW_PNS1_23onesweep_lookback_stateEbbT6_jjT7_P12ihipStream_tbENKUlT_T0_SK_SP_E_clIPfSE_SF_SF_EEDaS13_S14_SK_SP_EUlS13_E_NS1_11comp_targetILNS1_3genE8ELNS1_11target_archE1030ELNS1_3gpuE2ELNS1_3repE0EEENS1_47radix_sort_onesweep_sort_config_static_selectorELNS0_4arch9wavefront6targetE0EEEvSK_.uses_flat_scratch, 0
	.set _ZN7rocprim17ROCPRIM_400000_NS6detail17trampoline_kernelINS0_14default_configENS1_35radix_sort_onesweep_config_selectorIfNS0_10empty_typeEEEZZNS1_29radix_sort_onesweep_iterationIS3_Lb0EN6thrust23THRUST_200600_302600_NS6detail15normal_iteratorINS9_10device_ptrIfEEEESE_PS5_SF_jNS0_19identity_decomposerENS1_16block_id_wrapperIjLb0EEEEE10hipError_tT1_PNSt15iterator_traitsISK_E10value_typeET2_T3_PNSL_ISQ_E10value_typeET4_T5_PSV_SW_PNS1_23onesweep_lookback_stateEbbT6_jjT7_P12ihipStream_tbENKUlT_T0_SK_SP_E_clIPfSE_SF_SF_EEDaS13_S14_SK_SP_EUlS13_E_NS1_11comp_targetILNS1_3genE8ELNS1_11target_archE1030ELNS1_3gpuE2ELNS1_3repE0EEENS1_47radix_sort_onesweep_sort_config_static_selectorELNS0_4arch9wavefront6targetE0EEEvSK_.has_dyn_sized_stack, 0
	.set _ZN7rocprim17ROCPRIM_400000_NS6detail17trampoline_kernelINS0_14default_configENS1_35radix_sort_onesweep_config_selectorIfNS0_10empty_typeEEEZZNS1_29radix_sort_onesweep_iterationIS3_Lb0EN6thrust23THRUST_200600_302600_NS6detail15normal_iteratorINS9_10device_ptrIfEEEESE_PS5_SF_jNS0_19identity_decomposerENS1_16block_id_wrapperIjLb0EEEEE10hipError_tT1_PNSt15iterator_traitsISK_E10value_typeET2_T3_PNSL_ISQ_E10value_typeET4_T5_PSV_SW_PNS1_23onesweep_lookback_stateEbbT6_jjT7_P12ihipStream_tbENKUlT_T0_SK_SP_E_clIPfSE_SF_SF_EEDaS13_S14_SK_SP_EUlS13_E_NS1_11comp_targetILNS1_3genE8ELNS1_11target_archE1030ELNS1_3gpuE2ELNS1_3repE0EEENS1_47radix_sort_onesweep_sort_config_static_selectorELNS0_4arch9wavefront6targetE0EEEvSK_.has_recursion, 0
	.set _ZN7rocprim17ROCPRIM_400000_NS6detail17trampoline_kernelINS0_14default_configENS1_35radix_sort_onesweep_config_selectorIfNS0_10empty_typeEEEZZNS1_29radix_sort_onesweep_iterationIS3_Lb0EN6thrust23THRUST_200600_302600_NS6detail15normal_iteratorINS9_10device_ptrIfEEEESE_PS5_SF_jNS0_19identity_decomposerENS1_16block_id_wrapperIjLb0EEEEE10hipError_tT1_PNSt15iterator_traitsISK_E10value_typeET2_T3_PNSL_ISQ_E10value_typeET4_T5_PSV_SW_PNS1_23onesweep_lookback_stateEbbT6_jjT7_P12ihipStream_tbENKUlT_T0_SK_SP_E_clIPfSE_SF_SF_EEDaS13_S14_SK_SP_EUlS13_E_NS1_11comp_targetILNS1_3genE8ELNS1_11target_archE1030ELNS1_3gpuE2ELNS1_3repE0EEENS1_47radix_sort_onesweep_sort_config_static_selectorELNS0_4arch9wavefront6targetE0EEEvSK_.has_indirect_call, 0
	.section	.AMDGPU.csdata,"",@progbits
; Kernel info:
; codeLenInByte = 9360
; TotalNumSgprs: 28
; NumVgprs: 42
; ScratchSize: 0
; MemoryBound: 0
; FloatMode: 240
; IeeeMode: 1
; LDSByteSize: 37000 bytes/workgroup (compile time only)
; SGPRBlocks: 0
; VGPRBlocks: 5
; NumSGPRsForWavesPerEU: 28
; NumVGPRsForWavesPerEU: 42
; Occupancy: 16
; WaveLimiterHint : 1
; COMPUTE_PGM_RSRC2:SCRATCH_EN: 0
; COMPUTE_PGM_RSRC2:USER_SGPR: 6
; COMPUTE_PGM_RSRC2:TRAP_HANDLER: 0
; COMPUTE_PGM_RSRC2:TGID_X_EN: 1
; COMPUTE_PGM_RSRC2:TGID_Y_EN: 0
; COMPUTE_PGM_RSRC2:TGID_Z_EN: 0
; COMPUTE_PGM_RSRC2:TIDIG_COMP_CNT: 2
	.section	.text._ZN6thrust23THRUST_200600_302600_NS11hip_rocprim14__parallel_for6kernelILj256ENS1_10for_each_fINS0_10device_ptrINS0_4pairIiiEEEENS0_6detail16wrapped_functionINS9_23allocator_traits_detail24construct1_via_allocatorINS0_16device_allocatorIS7_EEEEvEEEEmLj1EEEvT0_T1_SJ_,"axG",@progbits,_ZN6thrust23THRUST_200600_302600_NS11hip_rocprim14__parallel_for6kernelILj256ENS1_10for_each_fINS0_10device_ptrINS0_4pairIiiEEEENS0_6detail16wrapped_functionINS9_23allocator_traits_detail24construct1_via_allocatorINS0_16device_allocatorIS7_EEEEvEEEEmLj1EEEvT0_T1_SJ_,comdat
	.protected	_ZN6thrust23THRUST_200600_302600_NS11hip_rocprim14__parallel_for6kernelILj256ENS1_10for_each_fINS0_10device_ptrINS0_4pairIiiEEEENS0_6detail16wrapped_functionINS9_23allocator_traits_detail24construct1_via_allocatorINS0_16device_allocatorIS7_EEEEvEEEEmLj1EEEvT0_T1_SJ_ ; -- Begin function _ZN6thrust23THRUST_200600_302600_NS11hip_rocprim14__parallel_for6kernelILj256ENS1_10for_each_fINS0_10device_ptrINS0_4pairIiiEEEENS0_6detail16wrapped_functionINS9_23allocator_traits_detail24construct1_via_allocatorINS0_16device_allocatorIS7_EEEEvEEEEmLj1EEEvT0_T1_SJ_
	.globl	_ZN6thrust23THRUST_200600_302600_NS11hip_rocprim14__parallel_for6kernelILj256ENS1_10for_each_fINS0_10device_ptrINS0_4pairIiiEEEENS0_6detail16wrapped_functionINS9_23allocator_traits_detail24construct1_via_allocatorINS0_16device_allocatorIS7_EEEEvEEEEmLj1EEEvT0_T1_SJ_
	.p2align	8
	.type	_ZN6thrust23THRUST_200600_302600_NS11hip_rocprim14__parallel_for6kernelILj256ENS1_10for_each_fINS0_10device_ptrINS0_4pairIiiEEEENS0_6detail16wrapped_functionINS9_23allocator_traits_detail24construct1_via_allocatorINS0_16device_allocatorIS7_EEEEvEEEEmLj1EEEvT0_T1_SJ_,@function
_ZN6thrust23THRUST_200600_302600_NS11hip_rocprim14__parallel_for6kernelILj256ENS1_10for_each_fINS0_10device_ptrINS0_4pairIiiEEEENS0_6detail16wrapped_functionINS9_23allocator_traits_detail24construct1_via_allocatorINS0_16device_allocatorIS7_EEEEvEEEEmLj1EEEvT0_T1_SJ_: ; @_ZN6thrust23THRUST_200600_302600_NS11hip_rocprim14__parallel_for6kernelILj256ENS1_10for_each_fINS0_10device_ptrINS0_4pairIiiEEEENS0_6detail16wrapped_functionINS9_23allocator_traits_detail24construct1_via_allocatorINS0_16device_allocatorIS7_EEEEvEEEEmLj1EEEvT0_T1_SJ_
; %bb.0:
	s_clause 0x1
	s_load_dwordx4 s[8:11], s[4:5], 0x10
	s_load_dwordx2 s[0:1], s[4:5], 0x0
	s_lshl_b32 s2, s6, 8
	s_waitcnt lgkmcnt(0)
	s_add_u32 s2, s10, s2
	s_addc_u32 s3, s11, 0
	s_sub_u32 s4, s8, s2
	s_subb_u32 s5, s9, s3
	v_cmp_lt_u64_e64 s5, 0xff, s[4:5]
	s_and_b32 vcc_lo, exec_lo, s5
	s_mov_b32 s5, -1
	s_cbranch_vccz .LBB613_3
; %bb.1:
	s_andn2_b32 vcc_lo, exec_lo, s5
	s_cbranch_vccz .LBB613_6
.LBB613_2:
	s_endpgm
.LBB613_3:
	v_cmp_gt_u32_e32 vcc_lo, s4, v0
	s_and_saveexec_b32 s4, vcc_lo
	s_cbranch_execz .LBB613_5
; %bb.4:
	v_lshlrev_b32_e32 v2, 3, v0
	s_lshl_b64 s[6:7], s[2:3], 3
	v_mov_b32_e32 v1, 0
	s_add_u32 s5, s0, s6
	s_addc_u32 s6, s1, s7
	v_add_co_u32 v3, s5, s5, v2
	v_add_co_ci_u32_e64 v4, null, s6, 0, s5
	v_mov_b32_e32 v2, v1
	flat_store_dwordx2 v[3:4], v[1:2]
.LBB613_5:
	s_or_b32 exec_lo, exec_lo, s4
	s_cbranch_execnz .LBB613_2
.LBB613_6:
	v_lshlrev_b32_e32 v1, 3, v0
	s_lshl_b64 s[2:3], s[2:3], 3
	v_mov_b32_e32 v0, 0
	s_add_u32 s0, s0, s2
	s_addc_u32 s1, s1, s3
	v_add_co_u32 v2, s0, s0, v1
	v_add_co_ci_u32_e64 v3, null, s1, 0, s0
	v_mov_b32_e32 v1, v0
	flat_store_dwordx2 v[2:3], v[0:1]
	s_endpgm
	.section	.rodata,"a",@progbits
	.p2align	6, 0x0
	.amdhsa_kernel _ZN6thrust23THRUST_200600_302600_NS11hip_rocprim14__parallel_for6kernelILj256ENS1_10for_each_fINS0_10device_ptrINS0_4pairIiiEEEENS0_6detail16wrapped_functionINS9_23allocator_traits_detail24construct1_via_allocatorINS0_16device_allocatorIS7_EEEEvEEEEmLj1EEEvT0_T1_SJ_
		.amdhsa_group_segment_fixed_size 0
		.amdhsa_private_segment_fixed_size 0
		.amdhsa_kernarg_size 32
		.amdhsa_user_sgpr_count 6
		.amdhsa_user_sgpr_private_segment_buffer 1
		.amdhsa_user_sgpr_dispatch_ptr 0
		.amdhsa_user_sgpr_queue_ptr 0
		.amdhsa_user_sgpr_kernarg_segment_ptr 1
		.amdhsa_user_sgpr_dispatch_id 0
		.amdhsa_user_sgpr_flat_scratch_init 0
		.amdhsa_user_sgpr_private_segment_size 0
		.amdhsa_wavefront_size32 1
		.amdhsa_uses_dynamic_stack 0
		.amdhsa_system_sgpr_private_segment_wavefront_offset 0
		.amdhsa_system_sgpr_workgroup_id_x 1
		.amdhsa_system_sgpr_workgroup_id_y 0
		.amdhsa_system_sgpr_workgroup_id_z 0
		.amdhsa_system_sgpr_workgroup_info 0
		.amdhsa_system_vgpr_workitem_id 0
		.amdhsa_next_free_vgpr 5
		.amdhsa_next_free_sgpr 12
		.amdhsa_reserve_vcc 1
		.amdhsa_reserve_flat_scratch 0
		.amdhsa_float_round_mode_32 0
		.amdhsa_float_round_mode_16_64 0
		.amdhsa_float_denorm_mode_32 3
		.amdhsa_float_denorm_mode_16_64 3
		.amdhsa_dx10_clamp 1
		.amdhsa_ieee_mode 1
		.amdhsa_fp16_overflow 0
		.amdhsa_workgroup_processor_mode 1
		.amdhsa_memory_ordered 1
		.amdhsa_forward_progress 1
		.amdhsa_shared_vgpr_count 0
		.amdhsa_exception_fp_ieee_invalid_op 0
		.amdhsa_exception_fp_denorm_src 0
		.amdhsa_exception_fp_ieee_div_zero 0
		.amdhsa_exception_fp_ieee_overflow 0
		.amdhsa_exception_fp_ieee_underflow 0
		.amdhsa_exception_fp_ieee_inexact 0
		.amdhsa_exception_int_div_zero 0
	.end_amdhsa_kernel
	.section	.text._ZN6thrust23THRUST_200600_302600_NS11hip_rocprim14__parallel_for6kernelILj256ENS1_10for_each_fINS0_10device_ptrINS0_4pairIiiEEEENS0_6detail16wrapped_functionINS9_23allocator_traits_detail24construct1_via_allocatorINS0_16device_allocatorIS7_EEEEvEEEEmLj1EEEvT0_T1_SJ_,"axG",@progbits,_ZN6thrust23THRUST_200600_302600_NS11hip_rocprim14__parallel_for6kernelILj256ENS1_10for_each_fINS0_10device_ptrINS0_4pairIiiEEEENS0_6detail16wrapped_functionINS9_23allocator_traits_detail24construct1_via_allocatorINS0_16device_allocatorIS7_EEEEvEEEEmLj1EEEvT0_T1_SJ_,comdat
.Lfunc_end613:
	.size	_ZN6thrust23THRUST_200600_302600_NS11hip_rocprim14__parallel_for6kernelILj256ENS1_10for_each_fINS0_10device_ptrINS0_4pairIiiEEEENS0_6detail16wrapped_functionINS9_23allocator_traits_detail24construct1_via_allocatorINS0_16device_allocatorIS7_EEEEvEEEEmLj1EEEvT0_T1_SJ_, .Lfunc_end613-_ZN6thrust23THRUST_200600_302600_NS11hip_rocprim14__parallel_for6kernelILj256ENS1_10for_each_fINS0_10device_ptrINS0_4pairIiiEEEENS0_6detail16wrapped_functionINS9_23allocator_traits_detail24construct1_via_allocatorINS0_16device_allocatorIS7_EEEEvEEEEmLj1EEEvT0_T1_SJ_
                                        ; -- End function
	.set _ZN6thrust23THRUST_200600_302600_NS11hip_rocprim14__parallel_for6kernelILj256ENS1_10for_each_fINS0_10device_ptrINS0_4pairIiiEEEENS0_6detail16wrapped_functionINS9_23allocator_traits_detail24construct1_via_allocatorINS0_16device_allocatorIS7_EEEEvEEEEmLj1EEEvT0_T1_SJ_.num_vgpr, 5
	.set _ZN6thrust23THRUST_200600_302600_NS11hip_rocprim14__parallel_for6kernelILj256ENS1_10for_each_fINS0_10device_ptrINS0_4pairIiiEEEENS0_6detail16wrapped_functionINS9_23allocator_traits_detail24construct1_via_allocatorINS0_16device_allocatorIS7_EEEEvEEEEmLj1EEEvT0_T1_SJ_.num_agpr, 0
	.set _ZN6thrust23THRUST_200600_302600_NS11hip_rocprim14__parallel_for6kernelILj256ENS1_10for_each_fINS0_10device_ptrINS0_4pairIiiEEEENS0_6detail16wrapped_functionINS9_23allocator_traits_detail24construct1_via_allocatorINS0_16device_allocatorIS7_EEEEvEEEEmLj1EEEvT0_T1_SJ_.numbered_sgpr, 12
	.set _ZN6thrust23THRUST_200600_302600_NS11hip_rocprim14__parallel_for6kernelILj256ENS1_10for_each_fINS0_10device_ptrINS0_4pairIiiEEEENS0_6detail16wrapped_functionINS9_23allocator_traits_detail24construct1_via_allocatorINS0_16device_allocatorIS7_EEEEvEEEEmLj1EEEvT0_T1_SJ_.num_named_barrier, 0
	.set _ZN6thrust23THRUST_200600_302600_NS11hip_rocprim14__parallel_for6kernelILj256ENS1_10for_each_fINS0_10device_ptrINS0_4pairIiiEEEENS0_6detail16wrapped_functionINS9_23allocator_traits_detail24construct1_via_allocatorINS0_16device_allocatorIS7_EEEEvEEEEmLj1EEEvT0_T1_SJ_.private_seg_size, 0
	.set _ZN6thrust23THRUST_200600_302600_NS11hip_rocprim14__parallel_for6kernelILj256ENS1_10for_each_fINS0_10device_ptrINS0_4pairIiiEEEENS0_6detail16wrapped_functionINS9_23allocator_traits_detail24construct1_via_allocatorINS0_16device_allocatorIS7_EEEEvEEEEmLj1EEEvT0_T1_SJ_.uses_vcc, 1
	.set _ZN6thrust23THRUST_200600_302600_NS11hip_rocprim14__parallel_for6kernelILj256ENS1_10for_each_fINS0_10device_ptrINS0_4pairIiiEEEENS0_6detail16wrapped_functionINS9_23allocator_traits_detail24construct1_via_allocatorINS0_16device_allocatorIS7_EEEEvEEEEmLj1EEEvT0_T1_SJ_.uses_flat_scratch, 0
	.set _ZN6thrust23THRUST_200600_302600_NS11hip_rocprim14__parallel_for6kernelILj256ENS1_10for_each_fINS0_10device_ptrINS0_4pairIiiEEEENS0_6detail16wrapped_functionINS9_23allocator_traits_detail24construct1_via_allocatorINS0_16device_allocatorIS7_EEEEvEEEEmLj1EEEvT0_T1_SJ_.has_dyn_sized_stack, 0
	.set _ZN6thrust23THRUST_200600_302600_NS11hip_rocprim14__parallel_for6kernelILj256ENS1_10for_each_fINS0_10device_ptrINS0_4pairIiiEEEENS0_6detail16wrapped_functionINS9_23allocator_traits_detail24construct1_via_allocatorINS0_16device_allocatorIS7_EEEEvEEEEmLj1EEEvT0_T1_SJ_.has_recursion, 0
	.set _ZN6thrust23THRUST_200600_302600_NS11hip_rocprim14__parallel_for6kernelILj256ENS1_10for_each_fINS0_10device_ptrINS0_4pairIiiEEEENS0_6detail16wrapped_functionINS9_23allocator_traits_detail24construct1_via_allocatorINS0_16device_allocatorIS7_EEEEvEEEEmLj1EEEvT0_T1_SJ_.has_indirect_call, 0
	.section	.AMDGPU.csdata,"",@progbits
; Kernel info:
; codeLenInByte = 200
; TotalNumSgprs: 14
; NumVgprs: 5
; ScratchSize: 0
; MemoryBound: 0
; FloatMode: 240
; IeeeMode: 1
; LDSByteSize: 0 bytes/workgroup (compile time only)
; SGPRBlocks: 0
; VGPRBlocks: 0
; NumSGPRsForWavesPerEU: 14
; NumVGPRsForWavesPerEU: 5
; Occupancy: 16
; WaveLimiterHint : 0
; COMPUTE_PGM_RSRC2:SCRATCH_EN: 0
; COMPUTE_PGM_RSRC2:USER_SGPR: 6
; COMPUTE_PGM_RSRC2:TRAP_HANDLER: 0
; COMPUTE_PGM_RSRC2:TGID_X_EN: 1
; COMPUTE_PGM_RSRC2:TGID_Y_EN: 0
; COMPUTE_PGM_RSRC2:TGID_Z_EN: 0
; COMPUTE_PGM_RSRC2:TIDIG_COMP_CNT: 0
	.section	.text._ZN6thrust23THRUST_200600_302600_NS11hip_rocprim14__parallel_for6kernelILj256ENS1_10for_each_fINS0_10device_ptrINS0_4pairIiiEEEENS0_6detail16wrapped_functionINS9_23allocator_traits_detail5gozerEvEEEElLj1EEEvT0_T1_SG_,"axG",@progbits,_ZN6thrust23THRUST_200600_302600_NS11hip_rocprim14__parallel_for6kernelILj256ENS1_10for_each_fINS0_10device_ptrINS0_4pairIiiEEEENS0_6detail16wrapped_functionINS9_23allocator_traits_detail5gozerEvEEEElLj1EEEvT0_T1_SG_,comdat
	.protected	_ZN6thrust23THRUST_200600_302600_NS11hip_rocprim14__parallel_for6kernelILj256ENS1_10for_each_fINS0_10device_ptrINS0_4pairIiiEEEENS0_6detail16wrapped_functionINS9_23allocator_traits_detail5gozerEvEEEElLj1EEEvT0_T1_SG_ ; -- Begin function _ZN6thrust23THRUST_200600_302600_NS11hip_rocprim14__parallel_for6kernelILj256ENS1_10for_each_fINS0_10device_ptrINS0_4pairIiiEEEENS0_6detail16wrapped_functionINS9_23allocator_traits_detail5gozerEvEEEElLj1EEEvT0_T1_SG_
	.globl	_ZN6thrust23THRUST_200600_302600_NS11hip_rocprim14__parallel_for6kernelILj256ENS1_10for_each_fINS0_10device_ptrINS0_4pairIiiEEEENS0_6detail16wrapped_functionINS9_23allocator_traits_detail5gozerEvEEEElLj1EEEvT0_T1_SG_
	.p2align	8
	.type	_ZN6thrust23THRUST_200600_302600_NS11hip_rocprim14__parallel_for6kernelILj256ENS1_10for_each_fINS0_10device_ptrINS0_4pairIiiEEEENS0_6detail16wrapped_functionINS9_23allocator_traits_detail5gozerEvEEEElLj1EEEvT0_T1_SG_,@function
_ZN6thrust23THRUST_200600_302600_NS11hip_rocprim14__parallel_for6kernelILj256ENS1_10for_each_fINS0_10device_ptrINS0_4pairIiiEEEENS0_6detail16wrapped_functionINS9_23allocator_traits_detail5gozerEvEEEElLj1EEEvT0_T1_SG_: ; @_ZN6thrust23THRUST_200600_302600_NS11hip_rocprim14__parallel_for6kernelILj256ENS1_10for_each_fINS0_10device_ptrINS0_4pairIiiEEEENS0_6detail16wrapped_functionINS9_23allocator_traits_detail5gozerEvEEEElLj1EEEvT0_T1_SG_
; %bb.0:
	s_endpgm
	.section	.rodata,"a",@progbits
	.p2align	6, 0x0
	.amdhsa_kernel _ZN6thrust23THRUST_200600_302600_NS11hip_rocprim14__parallel_for6kernelILj256ENS1_10for_each_fINS0_10device_ptrINS0_4pairIiiEEEENS0_6detail16wrapped_functionINS9_23allocator_traits_detail5gozerEvEEEElLj1EEEvT0_T1_SG_
		.amdhsa_group_segment_fixed_size 0
		.amdhsa_private_segment_fixed_size 0
		.amdhsa_kernarg_size 32
		.amdhsa_user_sgpr_count 6
		.amdhsa_user_sgpr_private_segment_buffer 1
		.amdhsa_user_sgpr_dispatch_ptr 0
		.amdhsa_user_sgpr_queue_ptr 0
		.amdhsa_user_sgpr_kernarg_segment_ptr 1
		.amdhsa_user_sgpr_dispatch_id 0
		.amdhsa_user_sgpr_flat_scratch_init 0
		.amdhsa_user_sgpr_private_segment_size 0
		.amdhsa_wavefront_size32 1
		.amdhsa_uses_dynamic_stack 0
		.amdhsa_system_sgpr_private_segment_wavefront_offset 0
		.amdhsa_system_sgpr_workgroup_id_x 1
		.amdhsa_system_sgpr_workgroup_id_y 0
		.amdhsa_system_sgpr_workgroup_id_z 0
		.amdhsa_system_sgpr_workgroup_info 0
		.amdhsa_system_vgpr_workitem_id 0
		.amdhsa_next_free_vgpr 1
		.amdhsa_next_free_sgpr 1
		.amdhsa_reserve_vcc 0
		.amdhsa_reserve_flat_scratch 0
		.amdhsa_float_round_mode_32 0
		.amdhsa_float_round_mode_16_64 0
		.amdhsa_float_denorm_mode_32 3
		.amdhsa_float_denorm_mode_16_64 3
		.amdhsa_dx10_clamp 1
		.amdhsa_ieee_mode 1
		.amdhsa_fp16_overflow 0
		.amdhsa_workgroup_processor_mode 1
		.amdhsa_memory_ordered 1
		.amdhsa_forward_progress 1
		.amdhsa_shared_vgpr_count 0
		.amdhsa_exception_fp_ieee_invalid_op 0
		.amdhsa_exception_fp_denorm_src 0
		.amdhsa_exception_fp_ieee_div_zero 0
		.amdhsa_exception_fp_ieee_overflow 0
		.amdhsa_exception_fp_ieee_underflow 0
		.amdhsa_exception_fp_ieee_inexact 0
		.amdhsa_exception_int_div_zero 0
	.end_amdhsa_kernel
	.section	.text._ZN6thrust23THRUST_200600_302600_NS11hip_rocprim14__parallel_for6kernelILj256ENS1_10for_each_fINS0_10device_ptrINS0_4pairIiiEEEENS0_6detail16wrapped_functionINS9_23allocator_traits_detail5gozerEvEEEElLj1EEEvT0_T1_SG_,"axG",@progbits,_ZN6thrust23THRUST_200600_302600_NS11hip_rocprim14__parallel_for6kernelILj256ENS1_10for_each_fINS0_10device_ptrINS0_4pairIiiEEEENS0_6detail16wrapped_functionINS9_23allocator_traits_detail5gozerEvEEEElLj1EEEvT0_T1_SG_,comdat
.Lfunc_end614:
	.size	_ZN6thrust23THRUST_200600_302600_NS11hip_rocprim14__parallel_for6kernelILj256ENS1_10for_each_fINS0_10device_ptrINS0_4pairIiiEEEENS0_6detail16wrapped_functionINS9_23allocator_traits_detail5gozerEvEEEElLj1EEEvT0_T1_SG_, .Lfunc_end614-_ZN6thrust23THRUST_200600_302600_NS11hip_rocprim14__parallel_for6kernelILj256ENS1_10for_each_fINS0_10device_ptrINS0_4pairIiiEEEENS0_6detail16wrapped_functionINS9_23allocator_traits_detail5gozerEvEEEElLj1EEEvT0_T1_SG_
                                        ; -- End function
	.set _ZN6thrust23THRUST_200600_302600_NS11hip_rocprim14__parallel_for6kernelILj256ENS1_10for_each_fINS0_10device_ptrINS0_4pairIiiEEEENS0_6detail16wrapped_functionINS9_23allocator_traits_detail5gozerEvEEEElLj1EEEvT0_T1_SG_.num_vgpr, 0
	.set _ZN6thrust23THRUST_200600_302600_NS11hip_rocprim14__parallel_for6kernelILj256ENS1_10for_each_fINS0_10device_ptrINS0_4pairIiiEEEENS0_6detail16wrapped_functionINS9_23allocator_traits_detail5gozerEvEEEElLj1EEEvT0_T1_SG_.num_agpr, 0
	.set _ZN6thrust23THRUST_200600_302600_NS11hip_rocprim14__parallel_for6kernelILj256ENS1_10for_each_fINS0_10device_ptrINS0_4pairIiiEEEENS0_6detail16wrapped_functionINS9_23allocator_traits_detail5gozerEvEEEElLj1EEEvT0_T1_SG_.numbered_sgpr, 0
	.set _ZN6thrust23THRUST_200600_302600_NS11hip_rocprim14__parallel_for6kernelILj256ENS1_10for_each_fINS0_10device_ptrINS0_4pairIiiEEEENS0_6detail16wrapped_functionINS9_23allocator_traits_detail5gozerEvEEEElLj1EEEvT0_T1_SG_.num_named_barrier, 0
	.set _ZN6thrust23THRUST_200600_302600_NS11hip_rocprim14__parallel_for6kernelILj256ENS1_10for_each_fINS0_10device_ptrINS0_4pairIiiEEEENS0_6detail16wrapped_functionINS9_23allocator_traits_detail5gozerEvEEEElLj1EEEvT0_T1_SG_.private_seg_size, 0
	.set _ZN6thrust23THRUST_200600_302600_NS11hip_rocprim14__parallel_for6kernelILj256ENS1_10for_each_fINS0_10device_ptrINS0_4pairIiiEEEENS0_6detail16wrapped_functionINS9_23allocator_traits_detail5gozerEvEEEElLj1EEEvT0_T1_SG_.uses_vcc, 0
	.set _ZN6thrust23THRUST_200600_302600_NS11hip_rocprim14__parallel_for6kernelILj256ENS1_10for_each_fINS0_10device_ptrINS0_4pairIiiEEEENS0_6detail16wrapped_functionINS9_23allocator_traits_detail5gozerEvEEEElLj1EEEvT0_T1_SG_.uses_flat_scratch, 0
	.set _ZN6thrust23THRUST_200600_302600_NS11hip_rocprim14__parallel_for6kernelILj256ENS1_10for_each_fINS0_10device_ptrINS0_4pairIiiEEEENS0_6detail16wrapped_functionINS9_23allocator_traits_detail5gozerEvEEEElLj1EEEvT0_T1_SG_.has_dyn_sized_stack, 0
	.set _ZN6thrust23THRUST_200600_302600_NS11hip_rocprim14__parallel_for6kernelILj256ENS1_10for_each_fINS0_10device_ptrINS0_4pairIiiEEEENS0_6detail16wrapped_functionINS9_23allocator_traits_detail5gozerEvEEEElLj1EEEvT0_T1_SG_.has_recursion, 0
	.set _ZN6thrust23THRUST_200600_302600_NS11hip_rocprim14__parallel_for6kernelILj256ENS1_10for_each_fINS0_10device_ptrINS0_4pairIiiEEEENS0_6detail16wrapped_functionINS9_23allocator_traits_detail5gozerEvEEEElLj1EEEvT0_T1_SG_.has_indirect_call, 0
	.section	.AMDGPU.csdata,"",@progbits
; Kernel info:
; codeLenInByte = 4
; TotalNumSgprs: 0
; NumVgprs: 0
; ScratchSize: 0
; MemoryBound: 0
; FloatMode: 240
; IeeeMode: 1
; LDSByteSize: 0 bytes/workgroup (compile time only)
; SGPRBlocks: 0
; VGPRBlocks: 0
; NumSGPRsForWavesPerEU: 1
; NumVGPRsForWavesPerEU: 1
; Occupancy: 16
; WaveLimiterHint : 0
; COMPUTE_PGM_RSRC2:SCRATCH_EN: 0
; COMPUTE_PGM_RSRC2:USER_SGPR: 6
; COMPUTE_PGM_RSRC2:TRAP_HANDLER: 0
; COMPUTE_PGM_RSRC2:TGID_X_EN: 1
; COMPUTE_PGM_RSRC2:TGID_Y_EN: 0
; COMPUTE_PGM_RSRC2:TGID_Z_EN: 0
; COMPUTE_PGM_RSRC2:TIDIG_COMP_CNT: 0
	.section	.text._ZN7rocprim17ROCPRIM_400000_NS6detail44device_merge_sort_compile_time_verifier_archINS1_11comp_targetILNS1_3genE0ELNS1_11target_archE4294967295ELNS1_3gpuE0ELNS1_3repE0EEES8_NS0_14default_configES9_NS1_37merge_sort_block_sort_config_selectorIN6thrust23THRUST_200600_302600_NS4pairIiiEENS0_10empty_typeEEENS1_38merge_sort_block_merge_config_selectorISE_SF_EEEEvv,"axG",@progbits,_ZN7rocprim17ROCPRIM_400000_NS6detail44device_merge_sort_compile_time_verifier_archINS1_11comp_targetILNS1_3genE0ELNS1_11target_archE4294967295ELNS1_3gpuE0ELNS1_3repE0EEES8_NS0_14default_configES9_NS1_37merge_sort_block_sort_config_selectorIN6thrust23THRUST_200600_302600_NS4pairIiiEENS0_10empty_typeEEENS1_38merge_sort_block_merge_config_selectorISE_SF_EEEEvv,comdat
	.protected	_ZN7rocprim17ROCPRIM_400000_NS6detail44device_merge_sort_compile_time_verifier_archINS1_11comp_targetILNS1_3genE0ELNS1_11target_archE4294967295ELNS1_3gpuE0ELNS1_3repE0EEES8_NS0_14default_configES9_NS1_37merge_sort_block_sort_config_selectorIN6thrust23THRUST_200600_302600_NS4pairIiiEENS0_10empty_typeEEENS1_38merge_sort_block_merge_config_selectorISE_SF_EEEEvv ; -- Begin function _ZN7rocprim17ROCPRIM_400000_NS6detail44device_merge_sort_compile_time_verifier_archINS1_11comp_targetILNS1_3genE0ELNS1_11target_archE4294967295ELNS1_3gpuE0ELNS1_3repE0EEES8_NS0_14default_configES9_NS1_37merge_sort_block_sort_config_selectorIN6thrust23THRUST_200600_302600_NS4pairIiiEENS0_10empty_typeEEENS1_38merge_sort_block_merge_config_selectorISE_SF_EEEEvv
	.globl	_ZN7rocprim17ROCPRIM_400000_NS6detail44device_merge_sort_compile_time_verifier_archINS1_11comp_targetILNS1_3genE0ELNS1_11target_archE4294967295ELNS1_3gpuE0ELNS1_3repE0EEES8_NS0_14default_configES9_NS1_37merge_sort_block_sort_config_selectorIN6thrust23THRUST_200600_302600_NS4pairIiiEENS0_10empty_typeEEENS1_38merge_sort_block_merge_config_selectorISE_SF_EEEEvv
	.p2align	8
	.type	_ZN7rocprim17ROCPRIM_400000_NS6detail44device_merge_sort_compile_time_verifier_archINS1_11comp_targetILNS1_3genE0ELNS1_11target_archE4294967295ELNS1_3gpuE0ELNS1_3repE0EEES8_NS0_14default_configES9_NS1_37merge_sort_block_sort_config_selectorIN6thrust23THRUST_200600_302600_NS4pairIiiEENS0_10empty_typeEEENS1_38merge_sort_block_merge_config_selectorISE_SF_EEEEvv,@function
_ZN7rocprim17ROCPRIM_400000_NS6detail44device_merge_sort_compile_time_verifier_archINS1_11comp_targetILNS1_3genE0ELNS1_11target_archE4294967295ELNS1_3gpuE0ELNS1_3repE0EEES8_NS0_14default_configES9_NS1_37merge_sort_block_sort_config_selectorIN6thrust23THRUST_200600_302600_NS4pairIiiEENS0_10empty_typeEEENS1_38merge_sort_block_merge_config_selectorISE_SF_EEEEvv: ; @_ZN7rocprim17ROCPRIM_400000_NS6detail44device_merge_sort_compile_time_verifier_archINS1_11comp_targetILNS1_3genE0ELNS1_11target_archE4294967295ELNS1_3gpuE0ELNS1_3repE0EEES8_NS0_14default_configES9_NS1_37merge_sort_block_sort_config_selectorIN6thrust23THRUST_200600_302600_NS4pairIiiEENS0_10empty_typeEEENS1_38merge_sort_block_merge_config_selectorISE_SF_EEEEvv
; %bb.0:
	s_endpgm
	.section	.rodata,"a",@progbits
	.p2align	6, 0x0
	.amdhsa_kernel _ZN7rocprim17ROCPRIM_400000_NS6detail44device_merge_sort_compile_time_verifier_archINS1_11comp_targetILNS1_3genE0ELNS1_11target_archE4294967295ELNS1_3gpuE0ELNS1_3repE0EEES8_NS0_14default_configES9_NS1_37merge_sort_block_sort_config_selectorIN6thrust23THRUST_200600_302600_NS4pairIiiEENS0_10empty_typeEEENS1_38merge_sort_block_merge_config_selectorISE_SF_EEEEvv
		.amdhsa_group_segment_fixed_size 0
		.amdhsa_private_segment_fixed_size 0
		.amdhsa_kernarg_size 0
		.amdhsa_user_sgpr_count 4
		.amdhsa_user_sgpr_private_segment_buffer 1
		.amdhsa_user_sgpr_dispatch_ptr 0
		.amdhsa_user_sgpr_queue_ptr 0
		.amdhsa_user_sgpr_kernarg_segment_ptr 0
		.amdhsa_user_sgpr_dispatch_id 0
		.amdhsa_user_sgpr_flat_scratch_init 0
		.amdhsa_user_sgpr_private_segment_size 0
		.amdhsa_wavefront_size32 1
		.amdhsa_uses_dynamic_stack 0
		.amdhsa_system_sgpr_private_segment_wavefront_offset 0
		.amdhsa_system_sgpr_workgroup_id_x 1
		.amdhsa_system_sgpr_workgroup_id_y 0
		.amdhsa_system_sgpr_workgroup_id_z 0
		.amdhsa_system_sgpr_workgroup_info 0
		.amdhsa_system_vgpr_workitem_id 0
		.amdhsa_next_free_vgpr 1
		.amdhsa_next_free_sgpr 1
		.amdhsa_reserve_vcc 0
		.amdhsa_reserve_flat_scratch 0
		.amdhsa_float_round_mode_32 0
		.amdhsa_float_round_mode_16_64 0
		.amdhsa_float_denorm_mode_32 3
		.amdhsa_float_denorm_mode_16_64 3
		.amdhsa_dx10_clamp 1
		.amdhsa_ieee_mode 1
		.amdhsa_fp16_overflow 0
		.amdhsa_workgroup_processor_mode 1
		.amdhsa_memory_ordered 1
		.amdhsa_forward_progress 1
		.amdhsa_shared_vgpr_count 0
		.amdhsa_exception_fp_ieee_invalid_op 0
		.amdhsa_exception_fp_denorm_src 0
		.amdhsa_exception_fp_ieee_div_zero 0
		.amdhsa_exception_fp_ieee_overflow 0
		.amdhsa_exception_fp_ieee_underflow 0
		.amdhsa_exception_fp_ieee_inexact 0
		.amdhsa_exception_int_div_zero 0
	.end_amdhsa_kernel
	.section	.text._ZN7rocprim17ROCPRIM_400000_NS6detail44device_merge_sort_compile_time_verifier_archINS1_11comp_targetILNS1_3genE0ELNS1_11target_archE4294967295ELNS1_3gpuE0ELNS1_3repE0EEES8_NS0_14default_configES9_NS1_37merge_sort_block_sort_config_selectorIN6thrust23THRUST_200600_302600_NS4pairIiiEENS0_10empty_typeEEENS1_38merge_sort_block_merge_config_selectorISE_SF_EEEEvv,"axG",@progbits,_ZN7rocprim17ROCPRIM_400000_NS6detail44device_merge_sort_compile_time_verifier_archINS1_11comp_targetILNS1_3genE0ELNS1_11target_archE4294967295ELNS1_3gpuE0ELNS1_3repE0EEES8_NS0_14default_configES9_NS1_37merge_sort_block_sort_config_selectorIN6thrust23THRUST_200600_302600_NS4pairIiiEENS0_10empty_typeEEENS1_38merge_sort_block_merge_config_selectorISE_SF_EEEEvv,comdat
.Lfunc_end615:
	.size	_ZN7rocprim17ROCPRIM_400000_NS6detail44device_merge_sort_compile_time_verifier_archINS1_11comp_targetILNS1_3genE0ELNS1_11target_archE4294967295ELNS1_3gpuE0ELNS1_3repE0EEES8_NS0_14default_configES9_NS1_37merge_sort_block_sort_config_selectorIN6thrust23THRUST_200600_302600_NS4pairIiiEENS0_10empty_typeEEENS1_38merge_sort_block_merge_config_selectorISE_SF_EEEEvv, .Lfunc_end615-_ZN7rocprim17ROCPRIM_400000_NS6detail44device_merge_sort_compile_time_verifier_archINS1_11comp_targetILNS1_3genE0ELNS1_11target_archE4294967295ELNS1_3gpuE0ELNS1_3repE0EEES8_NS0_14default_configES9_NS1_37merge_sort_block_sort_config_selectorIN6thrust23THRUST_200600_302600_NS4pairIiiEENS0_10empty_typeEEENS1_38merge_sort_block_merge_config_selectorISE_SF_EEEEvv
                                        ; -- End function
	.set _ZN7rocprim17ROCPRIM_400000_NS6detail44device_merge_sort_compile_time_verifier_archINS1_11comp_targetILNS1_3genE0ELNS1_11target_archE4294967295ELNS1_3gpuE0ELNS1_3repE0EEES8_NS0_14default_configES9_NS1_37merge_sort_block_sort_config_selectorIN6thrust23THRUST_200600_302600_NS4pairIiiEENS0_10empty_typeEEENS1_38merge_sort_block_merge_config_selectorISE_SF_EEEEvv.num_vgpr, 0
	.set _ZN7rocprim17ROCPRIM_400000_NS6detail44device_merge_sort_compile_time_verifier_archINS1_11comp_targetILNS1_3genE0ELNS1_11target_archE4294967295ELNS1_3gpuE0ELNS1_3repE0EEES8_NS0_14default_configES9_NS1_37merge_sort_block_sort_config_selectorIN6thrust23THRUST_200600_302600_NS4pairIiiEENS0_10empty_typeEEENS1_38merge_sort_block_merge_config_selectorISE_SF_EEEEvv.num_agpr, 0
	.set _ZN7rocprim17ROCPRIM_400000_NS6detail44device_merge_sort_compile_time_verifier_archINS1_11comp_targetILNS1_3genE0ELNS1_11target_archE4294967295ELNS1_3gpuE0ELNS1_3repE0EEES8_NS0_14default_configES9_NS1_37merge_sort_block_sort_config_selectorIN6thrust23THRUST_200600_302600_NS4pairIiiEENS0_10empty_typeEEENS1_38merge_sort_block_merge_config_selectorISE_SF_EEEEvv.numbered_sgpr, 0
	.set _ZN7rocprim17ROCPRIM_400000_NS6detail44device_merge_sort_compile_time_verifier_archINS1_11comp_targetILNS1_3genE0ELNS1_11target_archE4294967295ELNS1_3gpuE0ELNS1_3repE0EEES8_NS0_14default_configES9_NS1_37merge_sort_block_sort_config_selectorIN6thrust23THRUST_200600_302600_NS4pairIiiEENS0_10empty_typeEEENS1_38merge_sort_block_merge_config_selectorISE_SF_EEEEvv.num_named_barrier, 0
	.set _ZN7rocprim17ROCPRIM_400000_NS6detail44device_merge_sort_compile_time_verifier_archINS1_11comp_targetILNS1_3genE0ELNS1_11target_archE4294967295ELNS1_3gpuE0ELNS1_3repE0EEES8_NS0_14default_configES9_NS1_37merge_sort_block_sort_config_selectorIN6thrust23THRUST_200600_302600_NS4pairIiiEENS0_10empty_typeEEENS1_38merge_sort_block_merge_config_selectorISE_SF_EEEEvv.private_seg_size, 0
	.set _ZN7rocprim17ROCPRIM_400000_NS6detail44device_merge_sort_compile_time_verifier_archINS1_11comp_targetILNS1_3genE0ELNS1_11target_archE4294967295ELNS1_3gpuE0ELNS1_3repE0EEES8_NS0_14default_configES9_NS1_37merge_sort_block_sort_config_selectorIN6thrust23THRUST_200600_302600_NS4pairIiiEENS0_10empty_typeEEENS1_38merge_sort_block_merge_config_selectorISE_SF_EEEEvv.uses_vcc, 0
	.set _ZN7rocprim17ROCPRIM_400000_NS6detail44device_merge_sort_compile_time_verifier_archINS1_11comp_targetILNS1_3genE0ELNS1_11target_archE4294967295ELNS1_3gpuE0ELNS1_3repE0EEES8_NS0_14default_configES9_NS1_37merge_sort_block_sort_config_selectorIN6thrust23THRUST_200600_302600_NS4pairIiiEENS0_10empty_typeEEENS1_38merge_sort_block_merge_config_selectorISE_SF_EEEEvv.uses_flat_scratch, 0
	.set _ZN7rocprim17ROCPRIM_400000_NS6detail44device_merge_sort_compile_time_verifier_archINS1_11comp_targetILNS1_3genE0ELNS1_11target_archE4294967295ELNS1_3gpuE0ELNS1_3repE0EEES8_NS0_14default_configES9_NS1_37merge_sort_block_sort_config_selectorIN6thrust23THRUST_200600_302600_NS4pairIiiEENS0_10empty_typeEEENS1_38merge_sort_block_merge_config_selectorISE_SF_EEEEvv.has_dyn_sized_stack, 0
	.set _ZN7rocprim17ROCPRIM_400000_NS6detail44device_merge_sort_compile_time_verifier_archINS1_11comp_targetILNS1_3genE0ELNS1_11target_archE4294967295ELNS1_3gpuE0ELNS1_3repE0EEES8_NS0_14default_configES9_NS1_37merge_sort_block_sort_config_selectorIN6thrust23THRUST_200600_302600_NS4pairIiiEENS0_10empty_typeEEENS1_38merge_sort_block_merge_config_selectorISE_SF_EEEEvv.has_recursion, 0
	.set _ZN7rocprim17ROCPRIM_400000_NS6detail44device_merge_sort_compile_time_verifier_archINS1_11comp_targetILNS1_3genE0ELNS1_11target_archE4294967295ELNS1_3gpuE0ELNS1_3repE0EEES8_NS0_14default_configES9_NS1_37merge_sort_block_sort_config_selectorIN6thrust23THRUST_200600_302600_NS4pairIiiEENS0_10empty_typeEEENS1_38merge_sort_block_merge_config_selectorISE_SF_EEEEvv.has_indirect_call, 0
	.section	.AMDGPU.csdata,"",@progbits
; Kernel info:
; codeLenInByte = 4
; TotalNumSgprs: 0
; NumVgprs: 0
; ScratchSize: 0
; MemoryBound: 0
; FloatMode: 240
; IeeeMode: 1
; LDSByteSize: 0 bytes/workgroup (compile time only)
; SGPRBlocks: 0
; VGPRBlocks: 0
; NumSGPRsForWavesPerEU: 1
; NumVGPRsForWavesPerEU: 1
; Occupancy: 16
; WaveLimiterHint : 0
; COMPUTE_PGM_RSRC2:SCRATCH_EN: 0
; COMPUTE_PGM_RSRC2:USER_SGPR: 4
; COMPUTE_PGM_RSRC2:TRAP_HANDLER: 0
; COMPUTE_PGM_RSRC2:TGID_X_EN: 1
; COMPUTE_PGM_RSRC2:TGID_Y_EN: 0
; COMPUTE_PGM_RSRC2:TGID_Z_EN: 0
; COMPUTE_PGM_RSRC2:TIDIG_COMP_CNT: 0
	.section	.text._ZN7rocprim17ROCPRIM_400000_NS6detail44device_merge_sort_compile_time_verifier_archINS1_11comp_targetILNS1_3genE5ELNS1_11target_archE942ELNS1_3gpuE9ELNS1_3repE0EEES8_NS0_14default_configES9_NS1_37merge_sort_block_sort_config_selectorIN6thrust23THRUST_200600_302600_NS4pairIiiEENS0_10empty_typeEEENS1_38merge_sort_block_merge_config_selectorISE_SF_EEEEvv,"axG",@progbits,_ZN7rocprim17ROCPRIM_400000_NS6detail44device_merge_sort_compile_time_verifier_archINS1_11comp_targetILNS1_3genE5ELNS1_11target_archE942ELNS1_3gpuE9ELNS1_3repE0EEES8_NS0_14default_configES9_NS1_37merge_sort_block_sort_config_selectorIN6thrust23THRUST_200600_302600_NS4pairIiiEENS0_10empty_typeEEENS1_38merge_sort_block_merge_config_selectorISE_SF_EEEEvv,comdat
	.protected	_ZN7rocprim17ROCPRIM_400000_NS6detail44device_merge_sort_compile_time_verifier_archINS1_11comp_targetILNS1_3genE5ELNS1_11target_archE942ELNS1_3gpuE9ELNS1_3repE0EEES8_NS0_14default_configES9_NS1_37merge_sort_block_sort_config_selectorIN6thrust23THRUST_200600_302600_NS4pairIiiEENS0_10empty_typeEEENS1_38merge_sort_block_merge_config_selectorISE_SF_EEEEvv ; -- Begin function _ZN7rocprim17ROCPRIM_400000_NS6detail44device_merge_sort_compile_time_verifier_archINS1_11comp_targetILNS1_3genE5ELNS1_11target_archE942ELNS1_3gpuE9ELNS1_3repE0EEES8_NS0_14default_configES9_NS1_37merge_sort_block_sort_config_selectorIN6thrust23THRUST_200600_302600_NS4pairIiiEENS0_10empty_typeEEENS1_38merge_sort_block_merge_config_selectorISE_SF_EEEEvv
	.globl	_ZN7rocprim17ROCPRIM_400000_NS6detail44device_merge_sort_compile_time_verifier_archINS1_11comp_targetILNS1_3genE5ELNS1_11target_archE942ELNS1_3gpuE9ELNS1_3repE0EEES8_NS0_14default_configES9_NS1_37merge_sort_block_sort_config_selectorIN6thrust23THRUST_200600_302600_NS4pairIiiEENS0_10empty_typeEEENS1_38merge_sort_block_merge_config_selectorISE_SF_EEEEvv
	.p2align	8
	.type	_ZN7rocprim17ROCPRIM_400000_NS6detail44device_merge_sort_compile_time_verifier_archINS1_11comp_targetILNS1_3genE5ELNS1_11target_archE942ELNS1_3gpuE9ELNS1_3repE0EEES8_NS0_14default_configES9_NS1_37merge_sort_block_sort_config_selectorIN6thrust23THRUST_200600_302600_NS4pairIiiEENS0_10empty_typeEEENS1_38merge_sort_block_merge_config_selectorISE_SF_EEEEvv,@function
_ZN7rocprim17ROCPRIM_400000_NS6detail44device_merge_sort_compile_time_verifier_archINS1_11comp_targetILNS1_3genE5ELNS1_11target_archE942ELNS1_3gpuE9ELNS1_3repE0EEES8_NS0_14default_configES9_NS1_37merge_sort_block_sort_config_selectorIN6thrust23THRUST_200600_302600_NS4pairIiiEENS0_10empty_typeEEENS1_38merge_sort_block_merge_config_selectorISE_SF_EEEEvv: ; @_ZN7rocprim17ROCPRIM_400000_NS6detail44device_merge_sort_compile_time_verifier_archINS1_11comp_targetILNS1_3genE5ELNS1_11target_archE942ELNS1_3gpuE9ELNS1_3repE0EEES8_NS0_14default_configES9_NS1_37merge_sort_block_sort_config_selectorIN6thrust23THRUST_200600_302600_NS4pairIiiEENS0_10empty_typeEEENS1_38merge_sort_block_merge_config_selectorISE_SF_EEEEvv
; %bb.0:
	s_endpgm
	.section	.rodata,"a",@progbits
	.p2align	6, 0x0
	.amdhsa_kernel _ZN7rocprim17ROCPRIM_400000_NS6detail44device_merge_sort_compile_time_verifier_archINS1_11comp_targetILNS1_3genE5ELNS1_11target_archE942ELNS1_3gpuE9ELNS1_3repE0EEES8_NS0_14default_configES9_NS1_37merge_sort_block_sort_config_selectorIN6thrust23THRUST_200600_302600_NS4pairIiiEENS0_10empty_typeEEENS1_38merge_sort_block_merge_config_selectorISE_SF_EEEEvv
		.amdhsa_group_segment_fixed_size 0
		.amdhsa_private_segment_fixed_size 0
		.amdhsa_kernarg_size 0
		.amdhsa_user_sgpr_count 4
		.amdhsa_user_sgpr_private_segment_buffer 1
		.amdhsa_user_sgpr_dispatch_ptr 0
		.amdhsa_user_sgpr_queue_ptr 0
		.amdhsa_user_sgpr_kernarg_segment_ptr 0
		.amdhsa_user_sgpr_dispatch_id 0
		.amdhsa_user_sgpr_flat_scratch_init 0
		.amdhsa_user_sgpr_private_segment_size 0
		.amdhsa_wavefront_size32 1
		.amdhsa_uses_dynamic_stack 0
		.amdhsa_system_sgpr_private_segment_wavefront_offset 0
		.amdhsa_system_sgpr_workgroup_id_x 1
		.amdhsa_system_sgpr_workgroup_id_y 0
		.amdhsa_system_sgpr_workgroup_id_z 0
		.amdhsa_system_sgpr_workgroup_info 0
		.amdhsa_system_vgpr_workitem_id 0
		.amdhsa_next_free_vgpr 1
		.amdhsa_next_free_sgpr 1
		.amdhsa_reserve_vcc 0
		.amdhsa_reserve_flat_scratch 0
		.amdhsa_float_round_mode_32 0
		.amdhsa_float_round_mode_16_64 0
		.amdhsa_float_denorm_mode_32 3
		.amdhsa_float_denorm_mode_16_64 3
		.amdhsa_dx10_clamp 1
		.amdhsa_ieee_mode 1
		.amdhsa_fp16_overflow 0
		.amdhsa_workgroup_processor_mode 1
		.amdhsa_memory_ordered 1
		.amdhsa_forward_progress 1
		.amdhsa_shared_vgpr_count 0
		.amdhsa_exception_fp_ieee_invalid_op 0
		.amdhsa_exception_fp_denorm_src 0
		.amdhsa_exception_fp_ieee_div_zero 0
		.amdhsa_exception_fp_ieee_overflow 0
		.amdhsa_exception_fp_ieee_underflow 0
		.amdhsa_exception_fp_ieee_inexact 0
		.amdhsa_exception_int_div_zero 0
	.end_amdhsa_kernel
	.section	.text._ZN7rocprim17ROCPRIM_400000_NS6detail44device_merge_sort_compile_time_verifier_archINS1_11comp_targetILNS1_3genE5ELNS1_11target_archE942ELNS1_3gpuE9ELNS1_3repE0EEES8_NS0_14default_configES9_NS1_37merge_sort_block_sort_config_selectorIN6thrust23THRUST_200600_302600_NS4pairIiiEENS0_10empty_typeEEENS1_38merge_sort_block_merge_config_selectorISE_SF_EEEEvv,"axG",@progbits,_ZN7rocprim17ROCPRIM_400000_NS6detail44device_merge_sort_compile_time_verifier_archINS1_11comp_targetILNS1_3genE5ELNS1_11target_archE942ELNS1_3gpuE9ELNS1_3repE0EEES8_NS0_14default_configES9_NS1_37merge_sort_block_sort_config_selectorIN6thrust23THRUST_200600_302600_NS4pairIiiEENS0_10empty_typeEEENS1_38merge_sort_block_merge_config_selectorISE_SF_EEEEvv,comdat
.Lfunc_end616:
	.size	_ZN7rocprim17ROCPRIM_400000_NS6detail44device_merge_sort_compile_time_verifier_archINS1_11comp_targetILNS1_3genE5ELNS1_11target_archE942ELNS1_3gpuE9ELNS1_3repE0EEES8_NS0_14default_configES9_NS1_37merge_sort_block_sort_config_selectorIN6thrust23THRUST_200600_302600_NS4pairIiiEENS0_10empty_typeEEENS1_38merge_sort_block_merge_config_selectorISE_SF_EEEEvv, .Lfunc_end616-_ZN7rocprim17ROCPRIM_400000_NS6detail44device_merge_sort_compile_time_verifier_archINS1_11comp_targetILNS1_3genE5ELNS1_11target_archE942ELNS1_3gpuE9ELNS1_3repE0EEES8_NS0_14default_configES9_NS1_37merge_sort_block_sort_config_selectorIN6thrust23THRUST_200600_302600_NS4pairIiiEENS0_10empty_typeEEENS1_38merge_sort_block_merge_config_selectorISE_SF_EEEEvv
                                        ; -- End function
	.set _ZN7rocprim17ROCPRIM_400000_NS6detail44device_merge_sort_compile_time_verifier_archINS1_11comp_targetILNS1_3genE5ELNS1_11target_archE942ELNS1_3gpuE9ELNS1_3repE0EEES8_NS0_14default_configES9_NS1_37merge_sort_block_sort_config_selectorIN6thrust23THRUST_200600_302600_NS4pairIiiEENS0_10empty_typeEEENS1_38merge_sort_block_merge_config_selectorISE_SF_EEEEvv.num_vgpr, 0
	.set _ZN7rocprim17ROCPRIM_400000_NS6detail44device_merge_sort_compile_time_verifier_archINS1_11comp_targetILNS1_3genE5ELNS1_11target_archE942ELNS1_3gpuE9ELNS1_3repE0EEES8_NS0_14default_configES9_NS1_37merge_sort_block_sort_config_selectorIN6thrust23THRUST_200600_302600_NS4pairIiiEENS0_10empty_typeEEENS1_38merge_sort_block_merge_config_selectorISE_SF_EEEEvv.num_agpr, 0
	.set _ZN7rocprim17ROCPRIM_400000_NS6detail44device_merge_sort_compile_time_verifier_archINS1_11comp_targetILNS1_3genE5ELNS1_11target_archE942ELNS1_3gpuE9ELNS1_3repE0EEES8_NS0_14default_configES9_NS1_37merge_sort_block_sort_config_selectorIN6thrust23THRUST_200600_302600_NS4pairIiiEENS0_10empty_typeEEENS1_38merge_sort_block_merge_config_selectorISE_SF_EEEEvv.numbered_sgpr, 0
	.set _ZN7rocprim17ROCPRIM_400000_NS6detail44device_merge_sort_compile_time_verifier_archINS1_11comp_targetILNS1_3genE5ELNS1_11target_archE942ELNS1_3gpuE9ELNS1_3repE0EEES8_NS0_14default_configES9_NS1_37merge_sort_block_sort_config_selectorIN6thrust23THRUST_200600_302600_NS4pairIiiEENS0_10empty_typeEEENS1_38merge_sort_block_merge_config_selectorISE_SF_EEEEvv.num_named_barrier, 0
	.set _ZN7rocprim17ROCPRIM_400000_NS6detail44device_merge_sort_compile_time_verifier_archINS1_11comp_targetILNS1_3genE5ELNS1_11target_archE942ELNS1_3gpuE9ELNS1_3repE0EEES8_NS0_14default_configES9_NS1_37merge_sort_block_sort_config_selectorIN6thrust23THRUST_200600_302600_NS4pairIiiEENS0_10empty_typeEEENS1_38merge_sort_block_merge_config_selectorISE_SF_EEEEvv.private_seg_size, 0
	.set _ZN7rocprim17ROCPRIM_400000_NS6detail44device_merge_sort_compile_time_verifier_archINS1_11comp_targetILNS1_3genE5ELNS1_11target_archE942ELNS1_3gpuE9ELNS1_3repE0EEES8_NS0_14default_configES9_NS1_37merge_sort_block_sort_config_selectorIN6thrust23THRUST_200600_302600_NS4pairIiiEENS0_10empty_typeEEENS1_38merge_sort_block_merge_config_selectorISE_SF_EEEEvv.uses_vcc, 0
	.set _ZN7rocprim17ROCPRIM_400000_NS6detail44device_merge_sort_compile_time_verifier_archINS1_11comp_targetILNS1_3genE5ELNS1_11target_archE942ELNS1_3gpuE9ELNS1_3repE0EEES8_NS0_14default_configES9_NS1_37merge_sort_block_sort_config_selectorIN6thrust23THRUST_200600_302600_NS4pairIiiEENS0_10empty_typeEEENS1_38merge_sort_block_merge_config_selectorISE_SF_EEEEvv.uses_flat_scratch, 0
	.set _ZN7rocprim17ROCPRIM_400000_NS6detail44device_merge_sort_compile_time_verifier_archINS1_11comp_targetILNS1_3genE5ELNS1_11target_archE942ELNS1_3gpuE9ELNS1_3repE0EEES8_NS0_14default_configES9_NS1_37merge_sort_block_sort_config_selectorIN6thrust23THRUST_200600_302600_NS4pairIiiEENS0_10empty_typeEEENS1_38merge_sort_block_merge_config_selectorISE_SF_EEEEvv.has_dyn_sized_stack, 0
	.set _ZN7rocprim17ROCPRIM_400000_NS6detail44device_merge_sort_compile_time_verifier_archINS1_11comp_targetILNS1_3genE5ELNS1_11target_archE942ELNS1_3gpuE9ELNS1_3repE0EEES8_NS0_14default_configES9_NS1_37merge_sort_block_sort_config_selectorIN6thrust23THRUST_200600_302600_NS4pairIiiEENS0_10empty_typeEEENS1_38merge_sort_block_merge_config_selectorISE_SF_EEEEvv.has_recursion, 0
	.set _ZN7rocprim17ROCPRIM_400000_NS6detail44device_merge_sort_compile_time_verifier_archINS1_11comp_targetILNS1_3genE5ELNS1_11target_archE942ELNS1_3gpuE9ELNS1_3repE0EEES8_NS0_14default_configES9_NS1_37merge_sort_block_sort_config_selectorIN6thrust23THRUST_200600_302600_NS4pairIiiEENS0_10empty_typeEEENS1_38merge_sort_block_merge_config_selectorISE_SF_EEEEvv.has_indirect_call, 0
	.section	.AMDGPU.csdata,"",@progbits
; Kernel info:
; codeLenInByte = 4
; TotalNumSgprs: 0
; NumVgprs: 0
; ScratchSize: 0
; MemoryBound: 0
; FloatMode: 240
; IeeeMode: 1
; LDSByteSize: 0 bytes/workgroup (compile time only)
; SGPRBlocks: 0
; VGPRBlocks: 0
; NumSGPRsForWavesPerEU: 1
; NumVGPRsForWavesPerEU: 1
; Occupancy: 16
; WaveLimiterHint : 0
; COMPUTE_PGM_RSRC2:SCRATCH_EN: 0
; COMPUTE_PGM_RSRC2:USER_SGPR: 4
; COMPUTE_PGM_RSRC2:TRAP_HANDLER: 0
; COMPUTE_PGM_RSRC2:TGID_X_EN: 1
; COMPUTE_PGM_RSRC2:TGID_Y_EN: 0
; COMPUTE_PGM_RSRC2:TGID_Z_EN: 0
; COMPUTE_PGM_RSRC2:TIDIG_COMP_CNT: 0
	.section	.text._ZN7rocprim17ROCPRIM_400000_NS6detail44device_merge_sort_compile_time_verifier_archINS1_11comp_targetILNS1_3genE4ELNS1_11target_archE910ELNS1_3gpuE8ELNS1_3repE0EEES8_NS0_14default_configES9_NS1_37merge_sort_block_sort_config_selectorIN6thrust23THRUST_200600_302600_NS4pairIiiEENS0_10empty_typeEEENS1_38merge_sort_block_merge_config_selectorISE_SF_EEEEvv,"axG",@progbits,_ZN7rocprim17ROCPRIM_400000_NS6detail44device_merge_sort_compile_time_verifier_archINS1_11comp_targetILNS1_3genE4ELNS1_11target_archE910ELNS1_3gpuE8ELNS1_3repE0EEES8_NS0_14default_configES9_NS1_37merge_sort_block_sort_config_selectorIN6thrust23THRUST_200600_302600_NS4pairIiiEENS0_10empty_typeEEENS1_38merge_sort_block_merge_config_selectorISE_SF_EEEEvv,comdat
	.protected	_ZN7rocprim17ROCPRIM_400000_NS6detail44device_merge_sort_compile_time_verifier_archINS1_11comp_targetILNS1_3genE4ELNS1_11target_archE910ELNS1_3gpuE8ELNS1_3repE0EEES8_NS0_14default_configES9_NS1_37merge_sort_block_sort_config_selectorIN6thrust23THRUST_200600_302600_NS4pairIiiEENS0_10empty_typeEEENS1_38merge_sort_block_merge_config_selectorISE_SF_EEEEvv ; -- Begin function _ZN7rocprim17ROCPRIM_400000_NS6detail44device_merge_sort_compile_time_verifier_archINS1_11comp_targetILNS1_3genE4ELNS1_11target_archE910ELNS1_3gpuE8ELNS1_3repE0EEES8_NS0_14default_configES9_NS1_37merge_sort_block_sort_config_selectorIN6thrust23THRUST_200600_302600_NS4pairIiiEENS0_10empty_typeEEENS1_38merge_sort_block_merge_config_selectorISE_SF_EEEEvv
	.globl	_ZN7rocprim17ROCPRIM_400000_NS6detail44device_merge_sort_compile_time_verifier_archINS1_11comp_targetILNS1_3genE4ELNS1_11target_archE910ELNS1_3gpuE8ELNS1_3repE0EEES8_NS0_14default_configES9_NS1_37merge_sort_block_sort_config_selectorIN6thrust23THRUST_200600_302600_NS4pairIiiEENS0_10empty_typeEEENS1_38merge_sort_block_merge_config_selectorISE_SF_EEEEvv
	.p2align	8
	.type	_ZN7rocprim17ROCPRIM_400000_NS6detail44device_merge_sort_compile_time_verifier_archINS1_11comp_targetILNS1_3genE4ELNS1_11target_archE910ELNS1_3gpuE8ELNS1_3repE0EEES8_NS0_14default_configES9_NS1_37merge_sort_block_sort_config_selectorIN6thrust23THRUST_200600_302600_NS4pairIiiEENS0_10empty_typeEEENS1_38merge_sort_block_merge_config_selectorISE_SF_EEEEvv,@function
_ZN7rocprim17ROCPRIM_400000_NS6detail44device_merge_sort_compile_time_verifier_archINS1_11comp_targetILNS1_3genE4ELNS1_11target_archE910ELNS1_3gpuE8ELNS1_3repE0EEES8_NS0_14default_configES9_NS1_37merge_sort_block_sort_config_selectorIN6thrust23THRUST_200600_302600_NS4pairIiiEENS0_10empty_typeEEENS1_38merge_sort_block_merge_config_selectorISE_SF_EEEEvv: ; @_ZN7rocprim17ROCPRIM_400000_NS6detail44device_merge_sort_compile_time_verifier_archINS1_11comp_targetILNS1_3genE4ELNS1_11target_archE910ELNS1_3gpuE8ELNS1_3repE0EEES8_NS0_14default_configES9_NS1_37merge_sort_block_sort_config_selectorIN6thrust23THRUST_200600_302600_NS4pairIiiEENS0_10empty_typeEEENS1_38merge_sort_block_merge_config_selectorISE_SF_EEEEvv
; %bb.0:
	s_endpgm
	.section	.rodata,"a",@progbits
	.p2align	6, 0x0
	.amdhsa_kernel _ZN7rocprim17ROCPRIM_400000_NS6detail44device_merge_sort_compile_time_verifier_archINS1_11comp_targetILNS1_3genE4ELNS1_11target_archE910ELNS1_3gpuE8ELNS1_3repE0EEES8_NS0_14default_configES9_NS1_37merge_sort_block_sort_config_selectorIN6thrust23THRUST_200600_302600_NS4pairIiiEENS0_10empty_typeEEENS1_38merge_sort_block_merge_config_selectorISE_SF_EEEEvv
		.amdhsa_group_segment_fixed_size 0
		.amdhsa_private_segment_fixed_size 0
		.amdhsa_kernarg_size 0
		.amdhsa_user_sgpr_count 4
		.amdhsa_user_sgpr_private_segment_buffer 1
		.amdhsa_user_sgpr_dispatch_ptr 0
		.amdhsa_user_sgpr_queue_ptr 0
		.amdhsa_user_sgpr_kernarg_segment_ptr 0
		.amdhsa_user_sgpr_dispatch_id 0
		.amdhsa_user_sgpr_flat_scratch_init 0
		.amdhsa_user_sgpr_private_segment_size 0
		.amdhsa_wavefront_size32 1
		.amdhsa_uses_dynamic_stack 0
		.amdhsa_system_sgpr_private_segment_wavefront_offset 0
		.amdhsa_system_sgpr_workgroup_id_x 1
		.amdhsa_system_sgpr_workgroup_id_y 0
		.amdhsa_system_sgpr_workgroup_id_z 0
		.amdhsa_system_sgpr_workgroup_info 0
		.amdhsa_system_vgpr_workitem_id 0
		.amdhsa_next_free_vgpr 1
		.amdhsa_next_free_sgpr 1
		.amdhsa_reserve_vcc 0
		.amdhsa_reserve_flat_scratch 0
		.amdhsa_float_round_mode_32 0
		.amdhsa_float_round_mode_16_64 0
		.amdhsa_float_denorm_mode_32 3
		.amdhsa_float_denorm_mode_16_64 3
		.amdhsa_dx10_clamp 1
		.amdhsa_ieee_mode 1
		.amdhsa_fp16_overflow 0
		.amdhsa_workgroup_processor_mode 1
		.amdhsa_memory_ordered 1
		.amdhsa_forward_progress 1
		.amdhsa_shared_vgpr_count 0
		.amdhsa_exception_fp_ieee_invalid_op 0
		.amdhsa_exception_fp_denorm_src 0
		.amdhsa_exception_fp_ieee_div_zero 0
		.amdhsa_exception_fp_ieee_overflow 0
		.amdhsa_exception_fp_ieee_underflow 0
		.amdhsa_exception_fp_ieee_inexact 0
		.amdhsa_exception_int_div_zero 0
	.end_amdhsa_kernel
	.section	.text._ZN7rocprim17ROCPRIM_400000_NS6detail44device_merge_sort_compile_time_verifier_archINS1_11comp_targetILNS1_3genE4ELNS1_11target_archE910ELNS1_3gpuE8ELNS1_3repE0EEES8_NS0_14default_configES9_NS1_37merge_sort_block_sort_config_selectorIN6thrust23THRUST_200600_302600_NS4pairIiiEENS0_10empty_typeEEENS1_38merge_sort_block_merge_config_selectorISE_SF_EEEEvv,"axG",@progbits,_ZN7rocprim17ROCPRIM_400000_NS6detail44device_merge_sort_compile_time_verifier_archINS1_11comp_targetILNS1_3genE4ELNS1_11target_archE910ELNS1_3gpuE8ELNS1_3repE0EEES8_NS0_14default_configES9_NS1_37merge_sort_block_sort_config_selectorIN6thrust23THRUST_200600_302600_NS4pairIiiEENS0_10empty_typeEEENS1_38merge_sort_block_merge_config_selectorISE_SF_EEEEvv,comdat
.Lfunc_end617:
	.size	_ZN7rocprim17ROCPRIM_400000_NS6detail44device_merge_sort_compile_time_verifier_archINS1_11comp_targetILNS1_3genE4ELNS1_11target_archE910ELNS1_3gpuE8ELNS1_3repE0EEES8_NS0_14default_configES9_NS1_37merge_sort_block_sort_config_selectorIN6thrust23THRUST_200600_302600_NS4pairIiiEENS0_10empty_typeEEENS1_38merge_sort_block_merge_config_selectorISE_SF_EEEEvv, .Lfunc_end617-_ZN7rocprim17ROCPRIM_400000_NS6detail44device_merge_sort_compile_time_verifier_archINS1_11comp_targetILNS1_3genE4ELNS1_11target_archE910ELNS1_3gpuE8ELNS1_3repE0EEES8_NS0_14default_configES9_NS1_37merge_sort_block_sort_config_selectorIN6thrust23THRUST_200600_302600_NS4pairIiiEENS0_10empty_typeEEENS1_38merge_sort_block_merge_config_selectorISE_SF_EEEEvv
                                        ; -- End function
	.set _ZN7rocprim17ROCPRIM_400000_NS6detail44device_merge_sort_compile_time_verifier_archINS1_11comp_targetILNS1_3genE4ELNS1_11target_archE910ELNS1_3gpuE8ELNS1_3repE0EEES8_NS0_14default_configES9_NS1_37merge_sort_block_sort_config_selectorIN6thrust23THRUST_200600_302600_NS4pairIiiEENS0_10empty_typeEEENS1_38merge_sort_block_merge_config_selectorISE_SF_EEEEvv.num_vgpr, 0
	.set _ZN7rocprim17ROCPRIM_400000_NS6detail44device_merge_sort_compile_time_verifier_archINS1_11comp_targetILNS1_3genE4ELNS1_11target_archE910ELNS1_3gpuE8ELNS1_3repE0EEES8_NS0_14default_configES9_NS1_37merge_sort_block_sort_config_selectorIN6thrust23THRUST_200600_302600_NS4pairIiiEENS0_10empty_typeEEENS1_38merge_sort_block_merge_config_selectorISE_SF_EEEEvv.num_agpr, 0
	.set _ZN7rocprim17ROCPRIM_400000_NS6detail44device_merge_sort_compile_time_verifier_archINS1_11comp_targetILNS1_3genE4ELNS1_11target_archE910ELNS1_3gpuE8ELNS1_3repE0EEES8_NS0_14default_configES9_NS1_37merge_sort_block_sort_config_selectorIN6thrust23THRUST_200600_302600_NS4pairIiiEENS0_10empty_typeEEENS1_38merge_sort_block_merge_config_selectorISE_SF_EEEEvv.numbered_sgpr, 0
	.set _ZN7rocprim17ROCPRIM_400000_NS6detail44device_merge_sort_compile_time_verifier_archINS1_11comp_targetILNS1_3genE4ELNS1_11target_archE910ELNS1_3gpuE8ELNS1_3repE0EEES8_NS0_14default_configES9_NS1_37merge_sort_block_sort_config_selectorIN6thrust23THRUST_200600_302600_NS4pairIiiEENS0_10empty_typeEEENS1_38merge_sort_block_merge_config_selectorISE_SF_EEEEvv.num_named_barrier, 0
	.set _ZN7rocprim17ROCPRIM_400000_NS6detail44device_merge_sort_compile_time_verifier_archINS1_11comp_targetILNS1_3genE4ELNS1_11target_archE910ELNS1_3gpuE8ELNS1_3repE0EEES8_NS0_14default_configES9_NS1_37merge_sort_block_sort_config_selectorIN6thrust23THRUST_200600_302600_NS4pairIiiEENS0_10empty_typeEEENS1_38merge_sort_block_merge_config_selectorISE_SF_EEEEvv.private_seg_size, 0
	.set _ZN7rocprim17ROCPRIM_400000_NS6detail44device_merge_sort_compile_time_verifier_archINS1_11comp_targetILNS1_3genE4ELNS1_11target_archE910ELNS1_3gpuE8ELNS1_3repE0EEES8_NS0_14default_configES9_NS1_37merge_sort_block_sort_config_selectorIN6thrust23THRUST_200600_302600_NS4pairIiiEENS0_10empty_typeEEENS1_38merge_sort_block_merge_config_selectorISE_SF_EEEEvv.uses_vcc, 0
	.set _ZN7rocprim17ROCPRIM_400000_NS6detail44device_merge_sort_compile_time_verifier_archINS1_11comp_targetILNS1_3genE4ELNS1_11target_archE910ELNS1_3gpuE8ELNS1_3repE0EEES8_NS0_14default_configES9_NS1_37merge_sort_block_sort_config_selectorIN6thrust23THRUST_200600_302600_NS4pairIiiEENS0_10empty_typeEEENS1_38merge_sort_block_merge_config_selectorISE_SF_EEEEvv.uses_flat_scratch, 0
	.set _ZN7rocprim17ROCPRIM_400000_NS6detail44device_merge_sort_compile_time_verifier_archINS1_11comp_targetILNS1_3genE4ELNS1_11target_archE910ELNS1_3gpuE8ELNS1_3repE0EEES8_NS0_14default_configES9_NS1_37merge_sort_block_sort_config_selectorIN6thrust23THRUST_200600_302600_NS4pairIiiEENS0_10empty_typeEEENS1_38merge_sort_block_merge_config_selectorISE_SF_EEEEvv.has_dyn_sized_stack, 0
	.set _ZN7rocprim17ROCPRIM_400000_NS6detail44device_merge_sort_compile_time_verifier_archINS1_11comp_targetILNS1_3genE4ELNS1_11target_archE910ELNS1_3gpuE8ELNS1_3repE0EEES8_NS0_14default_configES9_NS1_37merge_sort_block_sort_config_selectorIN6thrust23THRUST_200600_302600_NS4pairIiiEENS0_10empty_typeEEENS1_38merge_sort_block_merge_config_selectorISE_SF_EEEEvv.has_recursion, 0
	.set _ZN7rocprim17ROCPRIM_400000_NS6detail44device_merge_sort_compile_time_verifier_archINS1_11comp_targetILNS1_3genE4ELNS1_11target_archE910ELNS1_3gpuE8ELNS1_3repE0EEES8_NS0_14default_configES9_NS1_37merge_sort_block_sort_config_selectorIN6thrust23THRUST_200600_302600_NS4pairIiiEENS0_10empty_typeEEENS1_38merge_sort_block_merge_config_selectorISE_SF_EEEEvv.has_indirect_call, 0
	.section	.AMDGPU.csdata,"",@progbits
; Kernel info:
; codeLenInByte = 4
; TotalNumSgprs: 0
; NumVgprs: 0
; ScratchSize: 0
; MemoryBound: 0
; FloatMode: 240
; IeeeMode: 1
; LDSByteSize: 0 bytes/workgroup (compile time only)
; SGPRBlocks: 0
; VGPRBlocks: 0
; NumSGPRsForWavesPerEU: 1
; NumVGPRsForWavesPerEU: 1
; Occupancy: 16
; WaveLimiterHint : 0
; COMPUTE_PGM_RSRC2:SCRATCH_EN: 0
; COMPUTE_PGM_RSRC2:USER_SGPR: 4
; COMPUTE_PGM_RSRC2:TRAP_HANDLER: 0
; COMPUTE_PGM_RSRC2:TGID_X_EN: 1
; COMPUTE_PGM_RSRC2:TGID_Y_EN: 0
; COMPUTE_PGM_RSRC2:TGID_Z_EN: 0
; COMPUTE_PGM_RSRC2:TIDIG_COMP_CNT: 0
	.section	.text._ZN7rocprim17ROCPRIM_400000_NS6detail44device_merge_sort_compile_time_verifier_archINS1_11comp_targetILNS1_3genE3ELNS1_11target_archE908ELNS1_3gpuE7ELNS1_3repE0EEES8_NS0_14default_configES9_NS1_37merge_sort_block_sort_config_selectorIN6thrust23THRUST_200600_302600_NS4pairIiiEENS0_10empty_typeEEENS1_38merge_sort_block_merge_config_selectorISE_SF_EEEEvv,"axG",@progbits,_ZN7rocprim17ROCPRIM_400000_NS6detail44device_merge_sort_compile_time_verifier_archINS1_11comp_targetILNS1_3genE3ELNS1_11target_archE908ELNS1_3gpuE7ELNS1_3repE0EEES8_NS0_14default_configES9_NS1_37merge_sort_block_sort_config_selectorIN6thrust23THRUST_200600_302600_NS4pairIiiEENS0_10empty_typeEEENS1_38merge_sort_block_merge_config_selectorISE_SF_EEEEvv,comdat
	.protected	_ZN7rocprim17ROCPRIM_400000_NS6detail44device_merge_sort_compile_time_verifier_archINS1_11comp_targetILNS1_3genE3ELNS1_11target_archE908ELNS1_3gpuE7ELNS1_3repE0EEES8_NS0_14default_configES9_NS1_37merge_sort_block_sort_config_selectorIN6thrust23THRUST_200600_302600_NS4pairIiiEENS0_10empty_typeEEENS1_38merge_sort_block_merge_config_selectorISE_SF_EEEEvv ; -- Begin function _ZN7rocprim17ROCPRIM_400000_NS6detail44device_merge_sort_compile_time_verifier_archINS1_11comp_targetILNS1_3genE3ELNS1_11target_archE908ELNS1_3gpuE7ELNS1_3repE0EEES8_NS0_14default_configES9_NS1_37merge_sort_block_sort_config_selectorIN6thrust23THRUST_200600_302600_NS4pairIiiEENS0_10empty_typeEEENS1_38merge_sort_block_merge_config_selectorISE_SF_EEEEvv
	.globl	_ZN7rocprim17ROCPRIM_400000_NS6detail44device_merge_sort_compile_time_verifier_archINS1_11comp_targetILNS1_3genE3ELNS1_11target_archE908ELNS1_3gpuE7ELNS1_3repE0EEES8_NS0_14default_configES9_NS1_37merge_sort_block_sort_config_selectorIN6thrust23THRUST_200600_302600_NS4pairIiiEENS0_10empty_typeEEENS1_38merge_sort_block_merge_config_selectorISE_SF_EEEEvv
	.p2align	8
	.type	_ZN7rocprim17ROCPRIM_400000_NS6detail44device_merge_sort_compile_time_verifier_archINS1_11comp_targetILNS1_3genE3ELNS1_11target_archE908ELNS1_3gpuE7ELNS1_3repE0EEES8_NS0_14default_configES9_NS1_37merge_sort_block_sort_config_selectorIN6thrust23THRUST_200600_302600_NS4pairIiiEENS0_10empty_typeEEENS1_38merge_sort_block_merge_config_selectorISE_SF_EEEEvv,@function
_ZN7rocprim17ROCPRIM_400000_NS6detail44device_merge_sort_compile_time_verifier_archINS1_11comp_targetILNS1_3genE3ELNS1_11target_archE908ELNS1_3gpuE7ELNS1_3repE0EEES8_NS0_14default_configES9_NS1_37merge_sort_block_sort_config_selectorIN6thrust23THRUST_200600_302600_NS4pairIiiEENS0_10empty_typeEEENS1_38merge_sort_block_merge_config_selectorISE_SF_EEEEvv: ; @_ZN7rocprim17ROCPRIM_400000_NS6detail44device_merge_sort_compile_time_verifier_archINS1_11comp_targetILNS1_3genE3ELNS1_11target_archE908ELNS1_3gpuE7ELNS1_3repE0EEES8_NS0_14default_configES9_NS1_37merge_sort_block_sort_config_selectorIN6thrust23THRUST_200600_302600_NS4pairIiiEENS0_10empty_typeEEENS1_38merge_sort_block_merge_config_selectorISE_SF_EEEEvv
; %bb.0:
	s_endpgm
	.section	.rodata,"a",@progbits
	.p2align	6, 0x0
	.amdhsa_kernel _ZN7rocprim17ROCPRIM_400000_NS6detail44device_merge_sort_compile_time_verifier_archINS1_11comp_targetILNS1_3genE3ELNS1_11target_archE908ELNS1_3gpuE7ELNS1_3repE0EEES8_NS0_14default_configES9_NS1_37merge_sort_block_sort_config_selectorIN6thrust23THRUST_200600_302600_NS4pairIiiEENS0_10empty_typeEEENS1_38merge_sort_block_merge_config_selectorISE_SF_EEEEvv
		.amdhsa_group_segment_fixed_size 0
		.amdhsa_private_segment_fixed_size 0
		.amdhsa_kernarg_size 0
		.amdhsa_user_sgpr_count 4
		.amdhsa_user_sgpr_private_segment_buffer 1
		.amdhsa_user_sgpr_dispatch_ptr 0
		.amdhsa_user_sgpr_queue_ptr 0
		.amdhsa_user_sgpr_kernarg_segment_ptr 0
		.amdhsa_user_sgpr_dispatch_id 0
		.amdhsa_user_sgpr_flat_scratch_init 0
		.amdhsa_user_sgpr_private_segment_size 0
		.amdhsa_wavefront_size32 1
		.amdhsa_uses_dynamic_stack 0
		.amdhsa_system_sgpr_private_segment_wavefront_offset 0
		.amdhsa_system_sgpr_workgroup_id_x 1
		.amdhsa_system_sgpr_workgroup_id_y 0
		.amdhsa_system_sgpr_workgroup_id_z 0
		.amdhsa_system_sgpr_workgroup_info 0
		.amdhsa_system_vgpr_workitem_id 0
		.amdhsa_next_free_vgpr 1
		.amdhsa_next_free_sgpr 1
		.amdhsa_reserve_vcc 0
		.amdhsa_reserve_flat_scratch 0
		.amdhsa_float_round_mode_32 0
		.amdhsa_float_round_mode_16_64 0
		.amdhsa_float_denorm_mode_32 3
		.amdhsa_float_denorm_mode_16_64 3
		.amdhsa_dx10_clamp 1
		.amdhsa_ieee_mode 1
		.amdhsa_fp16_overflow 0
		.amdhsa_workgroup_processor_mode 1
		.amdhsa_memory_ordered 1
		.amdhsa_forward_progress 1
		.amdhsa_shared_vgpr_count 0
		.amdhsa_exception_fp_ieee_invalid_op 0
		.amdhsa_exception_fp_denorm_src 0
		.amdhsa_exception_fp_ieee_div_zero 0
		.amdhsa_exception_fp_ieee_overflow 0
		.amdhsa_exception_fp_ieee_underflow 0
		.amdhsa_exception_fp_ieee_inexact 0
		.amdhsa_exception_int_div_zero 0
	.end_amdhsa_kernel
	.section	.text._ZN7rocprim17ROCPRIM_400000_NS6detail44device_merge_sort_compile_time_verifier_archINS1_11comp_targetILNS1_3genE3ELNS1_11target_archE908ELNS1_3gpuE7ELNS1_3repE0EEES8_NS0_14default_configES9_NS1_37merge_sort_block_sort_config_selectorIN6thrust23THRUST_200600_302600_NS4pairIiiEENS0_10empty_typeEEENS1_38merge_sort_block_merge_config_selectorISE_SF_EEEEvv,"axG",@progbits,_ZN7rocprim17ROCPRIM_400000_NS6detail44device_merge_sort_compile_time_verifier_archINS1_11comp_targetILNS1_3genE3ELNS1_11target_archE908ELNS1_3gpuE7ELNS1_3repE0EEES8_NS0_14default_configES9_NS1_37merge_sort_block_sort_config_selectorIN6thrust23THRUST_200600_302600_NS4pairIiiEENS0_10empty_typeEEENS1_38merge_sort_block_merge_config_selectorISE_SF_EEEEvv,comdat
.Lfunc_end618:
	.size	_ZN7rocprim17ROCPRIM_400000_NS6detail44device_merge_sort_compile_time_verifier_archINS1_11comp_targetILNS1_3genE3ELNS1_11target_archE908ELNS1_3gpuE7ELNS1_3repE0EEES8_NS0_14default_configES9_NS1_37merge_sort_block_sort_config_selectorIN6thrust23THRUST_200600_302600_NS4pairIiiEENS0_10empty_typeEEENS1_38merge_sort_block_merge_config_selectorISE_SF_EEEEvv, .Lfunc_end618-_ZN7rocprim17ROCPRIM_400000_NS6detail44device_merge_sort_compile_time_verifier_archINS1_11comp_targetILNS1_3genE3ELNS1_11target_archE908ELNS1_3gpuE7ELNS1_3repE0EEES8_NS0_14default_configES9_NS1_37merge_sort_block_sort_config_selectorIN6thrust23THRUST_200600_302600_NS4pairIiiEENS0_10empty_typeEEENS1_38merge_sort_block_merge_config_selectorISE_SF_EEEEvv
                                        ; -- End function
	.set _ZN7rocprim17ROCPRIM_400000_NS6detail44device_merge_sort_compile_time_verifier_archINS1_11comp_targetILNS1_3genE3ELNS1_11target_archE908ELNS1_3gpuE7ELNS1_3repE0EEES8_NS0_14default_configES9_NS1_37merge_sort_block_sort_config_selectorIN6thrust23THRUST_200600_302600_NS4pairIiiEENS0_10empty_typeEEENS1_38merge_sort_block_merge_config_selectorISE_SF_EEEEvv.num_vgpr, 0
	.set _ZN7rocprim17ROCPRIM_400000_NS6detail44device_merge_sort_compile_time_verifier_archINS1_11comp_targetILNS1_3genE3ELNS1_11target_archE908ELNS1_3gpuE7ELNS1_3repE0EEES8_NS0_14default_configES9_NS1_37merge_sort_block_sort_config_selectorIN6thrust23THRUST_200600_302600_NS4pairIiiEENS0_10empty_typeEEENS1_38merge_sort_block_merge_config_selectorISE_SF_EEEEvv.num_agpr, 0
	.set _ZN7rocprim17ROCPRIM_400000_NS6detail44device_merge_sort_compile_time_verifier_archINS1_11comp_targetILNS1_3genE3ELNS1_11target_archE908ELNS1_3gpuE7ELNS1_3repE0EEES8_NS0_14default_configES9_NS1_37merge_sort_block_sort_config_selectorIN6thrust23THRUST_200600_302600_NS4pairIiiEENS0_10empty_typeEEENS1_38merge_sort_block_merge_config_selectorISE_SF_EEEEvv.numbered_sgpr, 0
	.set _ZN7rocprim17ROCPRIM_400000_NS6detail44device_merge_sort_compile_time_verifier_archINS1_11comp_targetILNS1_3genE3ELNS1_11target_archE908ELNS1_3gpuE7ELNS1_3repE0EEES8_NS0_14default_configES9_NS1_37merge_sort_block_sort_config_selectorIN6thrust23THRUST_200600_302600_NS4pairIiiEENS0_10empty_typeEEENS1_38merge_sort_block_merge_config_selectorISE_SF_EEEEvv.num_named_barrier, 0
	.set _ZN7rocprim17ROCPRIM_400000_NS6detail44device_merge_sort_compile_time_verifier_archINS1_11comp_targetILNS1_3genE3ELNS1_11target_archE908ELNS1_3gpuE7ELNS1_3repE0EEES8_NS0_14default_configES9_NS1_37merge_sort_block_sort_config_selectorIN6thrust23THRUST_200600_302600_NS4pairIiiEENS0_10empty_typeEEENS1_38merge_sort_block_merge_config_selectorISE_SF_EEEEvv.private_seg_size, 0
	.set _ZN7rocprim17ROCPRIM_400000_NS6detail44device_merge_sort_compile_time_verifier_archINS1_11comp_targetILNS1_3genE3ELNS1_11target_archE908ELNS1_3gpuE7ELNS1_3repE0EEES8_NS0_14default_configES9_NS1_37merge_sort_block_sort_config_selectorIN6thrust23THRUST_200600_302600_NS4pairIiiEENS0_10empty_typeEEENS1_38merge_sort_block_merge_config_selectorISE_SF_EEEEvv.uses_vcc, 0
	.set _ZN7rocprim17ROCPRIM_400000_NS6detail44device_merge_sort_compile_time_verifier_archINS1_11comp_targetILNS1_3genE3ELNS1_11target_archE908ELNS1_3gpuE7ELNS1_3repE0EEES8_NS0_14default_configES9_NS1_37merge_sort_block_sort_config_selectorIN6thrust23THRUST_200600_302600_NS4pairIiiEENS0_10empty_typeEEENS1_38merge_sort_block_merge_config_selectorISE_SF_EEEEvv.uses_flat_scratch, 0
	.set _ZN7rocprim17ROCPRIM_400000_NS6detail44device_merge_sort_compile_time_verifier_archINS1_11comp_targetILNS1_3genE3ELNS1_11target_archE908ELNS1_3gpuE7ELNS1_3repE0EEES8_NS0_14default_configES9_NS1_37merge_sort_block_sort_config_selectorIN6thrust23THRUST_200600_302600_NS4pairIiiEENS0_10empty_typeEEENS1_38merge_sort_block_merge_config_selectorISE_SF_EEEEvv.has_dyn_sized_stack, 0
	.set _ZN7rocprim17ROCPRIM_400000_NS6detail44device_merge_sort_compile_time_verifier_archINS1_11comp_targetILNS1_3genE3ELNS1_11target_archE908ELNS1_3gpuE7ELNS1_3repE0EEES8_NS0_14default_configES9_NS1_37merge_sort_block_sort_config_selectorIN6thrust23THRUST_200600_302600_NS4pairIiiEENS0_10empty_typeEEENS1_38merge_sort_block_merge_config_selectorISE_SF_EEEEvv.has_recursion, 0
	.set _ZN7rocprim17ROCPRIM_400000_NS6detail44device_merge_sort_compile_time_verifier_archINS1_11comp_targetILNS1_3genE3ELNS1_11target_archE908ELNS1_3gpuE7ELNS1_3repE0EEES8_NS0_14default_configES9_NS1_37merge_sort_block_sort_config_selectorIN6thrust23THRUST_200600_302600_NS4pairIiiEENS0_10empty_typeEEENS1_38merge_sort_block_merge_config_selectorISE_SF_EEEEvv.has_indirect_call, 0
	.section	.AMDGPU.csdata,"",@progbits
; Kernel info:
; codeLenInByte = 4
; TotalNumSgprs: 0
; NumVgprs: 0
; ScratchSize: 0
; MemoryBound: 0
; FloatMode: 240
; IeeeMode: 1
; LDSByteSize: 0 bytes/workgroup (compile time only)
; SGPRBlocks: 0
; VGPRBlocks: 0
; NumSGPRsForWavesPerEU: 1
; NumVGPRsForWavesPerEU: 1
; Occupancy: 16
; WaveLimiterHint : 0
; COMPUTE_PGM_RSRC2:SCRATCH_EN: 0
; COMPUTE_PGM_RSRC2:USER_SGPR: 4
; COMPUTE_PGM_RSRC2:TRAP_HANDLER: 0
; COMPUTE_PGM_RSRC2:TGID_X_EN: 1
; COMPUTE_PGM_RSRC2:TGID_Y_EN: 0
; COMPUTE_PGM_RSRC2:TGID_Z_EN: 0
; COMPUTE_PGM_RSRC2:TIDIG_COMP_CNT: 0
	.section	.text._ZN7rocprim17ROCPRIM_400000_NS6detail44device_merge_sort_compile_time_verifier_archINS1_11comp_targetILNS1_3genE2ELNS1_11target_archE906ELNS1_3gpuE6ELNS1_3repE0EEES8_NS0_14default_configES9_NS1_37merge_sort_block_sort_config_selectorIN6thrust23THRUST_200600_302600_NS4pairIiiEENS0_10empty_typeEEENS1_38merge_sort_block_merge_config_selectorISE_SF_EEEEvv,"axG",@progbits,_ZN7rocprim17ROCPRIM_400000_NS6detail44device_merge_sort_compile_time_verifier_archINS1_11comp_targetILNS1_3genE2ELNS1_11target_archE906ELNS1_3gpuE6ELNS1_3repE0EEES8_NS0_14default_configES9_NS1_37merge_sort_block_sort_config_selectorIN6thrust23THRUST_200600_302600_NS4pairIiiEENS0_10empty_typeEEENS1_38merge_sort_block_merge_config_selectorISE_SF_EEEEvv,comdat
	.protected	_ZN7rocprim17ROCPRIM_400000_NS6detail44device_merge_sort_compile_time_verifier_archINS1_11comp_targetILNS1_3genE2ELNS1_11target_archE906ELNS1_3gpuE6ELNS1_3repE0EEES8_NS0_14default_configES9_NS1_37merge_sort_block_sort_config_selectorIN6thrust23THRUST_200600_302600_NS4pairIiiEENS0_10empty_typeEEENS1_38merge_sort_block_merge_config_selectorISE_SF_EEEEvv ; -- Begin function _ZN7rocprim17ROCPRIM_400000_NS6detail44device_merge_sort_compile_time_verifier_archINS1_11comp_targetILNS1_3genE2ELNS1_11target_archE906ELNS1_3gpuE6ELNS1_3repE0EEES8_NS0_14default_configES9_NS1_37merge_sort_block_sort_config_selectorIN6thrust23THRUST_200600_302600_NS4pairIiiEENS0_10empty_typeEEENS1_38merge_sort_block_merge_config_selectorISE_SF_EEEEvv
	.globl	_ZN7rocprim17ROCPRIM_400000_NS6detail44device_merge_sort_compile_time_verifier_archINS1_11comp_targetILNS1_3genE2ELNS1_11target_archE906ELNS1_3gpuE6ELNS1_3repE0EEES8_NS0_14default_configES9_NS1_37merge_sort_block_sort_config_selectorIN6thrust23THRUST_200600_302600_NS4pairIiiEENS0_10empty_typeEEENS1_38merge_sort_block_merge_config_selectorISE_SF_EEEEvv
	.p2align	8
	.type	_ZN7rocprim17ROCPRIM_400000_NS6detail44device_merge_sort_compile_time_verifier_archINS1_11comp_targetILNS1_3genE2ELNS1_11target_archE906ELNS1_3gpuE6ELNS1_3repE0EEES8_NS0_14default_configES9_NS1_37merge_sort_block_sort_config_selectorIN6thrust23THRUST_200600_302600_NS4pairIiiEENS0_10empty_typeEEENS1_38merge_sort_block_merge_config_selectorISE_SF_EEEEvv,@function
_ZN7rocprim17ROCPRIM_400000_NS6detail44device_merge_sort_compile_time_verifier_archINS1_11comp_targetILNS1_3genE2ELNS1_11target_archE906ELNS1_3gpuE6ELNS1_3repE0EEES8_NS0_14default_configES9_NS1_37merge_sort_block_sort_config_selectorIN6thrust23THRUST_200600_302600_NS4pairIiiEENS0_10empty_typeEEENS1_38merge_sort_block_merge_config_selectorISE_SF_EEEEvv: ; @_ZN7rocprim17ROCPRIM_400000_NS6detail44device_merge_sort_compile_time_verifier_archINS1_11comp_targetILNS1_3genE2ELNS1_11target_archE906ELNS1_3gpuE6ELNS1_3repE0EEES8_NS0_14default_configES9_NS1_37merge_sort_block_sort_config_selectorIN6thrust23THRUST_200600_302600_NS4pairIiiEENS0_10empty_typeEEENS1_38merge_sort_block_merge_config_selectorISE_SF_EEEEvv
; %bb.0:
	s_endpgm
	.section	.rodata,"a",@progbits
	.p2align	6, 0x0
	.amdhsa_kernel _ZN7rocprim17ROCPRIM_400000_NS6detail44device_merge_sort_compile_time_verifier_archINS1_11comp_targetILNS1_3genE2ELNS1_11target_archE906ELNS1_3gpuE6ELNS1_3repE0EEES8_NS0_14default_configES9_NS1_37merge_sort_block_sort_config_selectorIN6thrust23THRUST_200600_302600_NS4pairIiiEENS0_10empty_typeEEENS1_38merge_sort_block_merge_config_selectorISE_SF_EEEEvv
		.amdhsa_group_segment_fixed_size 0
		.amdhsa_private_segment_fixed_size 0
		.amdhsa_kernarg_size 0
		.amdhsa_user_sgpr_count 4
		.amdhsa_user_sgpr_private_segment_buffer 1
		.amdhsa_user_sgpr_dispatch_ptr 0
		.amdhsa_user_sgpr_queue_ptr 0
		.amdhsa_user_sgpr_kernarg_segment_ptr 0
		.amdhsa_user_sgpr_dispatch_id 0
		.amdhsa_user_sgpr_flat_scratch_init 0
		.amdhsa_user_sgpr_private_segment_size 0
		.amdhsa_wavefront_size32 1
		.amdhsa_uses_dynamic_stack 0
		.amdhsa_system_sgpr_private_segment_wavefront_offset 0
		.amdhsa_system_sgpr_workgroup_id_x 1
		.amdhsa_system_sgpr_workgroup_id_y 0
		.amdhsa_system_sgpr_workgroup_id_z 0
		.amdhsa_system_sgpr_workgroup_info 0
		.amdhsa_system_vgpr_workitem_id 0
		.amdhsa_next_free_vgpr 1
		.amdhsa_next_free_sgpr 1
		.amdhsa_reserve_vcc 0
		.amdhsa_reserve_flat_scratch 0
		.amdhsa_float_round_mode_32 0
		.amdhsa_float_round_mode_16_64 0
		.amdhsa_float_denorm_mode_32 3
		.amdhsa_float_denorm_mode_16_64 3
		.amdhsa_dx10_clamp 1
		.amdhsa_ieee_mode 1
		.amdhsa_fp16_overflow 0
		.amdhsa_workgroup_processor_mode 1
		.amdhsa_memory_ordered 1
		.amdhsa_forward_progress 1
		.amdhsa_shared_vgpr_count 0
		.amdhsa_exception_fp_ieee_invalid_op 0
		.amdhsa_exception_fp_denorm_src 0
		.amdhsa_exception_fp_ieee_div_zero 0
		.amdhsa_exception_fp_ieee_overflow 0
		.amdhsa_exception_fp_ieee_underflow 0
		.amdhsa_exception_fp_ieee_inexact 0
		.amdhsa_exception_int_div_zero 0
	.end_amdhsa_kernel
	.section	.text._ZN7rocprim17ROCPRIM_400000_NS6detail44device_merge_sort_compile_time_verifier_archINS1_11comp_targetILNS1_3genE2ELNS1_11target_archE906ELNS1_3gpuE6ELNS1_3repE0EEES8_NS0_14default_configES9_NS1_37merge_sort_block_sort_config_selectorIN6thrust23THRUST_200600_302600_NS4pairIiiEENS0_10empty_typeEEENS1_38merge_sort_block_merge_config_selectorISE_SF_EEEEvv,"axG",@progbits,_ZN7rocprim17ROCPRIM_400000_NS6detail44device_merge_sort_compile_time_verifier_archINS1_11comp_targetILNS1_3genE2ELNS1_11target_archE906ELNS1_3gpuE6ELNS1_3repE0EEES8_NS0_14default_configES9_NS1_37merge_sort_block_sort_config_selectorIN6thrust23THRUST_200600_302600_NS4pairIiiEENS0_10empty_typeEEENS1_38merge_sort_block_merge_config_selectorISE_SF_EEEEvv,comdat
.Lfunc_end619:
	.size	_ZN7rocprim17ROCPRIM_400000_NS6detail44device_merge_sort_compile_time_verifier_archINS1_11comp_targetILNS1_3genE2ELNS1_11target_archE906ELNS1_3gpuE6ELNS1_3repE0EEES8_NS0_14default_configES9_NS1_37merge_sort_block_sort_config_selectorIN6thrust23THRUST_200600_302600_NS4pairIiiEENS0_10empty_typeEEENS1_38merge_sort_block_merge_config_selectorISE_SF_EEEEvv, .Lfunc_end619-_ZN7rocprim17ROCPRIM_400000_NS6detail44device_merge_sort_compile_time_verifier_archINS1_11comp_targetILNS1_3genE2ELNS1_11target_archE906ELNS1_3gpuE6ELNS1_3repE0EEES8_NS0_14default_configES9_NS1_37merge_sort_block_sort_config_selectorIN6thrust23THRUST_200600_302600_NS4pairIiiEENS0_10empty_typeEEENS1_38merge_sort_block_merge_config_selectorISE_SF_EEEEvv
                                        ; -- End function
	.set _ZN7rocprim17ROCPRIM_400000_NS6detail44device_merge_sort_compile_time_verifier_archINS1_11comp_targetILNS1_3genE2ELNS1_11target_archE906ELNS1_3gpuE6ELNS1_3repE0EEES8_NS0_14default_configES9_NS1_37merge_sort_block_sort_config_selectorIN6thrust23THRUST_200600_302600_NS4pairIiiEENS0_10empty_typeEEENS1_38merge_sort_block_merge_config_selectorISE_SF_EEEEvv.num_vgpr, 0
	.set _ZN7rocprim17ROCPRIM_400000_NS6detail44device_merge_sort_compile_time_verifier_archINS1_11comp_targetILNS1_3genE2ELNS1_11target_archE906ELNS1_3gpuE6ELNS1_3repE0EEES8_NS0_14default_configES9_NS1_37merge_sort_block_sort_config_selectorIN6thrust23THRUST_200600_302600_NS4pairIiiEENS0_10empty_typeEEENS1_38merge_sort_block_merge_config_selectorISE_SF_EEEEvv.num_agpr, 0
	.set _ZN7rocprim17ROCPRIM_400000_NS6detail44device_merge_sort_compile_time_verifier_archINS1_11comp_targetILNS1_3genE2ELNS1_11target_archE906ELNS1_3gpuE6ELNS1_3repE0EEES8_NS0_14default_configES9_NS1_37merge_sort_block_sort_config_selectorIN6thrust23THRUST_200600_302600_NS4pairIiiEENS0_10empty_typeEEENS1_38merge_sort_block_merge_config_selectorISE_SF_EEEEvv.numbered_sgpr, 0
	.set _ZN7rocprim17ROCPRIM_400000_NS6detail44device_merge_sort_compile_time_verifier_archINS1_11comp_targetILNS1_3genE2ELNS1_11target_archE906ELNS1_3gpuE6ELNS1_3repE0EEES8_NS0_14default_configES9_NS1_37merge_sort_block_sort_config_selectorIN6thrust23THRUST_200600_302600_NS4pairIiiEENS0_10empty_typeEEENS1_38merge_sort_block_merge_config_selectorISE_SF_EEEEvv.num_named_barrier, 0
	.set _ZN7rocprim17ROCPRIM_400000_NS6detail44device_merge_sort_compile_time_verifier_archINS1_11comp_targetILNS1_3genE2ELNS1_11target_archE906ELNS1_3gpuE6ELNS1_3repE0EEES8_NS0_14default_configES9_NS1_37merge_sort_block_sort_config_selectorIN6thrust23THRUST_200600_302600_NS4pairIiiEENS0_10empty_typeEEENS1_38merge_sort_block_merge_config_selectorISE_SF_EEEEvv.private_seg_size, 0
	.set _ZN7rocprim17ROCPRIM_400000_NS6detail44device_merge_sort_compile_time_verifier_archINS1_11comp_targetILNS1_3genE2ELNS1_11target_archE906ELNS1_3gpuE6ELNS1_3repE0EEES8_NS0_14default_configES9_NS1_37merge_sort_block_sort_config_selectorIN6thrust23THRUST_200600_302600_NS4pairIiiEENS0_10empty_typeEEENS1_38merge_sort_block_merge_config_selectorISE_SF_EEEEvv.uses_vcc, 0
	.set _ZN7rocprim17ROCPRIM_400000_NS6detail44device_merge_sort_compile_time_verifier_archINS1_11comp_targetILNS1_3genE2ELNS1_11target_archE906ELNS1_3gpuE6ELNS1_3repE0EEES8_NS0_14default_configES9_NS1_37merge_sort_block_sort_config_selectorIN6thrust23THRUST_200600_302600_NS4pairIiiEENS0_10empty_typeEEENS1_38merge_sort_block_merge_config_selectorISE_SF_EEEEvv.uses_flat_scratch, 0
	.set _ZN7rocprim17ROCPRIM_400000_NS6detail44device_merge_sort_compile_time_verifier_archINS1_11comp_targetILNS1_3genE2ELNS1_11target_archE906ELNS1_3gpuE6ELNS1_3repE0EEES8_NS0_14default_configES9_NS1_37merge_sort_block_sort_config_selectorIN6thrust23THRUST_200600_302600_NS4pairIiiEENS0_10empty_typeEEENS1_38merge_sort_block_merge_config_selectorISE_SF_EEEEvv.has_dyn_sized_stack, 0
	.set _ZN7rocprim17ROCPRIM_400000_NS6detail44device_merge_sort_compile_time_verifier_archINS1_11comp_targetILNS1_3genE2ELNS1_11target_archE906ELNS1_3gpuE6ELNS1_3repE0EEES8_NS0_14default_configES9_NS1_37merge_sort_block_sort_config_selectorIN6thrust23THRUST_200600_302600_NS4pairIiiEENS0_10empty_typeEEENS1_38merge_sort_block_merge_config_selectorISE_SF_EEEEvv.has_recursion, 0
	.set _ZN7rocprim17ROCPRIM_400000_NS6detail44device_merge_sort_compile_time_verifier_archINS1_11comp_targetILNS1_3genE2ELNS1_11target_archE906ELNS1_3gpuE6ELNS1_3repE0EEES8_NS0_14default_configES9_NS1_37merge_sort_block_sort_config_selectorIN6thrust23THRUST_200600_302600_NS4pairIiiEENS0_10empty_typeEEENS1_38merge_sort_block_merge_config_selectorISE_SF_EEEEvv.has_indirect_call, 0
	.section	.AMDGPU.csdata,"",@progbits
; Kernel info:
; codeLenInByte = 4
; TotalNumSgprs: 0
; NumVgprs: 0
; ScratchSize: 0
; MemoryBound: 0
; FloatMode: 240
; IeeeMode: 1
; LDSByteSize: 0 bytes/workgroup (compile time only)
; SGPRBlocks: 0
; VGPRBlocks: 0
; NumSGPRsForWavesPerEU: 1
; NumVGPRsForWavesPerEU: 1
; Occupancy: 16
; WaveLimiterHint : 0
; COMPUTE_PGM_RSRC2:SCRATCH_EN: 0
; COMPUTE_PGM_RSRC2:USER_SGPR: 4
; COMPUTE_PGM_RSRC2:TRAP_HANDLER: 0
; COMPUTE_PGM_RSRC2:TGID_X_EN: 1
; COMPUTE_PGM_RSRC2:TGID_Y_EN: 0
; COMPUTE_PGM_RSRC2:TGID_Z_EN: 0
; COMPUTE_PGM_RSRC2:TIDIG_COMP_CNT: 0
	.section	.text._ZN7rocprim17ROCPRIM_400000_NS6detail44device_merge_sort_compile_time_verifier_archINS1_11comp_targetILNS1_3genE10ELNS1_11target_archE1201ELNS1_3gpuE5ELNS1_3repE0EEES8_NS0_14default_configES9_NS1_37merge_sort_block_sort_config_selectorIN6thrust23THRUST_200600_302600_NS4pairIiiEENS0_10empty_typeEEENS1_38merge_sort_block_merge_config_selectorISE_SF_EEEEvv,"axG",@progbits,_ZN7rocprim17ROCPRIM_400000_NS6detail44device_merge_sort_compile_time_verifier_archINS1_11comp_targetILNS1_3genE10ELNS1_11target_archE1201ELNS1_3gpuE5ELNS1_3repE0EEES8_NS0_14default_configES9_NS1_37merge_sort_block_sort_config_selectorIN6thrust23THRUST_200600_302600_NS4pairIiiEENS0_10empty_typeEEENS1_38merge_sort_block_merge_config_selectorISE_SF_EEEEvv,comdat
	.protected	_ZN7rocprim17ROCPRIM_400000_NS6detail44device_merge_sort_compile_time_verifier_archINS1_11comp_targetILNS1_3genE10ELNS1_11target_archE1201ELNS1_3gpuE5ELNS1_3repE0EEES8_NS0_14default_configES9_NS1_37merge_sort_block_sort_config_selectorIN6thrust23THRUST_200600_302600_NS4pairIiiEENS0_10empty_typeEEENS1_38merge_sort_block_merge_config_selectorISE_SF_EEEEvv ; -- Begin function _ZN7rocprim17ROCPRIM_400000_NS6detail44device_merge_sort_compile_time_verifier_archINS1_11comp_targetILNS1_3genE10ELNS1_11target_archE1201ELNS1_3gpuE5ELNS1_3repE0EEES8_NS0_14default_configES9_NS1_37merge_sort_block_sort_config_selectorIN6thrust23THRUST_200600_302600_NS4pairIiiEENS0_10empty_typeEEENS1_38merge_sort_block_merge_config_selectorISE_SF_EEEEvv
	.globl	_ZN7rocprim17ROCPRIM_400000_NS6detail44device_merge_sort_compile_time_verifier_archINS1_11comp_targetILNS1_3genE10ELNS1_11target_archE1201ELNS1_3gpuE5ELNS1_3repE0EEES8_NS0_14default_configES9_NS1_37merge_sort_block_sort_config_selectorIN6thrust23THRUST_200600_302600_NS4pairIiiEENS0_10empty_typeEEENS1_38merge_sort_block_merge_config_selectorISE_SF_EEEEvv
	.p2align	8
	.type	_ZN7rocprim17ROCPRIM_400000_NS6detail44device_merge_sort_compile_time_verifier_archINS1_11comp_targetILNS1_3genE10ELNS1_11target_archE1201ELNS1_3gpuE5ELNS1_3repE0EEES8_NS0_14default_configES9_NS1_37merge_sort_block_sort_config_selectorIN6thrust23THRUST_200600_302600_NS4pairIiiEENS0_10empty_typeEEENS1_38merge_sort_block_merge_config_selectorISE_SF_EEEEvv,@function
_ZN7rocprim17ROCPRIM_400000_NS6detail44device_merge_sort_compile_time_verifier_archINS1_11comp_targetILNS1_3genE10ELNS1_11target_archE1201ELNS1_3gpuE5ELNS1_3repE0EEES8_NS0_14default_configES9_NS1_37merge_sort_block_sort_config_selectorIN6thrust23THRUST_200600_302600_NS4pairIiiEENS0_10empty_typeEEENS1_38merge_sort_block_merge_config_selectorISE_SF_EEEEvv: ; @_ZN7rocprim17ROCPRIM_400000_NS6detail44device_merge_sort_compile_time_verifier_archINS1_11comp_targetILNS1_3genE10ELNS1_11target_archE1201ELNS1_3gpuE5ELNS1_3repE0EEES8_NS0_14default_configES9_NS1_37merge_sort_block_sort_config_selectorIN6thrust23THRUST_200600_302600_NS4pairIiiEENS0_10empty_typeEEENS1_38merge_sort_block_merge_config_selectorISE_SF_EEEEvv
; %bb.0:
	s_endpgm
	.section	.rodata,"a",@progbits
	.p2align	6, 0x0
	.amdhsa_kernel _ZN7rocprim17ROCPRIM_400000_NS6detail44device_merge_sort_compile_time_verifier_archINS1_11comp_targetILNS1_3genE10ELNS1_11target_archE1201ELNS1_3gpuE5ELNS1_3repE0EEES8_NS0_14default_configES9_NS1_37merge_sort_block_sort_config_selectorIN6thrust23THRUST_200600_302600_NS4pairIiiEENS0_10empty_typeEEENS1_38merge_sort_block_merge_config_selectorISE_SF_EEEEvv
		.amdhsa_group_segment_fixed_size 0
		.amdhsa_private_segment_fixed_size 0
		.amdhsa_kernarg_size 0
		.amdhsa_user_sgpr_count 4
		.amdhsa_user_sgpr_private_segment_buffer 1
		.amdhsa_user_sgpr_dispatch_ptr 0
		.amdhsa_user_sgpr_queue_ptr 0
		.amdhsa_user_sgpr_kernarg_segment_ptr 0
		.amdhsa_user_sgpr_dispatch_id 0
		.amdhsa_user_sgpr_flat_scratch_init 0
		.amdhsa_user_sgpr_private_segment_size 0
		.amdhsa_wavefront_size32 1
		.amdhsa_uses_dynamic_stack 0
		.amdhsa_system_sgpr_private_segment_wavefront_offset 0
		.amdhsa_system_sgpr_workgroup_id_x 1
		.amdhsa_system_sgpr_workgroup_id_y 0
		.amdhsa_system_sgpr_workgroup_id_z 0
		.amdhsa_system_sgpr_workgroup_info 0
		.amdhsa_system_vgpr_workitem_id 0
		.amdhsa_next_free_vgpr 1
		.amdhsa_next_free_sgpr 1
		.amdhsa_reserve_vcc 0
		.amdhsa_reserve_flat_scratch 0
		.amdhsa_float_round_mode_32 0
		.amdhsa_float_round_mode_16_64 0
		.amdhsa_float_denorm_mode_32 3
		.amdhsa_float_denorm_mode_16_64 3
		.amdhsa_dx10_clamp 1
		.amdhsa_ieee_mode 1
		.amdhsa_fp16_overflow 0
		.amdhsa_workgroup_processor_mode 1
		.amdhsa_memory_ordered 1
		.amdhsa_forward_progress 1
		.amdhsa_shared_vgpr_count 0
		.amdhsa_exception_fp_ieee_invalid_op 0
		.amdhsa_exception_fp_denorm_src 0
		.amdhsa_exception_fp_ieee_div_zero 0
		.amdhsa_exception_fp_ieee_overflow 0
		.amdhsa_exception_fp_ieee_underflow 0
		.amdhsa_exception_fp_ieee_inexact 0
		.amdhsa_exception_int_div_zero 0
	.end_amdhsa_kernel
	.section	.text._ZN7rocprim17ROCPRIM_400000_NS6detail44device_merge_sort_compile_time_verifier_archINS1_11comp_targetILNS1_3genE10ELNS1_11target_archE1201ELNS1_3gpuE5ELNS1_3repE0EEES8_NS0_14default_configES9_NS1_37merge_sort_block_sort_config_selectorIN6thrust23THRUST_200600_302600_NS4pairIiiEENS0_10empty_typeEEENS1_38merge_sort_block_merge_config_selectorISE_SF_EEEEvv,"axG",@progbits,_ZN7rocprim17ROCPRIM_400000_NS6detail44device_merge_sort_compile_time_verifier_archINS1_11comp_targetILNS1_3genE10ELNS1_11target_archE1201ELNS1_3gpuE5ELNS1_3repE0EEES8_NS0_14default_configES9_NS1_37merge_sort_block_sort_config_selectorIN6thrust23THRUST_200600_302600_NS4pairIiiEENS0_10empty_typeEEENS1_38merge_sort_block_merge_config_selectorISE_SF_EEEEvv,comdat
.Lfunc_end620:
	.size	_ZN7rocprim17ROCPRIM_400000_NS6detail44device_merge_sort_compile_time_verifier_archINS1_11comp_targetILNS1_3genE10ELNS1_11target_archE1201ELNS1_3gpuE5ELNS1_3repE0EEES8_NS0_14default_configES9_NS1_37merge_sort_block_sort_config_selectorIN6thrust23THRUST_200600_302600_NS4pairIiiEENS0_10empty_typeEEENS1_38merge_sort_block_merge_config_selectorISE_SF_EEEEvv, .Lfunc_end620-_ZN7rocprim17ROCPRIM_400000_NS6detail44device_merge_sort_compile_time_verifier_archINS1_11comp_targetILNS1_3genE10ELNS1_11target_archE1201ELNS1_3gpuE5ELNS1_3repE0EEES8_NS0_14default_configES9_NS1_37merge_sort_block_sort_config_selectorIN6thrust23THRUST_200600_302600_NS4pairIiiEENS0_10empty_typeEEENS1_38merge_sort_block_merge_config_selectorISE_SF_EEEEvv
                                        ; -- End function
	.set _ZN7rocprim17ROCPRIM_400000_NS6detail44device_merge_sort_compile_time_verifier_archINS1_11comp_targetILNS1_3genE10ELNS1_11target_archE1201ELNS1_3gpuE5ELNS1_3repE0EEES8_NS0_14default_configES9_NS1_37merge_sort_block_sort_config_selectorIN6thrust23THRUST_200600_302600_NS4pairIiiEENS0_10empty_typeEEENS1_38merge_sort_block_merge_config_selectorISE_SF_EEEEvv.num_vgpr, 0
	.set _ZN7rocprim17ROCPRIM_400000_NS6detail44device_merge_sort_compile_time_verifier_archINS1_11comp_targetILNS1_3genE10ELNS1_11target_archE1201ELNS1_3gpuE5ELNS1_3repE0EEES8_NS0_14default_configES9_NS1_37merge_sort_block_sort_config_selectorIN6thrust23THRUST_200600_302600_NS4pairIiiEENS0_10empty_typeEEENS1_38merge_sort_block_merge_config_selectorISE_SF_EEEEvv.num_agpr, 0
	.set _ZN7rocprim17ROCPRIM_400000_NS6detail44device_merge_sort_compile_time_verifier_archINS1_11comp_targetILNS1_3genE10ELNS1_11target_archE1201ELNS1_3gpuE5ELNS1_3repE0EEES8_NS0_14default_configES9_NS1_37merge_sort_block_sort_config_selectorIN6thrust23THRUST_200600_302600_NS4pairIiiEENS0_10empty_typeEEENS1_38merge_sort_block_merge_config_selectorISE_SF_EEEEvv.numbered_sgpr, 0
	.set _ZN7rocprim17ROCPRIM_400000_NS6detail44device_merge_sort_compile_time_verifier_archINS1_11comp_targetILNS1_3genE10ELNS1_11target_archE1201ELNS1_3gpuE5ELNS1_3repE0EEES8_NS0_14default_configES9_NS1_37merge_sort_block_sort_config_selectorIN6thrust23THRUST_200600_302600_NS4pairIiiEENS0_10empty_typeEEENS1_38merge_sort_block_merge_config_selectorISE_SF_EEEEvv.num_named_barrier, 0
	.set _ZN7rocprim17ROCPRIM_400000_NS6detail44device_merge_sort_compile_time_verifier_archINS1_11comp_targetILNS1_3genE10ELNS1_11target_archE1201ELNS1_3gpuE5ELNS1_3repE0EEES8_NS0_14default_configES9_NS1_37merge_sort_block_sort_config_selectorIN6thrust23THRUST_200600_302600_NS4pairIiiEENS0_10empty_typeEEENS1_38merge_sort_block_merge_config_selectorISE_SF_EEEEvv.private_seg_size, 0
	.set _ZN7rocprim17ROCPRIM_400000_NS6detail44device_merge_sort_compile_time_verifier_archINS1_11comp_targetILNS1_3genE10ELNS1_11target_archE1201ELNS1_3gpuE5ELNS1_3repE0EEES8_NS0_14default_configES9_NS1_37merge_sort_block_sort_config_selectorIN6thrust23THRUST_200600_302600_NS4pairIiiEENS0_10empty_typeEEENS1_38merge_sort_block_merge_config_selectorISE_SF_EEEEvv.uses_vcc, 0
	.set _ZN7rocprim17ROCPRIM_400000_NS6detail44device_merge_sort_compile_time_verifier_archINS1_11comp_targetILNS1_3genE10ELNS1_11target_archE1201ELNS1_3gpuE5ELNS1_3repE0EEES8_NS0_14default_configES9_NS1_37merge_sort_block_sort_config_selectorIN6thrust23THRUST_200600_302600_NS4pairIiiEENS0_10empty_typeEEENS1_38merge_sort_block_merge_config_selectorISE_SF_EEEEvv.uses_flat_scratch, 0
	.set _ZN7rocprim17ROCPRIM_400000_NS6detail44device_merge_sort_compile_time_verifier_archINS1_11comp_targetILNS1_3genE10ELNS1_11target_archE1201ELNS1_3gpuE5ELNS1_3repE0EEES8_NS0_14default_configES9_NS1_37merge_sort_block_sort_config_selectorIN6thrust23THRUST_200600_302600_NS4pairIiiEENS0_10empty_typeEEENS1_38merge_sort_block_merge_config_selectorISE_SF_EEEEvv.has_dyn_sized_stack, 0
	.set _ZN7rocprim17ROCPRIM_400000_NS6detail44device_merge_sort_compile_time_verifier_archINS1_11comp_targetILNS1_3genE10ELNS1_11target_archE1201ELNS1_3gpuE5ELNS1_3repE0EEES8_NS0_14default_configES9_NS1_37merge_sort_block_sort_config_selectorIN6thrust23THRUST_200600_302600_NS4pairIiiEENS0_10empty_typeEEENS1_38merge_sort_block_merge_config_selectorISE_SF_EEEEvv.has_recursion, 0
	.set _ZN7rocprim17ROCPRIM_400000_NS6detail44device_merge_sort_compile_time_verifier_archINS1_11comp_targetILNS1_3genE10ELNS1_11target_archE1201ELNS1_3gpuE5ELNS1_3repE0EEES8_NS0_14default_configES9_NS1_37merge_sort_block_sort_config_selectorIN6thrust23THRUST_200600_302600_NS4pairIiiEENS0_10empty_typeEEENS1_38merge_sort_block_merge_config_selectorISE_SF_EEEEvv.has_indirect_call, 0
	.section	.AMDGPU.csdata,"",@progbits
; Kernel info:
; codeLenInByte = 4
; TotalNumSgprs: 0
; NumVgprs: 0
; ScratchSize: 0
; MemoryBound: 0
; FloatMode: 240
; IeeeMode: 1
; LDSByteSize: 0 bytes/workgroup (compile time only)
; SGPRBlocks: 0
; VGPRBlocks: 0
; NumSGPRsForWavesPerEU: 1
; NumVGPRsForWavesPerEU: 1
; Occupancy: 16
; WaveLimiterHint : 0
; COMPUTE_PGM_RSRC2:SCRATCH_EN: 0
; COMPUTE_PGM_RSRC2:USER_SGPR: 4
; COMPUTE_PGM_RSRC2:TRAP_HANDLER: 0
; COMPUTE_PGM_RSRC2:TGID_X_EN: 1
; COMPUTE_PGM_RSRC2:TGID_Y_EN: 0
; COMPUTE_PGM_RSRC2:TGID_Z_EN: 0
; COMPUTE_PGM_RSRC2:TIDIG_COMP_CNT: 0
	.section	.text._ZN7rocprim17ROCPRIM_400000_NS6detail44device_merge_sort_compile_time_verifier_archINS1_11comp_targetILNS1_3genE10ELNS1_11target_archE1200ELNS1_3gpuE4ELNS1_3repE0EEENS3_ILS4_10ELS5_1201ELS6_5ELS7_0EEENS0_14default_configESA_NS1_37merge_sort_block_sort_config_selectorIN6thrust23THRUST_200600_302600_NS4pairIiiEENS0_10empty_typeEEENS1_38merge_sort_block_merge_config_selectorISF_SG_EEEEvv,"axG",@progbits,_ZN7rocprim17ROCPRIM_400000_NS6detail44device_merge_sort_compile_time_verifier_archINS1_11comp_targetILNS1_3genE10ELNS1_11target_archE1200ELNS1_3gpuE4ELNS1_3repE0EEENS3_ILS4_10ELS5_1201ELS6_5ELS7_0EEENS0_14default_configESA_NS1_37merge_sort_block_sort_config_selectorIN6thrust23THRUST_200600_302600_NS4pairIiiEENS0_10empty_typeEEENS1_38merge_sort_block_merge_config_selectorISF_SG_EEEEvv,comdat
	.protected	_ZN7rocprim17ROCPRIM_400000_NS6detail44device_merge_sort_compile_time_verifier_archINS1_11comp_targetILNS1_3genE10ELNS1_11target_archE1200ELNS1_3gpuE4ELNS1_3repE0EEENS3_ILS4_10ELS5_1201ELS6_5ELS7_0EEENS0_14default_configESA_NS1_37merge_sort_block_sort_config_selectorIN6thrust23THRUST_200600_302600_NS4pairIiiEENS0_10empty_typeEEENS1_38merge_sort_block_merge_config_selectorISF_SG_EEEEvv ; -- Begin function _ZN7rocprim17ROCPRIM_400000_NS6detail44device_merge_sort_compile_time_verifier_archINS1_11comp_targetILNS1_3genE10ELNS1_11target_archE1200ELNS1_3gpuE4ELNS1_3repE0EEENS3_ILS4_10ELS5_1201ELS6_5ELS7_0EEENS0_14default_configESA_NS1_37merge_sort_block_sort_config_selectorIN6thrust23THRUST_200600_302600_NS4pairIiiEENS0_10empty_typeEEENS1_38merge_sort_block_merge_config_selectorISF_SG_EEEEvv
	.globl	_ZN7rocprim17ROCPRIM_400000_NS6detail44device_merge_sort_compile_time_verifier_archINS1_11comp_targetILNS1_3genE10ELNS1_11target_archE1200ELNS1_3gpuE4ELNS1_3repE0EEENS3_ILS4_10ELS5_1201ELS6_5ELS7_0EEENS0_14default_configESA_NS1_37merge_sort_block_sort_config_selectorIN6thrust23THRUST_200600_302600_NS4pairIiiEENS0_10empty_typeEEENS1_38merge_sort_block_merge_config_selectorISF_SG_EEEEvv
	.p2align	8
	.type	_ZN7rocprim17ROCPRIM_400000_NS6detail44device_merge_sort_compile_time_verifier_archINS1_11comp_targetILNS1_3genE10ELNS1_11target_archE1200ELNS1_3gpuE4ELNS1_3repE0EEENS3_ILS4_10ELS5_1201ELS6_5ELS7_0EEENS0_14default_configESA_NS1_37merge_sort_block_sort_config_selectorIN6thrust23THRUST_200600_302600_NS4pairIiiEENS0_10empty_typeEEENS1_38merge_sort_block_merge_config_selectorISF_SG_EEEEvv,@function
_ZN7rocprim17ROCPRIM_400000_NS6detail44device_merge_sort_compile_time_verifier_archINS1_11comp_targetILNS1_3genE10ELNS1_11target_archE1200ELNS1_3gpuE4ELNS1_3repE0EEENS3_ILS4_10ELS5_1201ELS6_5ELS7_0EEENS0_14default_configESA_NS1_37merge_sort_block_sort_config_selectorIN6thrust23THRUST_200600_302600_NS4pairIiiEENS0_10empty_typeEEENS1_38merge_sort_block_merge_config_selectorISF_SG_EEEEvv: ; @_ZN7rocprim17ROCPRIM_400000_NS6detail44device_merge_sort_compile_time_verifier_archINS1_11comp_targetILNS1_3genE10ELNS1_11target_archE1200ELNS1_3gpuE4ELNS1_3repE0EEENS3_ILS4_10ELS5_1201ELS6_5ELS7_0EEENS0_14default_configESA_NS1_37merge_sort_block_sort_config_selectorIN6thrust23THRUST_200600_302600_NS4pairIiiEENS0_10empty_typeEEENS1_38merge_sort_block_merge_config_selectorISF_SG_EEEEvv
; %bb.0:
	s_endpgm
	.section	.rodata,"a",@progbits
	.p2align	6, 0x0
	.amdhsa_kernel _ZN7rocprim17ROCPRIM_400000_NS6detail44device_merge_sort_compile_time_verifier_archINS1_11comp_targetILNS1_3genE10ELNS1_11target_archE1200ELNS1_3gpuE4ELNS1_3repE0EEENS3_ILS4_10ELS5_1201ELS6_5ELS7_0EEENS0_14default_configESA_NS1_37merge_sort_block_sort_config_selectorIN6thrust23THRUST_200600_302600_NS4pairIiiEENS0_10empty_typeEEENS1_38merge_sort_block_merge_config_selectorISF_SG_EEEEvv
		.amdhsa_group_segment_fixed_size 0
		.amdhsa_private_segment_fixed_size 0
		.amdhsa_kernarg_size 0
		.amdhsa_user_sgpr_count 4
		.amdhsa_user_sgpr_private_segment_buffer 1
		.amdhsa_user_sgpr_dispatch_ptr 0
		.amdhsa_user_sgpr_queue_ptr 0
		.amdhsa_user_sgpr_kernarg_segment_ptr 0
		.amdhsa_user_sgpr_dispatch_id 0
		.amdhsa_user_sgpr_flat_scratch_init 0
		.amdhsa_user_sgpr_private_segment_size 0
		.amdhsa_wavefront_size32 1
		.amdhsa_uses_dynamic_stack 0
		.amdhsa_system_sgpr_private_segment_wavefront_offset 0
		.amdhsa_system_sgpr_workgroup_id_x 1
		.amdhsa_system_sgpr_workgroup_id_y 0
		.amdhsa_system_sgpr_workgroup_id_z 0
		.amdhsa_system_sgpr_workgroup_info 0
		.amdhsa_system_vgpr_workitem_id 0
		.amdhsa_next_free_vgpr 1
		.amdhsa_next_free_sgpr 1
		.amdhsa_reserve_vcc 0
		.amdhsa_reserve_flat_scratch 0
		.amdhsa_float_round_mode_32 0
		.amdhsa_float_round_mode_16_64 0
		.amdhsa_float_denorm_mode_32 3
		.amdhsa_float_denorm_mode_16_64 3
		.amdhsa_dx10_clamp 1
		.amdhsa_ieee_mode 1
		.amdhsa_fp16_overflow 0
		.amdhsa_workgroup_processor_mode 1
		.amdhsa_memory_ordered 1
		.amdhsa_forward_progress 1
		.amdhsa_shared_vgpr_count 0
		.amdhsa_exception_fp_ieee_invalid_op 0
		.amdhsa_exception_fp_denorm_src 0
		.amdhsa_exception_fp_ieee_div_zero 0
		.amdhsa_exception_fp_ieee_overflow 0
		.amdhsa_exception_fp_ieee_underflow 0
		.amdhsa_exception_fp_ieee_inexact 0
		.amdhsa_exception_int_div_zero 0
	.end_amdhsa_kernel
	.section	.text._ZN7rocprim17ROCPRIM_400000_NS6detail44device_merge_sort_compile_time_verifier_archINS1_11comp_targetILNS1_3genE10ELNS1_11target_archE1200ELNS1_3gpuE4ELNS1_3repE0EEENS3_ILS4_10ELS5_1201ELS6_5ELS7_0EEENS0_14default_configESA_NS1_37merge_sort_block_sort_config_selectorIN6thrust23THRUST_200600_302600_NS4pairIiiEENS0_10empty_typeEEENS1_38merge_sort_block_merge_config_selectorISF_SG_EEEEvv,"axG",@progbits,_ZN7rocprim17ROCPRIM_400000_NS6detail44device_merge_sort_compile_time_verifier_archINS1_11comp_targetILNS1_3genE10ELNS1_11target_archE1200ELNS1_3gpuE4ELNS1_3repE0EEENS3_ILS4_10ELS5_1201ELS6_5ELS7_0EEENS0_14default_configESA_NS1_37merge_sort_block_sort_config_selectorIN6thrust23THRUST_200600_302600_NS4pairIiiEENS0_10empty_typeEEENS1_38merge_sort_block_merge_config_selectorISF_SG_EEEEvv,comdat
.Lfunc_end621:
	.size	_ZN7rocprim17ROCPRIM_400000_NS6detail44device_merge_sort_compile_time_verifier_archINS1_11comp_targetILNS1_3genE10ELNS1_11target_archE1200ELNS1_3gpuE4ELNS1_3repE0EEENS3_ILS4_10ELS5_1201ELS6_5ELS7_0EEENS0_14default_configESA_NS1_37merge_sort_block_sort_config_selectorIN6thrust23THRUST_200600_302600_NS4pairIiiEENS0_10empty_typeEEENS1_38merge_sort_block_merge_config_selectorISF_SG_EEEEvv, .Lfunc_end621-_ZN7rocprim17ROCPRIM_400000_NS6detail44device_merge_sort_compile_time_verifier_archINS1_11comp_targetILNS1_3genE10ELNS1_11target_archE1200ELNS1_3gpuE4ELNS1_3repE0EEENS3_ILS4_10ELS5_1201ELS6_5ELS7_0EEENS0_14default_configESA_NS1_37merge_sort_block_sort_config_selectorIN6thrust23THRUST_200600_302600_NS4pairIiiEENS0_10empty_typeEEENS1_38merge_sort_block_merge_config_selectorISF_SG_EEEEvv
                                        ; -- End function
	.set _ZN7rocprim17ROCPRIM_400000_NS6detail44device_merge_sort_compile_time_verifier_archINS1_11comp_targetILNS1_3genE10ELNS1_11target_archE1200ELNS1_3gpuE4ELNS1_3repE0EEENS3_ILS4_10ELS5_1201ELS6_5ELS7_0EEENS0_14default_configESA_NS1_37merge_sort_block_sort_config_selectorIN6thrust23THRUST_200600_302600_NS4pairIiiEENS0_10empty_typeEEENS1_38merge_sort_block_merge_config_selectorISF_SG_EEEEvv.num_vgpr, 0
	.set _ZN7rocprim17ROCPRIM_400000_NS6detail44device_merge_sort_compile_time_verifier_archINS1_11comp_targetILNS1_3genE10ELNS1_11target_archE1200ELNS1_3gpuE4ELNS1_3repE0EEENS3_ILS4_10ELS5_1201ELS6_5ELS7_0EEENS0_14default_configESA_NS1_37merge_sort_block_sort_config_selectorIN6thrust23THRUST_200600_302600_NS4pairIiiEENS0_10empty_typeEEENS1_38merge_sort_block_merge_config_selectorISF_SG_EEEEvv.num_agpr, 0
	.set _ZN7rocprim17ROCPRIM_400000_NS6detail44device_merge_sort_compile_time_verifier_archINS1_11comp_targetILNS1_3genE10ELNS1_11target_archE1200ELNS1_3gpuE4ELNS1_3repE0EEENS3_ILS4_10ELS5_1201ELS6_5ELS7_0EEENS0_14default_configESA_NS1_37merge_sort_block_sort_config_selectorIN6thrust23THRUST_200600_302600_NS4pairIiiEENS0_10empty_typeEEENS1_38merge_sort_block_merge_config_selectorISF_SG_EEEEvv.numbered_sgpr, 0
	.set _ZN7rocprim17ROCPRIM_400000_NS6detail44device_merge_sort_compile_time_verifier_archINS1_11comp_targetILNS1_3genE10ELNS1_11target_archE1200ELNS1_3gpuE4ELNS1_3repE0EEENS3_ILS4_10ELS5_1201ELS6_5ELS7_0EEENS0_14default_configESA_NS1_37merge_sort_block_sort_config_selectorIN6thrust23THRUST_200600_302600_NS4pairIiiEENS0_10empty_typeEEENS1_38merge_sort_block_merge_config_selectorISF_SG_EEEEvv.num_named_barrier, 0
	.set _ZN7rocprim17ROCPRIM_400000_NS6detail44device_merge_sort_compile_time_verifier_archINS1_11comp_targetILNS1_3genE10ELNS1_11target_archE1200ELNS1_3gpuE4ELNS1_3repE0EEENS3_ILS4_10ELS5_1201ELS6_5ELS7_0EEENS0_14default_configESA_NS1_37merge_sort_block_sort_config_selectorIN6thrust23THRUST_200600_302600_NS4pairIiiEENS0_10empty_typeEEENS1_38merge_sort_block_merge_config_selectorISF_SG_EEEEvv.private_seg_size, 0
	.set _ZN7rocprim17ROCPRIM_400000_NS6detail44device_merge_sort_compile_time_verifier_archINS1_11comp_targetILNS1_3genE10ELNS1_11target_archE1200ELNS1_3gpuE4ELNS1_3repE0EEENS3_ILS4_10ELS5_1201ELS6_5ELS7_0EEENS0_14default_configESA_NS1_37merge_sort_block_sort_config_selectorIN6thrust23THRUST_200600_302600_NS4pairIiiEENS0_10empty_typeEEENS1_38merge_sort_block_merge_config_selectorISF_SG_EEEEvv.uses_vcc, 0
	.set _ZN7rocprim17ROCPRIM_400000_NS6detail44device_merge_sort_compile_time_verifier_archINS1_11comp_targetILNS1_3genE10ELNS1_11target_archE1200ELNS1_3gpuE4ELNS1_3repE0EEENS3_ILS4_10ELS5_1201ELS6_5ELS7_0EEENS0_14default_configESA_NS1_37merge_sort_block_sort_config_selectorIN6thrust23THRUST_200600_302600_NS4pairIiiEENS0_10empty_typeEEENS1_38merge_sort_block_merge_config_selectorISF_SG_EEEEvv.uses_flat_scratch, 0
	.set _ZN7rocprim17ROCPRIM_400000_NS6detail44device_merge_sort_compile_time_verifier_archINS1_11comp_targetILNS1_3genE10ELNS1_11target_archE1200ELNS1_3gpuE4ELNS1_3repE0EEENS3_ILS4_10ELS5_1201ELS6_5ELS7_0EEENS0_14default_configESA_NS1_37merge_sort_block_sort_config_selectorIN6thrust23THRUST_200600_302600_NS4pairIiiEENS0_10empty_typeEEENS1_38merge_sort_block_merge_config_selectorISF_SG_EEEEvv.has_dyn_sized_stack, 0
	.set _ZN7rocprim17ROCPRIM_400000_NS6detail44device_merge_sort_compile_time_verifier_archINS1_11comp_targetILNS1_3genE10ELNS1_11target_archE1200ELNS1_3gpuE4ELNS1_3repE0EEENS3_ILS4_10ELS5_1201ELS6_5ELS7_0EEENS0_14default_configESA_NS1_37merge_sort_block_sort_config_selectorIN6thrust23THRUST_200600_302600_NS4pairIiiEENS0_10empty_typeEEENS1_38merge_sort_block_merge_config_selectorISF_SG_EEEEvv.has_recursion, 0
	.set _ZN7rocprim17ROCPRIM_400000_NS6detail44device_merge_sort_compile_time_verifier_archINS1_11comp_targetILNS1_3genE10ELNS1_11target_archE1200ELNS1_3gpuE4ELNS1_3repE0EEENS3_ILS4_10ELS5_1201ELS6_5ELS7_0EEENS0_14default_configESA_NS1_37merge_sort_block_sort_config_selectorIN6thrust23THRUST_200600_302600_NS4pairIiiEENS0_10empty_typeEEENS1_38merge_sort_block_merge_config_selectorISF_SG_EEEEvv.has_indirect_call, 0
	.section	.AMDGPU.csdata,"",@progbits
; Kernel info:
; codeLenInByte = 4
; TotalNumSgprs: 0
; NumVgprs: 0
; ScratchSize: 0
; MemoryBound: 0
; FloatMode: 240
; IeeeMode: 1
; LDSByteSize: 0 bytes/workgroup (compile time only)
; SGPRBlocks: 0
; VGPRBlocks: 0
; NumSGPRsForWavesPerEU: 1
; NumVGPRsForWavesPerEU: 1
; Occupancy: 16
; WaveLimiterHint : 0
; COMPUTE_PGM_RSRC2:SCRATCH_EN: 0
; COMPUTE_PGM_RSRC2:USER_SGPR: 4
; COMPUTE_PGM_RSRC2:TRAP_HANDLER: 0
; COMPUTE_PGM_RSRC2:TGID_X_EN: 1
; COMPUTE_PGM_RSRC2:TGID_Y_EN: 0
; COMPUTE_PGM_RSRC2:TGID_Z_EN: 0
; COMPUTE_PGM_RSRC2:TIDIG_COMP_CNT: 0
	.section	.text._ZN7rocprim17ROCPRIM_400000_NS6detail44device_merge_sort_compile_time_verifier_archINS1_11comp_targetILNS1_3genE9ELNS1_11target_archE1100ELNS1_3gpuE3ELNS1_3repE0EEES8_NS0_14default_configES9_NS1_37merge_sort_block_sort_config_selectorIN6thrust23THRUST_200600_302600_NS4pairIiiEENS0_10empty_typeEEENS1_38merge_sort_block_merge_config_selectorISE_SF_EEEEvv,"axG",@progbits,_ZN7rocprim17ROCPRIM_400000_NS6detail44device_merge_sort_compile_time_verifier_archINS1_11comp_targetILNS1_3genE9ELNS1_11target_archE1100ELNS1_3gpuE3ELNS1_3repE0EEES8_NS0_14default_configES9_NS1_37merge_sort_block_sort_config_selectorIN6thrust23THRUST_200600_302600_NS4pairIiiEENS0_10empty_typeEEENS1_38merge_sort_block_merge_config_selectorISE_SF_EEEEvv,comdat
	.protected	_ZN7rocprim17ROCPRIM_400000_NS6detail44device_merge_sort_compile_time_verifier_archINS1_11comp_targetILNS1_3genE9ELNS1_11target_archE1100ELNS1_3gpuE3ELNS1_3repE0EEES8_NS0_14default_configES9_NS1_37merge_sort_block_sort_config_selectorIN6thrust23THRUST_200600_302600_NS4pairIiiEENS0_10empty_typeEEENS1_38merge_sort_block_merge_config_selectorISE_SF_EEEEvv ; -- Begin function _ZN7rocprim17ROCPRIM_400000_NS6detail44device_merge_sort_compile_time_verifier_archINS1_11comp_targetILNS1_3genE9ELNS1_11target_archE1100ELNS1_3gpuE3ELNS1_3repE0EEES8_NS0_14default_configES9_NS1_37merge_sort_block_sort_config_selectorIN6thrust23THRUST_200600_302600_NS4pairIiiEENS0_10empty_typeEEENS1_38merge_sort_block_merge_config_selectorISE_SF_EEEEvv
	.globl	_ZN7rocprim17ROCPRIM_400000_NS6detail44device_merge_sort_compile_time_verifier_archINS1_11comp_targetILNS1_3genE9ELNS1_11target_archE1100ELNS1_3gpuE3ELNS1_3repE0EEES8_NS0_14default_configES9_NS1_37merge_sort_block_sort_config_selectorIN6thrust23THRUST_200600_302600_NS4pairIiiEENS0_10empty_typeEEENS1_38merge_sort_block_merge_config_selectorISE_SF_EEEEvv
	.p2align	8
	.type	_ZN7rocprim17ROCPRIM_400000_NS6detail44device_merge_sort_compile_time_verifier_archINS1_11comp_targetILNS1_3genE9ELNS1_11target_archE1100ELNS1_3gpuE3ELNS1_3repE0EEES8_NS0_14default_configES9_NS1_37merge_sort_block_sort_config_selectorIN6thrust23THRUST_200600_302600_NS4pairIiiEENS0_10empty_typeEEENS1_38merge_sort_block_merge_config_selectorISE_SF_EEEEvv,@function
_ZN7rocprim17ROCPRIM_400000_NS6detail44device_merge_sort_compile_time_verifier_archINS1_11comp_targetILNS1_3genE9ELNS1_11target_archE1100ELNS1_3gpuE3ELNS1_3repE0EEES8_NS0_14default_configES9_NS1_37merge_sort_block_sort_config_selectorIN6thrust23THRUST_200600_302600_NS4pairIiiEENS0_10empty_typeEEENS1_38merge_sort_block_merge_config_selectorISE_SF_EEEEvv: ; @_ZN7rocprim17ROCPRIM_400000_NS6detail44device_merge_sort_compile_time_verifier_archINS1_11comp_targetILNS1_3genE9ELNS1_11target_archE1100ELNS1_3gpuE3ELNS1_3repE0EEES8_NS0_14default_configES9_NS1_37merge_sort_block_sort_config_selectorIN6thrust23THRUST_200600_302600_NS4pairIiiEENS0_10empty_typeEEENS1_38merge_sort_block_merge_config_selectorISE_SF_EEEEvv
; %bb.0:
	s_endpgm
	.section	.rodata,"a",@progbits
	.p2align	6, 0x0
	.amdhsa_kernel _ZN7rocprim17ROCPRIM_400000_NS6detail44device_merge_sort_compile_time_verifier_archINS1_11comp_targetILNS1_3genE9ELNS1_11target_archE1100ELNS1_3gpuE3ELNS1_3repE0EEES8_NS0_14default_configES9_NS1_37merge_sort_block_sort_config_selectorIN6thrust23THRUST_200600_302600_NS4pairIiiEENS0_10empty_typeEEENS1_38merge_sort_block_merge_config_selectorISE_SF_EEEEvv
		.amdhsa_group_segment_fixed_size 0
		.amdhsa_private_segment_fixed_size 0
		.amdhsa_kernarg_size 0
		.amdhsa_user_sgpr_count 4
		.amdhsa_user_sgpr_private_segment_buffer 1
		.amdhsa_user_sgpr_dispatch_ptr 0
		.amdhsa_user_sgpr_queue_ptr 0
		.amdhsa_user_sgpr_kernarg_segment_ptr 0
		.amdhsa_user_sgpr_dispatch_id 0
		.amdhsa_user_sgpr_flat_scratch_init 0
		.amdhsa_user_sgpr_private_segment_size 0
		.amdhsa_wavefront_size32 1
		.amdhsa_uses_dynamic_stack 0
		.amdhsa_system_sgpr_private_segment_wavefront_offset 0
		.amdhsa_system_sgpr_workgroup_id_x 1
		.amdhsa_system_sgpr_workgroup_id_y 0
		.amdhsa_system_sgpr_workgroup_id_z 0
		.amdhsa_system_sgpr_workgroup_info 0
		.amdhsa_system_vgpr_workitem_id 0
		.amdhsa_next_free_vgpr 1
		.amdhsa_next_free_sgpr 1
		.amdhsa_reserve_vcc 0
		.amdhsa_reserve_flat_scratch 0
		.amdhsa_float_round_mode_32 0
		.amdhsa_float_round_mode_16_64 0
		.amdhsa_float_denorm_mode_32 3
		.amdhsa_float_denorm_mode_16_64 3
		.amdhsa_dx10_clamp 1
		.amdhsa_ieee_mode 1
		.amdhsa_fp16_overflow 0
		.amdhsa_workgroup_processor_mode 1
		.amdhsa_memory_ordered 1
		.amdhsa_forward_progress 1
		.amdhsa_shared_vgpr_count 0
		.amdhsa_exception_fp_ieee_invalid_op 0
		.amdhsa_exception_fp_denorm_src 0
		.amdhsa_exception_fp_ieee_div_zero 0
		.amdhsa_exception_fp_ieee_overflow 0
		.amdhsa_exception_fp_ieee_underflow 0
		.amdhsa_exception_fp_ieee_inexact 0
		.amdhsa_exception_int_div_zero 0
	.end_amdhsa_kernel
	.section	.text._ZN7rocprim17ROCPRIM_400000_NS6detail44device_merge_sort_compile_time_verifier_archINS1_11comp_targetILNS1_3genE9ELNS1_11target_archE1100ELNS1_3gpuE3ELNS1_3repE0EEES8_NS0_14default_configES9_NS1_37merge_sort_block_sort_config_selectorIN6thrust23THRUST_200600_302600_NS4pairIiiEENS0_10empty_typeEEENS1_38merge_sort_block_merge_config_selectorISE_SF_EEEEvv,"axG",@progbits,_ZN7rocprim17ROCPRIM_400000_NS6detail44device_merge_sort_compile_time_verifier_archINS1_11comp_targetILNS1_3genE9ELNS1_11target_archE1100ELNS1_3gpuE3ELNS1_3repE0EEES8_NS0_14default_configES9_NS1_37merge_sort_block_sort_config_selectorIN6thrust23THRUST_200600_302600_NS4pairIiiEENS0_10empty_typeEEENS1_38merge_sort_block_merge_config_selectorISE_SF_EEEEvv,comdat
.Lfunc_end622:
	.size	_ZN7rocprim17ROCPRIM_400000_NS6detail44device_merge_sort_compile_time_verifier_archINS1_11comp_targetILNS1_3genE9ELNS1_11target_archE1100ELNS1_3gpuE3ELNS1_3repE0EEES8_NS0_14default_configES9_NS1_37merge_sort_block_sort_config_selectorIN6thrust23THRUST_200600_302600_NS4pairIiiEENS0_10empty_typeEEENS1_38merge_sort_block_merge_config_selectorISE_SF_EEEEvv, .Lfunc_end622-_ZN7rocprim17ROCPRIM_400000_NS6detail44device_merge_sort_compile_time_verifier_archINS1_11comp_targetILNS1_3genE9ELNS1_11target_archE1100ELNS1_3gpuE3ELNS1_3repE0EEES8_NS0_14default_configES9_NS1_37merge_sort_block_sort_config_selectorIN6thrust23THRUST_200600_302600_NS4pairIiiEENS0_10empty_typeEEENS1_38merge_sort_block_merge_config_selectorISE_SF_EEEEvv
                                        ; -- End function
	.set _ZN7rocprim17ROCPRIM_400000_NS6detail44device_merge_sort_compile_time_verifier_archINS1_11comp_targetILNS1_3genE9ELNS1_11target_archE1100ELNS1_3gpuE3ELNS1_3repE0EEES8_NS0_14default_configES9_NS1_37merge_sort_block_sort_config_selectorIN6thrust23THRUST_200600_302600_NS4pairIiiEENS0_10empty_typeEEENS1_38merge_sort_block_merge_config_selectorISE_SF_EEEEvv.num_vgpr, 0
	.set _ZN7rocprim17ROCPRIM_400000_NS6detail44device_merge_sort_compile_time_verifier_archINS1_11comp_targetILNS1_3genE9ELNS1_11target_archE1100ELNS1_3gpuE3ELNS1_3repE0EEES8_NS0_14default_configES9_NS1_37merge_sort_block_sort_config_selectorIN6thrust23THRUST_200600_302600_NS4pairIiiEENS0_10empty_typeEEENS1_38merge_sort_block_merge_config_selectorISE_SF_EEEEvv.num_agpr, 0
	.set _ZN7rocprim17ROCPRIM_400000_NS6detail44device_merge_sort_compile_time_verifier_archINS1_11comp_targetILNS1_3genE9ELNS1_11target_archE1100ELNS1_3gpuE3ELNS1_3repE0EEES8_NS0_14default_configES9_NS1_37merge_sort_block_sort_config_selectorIN6thrust23THRUST_200600_302600_NS4pairIiiEENS0_10empty_typeEEENS1_38merge_sort_block_merge_config_selectorISE_SF_EEEEvv.numbered_sgpr, 0
	.set _ZN7rocprim17ROCPRIM_400000_NS6detail44device_merge_sort_compile_time_verifier_archINS1_11comp_targetILNS1_3genE9ELNS1_11target_archE1100ELNS1_3gpuE3ELNS1_3repE0EEES8_NS0_14default_configES9_NS1_37merge_sort_block_sort_config_selectorIN6thrust23THRUST_200600_302600_NS4pairIiiEENS0_10empty_typeEEENS1_38merge_sort_block_merge_config_selectorISE_SF_EEEEvv.num_named_barrier, 0
	.set _ZN7rocprim17ROCPRIM_400000_NS6detail44device_merge_sort_compile_time_verifier_archINS1_11comp_targetILNS1_3genE9ELNS1_11target_archE1100ELNS1_3gpuE3ELNS1_3repE0EEES8_NS0_14default_configES9_NS1_37merge_sort_block_sort_config_selectorIN6thrust23THRUST_200600_302600_NS4pairIiiEENS0_10empty_typeEEENS1_38merge_sort_block_merge_config_selectorISE_SF_EEEEvv.private_seg_size, 0
	.set _ZN7rocprim17ROCPRIM_400000_NS6detail44device_merge_sort_compile_time_verifier_archINS1_11comp_targetILNS1_3genE9ELNS1_11target_archE1100ELNS1_3gpuE3ELNS1_3repE0EEES8_NS0_14default_configES9_NS1_37merge_sort_block_sort_config_selectorIN6thrust23THRUST_200600_302600_NS4pairIiiEENS0_10empty_typeEEENS1_38merge_sort_block_merge_config_selectorISE_SF_EEEEvv.uses_vcc, 0
	.set _ZN7rocprim17ROCPRIM_400000_NS6detail44device_merge_sort_compile_time_verifier_archINS1_11comp_targetILNS1_3genE9ELNS1_11target_archE1100ELNS1_3gpuE3ELNS1_3repE0EEES8_NS0_14default_configES9_NS1_37merge_sort_block_sort_config_selectorIN6thrust23THRUST_200600_302600_NS4pairIiiEENS0_10empty_typeEEENS1_38merge_sort_block_merge_config_selectorISE_SF_EEEEvv.uses_flat_scratch, 0
	.set _ZN7rocprim17ROCPRIM_400000_NS6detail44device_merge_sort_compile_time_verifier_archINS1_11comp_targetILNS1_3genE9ELNS1_11target_archE1100ELNS1_3gpuE3ELNS1_3repE0EEES8_NS0_14default_configES9_NS1_37merge_sort_block_sort_config_selectorIN6thrust23THRUST_200600_302600_NS4pairIiiEENS0_10empty_typeEEENS1_38merge_sort_block_merge_config_selectorISE_SF_EEEEvv.has_dyn_sized_stack, 0
	.set _ZN7rocprim17ROCPRIM_400000_NS6detail44device_merge_sort_compile_time_verifier_archINS1_11comp_targetILNS1_3genE9ELNS1_11target_archE1100ELNS1_3gpuE3ELNS1_3repE0EEES8_NS0_14default_configES9_NS1_37merge_sort_block_sort_config_selectorIN6thrust23THRUST_200600_302600_NS4pairIiiEENS0_10empty_typeEEENS1_38merge_sort_block_merge_config_selectorISE_SF_EEEEvv.has_recursion, 0
	.set _ZN7rocprim17ROCPRIM_400000_NS6detail44device_merge_sort_compile_time_verifier_archINS1_11comp_targetILNS1_3genE9ELNS1_11target_archE1100ELNS1_3gpuE3ELNS1_3repE0EEES8_NS0_14default_configES9_NS1_37merge_sort_block_sort_config_selectorIN6thrust23THRUST_200600_302600_NS4pairIiiEENS0_10empty_typeEEENS1_38merge_sort_block_merge_config_selectorISE_SF_EEEEvv.has_indirect_call, 0
	.section	.AMDGPU.csdata,"",@progbits
; Kernel info:
; codeLenInByte = 4
; TotalNumSgprs: 0
; NumVgprs: 0
; ScratchSize: 0
; MemoryBound: 0
; FloatMode: 240
; IeeeMode: 1
; LDSByteSize: 0 bytes/workgroup (compile time only)
; SGPRBlocks: 0
; VGPRBlocks: 0
; NumSGPRsForWavesPerEU: 1
; NumVGPRsForWavesPerEU: 1
; Occupancy: 16
; WaveLimiterHint : 0
; COMPUTE_PGM_RSRC2:SCRATCH_EN: 0
; COMPUTE_PGM_RSRC2:USER_SGPR: 4
; COMPUTE_PGM_RSRC2:TRAP_HANDLER: 0
; COMPUTE_PGM_RSRC2:TGID_X_EN: 1
; COMPUTE_PGM_RSRC2:TGID_Y_EN: 0
; COMPUTE_PGM_RSRC2:TGID_Z_EN: 0
; COMPUTE_PGM_RSRC2:TIDIG_COMP_CNT: 0
	.section	.text._ZN7rocprim17ROCPRIM_400000_NS6detail44device_merge_sort_compile_time_verifier_archINS1_11comp_targetILNS1_3genE8ELNS1_11target_archE1030ELNS1_3gpuE2ELNS1_3repE0EEES8_NS0_14default_configES9_NS1_37merge_sort_block_sort_config_selectorIN6thrust23THRUST_200600_302600_NS4pairIiiEENS0_10empty_typeEEENS1_38merge_sort_block_merge_config_selectorISE_SF_EEEEvv,"axG",@progbits,_ZN7rocprim17ROCPRIM_400000_NS6detail44device_merge_sort_compile_time_verifier_archINS1_11comp_targetILNS1_3genE8ELNS1_11target_archE1030ELNS1_3gpuE2ELNS1_3repE0EEES8_NS0_14default_configES9_NS1_37merge_sort_block_sort_config_selectorIN6thrust23THRUST_200600_302600_NS4pairIiiEENS0_10empty_typeEEENS1_38merge_sort_block_merge_config_selectorISE_SF_EEEEvv,comdat
	.protected	_ZN7rocprim17ROCPRIM_400000_NS6detail44device_merge_sort_compile_time_verifier_archINS1_11comp_targetILNS1_3genE8ELNS1_11target_archE1030ELNS1_3gpuE2ELNS1_3repE0EEES8_NS0_14default_configES9_NS1_37merge_sort_block_sort_config_selectorIN6thrust23THRUST_200600_302600_NS4pairIiiEENS0_10empty_typeEEENS1_38merge_sort_block_merge_config_selectorISE_SF_EEEEvv ; -- Begin function _ZN7rocprim17ROCPRIM_400000_NS6detail44device_merge_sort_compile_time_verifier_archINS1_11comp_targetILNS1_3genE8ELNS1_11target_archE1030ELNS1_3gpuE2ELNS1_3repE0EEES8_NS0_14default_configES9_NS1_37merge_sort_block_sort_config_selectorIN6thrust23THRUST_200600_302600_NS4pairIiiEENS0_10empty_typeEEENS1_38merge_sort_block_merge_config_selectorISE_SF_EEEEvv
	.globl	_ZN7rocprim17ROCPRIM_400000_NS6detail44device_merge_sort_compile_time_verifier_archINS1_11comp_targetILNS1_3genE8ELNS1_11target_archE1030ELNS1_3gpuE2ELNS1_3repE0EEES8_NS0_14default_configES9_NS1_37merge_sort_block_sort_config_selectorIN6thrust23THRUST_200600_302600_NS4pairIiiEENS0_10empty_typeEEENS1_38merge_sort_block_merge_config_selectorISE_SF_EEEEvv
	.p2align	8
	.type	_ZN7rocprim17ROCPRIM_400000_NS6detail44device_merge_sort_compile_time_verifier_archINS1_11comp_targetILNS1_3genE8ELNS1_11target_archE1030ELNS1_3gpuE2ELNS1_3repE0EEES8_NS0_14default_configES9_NS1_37merge_sort_block_sort_config_selectorIN6thrust23THRUST_200600_302600_NS4pairIiiEENS0_10empty_typeEEENS1_38merge_sort_block_merge_config_selectorISE_SF_EEEEvv,@function
_ZN7rocprim17ROCPRIM_400000_NS6detail44device_merge_sort_compile_time_verifier_archINS1_11comp_targetILNS1_3genE8ELNS1_11target_archE1030ELNS1_3gpuE2ELNS1_3repE0EEES8_NS0_14default_configES9_NS1_37merge_sort_block_sort_config_selectorIN6thrust23THRUST_200600_302600_NS4pairIiiEENS0_10empty_typeEEENS1_38merge_sort_block_merge_config_selectorISE_SF_EEEEvv: ; @_ZN7rocprim17ROCPRIM_400000_NS6detail44device_merge_sort_compile_time_verifier_archINS1_11comp_targetILNS1_3genE8ELNS1_11target_archE1030ELNS1_3gpuE2ELNS1_3repE0EEES8_NS0_14default_configES9_NS1_37merge_sort_block_sort_config_selectorIN6thrust23THRUST_200600_302600_NS4pairIiiEENS0_10empty_typeEEENS1_38merge_sort_block_merge_config_selectorISE_SF_EEEEvv
; %bb.0:
	s_endpgm
	.section	.rodata,"a",@progbits
	.p2align	6, 0x0
	.amdhsa_kernel _ZN7rocprim17ROCPRIM_400000_NS6detail44device_merge_sort_compile_time_verifier_archINS1_11comp_targetILNS1_3genE8ELNS1_11target_archE1030ELNS1_3gpuE2ELNS1_3repE0EEES8_NS0_14default_configES9_NS1_37merge_sort_block_sort_config_selectorIN6thrust23THRUST_200600_302600_NS4pairIiiEENS0_10empty_typeEEENS1_38merge_sort_block_merge_config_selectorISE_SF_EEEEvv
		.amdhsa_group_segment_fixed_size 0
		.amdhsa_private_segment_fixed_size 0
		.amdhsa_kernarg_size 0
		.amdhsa_user_sgpr_count 4
		.amdhsa_user_sgpr_private_segment_buffer 1
		.amdhsa_user_sgpr_dispatch_ptr 0
		.amdhsa_user_sgpr_queue_ptr 0
		.amdhsa_user_sgpr_kernarg_segment_ptr 0
		.amdhsa_user_sgpr_dispatch_id 0
		.amdhsa_user_sgpr_flat_scratch_init 0
		.amdhsa_user_sgpr_private_segment_size 0
		.amdhsa_wavefront_size32 1
		.amdhsa_uses_dynamic_stack 0
		.amdhsa_system_sgpr_private_segment_wavefront_offset 0
		.amdhsa_system_sgpr_workgroup_id_x 1
		.amdhsa_system_sgpr_workgroup_id_y 0
		.amdhsa_system_sgpr_workgroup_id_z 0
		.amdhsa_system_sgpr_workgroup_info 0
		.amdhsa_system_vgpr_workitem_id 0
		.amdhsa_next_free_vgpr 1
		.amdhsa_next_free_sgpr 1
		.amdhsa_reserve_vcc 0
		.amdhsa_reserve_flat_scratch 0
		.amdhsa_float_round_mode_32 0
		.amdhsa_float_round_mode_16_64 0
		.amdhsa_float_denorm_mode_32 3
		.amdhsa_float_denorm_mode_16_64 3
		.amdhsa_dx10_clamp 1
		.amdhsa_ieee_mode 1
		.amdhsa_fp16_overflow 0
		.amdhsa_workgroup_processor_mode 1
		.amdhsa_memory_ordered 1
		.amdhsa_forward_progress 1
		.amdhsa_shared_vgpr_count 0
		.amdhsa_exception_fp_ieee_invalid_op 0
		.amdhsa_exception_fp_denorm_src 0
		.amdhsa_exception_fp_ieee_div_zero 0
		.amdhsa_exception_fp_ieee_overflow 0
		.amdhsa_exception_fp_ieee_underflow 0
		.amdhsa_exception_fp_ieee_inexact 0
		.amdhsa_exception_int_div_zero 0
	.end_amdhsa_kernel
	.section	.text._ZN7rocprim17ROCPRIM_400000_NS6detail44device_merge_sort_compile_time_verifier_archINS1_11comp_targetILNS1_3genE8ELNS1_11target_archE1030ELNS1_3gpuE2ELNS1_3repE0EEES8_NS0_14default_configES9_NS1_37merge_sort_block_sort_config_selectorIN6thrust23THRUST_200600_302600_NS4pairIiiEENS0_10empty_typeEEENS1_38merge_sort_block_merge_config_selectorISE_SF_EEEEvv,"axG",@progbits,_ZN7rocprim17ROCPRIM_400000_NS6detail44device_merge_sort_compile_time_verifier_archINS1_11comp_targetILNS1_3genE8ELNS1_11target_archE1030ELNS1_3gpuE2ELNS1_3repE0EEES8_NS0_14default_configES9_NS1_37merge_sort_block_sort_config_selectorIN6thrust23THRUST_200600_302600_NS4pairIiiEENS0_10empty_typeEEENS1_38merge_sort_block_merge_config_selectorISE_SF_EEEEvv,comdat
.Lfunc_end623:
	.size	_ZN7rocprim17ROCPRIM_400000_NS6detail44device_merge_sort_compile_time_verifier_archINS1_11comp_targetILNS1_3genE8ELNS1_11target_archE1030ELNS1_3gpuE2ELNS1_3repE0EEES8_NS0_14default_configES9_NS1_37merge_sort_block_sort_config_selectorIN6thrust23THRUST_200600_302600_NS4pairIiiEENS0_10empty_typeEEENS1_38merge_sort_block_merge_config_selectorISE_SF_EEEEvv, .Lfunc_end623-_ZN7rocprim17ROCPRIM_400000_NS6detail44device_merge_sort_compile_time_verifier_archINS1_11comp_targetILNS1_3genE8ELNS1_11target_archE1030ELNS1_3gpuE2ELNS1_3repE0EEES8_NS0_14default_configES9_NS1_37merge_sort_block_sort_config_selectorIN6thrust23THRUST_200600_302600_NS4pairIiiEENS0_10empty_typeEEENS1_38merge_sort_block_merge_config_selectorISE_SF_EEEEvv
                                        ; -- End function
	.set _ZN7rocprim17ROCPRIM_400000_NS6detail44device_merge_sort_compile_time_verifier_archINS1_11comp_targetILNS1_3genE8ELNS1_11target_archE1030ELNS1_3gpuE2ELNS1_3repE0EEES8_NS0_14default_configES9_NS1_37merge_sort_block_sort_config_selectorIN6thrust23THRUST_200600_302600_NS4pairIiiEENS0_10empty_typeEEENS1_38merge_sort_block_merge_config_selectorISE_SF_EEEEvv.num_vgpr, 0
	.set _ZN7rocprim17ROCPRIM_400000_NS6detail44device_merge_sort_compile_time_verifier_archINS1_11comp_targetILNS1_3genE8ELNS1_11target_archE1030ELNS1_3gpuE2ELNS1_3repE0EEES8_NS0_14default_configES9_NS1_37merge_sort_block_sort_config_selectorIN6thrust23THRUST_200600_302600_NS4pairIiiEENS0_10empty_typeEEENS1_38merge_sort_block_merge_config_selectorISE_SF_EEEEvv.num_agpr, 0
	.set _ZN7rocprim17ROCPRIM_400000_NS6detail44device_merge_sort_compile_time_verifier_archINS1_11comp_targetILNS1_3genE8ELNS1_11target_archE1030ELNS1_3gpuE2ELNS1_3repE0EEES8_NS0_14default_configES9_NS1_37merge_sort_block_sort_config_selectorIN6thrust23THRUST_200600_302600_NS4pairIiiEENS0_10empty_typeEEENS1_38merge_sort_block_merge_config_selectorISE_SF_EEEEvv.numbered_sgpr, 0
	.set _ZN7rocprim17ROCPRIM_400000_NS6detail44device_merge_sort_compile_time_verifier_archINS1_11comp_targetILNS1_3genE8ELNS1_11target_archE1030ELNS1_3gpuE2ELNS1_3repE0EEES8_NS0_14default_configES9_NS1_37merge_sort_block_sort_config_selectorIN6thrust23THRUST_200600_302600_NS4pairIiiEENS0_10empty_typeEEENS1_38merge_sort_block_merge_config_selectorISE_SF_EEEEvv.num_named_barrier, 0
	.set _ZN7rocprim17ROCPRIM_400000_NS6detail44device_merge_sort_compile_time_verifier_archINS1_11comp_targetILNS1_3genE8ELNS1_11target_archE1030ELNS1_3gpuE2ELNS1_3repE0EEES8_NS0_14default_configES9_NS1_37merge_sort_block_sort_config_selectorIN6thrust23THRUST_200600_302600_NS4pairIiiEENS0_10empty_typeEEENS1_38merge_sort_block_merge_config_selectorISE_SF_EEEEvv.private_seg_size, 0
	.set _ZN7rocprim17ROCPRIM_400000_NS6detail44device_merge_sort_compile_time_verifier_archINS1_11comp_targetILNS1_3genE8ELNS1_11target_archE1030ELNS1_3gpuE2ELNS1_3repE0EEES8_NS0_14default_configES9_NS1_37merge_sort_block_sort_config_selectorIN6thrust23THRUST_200600_302600_NS4pairIiiEENS0_10empty_typeEEENS1_38merge_sort_block_merge_config_selectorISE_SF_EEEEvv.uses_vcc, 0
	.set _ZN7rocprim17ROCPRIM_400000_NS6detail44device_merge_sort_compile_time_verifier_archINS1_11comp_targetILNS1_3genE8ELNS1_11target_archE1030ELNS1_3gpuE2ELNS1_3repE0EEES8_NS0_14default_configES9_NS1_37merge_sort_block_sort_config_selectorIN6thrust23THRUST_200600_302600_NS4pairIiiEENS0_10empty_typeEEENS1_38merge_sort_block_merge_config_selectorISE_SF_EEEEvv.uses_flat_scratch, 0
	.set _ZN7rocprim17ROCPRIM_400000_NS6detail44device_merge_sort_compile_time_verifier_archINS1_11comp_targetILNS1_3genE8ELNS1_11target_archE1030ELNS1_3gpuE2ELNS1_3repE0EEES8_NS0_14default_configES9_NS1_37merge_sort_block_sort_config_selectorIN6thrust23THRUST_200600_302600_NS4pairIiiEENS0_10empty_typeEEENS1_38merge_sort_block_merge_config_selectorISE_SF_EEEEvv.has_dyn_sized_stack, 0
	.set _ZN7rocprim17ROCPRIM_400000_NS6detail44device_merge_sort_compile_time_verifier_archINS1_11comp_targetILNS1_3genE8ELNS1_11target_archE1030ELNS1_3gpuE2ELNS1_3repE0EEES8_NS0_14default_configES9_NS1_37merge_sort_block_sort_config_selectorIN6thrust23THRUST_200600_302600_NS4pairIiiEENS0_10empty_typeEEENS1_38merge_sort_block_merge_config_selectorISE_SF_EEEEvv.has_recursion, 0
	.set _ZN7rocprim17ROCPRIM_400000_NS6detail44device_merge_sort_compile_time_verifier_archINS1_11comp_targetILNS1_3genE8ELNS1_11target_archE1030ELNS1_3gpuE2ELNS1_3repE0EEES8_NS0_14default_configES9_NS1_37merge_sort_block_sort_config_selectorIN6thrust23THRUST_200600_302600_NS4pairIiiEENS0_10empty_typeEEENS1_38merge_sort_block_merge_config_selectorISE_SF_EEEEvv.has_indirect_call, 0
	.section	.AMDGPU.csdata,"",@progbits
; Kernel info:
; codeLenInByte = 4
; TotalNumSgprs: 0
; NumVgprs: 0
; ScratchSize: 0
; MemoryBound: 0
; FloatMode: 240
; IeeeMode: 1
; LDSByteSize: 0 bytes/workgroup (compile time only)
; SGPRBlocks: 0
; VGPRBlocks: 0
; NumSGPRsForWavesPerEU: 1
; NumVGPRsForWavesPerEU: 1
; Occupancy: 16
; WaveLimiterHint : 0
; COMPUTE_PGM_RSRC2:SCRATCH_EN: 0
; COMPUTE_PGM_RSRC2:USER_SGPR: 4
; COMPUTE_PGM_RSRC2:TRAP_HANDLER: 0
; COMPUTE_PGM_RSRC2:TGID_X_EN: 1
; COMPUTE_PGM_RSRC2:TGID_Y_EN: 0
; COMPUTE_PGM_RSRC2:TGID_Z_EN: 0
; COMPUTE_PGM_RSRC2:TIDIG_COMP_CNT: 0
	.section	.text._ZN7rocprim17ROCPRIM_400000_NS6detail17trampoline_kernelINS0_14default_configENS1_37merge_sort_block_sort_config_selectorIN6thrust23THRUST_200600_302600_NS4pairIiiEENS0_10empty_typeEEEZNS1_21merge_sort_block_sortIS3_NS6_6detail15normal_iteratorINS6_10device_ptrIS8_EEEESG_PS9_SH_NS6_4lessIS8_EEEE10hipError_tT0_T1_T2_T3_mRjT4_P12ihipStream_tbNS1_7vsmem_tEEUlT_E_NS1_11comp_targetILNS1_3genE0ELNS1_11target_archE4294967295ELNS1_3gpuE0ELNS1_3repE0EEENS1_30default_config_static_selectorELNS0_4arch9wavefront6targetE0EEEvSM_,"axG",@progbits,_ZN7rocprim17ROCPRIM_400000_NS6detail17trampoline_kernelINS0_14default_configENS1_37merge_sort_block_sort_config_selectorIN6thrust23THRUST_200600_302600_NS4pairIiiEENS0_10empty_typeEEEZNS1_21merge_sort_block_sortIS3_NS6_6detail15normal_iteratorINS6_10device_ptrIS8_EEEESG_PS9_SH_NS6_4lessIS8_EEEE10hipError_tT0_T1_T2_T3_mRjT4_P12ihipStream_tbNS1_7vsmem_tEEUlT_E_NS1_11comp_targetILNS1_3genE0ELNS1_11target_archE4294967295ELNS1_3gpuE0ELNS1_3repE0EEENS1_30default_config_static_selectorELNS0_4arch9wavefront6targetE0EEEvSM_,comdat
	.protected	_ZN7rocprim17ROCPRIM_400000_NS6detail17trampoline_kernelINS0_14default_configENS1_37merge_sort_block_sort_config_selectorIN6thrust23THRUST_200600_302600_NS4pairIiiEENS0_10empty_typeEEEZNS1_21merge_sort_block_sortIS3_NS6_6detail15normal_iteratorINS6_10device_ptrIS8_EEEESG_PS9_SH_NS6_4lessIS8_EEEE10hipError_tT0_T1_T2_T3_mRjT4_P12ihipStream_tbNS1_7vsmem_tEEUlT_E_NS1_11comp_targetILNS1_3genE0ELNS1_11target_archE4294967295ELNS1_3gpuE0ELNS1_3repE0EEENS1_30default_config_static_selectorELNS0_4arch9wavefront6targetE0EEEvSM_ ; -- Begin function _ZN7rocprim17ROCPRIM_400000_NS6detail17trampoline_kernelINS0_14default_configENS1_37merge_sort_block_sort_config_selectorIN6thrust23THRUST_200600_302600_NS4pairIiiEENS0_10empty_typeEEEZNS1_21merge_sort_block_sortIS3_NS6_6detail15normal_iteratorINS6_10device_ptrIS8_EEEESG_PS9_SH_NS6_4lessIS8_EEEE10hipError_tT0_T1_T2_T3_mRjT4_P12ihipStream_tbNS1_7vsmem_tEEUlT_E_NS1_11comp_targetILNS1_3genE0ELNS1_11target_archE4294967295ELNS1_3gpuE0ELNS1_3repE0EEENS1_30default_config_static_selectorELNS0_4arch9wavefront6targetE0EEEvSM_
	.globl	_ZN7rocprim17ROCPRIM_400000_NS6detail17trampoline_kernelINS0_14default_configENS1_37merge_sort_block_sort_config_selectorIN6thrust23THRUST_200600_302600_NS4pairIiiEENS0_10empty_typeEEEZNS1_21merge_sort_block_sortIS3_NS6_6detail15normal_iteratorINS6_10device_ptrIS8_EEEESG_PS9_SH_NS6_4lessIS8_EEEE10hipError_tT0_T1_T2_T3_mRjT4_P12ihipStream_tbNS1_7vsmem_tEEUlT_E_NS1_11comp_targetILNS1_3genE0ELNS1_11target_archE4294967295ELNS1_3gpuE0ELNS1_3repE0EEENS1_30default_config_static_selectorELNS0_4arch9wavefront6targetE0EEEvSM_
	.p2align	8
	.type	_ZN7rocprim17ROCPRIM_400000_NS6detail17trampoline_kernelINS0_14default_configENS1_37merge_sort_block_sort_config_selectorIN6thrust23THRUST_200600_302600_NS4pairIiiEENS0_10empty_typeEEEZNS1_21merge_sort_block_sortIS3_NS6_6detail15normal_iteratorINS6_10device_ptrIS8_EEEESG_PS9_SH_NS6_4lessIS8_EEEE10hipError_tT0_T1_T2_T3_mRjT4_P12ihipStream_tbNS1_7vsmem_tEEUlT_E_NS1_11comp_targetILNS1_3genE0ELNS1_11target_archE4294967295ELNS1_3gpuE0ELNS1_3repE0EEENS1_30default_config_static_selectorELNS0_4arch9wavefront6targetE0EEEvSM_,@function
_ZN7rocprim17ROCPRIM_400000_NS6detail17trampoline_kernelINS0_14default_configENS1_37merge_sort_block_sort_config_selectorIN6thrust23THRUST_200600_302600_NS4pairIiiEENS0_10empty_typeEEEZNS1_21merge_sort_block_sortIS3_NS6_6detail15normal_iteratorINS6_10device_ptrIS8_EEEESG_PS9_SH_NS6_4lessIS8_EEEE10hipError_tT0_T1_T2_T3_mRjT4_P12ihipStream_tbNS1_7vsmem_tEEUlT_E_NS1_11comp_targetILNS1_3genE0ELNS1_11target_archE4294967295ELNS1_3gpuE0ELNS1_3repE0EEENS1_30default_config_static_selectorELNS0_4arch9wavefront6targetE0EEEvSM_: ; @_ZN7rocprim17ROCPRIM_400000_NS6detail17trampoline_kernelINS0_14default_configENS1_37merge_sort_block_sort_config_selectorIN6thrust23THRUST_200600_302600_NS4pairIiiEENS0_10empty_typeEEEZNS1_21merge_sort_block_sortIS3_NS6_6detail15normal_iteratorINS6_10device_ptrIS8_EEEESG_PS9_SH_NS6_4lessIS8_EEEE10hipError_tT0_T1_T2_T3_mRjT4_P12ihipStream_tbNS1_7vsmem_tEEUlT_E_NS1_11comp_targetILNS1_3genE0ELNS1_11target_archE4294967295ELNS1_3gpuE0ELNS1_3repE0EEENS1_30default_config_static_selectorELNS0_4arch9wavefront6targetE0EEEvSM_
; %bb.0:
	.section	.rodata,"a",@progbits
	.p2align	6, 0x0
	.amdhsa_kernel _ZN7rocprim17ROCPRIM_400000_NS6detail17trampoline_kernelINS0_14default_configENS1_37merge_sort_block_sort_config_selectorIN6thrust23THRUST_200600_302600_NS4pairIiiEENS0_10empty_typeEEEZNS1_21merge_sort_block_sortIS3_NS6_6detail15normal_iteratorINS6_10device_ptrIS8_EEEESG_PS9_SH_NS6_4lessIS8_EEEE10hipError_tT0_T1_T2_T3_mRjT4_P12ihipStream_tbNS1_7vsmem_tEEUlT_E_NS1_11comp_targetILNS1_3genE0ELNS1_11target_archE4294967295ELNS1_3gpuE0ELNS1_3repE0EEENS1_30default_config_static_selectorELNS0_4arch9wavefront6targetE0EEEvSM_
		.amdhsa_group_segment_fixed_size 0
		.amdhsa_private_segment_fixed_size 0
		.amdhsa_kernarg_size 64
		.amdhsa_user_sgpr_count 6
		.amdhsa_user_sgpr_private_segment_buffer 1
		.amdhsa_user_sgpr_dispatch_ptr 0
		.amdhsa_user_sgpr_queue_ptr 0
		.amdhsa_user_sgpr_kernarg_segment_ptr 1
		.amdhsa_user_sgpr_dispatch_id 0
		.amdhsa_user_sgpr_flat_scratch_init 0
		.amdhsa_user_sgpr_private_segment_size 0
		.amdhsa_wavefront_size32 1
		.amdhsa_uses_dynamic_stack 0
		.amdhsa_system_sgpr_private_segment_wavefront_offset 0
		.amdhsa_system_sgpr_workgroup_id_x 1
		.amdhsa_system_sgpr_workgroup_id_y 0
		.amdhsa_system_sgpr_workgroup_id_z 0
		.amdhsa_system_sgpr_workgroup_info 0
		.amdhsa_system_vgpr_workitem_id 0
		.amdhsa_next_free_vgpr 1
		.amdhsa_next_free_sgpr 1
		.amdhsa_reserve_vcc 0
		.amdhsa_reserve_flat_scratch 0
		.amdhsa_float_round_mode_32 0
		.amdhsa_float_round_mode_16_64 0
		.amdhsa_float_denorm_mode_32 3
		.amdhsa_float_denorm_mode_16_64 3
		.amdhsa_dx10_clamp 1
		.amdhsa_ieee_mode 1
		.amdhsa_fp16_overflow 0
		.amdhsa_workgroup_processor_mode 1
		.amdhsa_memory_ordered 1
		.amdhsa_forward_progress 1
		.amdhsa_shared_vgpr_count 0
		.amdhsa_exception_fp_ieee_invalid_op 0
		.amdhsa_exception_fp_denorm_src 0
		.amdhsa_exception_fp_ieee_div_zero 0
		.amdhsa_exception_fp_ieee_overflow 0
		.amdhsa_exception_fp_ieee_underflow 0
		.amdhsa_exception_fp_ieee_inexact 0
		.amdhsa_exception_int_div_zero 0
	.end_amdhsa_kernel
	.section	.text._ZN7rocprim17ROCPRIM_400000_NS6detail17trampoline_kernelINS0_14default_configENS1_37merge_sort_block_sort_config_selectorIN6thrust23THRUST_200600_302600_NS4pairIiiEENS0_10empty_typeEEEZNS1_21merge_sort_block_sortIS3_NS6_6detail15normal_iteratorINS6_10device_ptrIS8_EEEESG_PS9_SH_NS6_4lessIS8_EEEE10hipError_tT0_T1_T2_T3_mRjT4_P12ihipStream_tbNS1_7vsmem_tEEUlT_E_NS1_11comp_targetILNS1_3genE0ELNS1_11target_archE4294967295ELNS1_3gpuE0ELNS1_3repE0EEENS1_30default_config_static_selectorELNS0_4arch9wavefront6targetE0EEEvSM_,"axG",@progbits,_ZN7rocprim17ROCPRIM_400000_NS6detail17trampoline_kernelINS0_14default_configENS1_37merge_sort_block_sort_config_selectorIN6thrust23THRUST_200600_302600_NS4pairIiiEENS0_10empty_typeEEEZNS1_21merge_sort_block_sortIS3_NS6_6detail15normal_iteratorINS6_10device_ptrIS8_EEEESG_PS9_SH_NS6_4lessIS8_EEEE10hipError_tT0_T1_T2_T3_mRjT4_P12ihipStream_tbNS1_7vsmem_tEEUlT_E_NS1_11comp_targetILNS1_3genE0ELNS1_11target_archE4294967295ELNS1_3gpuE0ELNS1_3repE0EEENS1_30default_config_static_selectorELNS0_4arch9wavefront6targetE0EEEvSM_,comdat
.Lfunc_end624:
	.size	_ZN7rocprim17ROCPRIM_400000_NS6detail17trampoline_kernelINS0_14default_configENS1_37merge_sort_block_sort_config_selectorIN6thrust23THRUST_200600_302600_NS4pairIiiEENS0_10empty_typeEEEZNS1_21merge_sort_block_sortIS3_NS6_6detail15normal_iteratorINS6_10device_ptrIS8_EEEESG_PS9_SH_NS6_4lessIS8_EEEE10hipError_tT0_T1_T2_T3_mRjT4_P12ihipStream_tbNS1_7vsmem_tEEUlT_E_NS1_11comp_targetILNS1_3genE0ELNS1_11target_archE4294967295ELNS1_3gpuE0ELNS1_3repE0EEENS1_30default_config_static_selectorELNS0_4arch9wavefront6targetE0EEEvSM_, .Lfunc_end624-_ZN7rocprim17ROCPRIM_400000_NS6detail17trampoline_kernelINS0_14default_configENS1_37merge_sort_block_sort_config_selectorIN6thrust23THRUST_200600_302600_NS4pairIiiEENS0_10empty_typeEEEZNS1_21merge_sort_block_sortIS3_NS6_6detail15normal_iteratorINS6_10device_ptrIS8_EEEESG_PS9_SH_NS6_4lessIS8_EEEE10hipError_tT0_T1_T2_T3_mRjT4_P12ihipStream_tbNS1_7vsmem_tEEUlT_E_NS1_11comp_targetILNS1_3genE0ELNS1_11target_archE4294967295ELNS1_3gpuE0ELNS1_3repE0EEENS1_30default_config_static_selectorELNS0_4arch9wavefront6targetE0EEEvSM_
                                        ; -- End function
	.set _ZN7rocprim17ROCPRIM_400000_NS6detail17trampoline_kernelINS0_14default_configENS1_37merge_sort_block_sort_config_selectorIN6thrust23THRUST_200600_302600_NS4pairIiiEENS0_10empty_typeEEEZNS1_21merge_sort_block_sortIS3_NS6_6detail15normal_iteratorINS6_10device_ptrIS8_EEEESG_PS9_SH_NS6_4lessIS8_EEEE10hipError_tT0_T1_T2_T3_mRjT4_P12ihipStream_tbNS1_7vsmem_tEEUlT_E_NS1_11comp_targetILNS1_3genE0ELNS1_11target_archE4294967295ELNS1_3gpuE0ELNS1_3repE0EEENS1_30default_config_static_selectorELNS0_4arch9wavefront6targetE0EEEvSM_.num_vgpr, 0
	.set _ZN7rocprim17ROCPRIM_400000_NS6detail17trampoline_kernelINS0_14default_configENS1_37merge_sort_block_sort_config_selectorIN6thrust23THRUST_200600_302600_NS4pairIiiEENS0_10empty_typeEEEZNS1_21merge_sort_block_sortIS3_NS6_6detail15normal_iteratorINS6_10device_ptrIS8_EEEESG_PS9_SH_NS6_4lessIS8_EEEE10hipError_tT0_T1_T2_T3_mRjT4_P12ihipStream_tbNS1_7vsmem_tEEUlT_E_NS1_11comp_targetILNS1_3genE0ELNS1_11target_archE4294967295ELNS1_3gpuE0ELNS1_3repE0EEENS1_30default_config_static_selectorELNS0_4arch9wavefront6targetE0EEEvSM_.num_agpr, 0
	.set _ZN7rocprim17ROCPRIM_400000_NS6detail17trampoline_kernelINS0_14default_configENS1_37merge_sort_block_sort_config_selectorIN6thrust23THRUST_200600_302600_NS4pairIiiEENS0_10empty_typeEEEZNS1_21merge_sort_block_sortIS3_NS6_6detail15normal_iteratorINS6_10device_ptrIS8_EEEESG_PS9_SH_NS6_4lessIS8_EEEE10hipError_tT0_T1_T2_T3_mRjT4_P12ihipStream_tbNS1_7vsmem_tEEUlT_E_NS1_11comp_targetILNS1_3genE0ELNS1_11target_archE4294967295ELNS1_3gpuE0ELNS1_3repE0EEENS1_30default_config_static_selectorELNS0_4arch9wavefront6targetE0EEEvSM_.numbered_sgpr, 0
	.set _ZN7rocprim17ROCPRIM_400000_NS6detail17trampoline_kernelINS0_14default_configENS1_37merge_sort_block_sort_config_selectorIN6thrust23THRUST_200600_302600_NS4pairIiiEENS0_10empty_typeEEEZNS1_21merge_sort_block_sortIS3_NS6_6detail15normal_iteratorINS6_10device_ptrIS8_EEEESG_PS9_SH_NS6_4lessIS8_EEEE10hipError_tT0_T1_T2_T3_mRjT4_P12ihipStream_tbNS1_7vsmem_tEEUlT_E_NS1_11comp_targetILNS1_3genE0ELNS1_11target_archE4294967295ELNS1_3gpuE0ELNS1_3repE0EEENS1_30default_config_static_selectorELNS0_4arch9wavefront6targetE0EEEvSM_.num_named_barrier, 0
	.set _ZN7rocprim17ROCPRIM_400000_NS6detail17trampoline_kernelINS0_14default_configENS1_37merge_sort_block_sort_config_selectorIN6thrust23THRUST_200600_302600_NS4pairIiiEENS0_10empty_typeEEEZNS1_21merge_sort_block_sortIS3_NS6_6detail15normal_iteratorINS6_10device_ptrIS8_EEEESG_PS9_SH_NS6_4lessIS8_EEEE10hipError_tT0_T1_T2_T3_mRjT4_P12ihipStream_tbNS1_7vsmem_tEEUlT_E_NS1_11comp_targetILNS1_3genE0ELNS1_11target_archE4294967295ELNS1_3gpuE0ELNS1_3repE0EEENS1_30default_config_static_selectorELNS0_4arch9wavefront6targetE0EEEvSM_.private_seg_size, 0
	.set _ZN7rocprim17ROCPRIM_400000_NS6detail17trampoline_kernelINS0_14default_configENS1_37merge_sort_block_sort_config_selectorIN6thrust23THRUST_200600_302600_NS4pairIiiEENS0_10empty_typeEEEZNS1_21merge_sort_block_sortIS3_NS6_6detail15normal_iteratorINS6_10device_ptrIS8_EEEESG_PS9_SH_NS6_4lessIS8_EEEE10hipError_tT0_T1_T2_T3_mRjT4_P12ihipStream_tbNS1_7vsmem_tEEUlT_E_NS1_11comp_targetILNS1_3genE0ELNS1_11target_archE4294967295ELNS1_3gpuE0ELNS1_3repE0EEENS1_30default_config_static_selectorELNS0_4arch9wavefront6targetE0EEEvSM_.uses_vcc, 0
	.set _ZN7rocprim17ROCPRIM_400000_NS6detail17trampoline_kernelINS0_14default_configENS1_37merge_sort_block_sort_config_selectorIN6thrust23THRUST_200600_302600_NS4pairIiiEENS0_10empty_typeEEEZNS1_21merge_sort_block_sortIS3_NS6_6detail15normal_iteratorINS6_10device_ptrIS8_EEEESG_PS9_SH_NS6_4lessIS8_EEEE10hipError_tT0_T1_T2_T3_mRjT4_P12ihipStream_tbNS1_7vsmem_tEEUlT_E_NS1_11comp_targetILNS1_3genE0ELNS1_11target_archE4294967295ELNS1_3gpuE0ELNS1_3repE0EEENS1_30default_config_static_selectorELNS0_4arch9wavefront6targetE0EEEvSM_.uses_flat_scratch, 0
	.set _ZN7rocprim17ROCPRIM_400000_NS6detail17trampoline_kernelINS0_14default_configENS1_37merge_sort_block_sort_config_selectorIN6thrust23THRUST_200600_302600_NS4pairIiiEENS0_10empty_typeEEEZNS1_21merge_sort_block_sortIS3_NS6_6detail15normal_iteratorINS6_10device_ptrIS8_EEEESG_PS9_SH_NS6_4lessIS8_EEEE10hipError_tT0_T1_T2_T3_mRjT4_P12ihipStream_tbNS1_7vsmem_tEEUlT_E_NS1_11comp_targetILNS1_3genE0ELNS1_11target_archE4294967295ELNS1_3gpuE0ELNS1_3repE0EEENS1_30default_config_static_selectorELNS0_4arch9wavefront6targetE0EEEvSM_.has_dyn_sized_stack, 0
	.set _ZN7rocprim17ROCPRIM_400000_NS6detail17trampoline_kernelINS0_14default_configENS1_37merge_sort_block_sort_config_selectorIN6thrust23THRUST_200600_302600_NS4pairIiiEENS0_10empty_typeEEEZNS1_21merge_sort_block_sortIS3_NS6_6detail15normal_iteratorINS6_10device_ptrIS8_EEEESG_PS9_SH_NS6_4lessIS8_EEEE10hipError_tT0_T1_T2_T3_mRjT4_P12ihipStream_tbNS1_7vsmem_tEEUlT_E_NS1_11comp_targetILNS1_3genE0ELNS1_11target_archE4294967295ELNS1_3gpuE0ELNS1_3repE0EEENS1_30default_config_static_selectorELNS0_4arch9wavefront6targetE0EEEvSM_.has_recursion, 0
	.set _ZN7rocprim17ROCPRIM_400000_NS6detail17trampoline_kernelINS0_14default_configENS1_37merge_sort_block_sort_config_selectorIN6thrust23THRUST_200600_302600_NS4pairIiiEENS0_10empty_typeEEEZNS1_21merge_sort_block_sortIS3_NS6_6detail15normal_iteratorINS6_10device_ptrIS8_EEEESG_PS9_SH_NS6_4lessIS8_EEEE10hipError_tT0_T1_T2_T3_mRjT4_P12ihipStream_tbNS1_7vsmem_tEEUlT_E_NS1_11comp_targetILNS1_3genE0ELNS1_11target_archE4294967295ELNS1_3gpuE0ELNS1_3repE0EEENS1_30default_config_static_selectorELNS0_4arch9wavefront6targetE0EEEvSM_.has_indirect_call, 0
	.section	.AMDGPU.csdata,"",@progbits
; Kernel info:
; codeLenInByte = 0
; TotalNumSgprs: 0
; NumVgprs: 0
; ScratchSize: 0
; MemoryBound: 0
; FloatMode: 240
; IeeeMode: 1
; LDSByteSize: 0 bytes/workgroup (compile time only)
; SGPRBlocks: 0
; VGPRBlocks: 0
; NumSGPRsForWavesPerEU: 1
; NumVGPRsForWavesPerEU: 1
; Occupancy: 16
; WaveLimiterHint : 0
; COMPUTE_PGM_RSRC2:SCRATCH_EN: 0
; COMPUTE_PGM_RSRC2:USER_SGPR: 6
; COMPUTE_PGM_RSRC2:TRAP_HANDLER: 0
; COMPUTE_PGM_RSRC2:TGID_X_EN: 1
; COMPUTE_PGM_RSRC2:TGID_Y_EN: 0
; COMPUTE_PGM_RSRC2:TGID_Z_EN: 0
; COMPUTE_PGM_RSRC2:TIDIG_COMP_CNT: 0
	.section	.text._ZN7rocprim17ROCPRIM_400000_NS6detail17trampoline_kernelINS0_14default_configENS1_37merge_sort_block_sort_config_selectorIN6thrust23THRUST_200600_302600_NS4pairIiiEENS0_10empty_typeEEEZNS1_21merge_sort_block_sortIS3_NS6_6detail15normal_iteratorINS6_10device_ptrIS8_EEEESG_PS9_SH_NS6_4lessIS8_EEEE10hipError_tT0_T1_T2_T3_mRjT4_P12ihipStream_tbNS1_7vsmem_tEEUlT_E_NS1_11comp_targetILNS1_3genE5ELNS1_11target_archE942ELNS1_3gpuE9ELNS1_3repE0EEENS1_30default_config_static_selectorELNS0_4arch9wavefront6targetE0EEEvSM_,"axG",@progbits,_ZN7rocprim17ROCPRIM_400000_NS6detail17trampoline_kernelINS0_14default_configENS1_37merge_sort_block_sort_config_selectorIN6thrust23THRUST_200600_302600_NS4pairIiiEENS0_10empty_typeEEEZNS1_21merge_sort_block_sortIS3_NS6_6detail15normal_iteratorINS6_10device_ptrIS8_EEEESG_PS9_SH_NS6_4lessIS8_EEEE10hipError_tT0_T1_T2_T3_mRjT4_P12ihipStream_tbNS1_7vsmem_tEEUlT_E_NS1_11comp_targetILNS1_3genE5ELNS1_11target_archE942ELNS1_3gpuE9ELNS1_3repE0EEENS1_30default_config_static_selectorELNS0_4arch9wavefront6targetE0EEEvSM_,comdat
	.protected	_ZN7rocprim17ROCPRIM_400000_NS6detail17trampoline_kernelINS0_14default_configENS1_37merge_sort_block_sort_config_selectorIN6thrust23THRUST_200600_302600_NS4pairIiiEENS0_10empty_typeEEEZNS1_21merge_sort_block_sortIS3_NS6_6detail15normal_iteratorINS6_10device_ptrIS8_EEEESG_PS9_SH_NS6_4lessIS8_EEEE10hipError_tT0_T1_T2_T3_mRjT4_P12ihipStream_tbNS1_7vsmem_tEEUlT_E_NS1_11comp_targetILNS1_3genE5ELNS1_11target_archE942ELNS1_3gpuE9ELNS1_3repE0EEENS1_30default_config_static_selectorELNS0_4arch9wavefront6targetE0EEEvSM_ ; -- Begin function _ZN7rocprim17ROCPRIM_400000_NS6detail17trampoline_kernelINS0_14default_configENS1_37merge_sort_block_sort_config_selectorIN6thrust23THRUST_200600_302600_NS4pairIiiEENS0_10empty_typeEEEZNS1_21merge_sort_block_sortIS3_NS6_6detail15normal_iteratorINS6_10device_ptrIS8_EEEESG_PS9_SH_NS6_4lessIS8_EEEE10hipError_tT0_T1_T2_T3_mRjT4_P12ihipStream_tbNS1_7vsmem_tEEUlT_E_NS1_11comp_targetILNS1_3genE5ELNS1_11target_archE942ELNS1_3gpuE9ELNS1_3repE0EEENS1_30default_config_static_selectorELNS0_4arch9wavefront6targetE0EEEvSM_
	.globl	_ZN7rocprim17ROCPRIM_400000_NS6detail17trampoline_kernelINS0_14default_configENS1_37merge_sort_block_sort_config_selectorIN6thrust23THRUST_200600_302600_NS4pairIiiEENS0_10empty_typeEEEZNS1_21merge_sort_block_sortIS3_NS6_6detail15normal_iteratorINS6_10device_ptrIS8_EEEESG_PS9_SH_NS6_4lessIS8_EEEE10hipError_tT0_T1_T2_T3_mRjT4_P12ihipStream_tbNS1_7vsmem_tEEUlT_E_NS1_11comp_targetILNS1_3genE5ELNS1_11target_archE942ELNS1_3gpuE9ELNS1_3repE0EEENS1_30default_config_static_selectorELNS0_4arch9wavefront6targetE0EEEvSM_
	.p2align	8
	.type	_ZN7rocprim17ROCPRIM_400000_NS6detail17trampoline_kernelINS0_14default_configENS1_37merge_sort_block_sort_config_selectorIN6thrust23THRUST_200600_302600_NS4pairIiiEENS0_10empty_typeEEEZNS1_21merge_sort_block_sortIS3_NS6_6detail15normal_iteratorINS6_10device_ptrIS8_EEEESG_PS9_SH_NS6_4lessIS8_EEEE10hipError_tT0_T1_T2_T3_mRjT4_P12ihipStream_tbNS1_7vsmem_tEEUlT_E_NS1_11comp_targetILNS1_3genE5ELNS1_11target_archE942ELNS1_3gpuE9ELNS1_3repE0EEENS1_30default_config_static_selectorELNS0_4arch9wavefront6targetE0EEEvSM_,@function
_ZN7rocprim17ROCPRIM_400000_NS6detail17trampoline_kernelINS0_14default_configENS1_37merge_sort_block_sort_config_selectorIN6thrust23THRUST_200600_302600_NS4pairIiiEENS0_10empty_typeEEEZNS1_21merge_sort_block_sortIS3_NS6_6detail15normal_iteratorINS6_10device_ptrIS8_EEEESG_PS9_SH_NS6_4lessIS8_EEEE10hipError_tT0_T1_T2_T3_mRjT4_P12ihipStream_tbNS1_7vsmem_tEEUlT_E_NS1_11comp_targetILNS1_3genE5ELNS1_11target_archE942ELNS1_3gpuE9ELNS1_3repE0EEENS1_30default_config_static_selectorELNS0_4arch9wavefront6targetE0EEEvSM_: ; @_ZN7rocprim17ROCPRIM_400000_NS6detail17trampoline_kernelINS0_14default_configENS1_37merge_sort_block_sort_config_selectorIN6thrust23THRUST_200600_302600_NS4pairIiiEENS0_10empty_typeEEEZNS1_21merge_sort_block_sortIS3_NS6_6detail15normal_iteratorINS6_10device_ptrIS8_EEEESG_PS9_SH_NS6_4lessIS8_EEEE10hipError_tT0_T1_T2_T3_mRjT4_P12ihipStream_tbNS1_7vsmem_tEEUlT_E_NS1_11comp_targetILNS1_3genE5ELNS1_11target_archE942ELNS1_3gpuE9ELNS1_3repE0EEENS1_30default_config_static_selectorELNS0_4arch9wavefront6targetE0EEEvSM_
; %bb.0:
	.section	.rodata,"a",@progbits
	.p2align	6, 0x0
	.amdhsa_kernel _ZN7rocprim17ROCPRIM_400000_NS6detail17trampoline_kernelINS0_14default_configENS1_37merge_sort_block_sort_config_selectorIN6thrust23THRUST_200600_302600_NS4pairIiiEENS0_10empty_typeEEEZNS1_21merge_sort_block_sortIS3_NS6_6detail15normal_iteratorINS6_10device_ptrIS8_EEEESG_PS9_SH_NS6_4lessIS8_EEEE10hipError_tT0_T1_T2_T3_mRjT4_P12ihipStream_tbNS1_7vsmem_tEEUlT_E_NS1_11comp_targetILNS1_3genE5ELNS1_11target_archE942ELNS1_3gpuE9ELNS1_3repE0EEENS1_30default_config_static_selectorELNS0_4arch9wavefront6targetE0EEEvSM_
		.amdhsa_group_segment_fixed_size 0
		.amdhsa_private_segment_fixed_size 0
		.amdhsa_kernarg_size 64
		.amdhsa_user_sgpr_count 6
		.amdhsa_user_sgpr_private_segment_buffer 1
		.amdhsa_user_sgpr_dispatch_ptr 0
		.amdhsa_user_sgpr_queue_ptr 0
		.amdhsa_user_sgpr_kernarg_segment_ptr 1
		.amdhsa_user_sgpr_dispatch_id 0
		.amdhsa_user_sgpr_flat_scratch_init 0
		.amdhsa_user_sgpr_private_segment_size 0
		.amdhsa_wavefront_size32 1
		.amdhsa_uses_dynamic_stack 0
		.amdhsa_system_sgpr_private_segment_wavefront_offset 0
		.amdhsa_system_sgpr_workgroup_id_x 1
		.amdhsa_system_sgpr_workgroup_id_y 0
		.amdhsa_system_sgpr_workgroup_id_z 0
		.amdhsa_system_sgpr_workgroup_info 0
		.amdhsa_system_vgpr_workitem_id 0
		.amdhsa_next_free_vgpr 1
		.amdhsa_next_free_sgpr 1
		.amdhsa_reserve_vcc 0
		.amdhsa_reserve_flat_scratch 0
		.amdhsa_float_round_mode_32 0
		.amdhsa_float_round_mode_16_64 0
		.amdhsa_float_denorm_mode_32 3
		.amdhsa_float_denorm_mode_16_64 3
		.amdhsa_dx10_clamp 1
		.amdhsa_ieee_mode 1
		.amdhsa_fp16_overflow 0
		.amdhsa_workgroup_processor_mode 1
		.amdhsa_memory_ordered 1
		.amdhsa_forward_progress 1
		.amdhsa_shared_vgpr_count 0
		.amdhsa_exception_fp_ieee_invalid_op 0
		.amdhsa_exception_fp_denorm_src 0
		.amdhsa_exception_fp_ieee_div_zero 0
		.amdhsa_exception_fp_ieee_overflow 0
		.amdhsa_exception_fp_ieee_underflow 0
		.amdhsa_exception_fp_ieee_inexact 0
		.amdhsa_exception_int_div_zero 0
	.end_amdhsa_kernel
	.section	.text._ZN7rocprim17ROCPRIM_400000_NS6detail17trampoline_kernelINS0_14default_configENS1_37merge_sort_block_sort_config_selectorIN6thrust23THRUST_200600_302600_NS4pairIiiEENS0_10empty_typeEEEZNS1_21merge_sort_block_sortIS3_NS6_6detail15normal_iteratorINS6_10device_ptrIS8_EEEESG_PS9_SH_NS6_4lessIS8_EEEE10hipError_tT0_T1_T2_T3_mRjT4_P12ihipStream_tbNS1_7vsmem_tEEUlT_E_NS1_11comp_targetILNS1_3genE5ELNS1_11target_archE942ELNS1_3gpuE9ELNS1_3repE0EEENS1_30default_config_static_selectorELNS0_4arch9wavefront6targetE0EEEvSM_,"axG",@progbits,_ZN7rocprim17ROCPRIM_400000_NS6detail17trampoline_kernelINS0_14default_configENS1_37merge_sort_block_sort_config_selectorIN6thrust23THRUST_200600_302600_NS4pairIiiEENS0_10empty_typeEEEZNS1_21merge_sort_block_sortIS3_NS6_6detail15normal_iteratorINS6_10device_ptrIS8_EEEESG_PS9_SH_NS6_4lessIS8_EEEE10hipError_tT0_T1_T2_T3_mRjT4_P12ihipStream_tbNS1_7vsmem_tEEUlT_E_NS1_11comp_targetILNS1_3genE5ELNS1_11target_archE942ELNS1_3gpuE9ELNS1_3repE0EEENS1_30default_config_static_selectorELNS0_4arch9wavefront6targetE0EEEvSM_,comdat
.Lfunc_end625:
	.size	_ZN7rocprim17ROCPRIM_400000_NS6detail17trampoline_kernelINS0_14default_configENS1_37merge_sort_block_sort_config_selectorIN6thrust23THRUST_200600_302600_NS4pairIiiEENS0_10empty_typeEEEZNS1_21merge_sort_block_sortIS3_NS6_6detail15normal_iteratorINS6_10device_ptrIS8_EEEESG_PS9_SH_NS6_4lessIS8_EEEE10hipError_tT0_T1_T2_T3_mRjT4_P12ihipStream_tbNS1_7vsmem_tEEUlT_E_NS1_11comp_targetILNS1_3genE5ELNS1_11target_archE942ELNS1_3gpuE9ELNS1_3repE0EEENS1_30default_config_static_selectorELNS0_4arch9wavefront6targetE0EEEvSM_, .Lfunc_end625-_ZN7rocprim17ROCPRIM_400000_NS6detail17trampoline_kernelINS0_14default_configENS1_37merge_sort_block_sort_config_selectorIN6thrust23THRUST_200600_302600_NS4pairIiiEENS0_10empty_typeEEEZNS1_21merge_sort_block_sortIS3_NS6_6detail15normal_iteratorINS6_10device_ptrIS8_EEEESG_PS9_SH_NS6_4lessIS8_EEEE10hipError_tT0_T1_T2_T3_mRjT4_P12ihipStream_tbNS1_7vsmem_tEEUlT_E_NS1_11comp_targetILNS1_3genE5ELNS1_11target_archE942ELNS1_3gpuE9ELNS1_3repE0EEENS1_30default_config_static_selectorELNS0_4arch9wavefront6targetE0EEEvSM_
                                        ; -- End function
	.set _ZN7rocprim17ROCPRIM_400000_NS6detail17trampoline_kernelINS0_14default_configENS1_37merge_sort_block_sort_config_selectorIN6thrust23THRUST_200600_302600_NS4pairIiiEENS0_10empty_typeEEEZNS1_21merge_sort_block_sortIS3_NS6_6detail15normal_iteratorINS6_10device_ptrIS8_EEEESG_PS9_SH_NS6_4lessIS8_EEEE10hipError_tT0_T1_T2_T3_mRjT4_P12ihipStream_tbNS1_7vsmem_tEEUlT_E_NS1_11comp_targetILNS1_3genE5ELNS1_11target_archE942ELNS1_3gpuE9ELNS1_3repE0EEENS1_30default_config_static_selectorELNS0_4arch9wavefront6targetE0EEEvSM_.num_vgpr, 0
	.set _ZN7rocprim17ROCPRIM_400000_NS6detail17trampoline_kernelINS0_14default_configENS1_37merge_sort_block_sort_config_selectorIN6thrust23THRUST_200600_302600_NS4pairIiiEENS0_10empty_typeEEEZNS1_21merge_sort_block_sortIS3_NS6_6detail15normal_iteratorINS6_10device_ptrIS8_EEEESG_PS9_SH_NS6_4lessIS8_EEEE10hipError_tT0_T1_T2_T3_mRjT4_P12ihipStream_tbNS1_7vsmem_tEEUlT_E_NS1_11comp_targetILNS1_3genE5ELNS1_11target_archE942ELNS1_3gpuE9ELNS1_3repE0EEENS1_30default_config_static_selectorELNS0_4arch9wavefront6targetE0EEEvSM_.num_agpr, 0
	.set _ZN7rocprim17ROCPRIM_400000_NS6detail17trampoline_kernelINS0_14default_configENS1_37merge_sort_block_sort_config_selectorIN6thrust23THRUST_200600_302600_NS4pairIiiEENS0_10empty_typeEEEZNS1_21merge_sort_block_sortIS3_NS6_6detail15normal_iteratorINS6_10device_ptrIS8_EEEESG_PS9_SH_NS6_4lessIS8_EEEE10hipError_tT0_T1_T2_T3_mRjT4_P12ihipStream_tbNS1_7vsmem_tEEUlT_E_NS1_11comp_targetILNS1_3genE5ELNS1_11target_archE942ELNS1_3gpuE9ELNS1_3repE0EEENS1_30default_config_static_selectorELNS0_4arch9wavefront6targetE0EEEvSM_.numbered_sgpr, 0
	.set _ZN7rocprim17ROCPRIM_400000_NS6detail17trampoline_kernelINS0_14default_configENS1_37merge_sort_block_sort_config_selectorIN6thrust23THRUST_200600_302600_NS4pairIiiEENS0_10empty_typeEEEZNS1_21merge_sort_block_sortIS3_NS6_6detail15normal_iteratorINS6_10device_ptrIS8_EEEESG_PS9_SH_NS6_4lessIS8_EEEE10hipError_tT0_T1_T2_T3_mRjT4_P12ihipStream_tbNS1_7vsmem_tEEUlT_E_NS1_11comp_targetILNS1_3genE5ELNS1_11target_archE942ELNS1_3gpuE9ELNS1_3repE0EEENS1_30default_config_static_selectorELNS0_4arch9wavefront6targetE0EEEvSM_.num_named_barrier, 0
	.set _ZN7rocprim17ROCPRIM_400000_NS6detail17trampoline_kernelINS0_14default_configENS1_37merge_sort_block_sort_config_selectorIN6thrust23THRUST_200600_302600_NS4pairIiiEENS0_10empty_typeEEEZNS1_21merge_sort_block_sortIS3_NS6_6detail15normal_iteratorINS6_10device_ptrIS8_EEEESG_PS9_SH_NS6_4lessIS8_EEEE10hipError_tT0_T1_T2_T3_mRjT4_P12ihipStream_tbNS1_7vsmem_tEEUlT_E_NS1_11comp_targetILNS1_3genE5ELNS1_11target_archE942ELNS1_3gpuE9ELNS1_3repE0EEENS1_30default_config_static_selectorELNS0_4arch9wavefront6targetE0EEEvSM_.private_seg_size, 0
	.set _ZN7rocprim17ROCPRIM_400000_NS6detail17trampoline_kernelINS0_14default_configENS1_37merge_sort_block_sort_config_selectorIN6thrust23THRUST_200600_302600_NS4pairIiiEENS0_10empty_typeEEEZNS1_21merge_sort_block_sortIS3_NS6_6detail15normal_iteratorINS6_10device_ptrIS8_EEEESG_PS9_SH_NS6_4lessIS8_EEEE10hipError_tT0_T1_T2_T3_mRjT4_P12ihipStream_tbNS1_7vsmem_tEEUlT_E_NS1_11comp_targetILNS1_3genE5ELNS1_11target_archE942ELNS1_3gpuE9ELNS1_3repE0EEENS1_30default_config_static_selectorELNS0_4arch9wavefront6targetE0EEEvSM_.uses_vcc, 0
	.set _ZN7rocprim17ROCPRIM_400000_NS6detail17trampoline_kernelINS0_14default_configENS1_37merge_sort_block_sort_config_selectorIN6thrust23THRUST_200600_302600_NS4pairIiiEENS0_10empty_typeEEEZNS1_21merge_sort_block_sortIS3_NS6_6detail15normal_iteratorINS6_10device_ptrIS8_EEEESG_PS9_SH_NS6_4lessIS8_EEEE10hipError_tT0_T1_T2_T3_mRjT4_P12ihipStream_tbNS1_7vsmem_tEEUlT_E_NS1_11comp_targetILNS1_3genE5ELNS1_11target_archE942ELNS1_3gpuE9ELNS1_3repE0EEENS1_30default_config_static_selectorELNS0_4arch9wavefront6targetE0EEEvSM_.uses_flat_scratch, 0
	.set _ZN7rocprim17ROCPRIM_400000_NS6detail17trampoline_kernelINS0_14default_configENS1_37merge_sort_block_sort_config_selectorIN6thrust23THRUST_200600_302600_NS4pairIiiEENS0_10empty_typeEEEZNS1_21merge_sort_block_sortIS3_NS6_6detail15normal_iteratorINS6_10device_ptrIS8_EEEESG_PS9_SH_NS6_4lessIS8_EEEE10hipError_tT0_T1_T2_T3_mRjT4_P12ihipStream_tbNS1_7vsmem_tEEUlT_E_NS1_11comp_targetILNS1_3genE5ELNS1_11target_archE942ELNS1_3gpuE9ELNS1_3repE0EEENS1_30default_config_static_selectorELNS0_4arch9wavefront6targetE0EEEvSM_.has_dyn_sized_stack, 0
	.set _ZN7rocprim17ROCPRIM_400000_NS6detail17trampoline_kernelINS0_14default_configENS1_37merge_sort_block_sort_config_selectorIN6thrust23THRUST_200600_302600_NS4pairIiiEENS0_10empty_typeEEEZNS1_21merge_sort_block_sortIS3_NS6_6detail15normal_iteratorINS6_10device_ptrIS8_EEEESG_PS9_SH_NS6_4lessIS8_EEEE10hipError_tT0_T1_T2_T3_mRjT4_P12ihipStream_tbNS1_7vsmem_tEEUlT_E_NS1_11comp_targetILNS1_3genE5ELNS1_11target_archE942ELNS1_3gpuE9ELNS1_3repE0EEENS1_30default_config_static_selectorELNS0_4arch9wavefront6targetE0EEEvSM_.has_recursion, 0
	.set _ZN7rocprim17ROCPRIM_400000_NS6detail17trampoline_kernelINS0_14default_configENS1_37merge_sort_block_sort_config_selectorIN6thrust23THRUST_200600_302600_NS4pairIiiEENS0_10empty_typeEEEZNS1_21merge_sort_block_sortIS3_NS6_6detail15normal_iteratorINS6_10device_ptrIS8_EEEESG_PS9_SH_NS6_4lessIS8_EEEE10hipError_tT0_T1_T2_T3_mRjT4_P12ihipStream_tbNS1_7vsmem_tEEUlT_E_NS1_11comp_targetILNS1_3genE5ELNS1_11target_archE942ELNS1_3gpuE9ELNS1_3repE0EEENS1_30default_config_static_selectorELNS0_4arch9wavefront6targetE0EEEvSM_.has_indirect_call, 0
	.section	.AMDGPU.csdata,"",@progbits
; Kernel info:
; codeLenInByte = 0
; TotalNumSgprs: 0
; NumVgprs: 0
; ScratchSize: 0
; MemoryBound: 0
; FloatMode: 240
; IeeeMode: 1
; LDSByteSize: 0 bytes/workgroup (compile time only)
; SGPRBlocks: 0
; VGPRBlocks: 0
; NumSGPRsForWavesPerEU: 1
; NumVGPRsForWavesPerEU: 1
; Occupancy: 16
; WaveLimiterHint : 0
; COMPUTE_PGM_RSRC2:SCRATCH_EN: 0
; COMPUTE_PGM_RSRC2:USER_SGPR: 6
; COMPUTE_PGM_RSRC2:TRAP_HANDLER: 0
; COMPUTE_PGM_RSRC2:TGID_X_EN: 1
; COMPUTE_PGM_RSRC2:TGID_Y_EN: 0
; COMPUTE_PGM_RSRC2:TGID_Z_EN: 0
; COMPUTE_PGM_RSRC2:TIDIG_COMP_CNT: 0
	.section	.text._ZN7rocprim17ROCPRIM_400000_NS6detail17trampoline_kernelINS0_14default_configENS1_37merge_sort_block_sort_config_selectorIN6thrust23THRUST_200600_302600_NS4pairIiiEENS0_10empty_typeEEEZNS1_21merge_sort_block_sortIS3_NS6_6detail15normal_iteratorINS6_10device_ptrIS8_EEEESG_PS9_SH_NS6_4lessIS8_EEEE10hipError_tT0_T1_T2_T3_mRjT4_P12ihipStream_tbNS1_7vsmem_tEEUlT_E_NS1_11comp_targetILNS1_3genE4ELNS1_11target_archE910ELNS1_3gpuE8ELNS1_3repE0EEENS1_30default_config_static_selectorELNS0_4arch9wavefront6targetE0EEEvSM_,"axG",@progbits,_ZN7rocprim17ROCPRIM_400000_NS6detail17trampoline_kernelINS0_14default_configENS1_37merge_sort_block_sort_config_selectorIN6thrust23THRUST_200600_302600_NS4pairIiiEENS0_10empty_typeEEEZNS1_21merge_sort_block_sortIS3_NS6_6detail15normal_iteratorINS6_10device_ptrIS8_EEEESG_PS9_SH_NS6_4lessIS8_EEEE10hipError_tT0_T1_T2_T3_mRjT4_P12ihipStream_tbNS1_7vsmem_tEEUlT_E_NS1_11comp_targetILNS1_3genE4ELNS1_11target_archE910ELNS1_3gpuE8ELNS1_3repE0EEENS1_30default_config_static_selectorELNS0_4arch9wavefront6targetE0EEEvSM_,comdat
	.protected	_ZN7rocprim17ROCPRIM_400000_NS6detail17trampoline_kernelINS0_14default_configENS1_37merge_sort_block_sort_config_selectorIN6thrust23THRUST_200600_302600_NS4pairIiiEENS0_10empty_typeEEEZNS1_21merge_sort_block_sortIS3_NS6_6detail15normal_iteratorINS6_10device_ptrIS8_EEEESG_PS9_SH_NS6_4lessIS8_EEEE10hipError_tT0_T1_T2_T3_mRjT4_P12ihipStream_tbNS1_7vsmem_tEEUlT_E_NS1_11comp_targetILNS1_3genE4ELNS1_11target_archE910ELNS1_3gpuE8ELNS1_3repE0EEENS1_30default_config_static_selectorELNS0_4arch9wavefront6targetE0EEEvSM_ ; -- Begin function _ZN7rocprim17ROCPRIM_400000_NS6detail17trampoline_kernelINS0_14default_configENS1_37merge_sort_block_sort_config_selectorIN6thrust23THRUST_200600_302600_NS4pairIiiEENS0_10empty_typeEEEZNS1_21merge_sort_block_sortIS3_NS6_6detail15normal_iteratorINS6_10device_ptrIS8_EEEESG_PS9_SH_NS6_4lessIS8_EEEE10hipError_tT0_T1_T2_T3_mRjT4_P12ihipStream_tbNS1_7vsmem_tEEUlT_E_NS1_11comp_targetILNS1_3genE4ELNS1_11target_archE910ELNS1_3gpuE8ELNS1_3repE0EEENS1_30default_config_static_selectorELNS0_4arch9wavefront6targetE0EEEvSM_
	.globl	_ZN7rocprim17ROCPRIM_400000_NS6detail17trampoline_kernelINS0_14default_configENS1_37merge_sort_block_sort_config_selectorIN6thrust23THRUST_200600_302600_NS4pairIiiEENS0_10empty_typeEEEZNS1_21merge_sort_block_sortIS3_NS6_6detail15normal_iteratorINS6_10device_ptrIS8_EEEESG_PS9_SH_NS6_4lessIS8_EEEE10hipError_tT0_T1_T2_T3_mRjT4_P12ihipStream_tbNS1_7vsmem_tEEUlT_E_NS1_11comp_targetILNS1_3genE4ELNS1_11target_archE910ELNS1_3gpuE8ELNS1_3repE0EEENS1_30default_config_static_selectorELNS0_4arch9wavefront6targetE0EEEvSM_
	.p2align	8
	.type	_ZN7rocprim17ROCPRIM_400000_NS6detail17trampoline_kernelINS0_14default_configENS1_37merge_sort_block_sort_config_selectorIN6thrust23THRUST_200600_302600_NS4pairIiiEENS0_10empty_typeEEEZNS1_21merge_sort_block_sortIS3_NS6_6detail15normal_iteratorINS6_10device_ptrIS8_EEEESG_PS9_SH_NS6_4lessIS8_EEEE10hipError_tT0_T1_T2_T3_mRjT4_P12ihipStream_tbNS1_7vsmem_tEEUlT_E_NS1_11comp_targetILNS1_3genE4ELNS1_11target_archE910ELNS1_3gpuE8ELNS1_3repE0EEENS1_30default_config_static_selectorELNS0_4arch9wavefront6targetE0EEEvSM_,@function
_ZN7rocprim17ROCPRIM_400000_NS6detail17trampoline_kernelINS0_14default_configENS1_37merge_sort_block_sort_config_selectorIN6thrust23THRUST_200600_302600_NS4pairIiiEENS0_10empty_typeEEEZNS1_21merge_sort_block_sortIS3_NS6_6detail15normal_iteratorINS6_10device_ptrIS8_EEEESG_PS9_SH_NS6_4lessIS8_EEEE10hipError_tT0_T1_T2_T3_mRjT4_P12ihipStream_tbNS1_7vsmem_tEEUlT_E_NS1_11comp_targetILNS1_3genE4ELNS1_11target_archE910ELNS1_3gpuE8ELNS1_3repE0EEENS1_30default_config_static_selectorELNS0_4arch9wavefront6targetE0EEEvSM_: ; @_ZN7rocprim17ROCPRIM_400000_NS6detail17trampoline_kernelINS0_14default_configENS1_37merge_sort_block_sort_config_selectorIN6thrust23THRUST_200600_302600_NS4pairIiiEENS0_10empty_typeEEEZNS1_21merge_sort_block_sortIS3_NS6_6detail15normal_iteratorINS6_10device_ptrIS8_EEEESG_PS9_SH_NS6_4lessIS8_EEEE10hipError_tT0_T1_T2_T3_mRjT4_P12ihipStream_tbNS1_7vsmem_tEEUlT_E_NS1_11comp_targetILNS1_3genE4ELNS1_11target_archE910ELNS1_3gpuE8ELNS1_3repE0EEENS1_30default_config_static_selectorELNS0_4arch9wavefront6targetE0EEEvSM_
; %bb.0:
	.section	.rodata,"a",@progbits
	.p2align	6, 0x0
	.amdhsa_kernel _ZN7rocprim17ROCPRIM_400000_NS6detail17trampoline_kernelINS0_14default_configENS1_37merge_sort_block_sort_config_selectorIN6thrust23THRUST_200600_302600_NS4pairIiiEENS0_10empty_typeEEEZNS1_21merge_sort_block_sortIS3_NS6_6detail15normal_iteratorINS6_10device_ptrIS8_EEEESG_PS9_SH_NS6_4lessIS8_EEEE10hipError_tT0_T1_T2_T3_mRjT4_P12ihipStream_tbNS1_7vsmem_tEEUlT_E_NS1_11comp_targetILNS1_3genE4ELNS1_11target_archE910ELNS1_3gpuE8ELNS1_3repE0EEENS1_30default_config_static_selectorELNS0_4arch9wavefront6targetE0EEEvSM_
		.amdhsa_group_segment_fixed_size 0
		.amdhsa_private_segment_fixed_size 0
		.amdhsa_kernarg_size 64
		.amdhsa_user_sgpr_count 6
		.amdhsa_user_sgpr_private_segment_buffer 1
		.amdhsa_user_sgpr_dispatch_ptr 0
		.amdhsa_user_sgpr_queue_ptr 0
		.amdhsa_user_sgpr_kernarg_segment_ptr 1
		.amdhsa_user_sgpr_dispatch_id 0
		.amdhsa_user_sgpr_flat_scratch_init 0
		.amdhsa_user_sgpr_private_segment_size 0
		.amdhsa_wavefront_size32 1
		.amdhsa_uses_dynamic_stack 0
		.amdhsa_system_sgpr_private_segment_wavefront_offset 0
		.amdhsa_system_sgpr_workgroup_id_x 1
		.amdhsa_system_sgpr_workgroup_id_y 0
		.amdhsa_system_sgpr_workgroup_id_z 0
		.amdhsa_system_sgpr_workgroup_info 0
		.amdhsa_system_vgpr_workitem_id 0
		.amdhsa_next_free_vgpr 1
		.amdhsa_next_free_sgpr 1
		.amdhsa_reserve_vcc 0
		.amdhsa_reserve_flat_scratch 0
		.amdhsa_float_round_mode_32 0
		.amdhsa_float_round_mode_16_64 0
		.amdhsa_float_denorm_mode_32 3
		.amdhsa_float_denorm_mode_16_64 3
		.amdhsa_dx10_clamp 1
		.amdhsa_ieee_mode 1
		.amdhsa_fp16_overflow 0
		.amdhsa_workgroup_processor_mode 1
		.amdhsa_memory_ordered 1
		.amdhsa_forward_progress 1
		.amdhsa_shared_vgpr_count 0
		.amdhsa_exception_fp_ieee_invalid_op 0
		.amdhsa_exception_fp_denorm_src 0
		.amdhsa_exception_fp_ieee_div_zero 0
		.amdhsa_exception_fp_ieee_overflow 0
		.amdhsa_exception_fp_ieee_underflow 0
		.amdhsa_exception_fp_ieee_inexact 0
		.amdhsa_exception_int_div_zero 0
	.end_amdhsa_kernel
	.section	.text._ZN7rocprim17ROCPRIM_400000_NS6detail17trampoline_kernelINS0_14default_configENS1_37merge_sort_block_sort_config_selectorIN6thrust23THRUST_200600_302600_NS4pairIiiEENS0_10empty_typeEEEZNS1_21merge_sort_block_sortIS3_NS6_6detail15normal_iteratorINS6_10device_ptrIS8_EEEESG_PS9_SH_NS6_4lessIS8_EEEE10hipError_tT0_T1_T2_T3_mRjT4_P12ihipStream_tbNS1_7vsmem_tEEUlT_E_NS1_11comp_targetILNS1_3genE4ELNS1_11target_archE910ELNS1_3gpuE8ELNS1_3repE0EEENS1_30default_config_static_selectorELNS0_4arch9wavefront6targetE0EEEvSM_,"axG",@progbits,_ZN7rocprim17ROCPRIM_400000_NS6detail17trampoline_kernelINS0_14default_configENS1_37merge_sort_block_sort_config_selectorIN6thrust23THRUST_200600_302600_NS4pairIiiEENS0_10empty_typeEEEZNS1_21merge_sort_block_sortIS3_NS6_6detail15normal_iteratorINS6_10device_ptrIS8_EEEESG_PS9_SH_NS6_4lessIS8_EEEE10hipError_tT0_T1_T2_T3_mRjT4_P12ihipStream_tbNS1_7vsmem_tEEUlT_E_NS1_11comp_targetILNS1_3genE4ELNS1_11target_archE910ELNS1_3gpuE8ELNS1_3repE0EEENS1_30default_config_static_selectorELNS0_4arch9wavefront6targetE0EEEvSM_,comdat
.Lfunc_end626:
	.size	_ZN7rocprim17ROCPRIM_400000_NS6detail17trampoline_kernelINS0_14default_configENS1_37merge_sort_block_sort_config_selectorIN6thrust23THRUST_200600_302600_NS4pairIiiEENS0_10empty_typeEEEZNS1_21merge_sort_block_sortIS3_NS6_6detail15normal_iteratorINS6_10device_ptrIS8_EEEESG_PS9_SH_NS6_4lessIS8_EEEE10hipError_tT0_T1_T2_T3_mRjT4_P12ihipStream_tbNS1_7vsmem_tEEUlT_E_NS1_11comp_targetILNS1_3genE4ELNS1_11target_archE910ELNS1_3gpuE8ELNS1_3repE0EEENS1_30default_config_static_selectorELNS0_4arch9wavefront6targetE0EEEvSM_, .Lfunc_end626-_ZN7rocprim17ROCPRIM_400000_NS6detail17trampoline_kernelINS0_14default_configENS1_37merge_sort_block_sort_config_selectorIN6thrust23THRUST_200600_302600_NS4pairIiiEENS0_10empty_typeEEEZNS1_21merge_sort_block_sortIS3_NS6_6detail15normal_iteratorINS6_10device_ptrIS8_EEEESG_PS9_SH_NS6_4lessIS8_EEEE10hipError_tT0_T1_T2_T3_mRjT4_P12ihipStream_tbNS1_7vsmem_tEEUlT_E_NS1_11comp_targetILNS1_3genE4ELNS1_11target_archE910ELNS1_3gpuE8ELNS1_3repE0EEENS1_30default_config_static_selectorELNS0_4arch9wavefront6targetE0EEEvSM_
                                        ; -- End function
	.set _ZN7rocprim17ROCPRIM_400000_NS6detail17trampoline_kernelINS0_14default_configENS1_37merge_sort_block_sort_config_selectorIN6thrust23THRUST_200600_302600_NS4pairIiiEENS0_10empty_typeEEEZNS1_21merge_sort_block_sortIS3_NS6_6detail15normal_iteratorINS6_10device_ptrIS8_EEEESG_PS9_SH_NS6_4lessIS8_EEEE10hipError_tT0_T1_T2_T3_mRjT4_P12ihipStream_tbNS1_7vsmem_tEEUlT_E_NS1_11comp_targetILNS1_3genE4ELNS1_11target_archE910ELNS1_3gpuE8ELNS1_3repE0EEENS1_30default_config_static_selectorELNS0_4arch9wavefront6targetE0EEEvSM_.num_vgpr, 0
	.set _ZN7rocprim17ROCPRIM_400000_NS6detail17trampoline_kernelINS0_14default_configENS1_37merge_sort_block_sort_config_selectorIN6thrust23THRUST_200600_302600_NS4pairIiiEENS0_10empty_typeEEEZNS1_21merge_sort_block_sortIS3_NS6_6detail15normal_iteratorINS6_10device_ptrIS8_EEEESG_PS9_SH_NS6_4lessIS8_EEEE10hipError_tT0_T1_T2_T3_mRjT4_P12ihipStream_tbNS1_7vsmem_tEEUlT_E_NS1_11comp_targetILNS1_3genE4ELNS1_11target_archE910ELNS1_3gpuE8ELNS1_3repE0EEENS1_30default_config_static_selectorELNS0_4arch9wavefront6targetE0EEEvSM_.num_agpr, 0
	.set _ZN7rocprim17ROCPRIM_400000_NS6detail17trampoline_kernelINS0_14default_configENS1_37merge_sort_block_sort_config_selectorIN6thrust23THRUST_200600_302600_NS4pairIiiEENS0_10empty_typeEEEZNS1_21merge_sort_block_sortIS3_NS6_6detail15normal_iteratorINS6_10device_ptrIS8_EEEESG_PS9_SH_NS6_4lessIS8_EEEE10hipError_tT0_T1_T2_T3_mRjT4_P12ihipStream_tbNS1_7vsmem_tEEUlT_E_NS1_11comp_targetILNS1_3genE4ELNS1_11target_archE910ELNS1_3gpuE8ELNS1_3repE0EEENS1_30default_config_static_selectorELNS0_4arch9wavefront6targetE0EEEvSM_.numbered_sgpr, 0
	.set _ZN7rocprim17ROCPRIM_400000_NS6detail17trampoline_kernelINS0_14default_configENS1_37merge_sort_block_sort_config_selectorIN6thrust23THRUST_200600_302600_NS4pairIiiEENS0_10empty_typeEEEZNS1_21merge_sort_block_sortIS3_NS6_6detail15normal_iteratorINS6_10device_ptrIS8_EEEESG_PS9_SH_NS6_4lessIS8_EEEE10hipError_tT0_T1_T2_T3_mRjT4_P12ihipStream_tbNS1_7vsmem_tEEUlT_E_NS1_11comp_targetILNS1_3genE4ELNS1_11target_archE910ELNS1_3gpuE8ELNS1_3repE0EEENS1_30default_config_static_selectorELNS0_4arch9wavefront6targetE0EEEvSM_.num_named_barrier, 0
	.set _ZN7rocprim17ROCPRIM_400000_NS6detail17trampoline_kernelINS0_14default_configENS1_37merge_sort_block_sort_config_selectorIN6thrust23THRUST_200600_302600_NS4pairIiiEENS0_10empty_typeEEEZNS1_21merge_sort_block_sortIS3_NS6_6detail15normal_iteratorINS6_10device_ptrIS8_EEEESG_PS9_SH_NS6_4lessIS8_EEEE10hipError_tT0_T1_T2_T3_mRjT4_P12ihipStream_tbNS1_7vsmem_tEEUlT_E_NS1_11comp_targetILNS1_3genE4ELNS1_11target_archE910ELNS1_3gpuE8ELNS1_3repE0EEENS1_30default_config_static_selectorELNS0_4arch9wavefront6targetE0EEEvSM_.private_seg_size, 0
	.set _ZN7rocprim17ROCPRIM_400000_NS6detail17trampoline_kernelINS0_14default_configENS1_37merge_sort_block_sort_config_selectorIN6thrust23THRUST_200600_302600_NS4pairIiiEENS0_10empty_typeEEEZNS1_21merge_sort_block_sortIS3_NS6_6detail15normal_iteratorINS6_10device_ptrIS8_EEEESG_PS9_SH_NS6_4lessIS8_EEEE10hipError_tT0_T1_T2_T3_mRjT4_P12ihipStream_tbNS1_7vsmem_tEEUlT_E_NS1_11comp_targetILNS1_3genE4ELNS1_11target_archE910ELNS1_3gpuE8ELNS1_3repE0EEENS1_30default_config_static_selectorELNS0_4arch9wavefront6targetE0EEEvSM_.uses_vcc, 0
	.set _ZN7rocprim17ROCPRIM_400000_NS6detail17trampoline_kernelINS0_14default_configENS1_37merge_sort_block_sort_config_selectorIN6thrust23THRUST_200600_302600_NS4pairIiiEENS0_10empty_typeEEEZNS1_21merge_sort_block_sortIS3_NS6_6detail15normal_iteratorINS6_10device_ptrIS8_EEEESG_PS9_SH_NS6_4lessIS8_EEEE10hipError_tT0_T1_T2_T3_mRjT4_P12ihipStream_tbNS1_7vsmem_tEEUlT_E_NS1_11comp_targetILNS1_3genE4ELNS1_11target_archE910ELNS1_3gpuE8ELNS1_3repE0EEENS1_30default_config_static_selectorELNS0_4arch9wavefront6targetE0EEEvSM_.uses_flat_scratch, 0
	.set _ZN7rocprim17ROCPRIM_400000_NS6detail17trampoline_kernelINS0_14default_configENS1_37merge_sort_block_sort_config_selectorIN6thrust23THRUST_200600_302600_NS4pairIiiEENS0_10empty_typeEEEZNS1_21merge_sort_block_sortIS3_NS6_6detail15normal_iteratorINS6_10device_ptrIS8_EEEESG_PS9_SH_NS6_4lessIS8_EEEE10hipError_tT0_T1_T2_T3_mRjT4_P12ihipStream_tbNS1_7vsmem_tEEUlT_E_NS1_11comp_targetILNS1_3genE4ELNS1_11target_archE910ELNS1_3gpuE8ELNS1_3repE0EEENS1_30default_config_static_selectorELNS0_4arch9wavefront6targetE0EEEvSM_.has_dyn_sized_stack, 0
	.set _ZN7rocprim17ROCPRIM_400000_NS6detail17trampoline_kernelINS0_14default_configENS1_37merge_sort_block_sort_config_selectorIN6thrust23THRUST_200600_302600_NS4pairIiiEENS0_10empty_typeEEEZNS1_21merge_sort_block_sortIS3_NS6_6detail15normal_iteratorINS6_10device_ptrIS8_EEEESG_PS9_SH_NS6_4lessIS8_EEEE10hipError_tT0_T1_T2_T3_mRjT4_P12ihipStream_tbNS1_7vsmem_tEEUlT_E_NS1_11comp_targetILNS1_3genE4ELNS1_11target_archE910ELNS1_3gpuE8ELNS1_3repE0EEENS1_30default_config_static_selectorELNS0_4arch9wavefront6targetE0EEEvSM_.has_recursion, 0
	.set _ZN7rocprim17ROCPRIM_400000_NS6detail17trampoline_kernelINS0_14default_configENS1_37merge_sort_block_sort_config_selectorIN6thrust23THRUST_200600_302600_NS4pairIiiEENS0_10empty_typeEEEZNS1_21merge_sort_block_sortIS3_NS6_6detail15normal_iteratorINS6_10device_ptrIS8_EEEESG_PS9_SH_NS6_4lessIS8_EEEE10hipError_tT0_T1_T2_T3_mRjT4_P12ihipStream_tbNS1_7vsmem_tEEUlT_E_NS1_11comp_targetILNS1_3genE4ELNS1_11target_archE910ELNS1_3gpuE8ELNS1_3repE0EEENS1_30default_config_static_selectorELNS0_4arch9wavefront6targetE0EEEvSM_.has_indirect_call, 0
	.section	.AMDGPU.csdata,"",@progbits
; Kernel info:
; codeLenInByte = 0
; TotalNumSgprs: 0
; NumVgprs: 0
; ScratchSize: 0
; MemoryBound: 0
; FloatMode: 240
; IeeeMode: 1
; LDSByteSize: 0 bytes/workgroup (compile time only)
; SGPRBlocks: 0
; VGPRBlocks: 0
; NumSGPRsForWavesPerEU: 1
; NumVGPRsForWavesPerEU: 1
; Occupancy: 16
; WaveLimiterHint : 0
; COMPUTE_PGM_RSRC2:SCRATCH_EN: 0
; COMPUTE_PGM_RSRC2:USER_SGPR: 6
; COMPUTE_PGM_RSRC2:TRAP_HANDLER: 0
; COMPUTE_PGM_RSRC2:TGID_X_EN: 1
; COMPUTE_PGM_RSRC2:TGID_Y_EN: 0
; COMPUTE_PGM_RSRC2:TGID_Z_EN: 0
; COMPUTE_PGM_RSRC2:TIDIG_COMP_CNT: 0
	.section	.text._ZN7rocprim17ROCPRIM_400000_NS6detail17trampoline_kernelINS0_14default_configENS1_37merge_sort_block_sort_config_selectorIN6thrust23THRUST_200600_302600_NS4pairIiiEENS0_10empty_typeEEEZNS1_21merge_sort_block_sortIS3_NS6_6detail15normal_iteratorINS6_10device_ptrIS8_EEEESG_PS9_SH_NS6_4lessIS8_EEEE10hipError_tT0_T1_T2_T3_mRjT4_P12ihipStream_tbNS1_7vsmem_tEEUlT_E_NS1_11comp_targetILNS1_3genE3ELNS1_11target_archE908ELNS1_3gpuE7ELNS1_3repE0EEENS1_30default_config_static_selectorELNS0_4arch9wavefront6targetE0EEEvSM_,"axG",@progbits,_ZN7rocprim17ROCPRIM_400000_NS6detail17trampoline_kernelINS0_14default_configENS1_37merge_sort_block_sort_config_selectorIN6thrust23THRUST_200600_302600_NS4pairIiiEENS0_10empty_typeEEEZNS1_21merge_sort_block_sortIS3_NS6_6detail15normal_iteratorINS6_10device_ptrIS8_EEEESG_PS9_SH_NS6_4lessIS8_EEEE10hipError_tT0_T1_T2_T3_mRjT4_P12ihipStream_tbNS1_7vsmem_tEEUlT_E_NS1_11comp_targetILNS1_3genE3ELNS1_11target_archE908ELNS1_3gpuE7ELNS1_3repE0EEENS1_30default_config_static_selectorELNS0_4arch9wavefront6targetE0EEEvSM_,comdat
	.protected	_ZN7rocprim17ROCPRIM_400000_NS6detail17trampoline_kernelINS0_14default_configENS1_37merge_sort_block_sort_config_selectorIN6thrust23THRUST_200600_302600_NS4pairIiiEENS0_10empty_typeEEEZNS1_21merge_sort_block_sortIS3_NS6_6detail15normal_iteratorINS6_10device_ptrIS8_EEEESG_PS9_SH_NS6_4lessIS8_EEEE10hipError_tT0_T1_T2_T3_mRjT4_P12ihipStream_tbNS1_7vsmem_tEEUlT_E_NS1_11comp_targetILNS1_3genE3ELNS1_11target_archE908ELNS1_3gpuE7ELNS1_3repE0EEENS1_30default_config_static_selectorELNS0_4arch9wavefront6targetE0EEEvSM_ ; -- Begin function _ZN7rocprim17ROCPRIM_400000_NS6detail17trampoline_kernelINS0_14default_configENS1_37merge_sort_block_sort_config_selectorIN6thrust23THRUST_200600_302600_NS4pairIiiEENS0_10empty_typeEEEZNS1_21merge_sort_block_sortIS3_NS6_6detail15normal_iteratorINS6_10device_ptrIS8_EEEESG_PS9_SH_NS6_4lessIS8_EEEE10hipError_tT0_T1_T2_T3_mRjT4_P12ihipStream_tbNS1_7vsmem_tEEUlT_E_NS1_11comp_targetILNS1_3genE3ELNS1_11target_archE908ELNS1_3gpuE7ELNS1_3repE0EEENS1_30default_config_static_selectorELNS0_4arch9wavefront6targetE0EEEvSM_
	.globl	_ZN7rocprim17ROCPRIM_400000_NS6detail17trampoline_kernelINS0_14default_configENS1_37merge_sort_block_sort_config_selectorIN6thrust23THRUST_200600_302600_NS4pairIiiEENS0_10empty_typeEEEZNS1_21merge_sort_block_sortIS3_NS6_6detail15normal_iteratorINS6_10device_ptrIS8_EEEESG_PS9_SH_NS6_4lessIS8_EEEE10hipError_tT0_T1_T2_T3_mRjT4_P12ihipStream_tbNS1_7vsmem_tEEUlT_E_NS1_11comp_targetILNS1_3genE3ELNS1_11target_archE908ELNS1_3gpuE7ELNS1_3repE0EEENS1_30default_config_static_selectorELNS0_4arch9wavefront6targetE0EEEvSM_
	.p2align	8
	.type	_ZN7rocprim17ROCPRIM_400000_NS6detail17trampoline_kernelINS0_14default_configENS1_37merge_sort_block_sort_config_selectorIN6thrust23THRUST_200600_302600_NS4pairIiiEENS0_10empty_typeEEEZNS1_21merge_sort_block_sortIS3_NS6_6detail15normal_iteratorINS6_10device_ptrIS8_EEEESG_PS9_SH_NS6_4lessIS8_EEEE10hipError_tT0_T1_T2_T3_mRjT4_P12ihipStream_tbNS1_7vsmem_tEEUlT_E_NS1_11comp_targetILNS1_3genE3ELNS1_11target_archE908ELNS1_3gpuE7ELNS1_3repE0EEENS1_30default_config_static_selectorELNS0_4arch9wavefront6targetE0EEEvSM_,@function
_ZN7rocprim17ROCPRIM_400000_NS6detail17trampoline_kernelINS0_14default_configENS1_37merge_sort_block_sort_config_selectorIN6thrust23THRUST_200600_302600_NS4pairIiiEENS0_10empty_typeEEEZNS1_21merge_sort_block_sortIS3_NS6_6detail15normal_iteratorINS6_10device_ptrIS8_EEEESG_PS9_SH_NS6_4lessIS8_EEEE10hipError_tT0_T1_T2_T3_mRjT4_P12ihipStream_tbNS1_7vsmem_tEEUlT_E_NS1_11comp_targetILNS1_3genE3ELNS1_11target_archE908ELNS1_3gpuE7ELNS1_3repE0EEENS1_30default_config_static_selectorELNS0_4arch9wavefront6targetE0EEEvSM_: ; @_ZN7rocprim17ROCPRIM_400000_NS6detail17trampoline_kernelINS0_14default_configENS1_37merge_sort_block_sort_config_selectorIN6thrust23THRUST_200600_302600_NS4pairIiiEENS0_10empty_typeEEEZNS1_21merge_sort_block_sortIS3_NS6_6detail15normal_iteratorINS6_10device_ptrIS8_EEEESG_PS9_SH_NS6_4lessIS8_EEEE10hipError_tT0_T1_T2_T3_mRjT4_P12ihipStream_tbNS1_7vsmem_tEEUlT_E_NS1_11comp_targetILNS1_3genE3ELNS1_11target_archE908ELNS1_3gpuE7ELNS1_3repE0EEENS1_30default_config_static_selectorELNS0_4arch9wavefront6targetE0EEEvSM_
; %bb.0:
	.section	.rodata,"a",@progbits
	.p2align	6, 0x0
	.amdhsa_kernel _ZN7rocprim17ROCPRIM_400000_NS6detail17trampoline_kernelINS0_14default_configENS1_37merge_sort_block_sort_config_selectorIN6thrust23THRUST_200600_302600_NS4pairIiiEENS0_10empty_typeEEEZNS1_21merge_sort_block_sortIS3_NS6_6detail15normal_iteratorINS6_10device_ptrIS8_EEEESG_PS9_SH_NS6_4lessIS8_EEEE10hipError_tT0_T1_T2_T3_mRjT4_P12ihipStream_tbNS1_7vsmem_tEEUlT_E_NS1_11comp_targetILNS1_3genE3ELNS1_11target_archE908ELNS1_3gpuE7ELNS1_3repE0EEENS1_30default_config_static_selectorELNS0_4arch9wavefront6targetE0EEEvSM_
		.amdhsa_group_segment_fixed_size 0
		.amdhsa_private_segment_fixed_size 0
		.amdhsa_kernarg_size 64
		.amdhsa_user_sgpr_count 6
		.amdhsa_user_sgpr_private_segment_buffer 1
		.amdhsa_user_sgpr_dispatch_ptr 0
		.amdhsa_user_sgpr_queue_ptr 0
		.amdhsa_user_sgpr_kernarg_segment_ptr 1
		.amdhsa_user_sgpr_dispatch_id 0
		.amdhsa_user_sgpr_flat_scratch_init 0
		.amdhsa_user_sgpr_private_segment_size 0
		.amdhsa_wavefront_size32 1
		.amdhsa_uses_dynamic_stack 0
		.amdhsa_system_sgpr_private_segment_wavefront_offset 0
		.amdhsa_system_sgpr_workgroup_id_x 1
		.amdhsa_system_sgpr_workgroup_id_y 0
		.amdhsa_system_sgpr_workgroup_id_z 0
		.amdhsa_system_sgpr_workgroup_info 0
		.amdhsa_system_vgpr_workitem_id 0
		.amdhsa_next_free_vgpr 1
		.amdhsa_next_free_sgpr 1
		.amdhsa_reserve_vcc 0
		.amdhsa_reserve_flat_scratch 0
		.amdhsa_float_round_mode_32 0
		.amdhsa_float_round_mode_16_64 0
		.amdhsa_float_denorm_mode_32 3
		.amdhsa_float_denorm_mode_16_64 3
		.amdhsa_dx10_clamp 1
		.amdhsa_ieee_mode 1
		.amdhsa_fp16_overflow 0
		.amdhsa_workgroup_processor_mode 1
		.amdhsa_memory_ordered 1
		.amdhsa_forward_progress 1
		.amdhsa_shared_vgpr_count 0
		.amdhsa_exception_fp_ieee_invalid_op 0
		.amdhsa_exception_fp_denorm_src 0
		.amdhsa_exception_fp_ieee_div_zero 0
		.amdhsa_exception_fp_ieee_overflow 0
		.amdhsa_exception_fp_ieee_underflow 0
		.amdhsa_exception_fp_ieee_inexact 0
		.amdhsa_exception_int_div_zero 0
	.end_amdhsa_kernel
	.section	.text._ZN7rocprim17ROCPRIM_400000_NS6detail17trampoline_kernelINS0_14default_configENS1_37merge_sort_block_sort_config_selectorIN6thrust23THRUST_200600_302600_NS4pairIiiEENS0_10empty_typeEEEZNS1_21merge_sort_block_sortIS3_NS6_6detail15normal_iteratorINS6_10device_ptrIS8_EEEESG_PS9_SH_NS6_4lessIS8_EEEE10hipError_tT0_T1_T2_T3_mRjT4_P12ihipStream_tbNS1_7vsmem_tEEUlT_E_NS1_11comp_targetILNS1_3genE3ELNS1_11target_archE908ELNS1_3gpuE7ELNS1_3repE0EEENS1_30default_config_static_selectorELNS0_4arch9wavefront6targetE0EEEvSM_,"axG",@progbits,_ZN7rocprim17ROCPRIM_400000_NS6detail17trampoline_kernelINS0_14default_configENS1_37merge_sort_block_sort_config_selectorIN6thrust23THRUST_200600_302600_NS4pairIiiEENS0_10empty_typeEEEZNS1_21merge_sort_block_sortIS3_NS6_6detail15normal_iteratorINS6_10device_ptrIS8_EEEESG_PS9_SH_NS6_4lessIS8_EEEE10hipError_tT0_T1_T2_T3_mRjT4_P12ihipStream_tbNS1_7vsmem_tEEUlT_E_NS1_11comp_targetILNS1_3genE3ELNS1_11target_archE908ELNS1_3gpuE7ELNS1_3repE0EEENS1_30default_config_static_selectorELNS0_4arch9wavefront6targetE0EEEvSM_,comdat
.Lfunc_end627:
	.size	_ZN7rocprim17ROCPRIM_400000_NS6detail17trampoline_kernelINS0_14default_configENS1_37merge_sort_block_sort_config_selectorIN6thrust23THRUST_200600_302600_NS4pairIiiEENS0_10empty_typeEEEZNS1_21merge_sort_block_sortIS3_NS6_6detail15normal_iteratorINS6_10device_ptrIS8_EEEESG_PS9_SH_NS6_4lessIS8_EEEE10hipError_tT0_T1_T2_T3_mRjT4_P12ihipStream_tbNS1_7vsmem_tEEUlT_E_NS1_11comp_targetILNS1_3genE3ELNS1_11target_archE908ELNS1_3gpuE7ELNS1_3repE0EEENS1_30default_config_static_selectorELNS0_4arch9wavefront6targetE0EEEvSM_, .Lfunc_end627-_ZN7rocprim17ROCPRIM_400000_NS6detail17trampoline_kernelINS0_14default_configENS1_37merge_sort_block_sort_config_selectorIN6thrust23THRUST_200600_302600_NS4pairIiiEENS0_10empty_typeEEEZNS1_21merge_sort_block_sortIS3_NS6_6detail15normal_iteratorINS6_10device_ptrIS8_EEEESG_PS9_SH_NS6_4lessIS8_EEEE10hipError_tT0_T1_T2_T3_mRjT4_P12ihipStream_tbNS1_7vsmem_tEEUlT_E_NS1_11comp_targetILNS1_3genE3ELNS1_11target_archE908ELNS1_3gpuE7ELNS1_3repE0EEENS1_30default_config_static_selectorELNS0_4arch9wavefront6targetE0EEEvSM_
                                        ; -- End function
	.set _ZN7rocprim17ROCPRIM_400000_NS6detail17trampoline_kernelINS0_14default_configENS1_37merge_sort_block_sort_config_selectorIN6thrust23THRUST_200600_302600_NS4pairIiiEENS0_10empty_typeEEEZNS1_21merge_sort_block_sortIS3_NS6_6detail15normal_iteratorINS6_10device_ptrIS8_EEEESG_PS9_SH_NS6_4lessIS8_EEEE10hipError_tT0_T1_T2_T3_mRjT4_P12ihipStream_tbNS1_7vsmem_tEEUlT_E_NS1_11comp_targetILNS1_3genE3ELNS1_11target_archE908ELNS1_3gpuE7ELNS1_3repE0EEENS1_30default_config_static_selectorELNS0_4arch9wavefront6targetE0EEEvSM_.num_vgpr, 0
	.set _ZN7rocprim17ROCPRIM_400000_NS6detail17trampoline_kernelINS0_14default_configENS1_37merge_sort_block_sort_config_selectorIN6thrust23THRUST_200600_302600_NS4pairIiiEENS0_10empty_typeEEEZNS1_21merge_sort_block_sortIS3_NS6_6detail15normal_iteratorINS6_10device_ptrIS8_EEEESG_PS9_SH_NS6_4lessIS8_EEEE10hipError_tT0_T1_T2_T3_mRjT4_P12ihipStream_tbNS1_7vsmem_tEEUlT_E_NS1_11comp_targetILNS1_3genE3ELNS1_11target_archE908ELNS1_3gpuE7ELNS1_3repE0EEENS1_30default_config_static_selectorELNS0_4arch9wavefront6targetE0EEEvSM_.num_agpr, 0
	.set _ZN7rocprim17ROCPRIM_400000_NS6detail17trampoline_kernelINS0_14default_configENS1_37merge_sort_block_sort_config_selectorIN6thrust23THRUST_200600_302600_NS4pairIiiEENS0_10empty_typeEEEZNS1_21merge_sort_block_sortIS3_NS6_6detail15normal_iteratorINS6_10device_ptrIS8_EEEESG_PS9_SH_NS6_4lessIS8_EEEE10hipError_tT0_T1_T2_T3_mRjT4_P12ihipStream_tbNS1_7vsmem_tEEUlT_E_NS1_11comp_targetILNS1_3genE3ELNS1_11target_archE908ELNS1_3gpuE7ELNS1_3repE0EEENS1_30default_config_static_selectorELNS0_4arch9wavefront6targetE0EEEvSM_.numbered_sgpr, 0
	.set _ZN7rocprim17ROCPRIM_400000_NS6detail17trampoline_kernelINS0_14default_configENS1_37merge_sort_block_sort_config_selectorIN6thrust23THRUST_200600_302600_NS4pairIiiEENS0_10empty_typeEEEZNS1_21merge_sort_block_sortIS3_NS6_6detail15normal_iteratorINS6_10device_ptrIS8_EEEESG_PS9_SH_NS6_4lessIS8_EEEE10hipError_tT0_T1_T2_T3_mRjT4_P12ihipStream_tbNS1_7vsmem_tEEUlT_E_NS1_11comp_targetILNS1_3genE3ELNS1_11target_archE908ELNS1_3gpuE7ELNS1_3repE0EEENS1_30default_config_static_selectorELNS0_4arch9wavefront6targetE0EEEvSM_.num_named_barrier, 0
	.set _ZN7rocprim17ROCPRIM_400000_NS6detail17trampoline_kernelINS0_14default_configENS1_37merge_sort_block_sort_config_selectorIN6thrust23THRUST_200600_302600_NS4pairIiiEENS0_10empty_typeEEEZNS1_21merge_sort_block_sortIS3_NS6_6detail15normal_iteratorINS6_10device_ptrIS8_EEEESG_PS9_SH_NS6_4lessIS8_EEEE10hipError_tT0_T1_T2_T3_mRjT4_P12ihipStream_tbNS1_7vsmem_tEEUlT_E_NS1_11comp_targetILNS1_3genE3ELNS1_11target_archE908ELNS1_3gpuE7ELNS1_3repE0EEENS1_30default_config_static_selectorELNS0_4arch9wavefront6targetE0EEEvSM_.private_seg_size, 0
	.set _ZN7rocprim17ROCPRIM_400000_NS6detail17trampoline_kernelINS0_14default_configENS1_37merge_sort_block_sort_config_selectorIN6thrust23THRUST_200600_302600_NS4pairIiiEENS0_10empty_typeEEEZNS1_21merge_sort_block_sortIS3_NS6_6detail15normal_iteratorINS6_10device_ptrIS8_EEEESG_PS9_SH_NS6_4lessIS8_EEEE10hipError_tT0_T1_T2_T3_mRjT4_P12ihipStream_tbNS1_7vsmem_tEEUlT_E_NS1_11comp_targetILNS1_3genE3ELNS1_11target_archE908ELNS1_3gpuE7ELNS1_3repE0EEENS1_30default_config_static_selectorELNS0_4arch9wavefront6targetE0EEEvSM_.uses_vcc, 0
	.set _ZN7rocprim17ROCPRIM_400000_NS6detail17trampoline_kernelINS0_14default_configENS1_37merge_sort_block_sort_config_selectorIN6thrust23THRUST_200600_302600_NS4pairIiiEENS0_10empty_typeEEEZNS1_21merge_sort_block_sortIS3_NS6_6detail15normal_iteratorINS6_10device_ptrIS8_EEEESG_PS9_SH_NS6_4lessIS8_EEEE10hipError_tT0_T1_T2_T3_mRjT4_P12ihipStream_tbNS1_7vsmem_tEEUlT_E_NS1_11comp_targetILNS1_3genE3ELNS1_11target_archE908ELNS1_3gpuE7ELNS1_3repE0EEENS1_30default_config_static_selectorELNS0_4arch9wavefront6targetE0EEEvSM_.uses_flat_scratch, 0
	.set _ZN7rocprim17ROCPRIM_400000_NS6detail17trampoline_kernelINS0_14default_configENS1_37merge_sort_block_sort_config_selectorIN6thrust23THRUST_200600_302600_NS4pairIiiEENS0_10empty_typeEEEZNS1_21merge_sort_block_sortIS3_NS6_6detail15normal_iteratorINS6_10device_ptrIS8_EEEESG_PS9_SH_NS6_4lessIS8_EEEE10hipError_tT0_T1_T2_T3_mRjT4_P12ihipStream_tbNS1_7vsmem_tEEUlT_E_NS1_11comp_targetILNS1_3genE3ELNS1_11target_archE908ELNS1_3gpuE7ELNS1_3repE0EEENS1_30default_config_static_selectorELNS0_4arch9wavefront6targetE0EEEvSM_.has_dyn_sized_stack, 0
	.set _ZN7rocprim17ROCPRIM_400000_NS6detail17trampoline_kernelINS0_14default_configENS1_37merge_sort_block_sort_config_selectorIN6thrust23THRUST_200600_302600_NS4pairIiiEENS0_10empty_typeEEEZNS1_21merge_sort_block_sortIS3_NS6_6detail15normal_iteratorINS6_10device_ptrIS8_EEEESG_PS9_SH_NS6_4lessIS8_EEEE10hipError_tT0_T1_T2_T3_mRjT4_P12ihipStream_tbNS1_7vsmem_tEEUlT_E_NS1_11comp_targetILNS1_3genE3ELNS1_11target_archE908ELNS1_3gpuE7ELNS1_3repE0EEENS1_30default_config_static_selectorELNS0_4arch9wavefront6targetE0EEEvSM_.has_recursion, 0
	.set _ZN7rocprim17ROCPRIM_400000_NS6detail17trampoline_kernelINS0_14default_configENS1_37merge_sort_block_sort_config_selectorIN6thrust23THRUST_200600_302600_NS4pairIiiEENS0_10empty_typeEEEZNS1_21merge_sort_block_sortIS3_NS6_6detail15normal_iteratorINS6_10device_ptrIS8_EEEESG_PS9_SH_NS6_4lessIS8_EEEE10hipError_tT0_T1_T2_T3_mRjT4_P12ihipStream_tbNS1_7vsmem_tEEUlT_E_NS1_11comp_targetILNS1_3genE3ELNS1_11target_archE908ELNS1_3gpuE7ELNS1_3repE0EEENS1_30default_config_static_selectorELNS0_4arch9wavefront6targetE0EEEvSM_.has_indirect_call, 0
	.section	.AMDGPU.csdata,"",@progbits
; Kernel info:
; codeLenInByte = 0
; TotalNumSgprs: 0
; NumVgprs: 0
; ScratchSize: 0
; MemoryBound: 0
; FloatMode: 240
; IeeeMode: 1
; LDSByteSize: 0 bytes/workgroup (compile time only)
; SGPRBlocks: 0
; VGPRBlocks: 0
; NumSGPRsForWavesPerEU: 1
; NumVGPRsForWavesPerEU: 1
; Occupancy: 16
; WaveLimiterHint : 0
; COMPUTE_PGM_RSRC2:SCRATCH_EN: 0
; COMPUTE_PGM_RSRC2:USER_SGPR: 6
; COMPUTE_PGM_RSRC2:TRAP_HANDLER: 0
; COMPUTE_PGM_RSRC2:TGID_X_EN: 1
; COMPUTE_PGM_RSRC2:TGID_Y_EN: 0
; COMPUTE_PGM_RSRC2:TGID_Z_EN: 0
; COMPUTE_PGM_RSRC2:TIDIG_COMP_CNT: 0
	.section	.text._ZN7rocprim17ROCPRIM_400000_NS6detail17trampoline_kernelINS0_14default_configENS1_37merge_sort_block_sort_config_selectorIN6thrust23THRUST_200600_302600_NS4pairIiiEENS0_10empty_typeEEEZNS1_21merge_sort_block_sortIS3_NS6_6detail15normal_iteratorINS6_10device_ptrIS8_EEEESG_PS9_SH_NS6_4lessIS8_EEEE10hipError_tT0_T1_T2_T3_mRjT4_P12ihipStream_tbNS1_7vsmem_tEEUlT_E_NS1_11comp_targetILNS1_3genE2ELNS1_11target_archE906ELNS1_3gpuE6ELNS1_3repE0EEENS1_30default_config_static_selectorELNS0_4arch9wavefront6targetE0EEEvSM_,"axG",@progbits,_ZN7rocprim17ROCPRIM_400000_NS6detail17trampoline_kernelINS0_14default_configENS1_37merge_sort_block_sort_config_selectorIN6thrust23THRUST_200600_302600_NS4pairIiiEENS0_10empty_typeEEEZNS1_21merge_sort_block_sortIS3_NS6_6detail15normal_iteratorINS6_10device_ptrIS8_EEEESG_PS9_SH_NS6_4lessIS8_EEEE10hipError_tT0_T1_T2_T3_mRjT4_P12ihipStream_tbNS1_7vsmem_tEEUlT_E_NS1_11comp_targetILNS1_3genE2ELNS1_11target_archE906ELNS1_3gpuE6ELNS1_3repE0EEENS1_30default_config_static_selectorELNS0_4arch9wavefront6targetE0EEEvSM_,comdat
	.protected	_ZN7rocprim17ROCPRIM_400000_NS6detail17trampoline_kernelINS0_14default_configENS1_37merge_sort_block_sort_config_selectorIN6thrust23THRUST_200600_302600_NS4pairIiiEENS0_10empty_typeEEEZNS1_21merge_sort_block_sortIS3_NS6_6detail15normal_iteratorINS6_10device_ptrIS8_EEEESG_PS9_SH_NS6_4lessIS8_EEEE10hipError_tT0_T1_T2_T3_mRjT4_P12ihipStream_tbNS1_7vsmem_tEEUlT_E_NS1_11comp_targetILNS1_3genE2ELNS1_11target_archE906ELNS1_3gpuE6ELNS1_3repE0EEENS1_30default_config_static_selectorELNS0_4arch9wavefront6targetE0EEEvSM_ ; -- Begin function _ZN7rocprim17ROCPRIM_400000_NS6detail17trampoline_kernelINS0_14default_configENS1_37merge_sort_block_sort_config_selectorIN6thrust23THRUST_200600_302600_NS4pairIiiEENS0_10empty_typeEEEZNS1_21merge_sort_block_sortIS3_NS6_6detail15normal_iteratorINS6_10device_ptrIS8_EEEESG_PS9_SH_NS6_4lessIS8_EEEE10hipError_tT0_T1_T2_T3_mRjT4_P12ihipStream_tbNS1_7vsmem_tEEUlT_E_NS1_11comp_targetILNS1_3genE2ELNS1_11target_archE906ELNS1_3gpuE6ELNS1_3repE0EEENS1_30default_config_static_selectorELNS0_4arch9wavefront6targetE0EEEvSM_
	.globl	_ZN7rocprim17ROCPRIM_400000_NS6detail17trampoline_kernelINS0_14default_configENS1_37merge_sort_block_sort_config_selectorIN6thrust23THRUST_200600_302600_NS4pairIiiEENS0_10empty_typeEEEZNS1_21merge_sort_block_sortIS3_NS6_6detail15normal_iteratorINS6_10device_ptrIS8_EEEESG_PS9_SH_NS6_4lessIS8_EEEE10hipError_tT0_T1_T2_T3_mRjT4_P12ihipStream_tbNS1_7vsmem_tEEUlT_E_NS1_11comp_targetILNS1_3genE2ELNS1_11target_archE906ELNS1_3gpuE6ELNS1_3repE0EEENS1_30default_config_static_selectorELNS0_4arch9wavefront6targetE0EEEvSM_
	.p2align	8
	.type	_ZN7rocprim17ROCPRIM_400000_NS6detail17trampoline_kernelINS0_14default_configENS1_37merge_sort_block_sort_config_selectorIN6thrust23THRUST_200600_302600_NS4pairIiiEENS0_10empty_typeEEEZNS1_21merge_sort_block_sortIS3_NS6_6detail15normal_iteratorINS6_10device_ptrIS8_EEEESG_PS9_SH_NS6_4lessIS8_EEEE10hipError_tT0_T1_T2_T3_mRjT4_P12ihipStream_tbNS1_7vsmem_tEEUlT_E_NS1_11comp_targetILNS1_3genE2ELNS1_11target_archE906ELNS1_3gpuE6ELNS1_3repE0EEENS1_30default_config_static_selectorELNS0_4arch9wavefront6targetE0EEEvSM_,@function
_ZN7rocprim17ROCPRIM_400000_NS6detail17trampoline_kernelINS0_14default_configENS1_37merge_sort_block_sort_config_selectorIN6thrust23THRUST_200600_302600_NS4pairIiiEENS0_10empty_typeEEEZNS1_21merge_sort_block_sortIS3_NS6_6detail15normal_iteratorINS6_10device_ptrIS8_EEEESG_PS9_SH_NS6_4lessIS8_EEEE10hipError_tT0_T1_T2_T3_mRjT4_P12ihipStream_tbNS1_7vsmem_tEEUlT_E_NS1_11comp_targetILNS1_3genE2ELNS1_11target_archE906ELNS1_3gpuE6ELNS1_3repE0EEENS1_30default_config_static_selectorELNS0_4arch9wavefront6targetE0EEEvSM_: ; @_ZN7rocprim17ROCPRIM_400000_NS6detail17trampoline_kernelINS0_14default_configENS1_37merge_sort_block_sort_config_selectorIN6thrust23THRUST_200600_302600_NS4pairIiiEENS0_10empty_typeEEEZNS1_21merge_sort_block_sortIS3_NS6_6detail15normal_iteratorINS6_10device_ptrIS8_EEEESG_PS9_SH_NS6_4lessIS8_EEEE10hipError_tT0_T1_T2_T3_mRjT4_P12ihipStream_tbNS1_7vsmem_tEEUlT_E_NS1_11comp_targetILNS1_3genE2ELNS1_11target_archE906ELNS1_3gpuE6ELNS1_3repE0EEENS1_30default_config_static_selectorELNS0_4arch9wavefront6targetE0EEEvSM_
; %bb.0:
	.section	.rodata,"a",@progbits
	.p2align	6, 0x0
	.amdhsa_kernel _ZN7rocprim17ROCPRIM_400000_NS6detail17trampoline_kernelINS0_14default_configENS1_37merge_sort_block_sort_config_selectorIN6thrust23THRUST_200600_302600_NS4pairIiiEENS0_10empty_typeEEEZNS1_21merge_sort_block_sortIS3_NS6_6detail15normal_iteratorINS6_10device_ptrIS8_EEEESG_PS9_SH_NS6_4lessIS8_EEEE10hipError_tT0_T1_T2_T3_mRjT4_P12ihipStream_tbNS1_7vsmem_tEEUlT_E_NS1_11comp_targetILNS1_3genE2ELNS1_11target_archE906ELNS1_3gpuE6ELNS1_3repE0EEENS1_30default_config_static_selectorELNS0_4arch9wavefront6targetE0EEEvSM_
		.amdhsa_group_segment_fixed_size 0
		.amdhsa_private_segment_fixed_size 0
		.amdhsa_kernarg_size 64
		.amdhsa_user_sgpr_count 6
		.amdhsa_user_sgpr_private_segment_buffer 1
		.amdhsa_user_sgpr_dispatch_ptr 0
		.amdhsa_user_sgpr_queue_ptr 0
		.amdhsa_user_sgpr_kernarg_segment_ptr 1
		.amdhsa_user_sgpr_dispatch_id 0
		.amdhsa_user_sgpr_flat_scratch_init 0
		.amdhsa_user_sgpr_private_segment_size 0
		.amdhsa_wavefront_size32 1
		.amdhsa_uses_dynamic_stack 0
		.amdhsa_system_sgpr_private_segment_wavefront_offset 0
		.amdhsa_system_sgpr_workgroup_id_x 1
		.amdhsa_system_sgpr_workgroup_id_y 0
		.amdhsa_system_sgpr_workgroup_id_z 0
		.amdhsa_system_sgpr_workgroup_info 0
		.amdhsa_system_vgpr_workitem_id 0
		.amdhsa_next_free_vgpr 1
		.amdhsa_next_free_sgpr 1
		.amdhsa_reserve_vcc 0
		.amdhsa_reserve_flat_scratch 0
		.amdhsa_float_round_mode_32 0
		.amdhsa_float_round_mode_16_64 0
		.amdhsa_float_denorm_mode_32 3
		.amdhsa_float_denorm_mode_16_64 3
		.amdhsa_dx10_clamp 1
		.amdhsa_ieee_mode 1
		.amdhsa_fp16_overflow 0
		.amdhsa_workgroup_processor_mode 1
		.amdhsa_memory_ordered 1
		.amdhsa_forward_progress 1
		.amdhsa_shared_vgpr_count 0
		.amdhsa_exception_fp_ieee_invalid_op 0
		.amdhsa_exception_fp_denorm_src 0
		.amdhsa_exception_fp_ieee_div_zero 0
		.amdhsa_exception_fp_ieee_overflow 0
		.amdhsa_exception_fp_ieee_underflow 0
		.amdhsa_exception_fp_ieee_inexact 0
		.amdhsa_exception_int_div_zero 0
	.end_amdhsa_kernel
	.section	.text._ZN7rocprim17ROCPRIM_400000_NS6detail17trampoline_kernelINS0_14default_configENS1_37merge_sort_block_sort_config_selectorIN6thrust23THRUST_200600_302600_NS4pairIiiEENS0_10empty_typeEEEZNS1_21merge_sort_block_sortIS3_NS6_6detail15normal_iteratorINS6_10device_ptrIS8_EEEESG_PS9_SH_NS6_4lessIS8_EEEE10hipError_tT0_T1_T2_T3_mRjT4_P12ihipStream_tbNS1_7vsmem_tEEUlT_E_NS1_11comp_targetILNS1_3genE2ELNS1_11target_archE906ELNS1_3gpuE6ELNS1_3repE0EEENS1_30default_config_static_selectorELNS0_4arch9wavefront6targetE0EEEvSM_,"axG",@progbits,_ZN7rocprim17ROCPRIM_400000_NS6detail17trampoline_kernelINS0_14default_configENS1_37merge_sort_block_sort_config_selectorIN6thrust23THRUST_200600_302600_NS4pairIiiEENS0_10empty_typeEEEZNS1_21merge_sort_block_sortIS3_NS6_6detail15normal_iteratorINS6_10device_ptrIS8_EEEESG_PS9_SH_NS6_4lessIS8_EEEE10hipError_tT0_T1_T2_T3_mRjT4_P12ihipStream_tbNS1_7vsmem_tEEUlT_E_NS1_11comp_targetILNS1_3genE2ELNS1_11target_archE906ELNS1_3gpuE6ELNS1_3repE0EEENS1_30default_config_static_selectorELNS0_4arch9wavefront6targetE0EEEvSM_,comdat
.Lfunc_end628:
	.size	_ZN7rocprim17ROCPRIM_400000_NS6detail17trampoline_kernelINS0_14default_configENS1_37merge_sort_block_sort_config_selectorIN6thrust23THRUST_200600_302600_NS4pairIiiEENS0_10empty_typeEEEZNS1_21merge_sort_block_sortIS3_NS6_6detail15normal_iteratorINS6_10device_ptrIS8_EEEESG_PS9_SH_NS6_4lessIS8_EEEE10hipError_tT0_T1_T2_T3_mRjT4_P12ihipStream_tbNS1_7vsmem_tEEUlT_E_NS1_11comp_targetILNS1_3genE2ELNS1_11target_archE906ELNS1_3gpuE6ELNS1_3repE0EEENS1_30default_config_static_selectorELNS0_4arch9wavefront6targetE0EEEvSM_, .Lfunc_end628-_ZN7rocprim17ROCPRIM_400000_NS6detail17trampoline_kernelINS0_14default_configENS1_37merge_sort_block_sort_config_selectorIN6thrust23THRUST_200600_302600_NS4pairIiiEENS0_10empty_typeEEEZNS1_21merge_sort_block_sortIS3_NS6_6detail15normal_iteratorINS6_10device_ptrIS8_EEEESG_PS9_SH_NS6_4lessIS8_EEEE10hipError_tT0_T1_T2_T3_mRjT4_P12ihipStream_tbNS1_7vsmem_tEEUlT_E_NS1_11comp_targetILNS1_3genE2ELNS1_11target_archE906ELNS1_3gpuE6ELNS1_3repE0EEENS1_30default_config_static_selectorELNS0_4arch9wavefront6targetE0EEEvSM_
                                        ; -- End function
	.set _ZN7rocprim17ROCPRIM_400000_NS6detail17trampoline_kernelINS0_14default_configENS1_37merge_sort_block_sort_config_selectorIN6thrust23THRUST_200600_302600_NS4pairIiiEENS0_10empty_typeEEEZNS1_21merge_sort_block_sortIS3_NS6_6detail15normal_iteratorINS6_10device_ptrIS8_EEEESG_PS9_SH_NS6_4lessIS8_EEEE10hipError_tT0_T1_T2_T3_mRjT4_P12ihipStream_tbNS1_7vsmem_tEEUlT_E_NS1_11comp_targetILNS1_3genE2ELNS1_11target_archE906ELNS1_3gpuE6ELNS1_3repE0EEENS1_30default_config_static_selectorELNS0_4arch9wavefront6targetE0EEEvSM_.num_vgpr, 0
	.set _ZN7rocprim17ROCPRIM_400000_NS6detail17trampoline_kernelINS0_14default_configENS1_37merge_sort_block_sort_config_selectorIN6thrust23THRUST_200600_302600_NS4pairIiiEENS0_10empty_typeEEEZNS1_21merge_sort_block_sortIS3_NS6_6detail15normal_iteratorINS6_10device_ptrIS8_EEEESG_PS9_SH_NS6_4lessIS8_EEEE10hipError_tT0_T1_T2_T3_mRjT4_P12ihipStream_tbNS1_7vsmem_tEEUlT_E_NS1_11comp_targetILNS1_3genE2ELNS1_11target_archE906ELNS1_3gpuE6ELNS1_3repE0EEENS1_30default_config_static_selectorELNS0_4arch9wavefront6targetE0EEEvSM_.num_agpr, 0
	.set _ZN7rocprim17ROCPRIM_400000_NS6detail17trampoline_kernelINS0_14default_configENS1_37merge_sort_block_sort_config_selectorIN6thrust23THRUST_200600_302600_NS4pairIiiEENS0_10empty_typeEEEZNS1_21merge_sort_block_sortIS3_NS6_6detail15normal_iteratorINS6_10device_ptrIS8_EEEESG_PS9_SH_NS6_4lessIS8_EEEE10hipError_tT0_T1_T2_T3_mRjT4_P12ihipStream_tbNS1_7vsmem_tEEUlT_E_NS1_11comp_targetILNS1_3genE2ELNS1_11target_archE906ELNS1_3gpuE6ELNS1_3repE0EEENS1_30default_config_static_selectorELNS0_4arch9wavefront6targetE0EEEvSM_.numbered_sgpr, 0
	.set _ZN7rocprim17ROCPRIM_400000_NS6detail17trampoline_kernelINS0_14default_configENS1_37merge_sort_block_sort_config_selectorIN6thrust23THRUST_200600_302600_NS4pairIiiEENS0_10empty_typeEEEZNS1_21merge_sort_block_sortIS3_NS6_6detail15normal_iteratorINS6_10device_ptrIS8_EEEESG_PS9_SH_NS6_4lessIS8_EEEE10hipError_tT0_T1_T2_T3_mRjT4_P12ihipStream_tbNS1_7vsmem_tEEUlT_E_NS1_11comp_targetILNS1_3genE2ELNS1_11target_archE906ELNS1_3gpuE6ELNS1_3repE0EEENS1_30default_config_static_selectorELNS0_4arch9wavefront6targetE0EEEvSM_.num_named_barrier, 0
	.set _ZN7rocprim17ROCPRIM_400000_NS6detail17trampoline_kernelINS0_14default_configENS1_37merge_sort_block_sort_config_selectorIN6thrust23THRUST_200600_302600_NS4pairIiiEENS0_10empty_typeEEEZNS1_21merge_sort_block_sortIS3_NS6_6detail15normal_iteratorINS6_10device_ptrIS8_EEEESG_PS9_SH_NS6_4lessIS8_EEEE10hipError_tT0_T1_T2_T3_mRjT4_P12ihipStream_tbNS1_7vsmem_tEEUlT_E_NS1_11comp_targetILNS1_3genE2ELNS1_11target_archE906ELNS1_3gpuE6ELNS1_3repE0EEENS1_30default_config_static_selectorELNS0_4arch9wavefront6targetE0EEEvSM_.private_seg_size, 0
	.set _ZN7rocprim17ROCPRIM_400000_NS6detail17trampoline_kernelINS0_14default_configENS1_37merge_sort_block_sort_config_selectorIN6thrust23THRUST_200600_302600_NS4pairIiiEENS0_10empty_typeEEEZNS1_21merge_sort_block_sortIS3_NS6_6detail15normal_iteratorINS6_10device_ptrIS8_EEEESG_PS9_SH_NS6_4lessIS8_EEEE10hipError_tT0_T1_T2_T3_mRjT4_P12ihipStream_tbNS1_7vsmem_tEEUlT_E_NS1_11comp_targetILNS1_3genE2ELNS1_11target_archE906ELNS1_3gpuE6ELNS1_3repE0EEENS1_30default_config_static_selectorELNS0_4arch9wavefront6targetE0EEEvSM_.uses_vcc, 0
	.set _ZN7rocprim17ROCPRIM_400000_NS6detail17trampoline_kernelINS0_14default_configENS1_37merge_sort_block_sort_config_selectorIN6thrust23THRUST_200600_302600_NS4pairIiiEENS0_10empty_typeEEEZNS1_21merge_sort_block_sortIS3_NS6_6detail15normal_iteratorINS6_10device_ptrIS8_EEEESG_PS9_SH_NS6_4lessIS8_EEEE10hipError_tT0_T1_T2_T3_mRjT4_P12ihipStream_tbNS1_7vsmem_tEEUlT_E_NS1_11comp_targetILNS1_3genE2ELNS1_11target_archE906ELNS1_3gpuE6ELNS1_3repE0EEENS1_30default_config_static_selectorELNS0_4arch9wavefront6targetE0EEEvSM_.uses_flat_scratch, 0
	.set _ZN7rocprim17ROCPRIM_400000_NS6detail17trampoline_kernelINS0_14default_configENS1_37merge_sort_block_sort_config_selectorIN6thrust23THRUST_200600_302600_NS4pairIiiEENS0_10empty_typeEEEZNS1_21merge_sort_block_sortIS3_NS6_6detail15normal_iteratorINS6_10device_ptrIS8_EEEESG_PS9_SH_NS6_4lessIS8_EEEE10hipError_tT0_T1_T2_T3_mRjT4_P12ihipStream_tbNS1_7vsmem_tEEUlT_E_NS1_11comp_targetILNS1_3genE2ELNS1_11target_archE906ELNS1_3gpuE6ELNS1_3repE0EEENS1_30default_config_static_selectorELNS0_4arch9wavefront6targetE0EEEvSM_.has_dyn_sized_stack, 0
	.set _ZN7rocprim17ROCPRIM_400000_NS6detail17trampoline_kernelINS0_14default_configENS1_37merge_sort_block_sort_config_selectorIN6thrust23THRUST_200600_302600_NS4pairIiiEENS0_10empty_typeEEEZNS1_21merge_sort_block_sortIS3_NS6_6detail15normal_iteratorINS6_10device_ptrIS8_EEEESG_PS9_SH_NS6_4lessIS8_EEEE10hipError_tT0_T1_T2_T3_mRjT4_P12ihipStream_tbNS1_7vsmem_tEEUlT_E_NS1_11comp_targetILNS1_3genE2ELNS1_11target_archE906ELNS1_3gpuE6ELNS1_3repE0EEENS1_30default_config_static_selectorELNS0_4arch9wavefront6targetE0EEEvSM_.has_recursion, 0
	.set _ZN7rocprim17ROCPRIM_400000_NS6detail17trampoline_kernelINS0_14default_configENS1_37merge_sort_block_sort_config_selectorIN6thrust23THRUST_200600_302600_NS4pairIiiEENS0_10empty_typeEEEZNS1_21merge_sort_block_sortIS3_NS6_6detail15normal_iteratorINS6_10device_ptrIS8_EEEESG_PS9_SH_NS6_4lessIS8_EEEE10hipError_tT0_T1_T2_T3_mRjT4_P12ihipStream_tbNS1_7vsmem_tEEUlT_E_NS1_11comp_targetILNS1_3genE2ELNS1_11target_archE906ELNS1_3gpuE6ELNS1_3repE0EEENS1_30default_config_static_selectorELNS0_4arch9wavefront6targetE0EEEvSM_.has_indirect_call, 0
	.section	.AMDGPU.csdata,"",@progbits
; Kernel info:
; codeLenInByte = 0
; TotalNumSgprs: 0
; NumVgprs: 0
; ScratchSize: 0
; MemoryBound: 0
; FloatMode: 240
; IeeeMode: 1
; LDSByteSize: 0 bytes/workgroup (compile time only)
; SGPRBlocks: 0
; VGPRBlocks: 0
; NumSGPRsForWavesPerEU: 1
; NumVGPRsForWavesPerEU: 1
; Occupancy: 16
; WaveLimiterHint : 0
; COMPUTE_PGM_RSRC2:SCRATCH_EN: 0
; COMPUTE_PGM_RSRC2:USER_SGPR: 6
; COMPUTE_PGM_RSRC2:TRAP_HANDLER: 0
; COMPUTE_PGM_RSRC2:TGID_X_EN: 1
; COMPUTE_PGM_RSRC2:TGID_Y_EN: 0
; COMPUTE_PGM_RSRC2:TGID_Z_EN: 0
; COMPUTE_PGM_RSRC2:TIDIG_COMP_CNT: 0
	.section	.text._ZN7rocprim17ROCPRIM_400000_NS6detail17trampoline_kernelINS0_14default_configENS1_37merge_sort_block_sort_config_selectorIN6thrust23THRUST_200600_302600_NS4pairIiiEENS0_10empty_typeEEEZNS1_21merge_sort_block_sortIS3_NS6_6detail15normal_iteratorINS6_10device_ptrIS8_EEEESG_PS9_SH_NS6_4lessIS8_EEEE10hipError_tT0_T1_T2_T3_mRjT4_P12ihipStream_tbNS1_7vsmem_tEEUlT_E_NS1_11comp_targetILNS1_3genE10ELNS1_11target_archE1201ELNS1_3gpuE5ELNS1_3repE0EEENS1_30default_config_static_selectorELNS0_4arch9wavefront6targetE0EEEvSM_,"axG",@progbits,_ZN7rocprim17ROCPRIM_400000_NS6detail17trampoline_kernelINS0_14default_configENS1_37merge_sort_block_sort_config_selectorIN6thrust23THRUST_200600_302600_NS4pairIiiEENS0_10empty_typeEEEZNS1_21merge_sort_block_sortIS3_NS6_6detail15normal_iteratorINS6_10device_ptrIS8_EEEESG_PS9_SH_NS6_4lessIS8_EEEE10hipError_tT0_T1_T2_T3_mRjT4_P12ihipStream_tbNS1_7vsmem_tEEUlT_E_NS1_11comp_targetILNS1_3genE10ELNS1_11target_archE1201ELNS1_3gpuE5ELNS1_3repE0EEENS1_30default_config_static_selectorELNS0_4arch9wavefront6targetE0EEEvSM_,comdat
	.protected	_ZN7rocprim17ROCPRIM_400000_NS6detail17trampoline_kernelINS0_14default_configENS1_37merge_sort_block_sort_config_selectorIN6thrust23THRUST_200600_302600_NS4pairIiiEENS0_10empty_typeEEEZNS1_21merge_sort_block_sortIS3_NS6_6detail15normal_iteratorINS6_10device_ptrIS8_EEEESG_PS9_SH_NS6_4lessIS8_EEEE10hipError_tT0_T1_T2_T3_mRjT4_P12ihipStream_tbNS1_7vsmem_tEEUlT_E_NS1_11comp_targetILNS1_3genE10ELNS1_11target_archE1201ELNS1_3gpuE5ELNS1_3repE0EEENS1_30default_config_static_selectorELNS0_4arch9wavefront6targetE0EEEvSM_ ; -- Begin function _ZN7rocprim17ROCPRIM_400000_NS6detail17trampoline_kernelINS0_14default_configENS1_37merge_sort_block_sort_config_selectorIN6thrust23THRUST_200600_302600_NS4pairIiiEENS0_10empty_typeEEEZNS1_21merge_sort_block_sortIS3_NS6_6detail15normal_iteratorINS6_10device_ptrIS8_EEEESG_PS9_SH_NS6_4lessIS8_EEEE10hipError_tT0_T1_T2_T3_mRjT4_P12ihipStream_tbNS1_7vsmem_tEEUlT_E_NS1_11comp_targetILNS1_3genE10ELNS1_11target_archE1201ELNS1_3gpuE5ELNS1_3repE0EEENS1_30default_config_static_selectorELNS0_4arch9wavefront6targetE0EEEvSM_
	.globl	_ZN7rocprim17ROCPRIM_400000_NS6detail17trampoline_kernelINS0_14default_configENS1_37merge_sort_block_sort_config_selectorIN6thrust23THRUST_200600_302600_NS4pairIiiEENS0_10empty_typeEEEZNS1_21merge_sort_block_sortIS3_NS6_6detail15normal_iteratorINS6_10device_ptrIS8_EEEESG_PS9_SH_NS6_4lessIS8_EEEE10hipError_tT0_T1_T2_T3_mRjT4_P12ihipStream_tbNS1_7vsmem_tEEUlT_E_NS1_11comp_targetILNS1_3genE10ELNS1_11target_archE1201ELNS1_3gpuE5ELNS1_3repE0EEENS1_30default_config_static_selectorELNS0_4arch9wavefront6targetE0EEEvSM_
	.p2align	8
	.type	_ZN7rocprim17ROCPRIM_400000_NS6detail17trampoline_kernelINS0_14default_configENS1_37merge_sort_block_sort_config_selectorIN6thrust23THRUST_200600_302600_NS4pairIiiEENS0_10empty_typeEEEZNS1_21merge_sort_block_sortIS3_NS6_6detail15normal_iteratorINS6_10device_ptrIS8_EEEESG_PS9_SH_NS6_4lessIS8_EEEE10hipError_tT0_T1_T2_T3_mRjT4_P12ihipStream_tbNS1_7vsmem_tEEUlT_E_NS1_11comp_targetILNS1_3genE10ELNS1_11target_archE1201ELNS1_3gpuE5ELNS1_3repE0EEENS1_30default_config_static_selectorELNS0_4arch9wavefront6targetE0EEEvSM_,@function
_ZN7rocprim17ROCPRIM_400000_NS6detail17trampoline_kernelINS0_14default_configENS1_37merge_sort_block_sort_config_selectorIN6thrust23THRUST_200600_302600_NS4pairIiiEENS0_10empty_typeEEEZNS1_21merge_sort_block_sortIS3_NS6_6detail15normal_iteratorINS6_10device_ptrIS8_EEEESG_PS9_SH_NS6_4lessIS8_EEEE10hipError_tT0_T1_T2_T3_mRjT4_P12ihipStream_tbNS1_7vsmem_tEEUlT_E_NS1_11comp_targetILNS1_3genE10ELNS1_11target_archE1201ELNS1_3gpuE5ELNS1_3repE0EEENS1_30default_config_static_selectorELNS0_4arch9wavefront6targetE0EEEvSM_: ; @_ZN7rocprim17ROCPRIM_400000_NS6detail17trampoline_kernelINS0_14default_configENS1_37merge_sort_block_sort_config_selectorIN6thrust23THRUST_200600_302600_NS4pairIiiEENS0_10empty_typeEEEZNS1_21merge_sort_block_sortIS3_NS6_6detail15normal_iteratorINS6_10device_ptrIS8_EEEESG_PS9_SH_NS6_4lessIS8_EEEE10hipError_tT0_T1_T2_T3_mRjT4_P12ihipStream_tbNS1_7vsmem_tEEUlT_E_NS1_11comp_targetILNS1_3genE10ELNS1_11target_archE1201ELNS1_3gpuE5ELNS1_3repE0EEENS1_30default_config_static_selectorELNS0_4arch9wavefront6targetE0EEEvSM_
; %bb.0:
	.section	.rodata,"a",@progbits
	.p2align	6, 0x0
	.amdhsa_kernel _ZN7rocprim17ROCPRIM_400000_NS6detail17trampoline_kernelINS0_14default_configENS1_37merge_sort_block_sort_config_selectorIN6thrust23THRUST_200600_302600_NS4pairIiiEENS0_10empty_typeEEEZNS1_21merge_sort_block_sortIS3_NS6_6detail15normal_iteratorINS6_10device_ptrIS8_EEEESG_PS9_SH_NS6_4lessIS8_EEEE10hipError_tT0_T1_T2_T3_mRjT4_P12ihipStream_tbNS1_7vsmem_tEEUlT_E_NS1_11comp_targetILNS1_3genE10ELNS1_11target_archE1201ELNS1_3gpuE5ELNS1_3repE0EEENS1_30default_config_static_selectorELNS0_4arch9wavefront6targetE0EEEvSM_
		.amdhsa_group_segment_fixed_size 0
		.amdhsa_private_segment_fixed_size 0
		.amdhsa_kernarg_size 64
		.amdhsa_user_sgpr_count 6
		.amdhsa_user_sgpr_private_segment_buffer 1
		.amdhsa_user_sgpr_dispatch_ptr 0
		.amdhsa_user_sgpr_queue_ptr 0
		.amdhsa_user_sgpr_kernarg_segment_ptr 1
		.amdhsa_user_sgpr_dispatch_id 0
		.amdhsa_user_sgpr_flat_scratch_init 0
		.amdhsa_user_sgpr_private_segment_size 0
		.amdhsa_wavefront_size32 1
		.amdhsa_uses_dynamic_stack 0
		.amdhsa_system_sgpr_private_segment_wavefront_offset 0
		.amdhsa_system_sgpr_workgroup_id_x 1
		.amdhsa_system_sgpr_workgroup_id_y 0
		.amdhsa_system_sgpr_workgroup_id_z 0
		.amdhsa_system_sgpr_workgroup_info 0
		.amdhsa_system_vgpr_workitem_id 0
		.amdhsa_next_free_vgpr 1
		.amdhsa_next_free_sgpr 1
		.amdhsa_reserve_vcc 0
		.amdhsa_reserve_flat_scratch 0
		.amdhsa_float_round_mode_32 0
		.amdhsa_float_round_mode_16_64 0
		.amdhsa_float_denorm_mode_32 3
		.amdhsa_float_denorm_mode_16_64 3
		.amdhsa_dx10_clamp 1
		.amdhsa_ieee_mode 1
		.amdhsa_fp16_overflow 0
		.amdhsa_workgroup_processor_mode 1
		.amdhsa_memory_ordered 1
		.amdhsa_forward_progress 1
		.amdhsa_shared_vgpr_count 0
		.amdhsa_exception_fp_ieee_invalid_op 0
		.amdhsa_exception_fp_denorm_src 0
		.amdhsa_exception_fp_ieee_div_zero 0
		.amdhsa_exception_fp_ieee_overflow 0
		.amdhsa_exception_fp_ieee_underflow 0
		.amdhsa_exception_fp_ieee_inexact 0
		.amdhsa_exception_int_div_zero 0
	.end_amdhsa_kernel
	.section	.text._ZN7rocprim17ROCPRIM_400000_NS6detail17trampoline_kernelINS0_14default_configENS1_37merge_sort_block_sort_config_selectorIN6thrust23THRUST_200600_302600_NS4pairIiiEENS0_10empty_typeEEEZNS1_21merge_sort_block_sortIS3_NS6_6detail15normal_iteratorINS6_10device_ptrIS8_EEEESG_PS9_SH_NS6_4lessIS8_EEEE10hipError_tT0_T1_T2_T3_mRjT4_P12ihipStream_tbNS1_7vsmem_tEEUlT_E_NS1_11comp_targetILNS1_3genE10ELNS1_11target_archE1201ELNS1_3gpuE5ELNS1_3repE0EEENS1_30default_config_static_selectorELNS0_4arch9wavefront6targetE0EEEvSM_,"axG",@progbits,_ZN7rocprim17ROCPRIM_400000_NS6detail17trampoline_kernelINS0_14default_configENS1_37merge_sort_block_sort_config_selectorIN6thrust23THRUST_200600_302600_NS4pairIiiEENS0_10empty_typeEEEZNS1_21merge_sort_block_sortIS3_NS6_6detail15normal_iteratorINS6_10device_ptrIS8_EEEESG_PS9_SH_NS6_4lessIS8_EEEE10hipError_tT0_T1_T2_T3_mRjT4_P12ihipStream_tbNS1_7vsmem_tEEUlT_E_NS1_11comp_targetILNS1_3genE10ELNS1_11target_archE1201ELNS1_3gpuE5ELNS1_3repE0EEENS1_30default_config_static_selectorELNS0_4arch9wavefront6targetE0EEEvSM_,comdat
.Lfunc_end629:
	.size	_ZN7rocprim17ROCPRIM_400000_NS6detail17trampoline_kernelINS0_14default_configENS1_37merge_sort_block_sort_config_selectorIN6thrust23THRUST_200600_302600_NS4pairIiiEENS0_10empty_typeEEEZNS1_21merge_sort_block_sortIS3_NS6_6detail15normal_iteratorINS6_10device_ptrIS8_EEEESG_PS9_SH_NS6_4lessIS8_EEEE10hipError_tT0_T1_T2_T3_mRjT4_P12ihipStream_tbNS1_7vsmem_tEEUlT_E_NS1_11comp_targetILNS1_3genE10ELNS1_11target_archE1201ELNS1_3gpuE5ELNS1_3repE0EEENS1_30default_config_static_selectorELNS0_4arch9wavefront6targetE0EEEvSM_, .Lfunc_end629-_ZN7rocprim17ROCPRIM_400000_NS6detail17trampoline_kernelINS0_14default_configENS1_37merge_sort_block_sort_config_selectorIN6thrust23THRUST_200600_302600_NS4pairIiiEENS0_10empty_typeEEEZNS1_21merge_sort_block_sortIS3_NS6_6detail15normal_iteratorINS6_10device_ptrIS8_EEEESG_PS9_SH_NS6_4lessIS8_EEEE10hipError_tT0_T1_T2_T3_mRjT4_P12ihipStream_tbNS1_7vsmem_tEEUlT_E_NS1_11comp_targetILNS1_3genE10ELNS1_11target_archE1201ELNS1_3gpuE5ELNS1_3repE0EEENS1_30default_config_static_selectorELNS0_4arch9wavefront6targetE0EEEvSM_
                                        ; -- End function
	.set _ZN7rocprim17ROCPRIM_400000_NS6detail17trampoline_kernelINS0_14default_configENS1_37merge_sort_block_sort_config_selectorIN6thrust23THRUST_200600_302600_NS4pairIiiEENS0_10empty_typeEEEZNS1_21merge_sort_block_sortIS3_NS6_6detail15normal_iteratorINS6_10device_ptrIS8_EEEESG_PS9_SH_NS6_4lessIS8_EEEE10hipError_tT0_T1_T2_T3_mRjT4_P12ihipStream_tbNS1_7vsmem_tEEUlT_E_NS1_11comp_targetILNS1_3genE10ELNS1_11target_archE1201ELNS1_3gpuE5ELNS1_3repE0EEENS1_30default_config_static_selectorELNS0_4arch9wavefront6targetE0EEEvSM_.num_vgpr, 0
	.set _ZN7rocprim17ROCPRIM_400000_NS6detail17trampoline_kernelINS0_14default_configENS1_37merge_sort_block_sort_config_selectorIN6thrust23THRUST_200600_302600_NS4pairIiiEENS0_10empty_typeEEEZNS1_21merge_sort_block_sortIS3_NS6_6detail15normal_iteratorINS6_10device_ptrIS8_EEEESG_PS9_SH_NS6_4lessIS8_EEEE10hipError_tT0_T1_T2_T3_mRjT4_P12ihipStream_tbNS1_7vsmem_tEEUlT_E_NS1_11comp_targetILNS1_3genE10ELNS1_11target_archE1201ELNS1_3gpuE5ELNS1_3repE0EEENS1_30default_config_static_selectorELNS0_4arch9wavefront6targetE0EEEvSM_.num_agpr, 0
	.set _ZN7rocprim17ROCPRIM_400000_NS6detail17trampoline_kernelINS0_14default_configENS1_37merge_sort_block_sort_config_selectorIN6thrust23THRUST_200600_302600_NS4pairIiiEENS0_10empty_typeEEEZNS1_21merge_sort_block_sortIS3_NS6_6detail15normal_iteratorINS6_10device_ptrIS8_EEEESG_PS9_SH_NS6_4lessIS8_EEEE10hipError_tT0_T1_T2_T3_mRjT4_P12ihipStream_tbNS1_7vsmem_tEEUlT_E_NS1_11comp_targetILNS1_3genE10ELNS1_11target_archE1201ELNS1_3gpuE5ELNS1_3repE0EEENS1_30default_config_static_selectorELNS0_4arch9wavefront6targetE0EEEvSM_.numbered_sgpr, 0
	.set _ZN7rocprim17ROCPRIM_400000_NS6detail17trampoline_kernelINS0_14default_configENS1_37merge_sort_block_sort_config_selectorIN6thrust23THRUST_200600_302600_NS4pairIiiEENS0_10empty_typeEEEZNS1_21merge_sort_block_sortIS3_NS6_6detail15normal_iteratorINS6_10device_ptrIS8_EEEESG_PS9_SH_NS6_4lessIS8_EEEE10hipError_tT0_T1_T2_T3_mRjT4_P12ihipStream_tbNS1_7vsmem_tEEUlT_E_NS1_11comp_targetILNS1_3genE10ELNS1_11target_archE1201ELNS1_3gpuE5ELNS1_3repE0EEENS1_30default_config_static_selectorELNS0_4arch9wavefront6targetE0EEEvSM_.num_named_barrier, 0
	.set _ZN7rocprim17ROCPRIM_400000_NS6detail17trampoline_kernelINS0_14default_configENS1_37merge_sort_block_sort_config_selectorIN6thrust23THRUST_200600_302600_NS4pairIiiEENS0_10empty_typeEEEZNS1_21merge_sort_block_sortIS3_NS6_6detail15normal_iteratorINS6_10device_ptrIS8_EEEESG_PS9_SH_NS6_4lessIS8_EEEE10hipError_tT0_T1_T2_T3_mRjT4_P12ihipStream_tbNS1_7vsmem_tEEUlT_E_NS1_11comp_targetILNS1_3genE10ELNS1_11target_archE1201ELNS1_3gpuE5ELNS1_3repE0EEENS1_30default_config_static_selectorELNS0_4arch9wavefront6targetE0EEEvSM_.private_seg_size, 0
	.set _ZN7rocprim17ROCPRIM_400000_NS6detail17trampoline_kernelINS0_14default_configENS1_37merge_sort_block_sort_config_selectorIN6thrust23THRUST_200600_302600_NS4pairIiiEENS0_10empty_typeEEEZNS1_21merge_sort_block_sortIS3_NS6_6detail15normal_iteratorINS6_10device_ptrIS8_EEEESG_PS9_SH_NS6_4lessIS8_EEEE10hipError_tT0_T1_T2_T3_mRjT4_P12ihipStream_tbNS1_7vsmem_tEEUlT_E_NS1_11comp_targetILNS1_3genE10ELNS1_11target_archE1201ELNS1_3gpuE5ELNS1_3repE0EEENS1_30default_config_static_selectorELNS0_4arch9wavefront6targetE0EEEvSM_.uses_vcc, 0
	.set _ZN7rocprim17ROCPRIM_400000_NS6detail17trampoline_kernelINS0_14default_configENS1_37merge_sort_block_sort_config_selectorIN6thrust23THRUST_200600_302600_NS4pairIiiEENS0_10empty_typeEEEZNS1_21merge_sort_block_sortIS3_NS6_6detail15normal_iteratorINS6_10device_ptrIS8_EEEESG_PS9_SH_NS6_4lessIS8_EEEE10hipError_tT0_T1_T2_T3_mRjT4_P12ihipStream_tbNS1_7vsmem_tEEUlT_E_NS1_11comp_targetILNS1_3genE10ELNS1_11target_archE1201ELNS1_3gpuE5ELNS1_3repE0EEENS1_30default_config_static_selectorELNS0_4arch9wavefront6targetE0EEEvSM_.uses_flat_scratch, 0
	.set _ZN7rocprim17ROCPRIM_400000_NS6detail17trampoline_kernelINS0_14default_configENS1_37merge_sort_block_sort_config_selectorIN6thrust23THRUST_200600_302600_NS4pairIiiEENS0_10empty_typeEEEZNS1_21merge_sort_block_sortIS3_NS6_6detail15normal_iteratorINS6_10device_ptrIS8_EEEESG_PS9_SH_NS6_4lessIS8_EEEE10hipError_tT0_T1_T2_T3_mRjT4_P12ihipStream_tbNS1_7vsmem_tEEUlT_E_NS1_11comp_targetILNS1_3genE10ELNS1_11target_archE1201ELNS1_3gpuE5ELNS1_3repE0EEENS1_30default_config_static_selectorELNS0_4arch9wavefront6targetE0EEEvSM_.has_dyn_sized_stack, 0
	.set _ZN7rocprim17ROCPRIM_400000_NS6detail17trampoline_kernelINS0_14default_configENS1_37merge_sort_block_sort_config_selectorIN6thrust23THRUST_200600_302600_NS4pairIiiEENS0_10empty_typeEEEZNS1_21merge_sort_block_sortIS3_NS6_6detail15normal_iteratorINS6_10device_ptrIS8_EEEESG_PS9_SH_NS6_4lessIS8_EEEE10hipError_tT0_T1_T2_T3_mRjT4_P12ihipStream_tbNS1_7vsmem_tEEUlT_E_NS1_11comp_targetILNS1_3genE10ELNS1_11target_archE1201ELNS1_3gpuE5ELNS1_3repE0EEENS1_30default_config_static_selectorELNS0_4arch9wavefront6targetE0EEEvSM_.has_recursion, 0
	.set _ZN7rocprim17ROCPRIM_400000_NS6detail17trampoline_kernelINS0_14default_configENS1_37merge_sort_block_sort_config_selectorIN6thrust23THRUST_200600_302600_NS4pairIiiEENS0_10empty_typeEEEZNS1_21merge_sort_block_sortIS3_NS6_6detail15normal_iteratorINS6_10device_ptrIS8_EEEESG_PS9_SH_NS6_4lessIS8_EEEE10hipError_tT0_T1_T2_T3_mRjT4_P12ihipStream_tbNS1_7vsmem_tEEUlT_E_NS1_11comp_targetILNS1_3genE10ELNS1_11target_archE1201ELNS1_3gpuE5ELNS1_3repE0EEENS1_30default_config_static_selectorELNS0_4arch9wavefront6targetE0EEEvSM_.has_indirect_call, 0
	.section	.AMDGPU.csdata,"",@progbits
; Kernel info:
; codeLenInByte = 0
; TotalNumSgprs: 0
; NumVgprs: 0
; ScratchSize: 0
; MemoryBound: 0
; FloatMode: 240
; IeeeMode: 1
; LDSByteSize: 0 bytes/workgroup (compile time only)
; SGPRBlocks: 0
; VGPRBlocks: 0
; NumSGPRsForWavesPerEU: 1
; NumVGPRsForWavesPerEU: 1
; Occupancy: 16
; WaveLimiterHint : 0
; COMPUTE_PGM_RSRC2:SCRATCH_EN: 0
; COMPUTE_PGM_RSRC2:USER_SGPR: 6
; COMPUTE_PGM_RSRC2:TRAP_HANDLER: 0
; COMPUTE_PGM_RSRC2:TGID_X_EN: 1
; COMPUTE_PGM_RSRC2:TGID_Y_EN: 0
; COMPUTE_PGM_RSRC2:TGID_Z_EN: 0
; COMPUTE_PGM_RSRC2:TIDIG_COMP_CNT: 0
	.section	.text._ZN7rocprim17ROCPRIM_400000_NS6detail17trampoline_kernelINS0_14default_configENS1_37merge_sort_block_sort_config_selectorIN6thrust23THRUST_200600_302600_NS4pairIiiEENS0_10empty_typeEEEZNS1_21merge_sort_block_sortIS3_NS6_6detail15normal_iteratorINS6_10device_ptrIS8_EEEESG_PS9_SH_NS6_4lessIS8_EEEE10hipError_tT0_T1_T2_T3_mRjT4_P12ihipStream_tbNS1_7vsmem_tEEUlT_E_NS1_11comp_targetILNS1_3genE10ELNS1_11target_archE1200ELNS1_3gpuE4ELNS1_3repE0EEENS1_30default_config_static_selectorELNS0_4arch9wavefront6targetE0EEEvSM_,"axG",@progbits,_ZN7rocprim17ROCPRIM_400000_NS6detail17trampoline_kernelINS0_14default_configENS1_37merge_sort_block_sort_config_selectorIN6thrust23THRUST_200600_302600_NS4pairIiiEENS0_10empty_typeEEEZNS1_21merge_sort_block_sortIS3_NS6_6detail15normal_iteratorINS6_10device_ptrIS8_EEEESG_PS9_SH_NS6_4lessIS8_EEEE10hipError_tT0_T1_T2_T3_mRjT4_P12ihipStream_tbNS1_7vsmem_tEEUlT_E_NS1_11comp_targetILNS1_3genE10ELNS1_11target_archE1200ELNS1_3gpuE4ELNS1_3repE0EEENS1_30default_config_static_selectorELNS0_4arch9wavefront6targetE0EEEvSM_,comdat
	.protected	_ZN7rocprim17ROCPRIM_400000_NS6detail17trampoline_kernelINS0_14default_configENS1_37merge_sort_block_sort_config_selectorIN6thrust23THRUST_200600_302600_NS4pairIiiEENS0_10empty_typeEEEZNS1_21merge_sort_block_sortIS3_NS6_6detail15normal_iteratorINS6_10device_ptrIS8_EEEESG_PS9_SH_NS6_4lessIS8_EEEE10hipError_tT0_T1_T2_T3_mRjT4_P12ihipStream_tbNS1_7vsmem_tEEUlT_E_NS1_11comp_targetILNS1_3genE10ELNS1_11target_archE1200ELNS1_3gpuE4ELNS1_3repE0EEENS1_30default_config_static_selectorELNS0_4arch9wavefront6targetE0EEEvSM_ ; -- Begin function _ZN7rocprim17ROCPRIM_400000_NS6detail17trampoline_kernelINS0_14default_configENS1_37merge_sort_block_sort_config_selectorIN6thrust23THRUST_200600_302600_NS4pairIiiEENS0_10empty_typeEEEZNS1_21merge_sort_block_sortIS3_NS6_6detail15normal_iteratorINS6_10device_ptrIS8_EEEESG_PS9_SH_NS6_4lessIS8_EEEE10hipError_tT0_T1_T2_T3_mRjT4_P12ihipStream_tbNS1_7vsmem_tEEUlT_E_NS1_11comp_targetILNS1_3genE10ELNS1_11target_archE1200ELNS1_3gpuE4ELNS1_3repE0EEENS1_30default_config_static_selectorELNS0_4arch9wavefront6targetE0EEEvSM_
	.globl	_ZN7rocprim17ROCPRIM_400000_NS6detail17trampoline_kernelINS0_14default_configENS1_37merge_sort_block_sort_config_selectorIN6thrust23THRUST_200600_302600_NS4pairIiiEENS0_10empty_typeEEEZNS1_21merge_sort_block_sortIS3_NS6_6detail15normal_iteratorINS6_10device_ptrIS8_EEEESG_PS9_SH_NS6_4lessIS8_EEEE10hipError_tT0_T1_T2_T3_mRjT4_P12ihipStream_tbNS1_7vsmem_tEEUlT_E_NS1_11comp_targetILNS1_3genE10ELNS1_11target_archE1200ELNS1_3gpuE4ELNS1_3repE0EEENS1_30default_config_static_selectorELNS0_4arch9wavefront6targetE0EEEvSM_
	.p2align	8
	.type	_ZN7rocprim17ROCPRIM_400000_NS6detail17trampoline_kernelINS0_14default_configENS1_37merge_sort_block_sort_config_selectorIN6thrust23THRUST_200600_302600_NS4pairIiiEENS0_10empty_typeEEEZNS1_21merge_sort_block_sortIS3_NS6_6detail15normal_iteratorINS6_10device_ptrIS8_EEEESG_PS9_SH_NS6_4lessIS8_EEEE10hipError_tT0_T1_T2_T3_mRjT4_P12ihipStream_tbNS1_7vsmem_tEEUlT_E_NS1_11comp_targetILNS1_3genE10ELNS1_11target_archE1200ELNS1_3gpuE4ELNS1_3repE0EEENS1_30default_config_static_selectorELNS0_4arch9wavefront6targetE0EEEvSM_,@function
_ZN7rocprim17ROCPRIM_400000_NS6detail17trampoline_kernelINS0_14default_configENS1_37merge_sort_block_sort_config_selectorIN6thrust23THRUST_200600_302600_NS4pairIiiEENS0_10empty_typeEEEZNS1_21merge_sort_block_sortIS3_NS6_6detail15normal_iteratorINS6_10device_ptrIS8_EEEESG_PS9_SH_NS6_4lessIS8_EEEE10hipError_tT0_T1_T2_T3_mRjT4_P12ihipStream_tbNS1_7vsmem_tEEUlT_E_NS1_11comp_targetILNS1_3genE10ELNS1_11target_archE1200ELNS1_3gpuE4ELNS1_3repE0EEENS1_30default_config_static_selectorELNS0_4arch9wavefront6targetE0EEEvSM_: ; @_ZN7rocprim17ROCPRIM_400000_NS6detail17trampoline_kernelINS0_14default_configENS1_37merge_sort_block_sort_config_selectorIN6thrust23THRUST_200600_302600_NS4pairIiiEENS0_10empty_typeEEEZNS1_21merge_sort_block_sortIS3_NS6_6detail15normal_iteratorINS6_10device_ptrIS8_EEEESG_PS9_SH_NS6_4lessIS8_EEEE10hipError_tT0_T1_T2_T3_mRjT4_P12ihipStream_tbNS1_7vsmem_tEEUlT_E_NS1_11comp_targetILNS1_3genE10ELNS1_11target_archE1200ELNS1_3gpuE4ELNS1_3repE0EEENS1_30default_config_static_selectorELNS0_4arch9wavefront6targetE0EEEvSM_
; %bb.0:
	.section	.rodata,"a",@progbits
	.p2align	6, 0x0
	.amdhsa_kernel _ZN7rocprim17ROCPRIM_400000_NS6detail17trampoline_kernelINS0_14default_configENS1_37merge_sort_block_sort_config_selectorIN6thrust23THRUST_200600_302600_NS4pairIiiEENS0_10empty_typeEEEZNS1_21merge_sort_block_sortIS3_NS6_6detail15normal_iteratorINS6_10device_ptrIS8_EEEESG_PS9_SH_NS6_4lessIS8_EEEE10hipError_tT0_T1_T2_T3_mRjT4_P12ihipStream_tbNS1_7vsmem_tEEUlT_E_NS1_11comp_targetILNS1_3genE10ELNS1_11target_archE1200ELNS1_3gpuE4ELNS1_3repE0EEENS1_30default_config_static_selectorELNS0_4arch9wavefront6targetE0EEEvSM_
		.amdhsa_group_segment_fixed_size 0
		.amdhsa_private_segment_fixed_size 0
		.amdhsa_kernarg_size 64
		.amdhsa_user_sgpr_count 6
		.amdhsa_user_sgpr_private_segment_buffer 1
		.amdhsa_user_sgpr_dispatch_ptr 0
		.amdhsa_user_sgpr_queue_ptr 0
		.amdhsa_user_sgpr_kernarg_segment_ptr 1
		.amdhsa_user_sgpr_dispatch_id 0
		.amdhsa_user_sgpr_flat_scratch_init 0
		.amdhsa_user_sgpr_private_segment_size 0
		.amdhsa_wavefront_size32 1
		.amdhsa_uses_dynamic_stack 0
		.amdhsa_system_sgpr_private_segment_wavefront_offset 0
		.amdhsa_system_sgpr_workgroup_id_x 1
		.amdhsa_system_sgpr_workgroup_id_y 0
		.amdhsa_system_sgpr_workgroup_id_z 0
		.amdhsa_system_sgpr_workgroup_info 0
		.amdhsa_system_vgpr_workitem_id 0
		.amdhsa_next_free_vgpr 1
		.amdhsa_next_free_sgpr 1
		.amdhsa_reserve_vcc 0
		.amdhsa_reserve_flat_scratch 0
		.amdhsa_float_round_mode_32 0
		.amdhsa_float_round_mode_16_64 0
		.amdhsa_float_denorm_mode_32 3
		.amdhsa_float_denorm_mode_16_64 3
		.amdhsa_dx10_clamp 1
		.amdhsa_ieee_mode 1
		.amdhsa_fp16_overflow 0
		.amdhsa_workgroup_processor_mode 1
		.amdhsa_memory_ordered 1
		.amdhsa_forward_progress 1
		.amdhsa_shared_vgpr_count 0
		.amdhsa_exception_fp_ieee_invalid_op 0
		.amdhsa_exception_fp_denorm_src 0
		.amdhsa_exception_fp_ieee_div_zero 0
		.amdhsa_exception_fp_ieee_overflow 0
		.amdhsa_exception_fp_ieee_underflow 0
		.amdhsa_exception_fp_ieee_inexact 0
		.amdhsa_exception_int_div_zero 0
	.end_amdhsa_kernel
	.section	.text._ZN7rocprim17ROCPRIM_400000_NS6detail17trampoline_kernelINS0_14default_configENS1_37merge_sort_block_sort_config_selectorIN6thrust23THRUST_200600_302600_NS4pairIiiEENS0_10empty_typeEEEZNS1_21merge_sort_block_sortIS3_NS6_6detail15normal_iteratorINS6_10device_ptrIS8_EEEESG_PS9_SH_NS6_4lessIS8_EEEE10hipError_tT0_T1_T2_T3_mRjT4_P12ihipStream_tbNS1_7vsmem_tEEUlT_E_NS1_11comp_targetILNS1_3genE10ELNS1_11target_archE1200ELNS1_3gpuE4ELNS1_3repE0EEENS1_30default_config_static_selectorELNS0_4arch9wavefront6targetE0EEEvSM_,"axG",@progbits,_ZN7rocprim17ROCPRIM_400000_NS6detail17trampoline_kernelINS0_14default_configENS1_37merge_sort_block_sort_config_selectorIN6thrust23THRUST_200600_302600_NS4pairIiiEENS0_10empty_typeEEEZNS1_21merge_sort_block_sortIS3_NS6_6detail15normal_iteratorINS6_10device_ptrIS8_EEEESG_PS9_SH_NS6_4lessIS8_EEEE10hipError_tT0_T1_T2_T3_mRjT4_P12ihipStream_tbNS1_7vsmem_tEEUlT_E_NS1_11comp_targetILNS1_3genE10ELNS1_11target_archE1200ELNS1_3gpuE4ELNS1_3repE0EEENS1_30default_config_static_selectorELNS0_4arch9wavefront6targetE0EEEvSM_,comdat
.Lfunc_end630:
	.size	_ZN7rocprim17ROCPRIM_400000_NS6detail17trampoline_kernelINS0_14default_configENS1_37merge_sort_block_sort_config_selectorIN6thrust23THRUST_200600_302600_NS4pairIiiEENS0_10empty_typeEEEZNS1_21merge_sort_block_sortIS3_NS6_6detail15normal_iteratorINS6_10device_ptrIS8_EEEESG_PS9_SH_NS6_4lessIS8_EEEE10hipError_tT0_T1_T2_T3_mRjT4_P12ihipStream_tbNS1_7vsmem_tEEUlT_E_NS1_11comp_targetILNS1_3genE10ELNS1_11target_archE1200ELNS1_3gpuE4ELNS1_3repE0EEENS1_30default_config_static_selectorELNS0_4arch9wavefront6targetE0EEEvSM_, .Lfunc_end630-_ZN7rocprim17ROCPRIM_400000_NS6detail17trampoline_kernelINS0_14default_configENS1_37merge_sort_block_sort_config_selectorIN6thrust23THRUST_200600_302600_NS4pairIiiEENS0_10empty_typeEEEZNS1_21merge_sort_block_sortIS3_NS6_6detail15normal_iteratorINS6_10device_ptrIS8_EEEESG_PS9_SH_NS6_4lessIS8_EEEE10hipError_tT0_T1_T2_T3_mRjT4_P12ihipStream_tbNS1_7vsmem_tEEUlT_E_NS1_11comp_targetILNS1_3genE10ELNS1_11target_archE1200ELNS1_3gpuE4ELNS1_3repE0EEENS1_30default_config_static_selectorELNS0_4arch9wavefront6targetE0EEEvSM_
                                        ; -- End function
	.set _ZN7rocprim17ROCPRIM_400000_NS6detail17trampoline_kernelINS0_14default_configENS1_37merge_sort_block_sort_config_selectorIN6thrust23THRUST_200600_302600_NS4pairIiiEENS0_10empty_typeEEEZNS1_21merge_sort_block_sortIS3_NS6_6detail15normal_iteratorINS6_10device_ptrIS8_EEEESG_PS9_SH_NS6_4lessIS8_EEEE10hipError_tT0_T1_T2_T3_mRjT4_P12ihipStream_tbNS1_7vsmem_tEEUlT_E_NS1_11comp_targetILNS1_3genE10ELNS1_11target_archE1200ELNS1_3gpuE4ELNS1_3repE0EEENS1_30default_config_static_selectorELNS0_4arch9wavefront6targetE0EEEvSM_.num_vgpr, 0
	.set _ZN7rocprim17ROCPRIM_400000_NS6detail17trampoline_kernelINS0_14default_configENS1_37merge_sort_block_sort_config_selectorIN6thrust23THRUST_200600_302600_NS4pairIiiEENS0_10empty_typeEEEZNS1_21merge_sort_block_sortIS3_NS6_6detail15normal_iteratorINS6_10device_ptrIS8_EEEESG_PS9_SH_NS6_4lessIS8_EEEE10hipError_tT0_T1_T2_T3_mRjT4_P12ihipStream_tbNS1_7vsmem_tEEUlT_E_NS1_11comp_targetILNS1_3genE10ELNS1_11target_archE1200ELNS1_3gpuE4ELNS1_3repE0EEENS1_30default_config_static_selectorELNS0_4arch9wavefront6targetE0EEEvSM_.num_agpr, 0
	.set _ZN7rocprim17ROCPRIM_400000_NS6detail17trampoline_kernelINS0_14default_configENS1_37merge_sort_block_sort_config_selectorIN6thrust23THRUST_200600_302600_NS4pairIiiEENS0_10empty_typeEEEZNS1_21merge_sort_block_sortIS3_NS6_6detail15normal_iteratorINS6_10device_ptrIS8_EEEESG_PS9_SH_NS6_4lessIS8_EEEE10hipError_tT0_T1_T2_T3_mRjT4_P12ihipStream_tbNS1_7vsmem_tEEUlT_E_NS1_11comp_targetILNS1_3genE10ELNS1_11target_archE1200ELNS1_3gpuE4ELNS1_3repE0EEENS1_30default_config_static_selectorELNS0_4arch9wavefront6targetE0EEEvSM_.numbered_sgpr, 0
	.set _ZN7rocprim17ROCPRIM_400000_NS6detail17trampoline_kernelINS0_14default_configENS1_37merge_sort_block_sort_config_selectorIN6thrust23THRUST_200600_302600_NS4pairIiiEENS0_10empty_typeEEEZNS1_21merge_sort_block_sortIS3_NS6_6detail15normal_iteratorINS6_10device_ptrIS8_EEEESG_PS9_SH_NS6_4lessIS8_EEEE10hipError_tT0_T1_T2_T3_mRjT4_P12ihipStream_tbNS1_7vsmem_tEEUlT_E_NS1_11comp_targetILNS1_3genE10ELNS1_11target_archE1200ELNS1_3gpuE4ELNS1_3repE0EEENS1_30default_config_static_selectorELNS0_4arch9wavefront6targetE0EEEvSM_.num_named_barrier, 0
	.set _ZN7rocprim17ROCPRIM_400000_NS6detail17trampoline_kernelINS0_14default_configENS1_37merge_sort_block_sort_config_selectorIN6thrust23THRUST_200600_302600_NS4pairIiiEENS0_10empty_typeEEEZNS1_21merge_sort_block_sortIS3_NS6_6detail15normal_iteratorINS6_10device_ptrIS8_EEEESG_PS9_SH_NS6_4lessIS8_EEEE10hipError_tT0_T1_T2_T3_mRjT4_P12ihipStream_tbNS1_7vsmem_tEEUlT_E_NS1_11comp_targetILNS1_3genE10ELNS1_11target_archE1200ELNS1_3gpuE4ELNS1_3repE0EEENS1_30default_config_static_selectorELNS0_4arch9wavefront6targetE0EEEvSM_.private_seg_size, 0
	.set _ZN7rocprim17ROCPRIM_400000_NS6detail17trampoline_kernelINS0_14default_configENS1_37merge_sort_block_sort_config_selectorIN6thrust23THRUST_200600_302600_NS4pairIiiEENS0_10empty_typeEEEZNS1_21merge_sort_block_sortIS3_NS6_6detail15normal_iteratorINS6_10device_ptrIS8_EEEESG_PS9_SH_NS6_4lessIS8_EEEE10hipError_tT0_T1_T2_T3_mRjT4_P12ihipStream_tbNS1_7vsmem_tEEUlT_E_NS1_11comp_targetILNS1_3genE10ELNS1_11target_archE1200ELNS1_3gpuE4ELNS1_3repE0EEENS1_30default_config_static_selectorELNS0_4arch9wavefront6targetE0EEEvSM_.uses_vcc, 0
	.set _ZN7rocprim17ROCPRIM_400000_NS6detail17trampoline_kernelINS0_14default_configENS1_37merge_sort_block_sort_config_selectorIN6thrust23THRUST_200600_302600_NS4pairIiiEENS0_10empty_typeEEEZNS1_21merge_sort_block_sortIS3_NS6_6detail15normal_iteratorINS6_10device_ptrIS8_EEEESG_PS9_SH_NS6_4lessIS8_EEEE10hipError_tT0_T1_T2_T3_mRjT4_P12ihipStream_tbNS1_7vsmem_tEEUlT_E_NS1_11comp_targetILNS1_3genE10ELNS1_11target_archE1200ELNS1_3gpuE4ELNS1_3repE0EEENS1_30default_config_static_selectorELNS0_4arch9wavefront6targetE0EEEvSM_.uses_flat_scratch, 0
	.set _ZN7rocprim17ROCPRIM_400000_NS6detail17trampoline_kernelINS0_14default_configENS1_37merge_sort_block_sort_config_selectorIN6thrust23THRUST_200600_302600_NS4pairIiiEENS0_10empty_typeEEEZNS1_21merge_sort_block_sortIS3_NS6_6detail15normal_iteratorINS6_10device_ptrIS8_EEEESG_PS9_SH_NS6_4lessIS8_EEEE10hipError_tT0_T1_T2_T3_mRjT4_P12ihipStream_tbNS1_7vsmem_tEEUlT_E_NS1_11comp_targetILNS1_3genE10ELNS1_11target_archE1200ELNS1_3gpuE4ELNS1_3repE0EEENS1_30default_config_static_selectorELNS0_4arch9wavefront6targetE0EEEvSM_.has_dyn_sized_stack, 0
	.set _ZN7rocprim17ROCPRIM_400000_NS6detail17trampoline_kernelINS0_14default_configENS1_37merge_sort_block_sort_config_selectorIN6thrust23THRUST_200600_302600_NS4pairIiiEENS0_10empty_typeEEEZNS1_21merge_sort_block_sortIS3_NS6_6detail15normal_iteratorINS6_10device_ptrIS8_EEEESG_PS9_SH_NS6_4lessIS8_EEEE10hipError_tT0_T1_T2_T3_mRjT4_P12ihipStream_tbNS1_7vsmem_tEEUlT_E_NS1_11comp_targetILNS1_3genE10ELNS1_11target_archE1200ELNS1_3gpuE4ELNS1_3repE0EEENS1_30default_config_static_selectorELNS0_4arch9wavefront6targetE0EEEvSM_.has_recursion, 0
	.set _ZN7rocprim17ROCPRIM_400000_NS6detail17trampoline_kernelINS0_14default_configENS1_37merge_sort_block_sort_config_selectorIN6thrust23THRUST_200600_302600_NS4pairIiiEENS0_10empty_typeEEEZNS1_21merge_sort_block_sortIS3_NS6_6detail15normal_iteratorINS6_10device_ptrIS8_EEEESG_PS9_SH_NS6_4lessIS8_EEEE10hipError_tT0_T1_T2_T3_mRjT4_P12ihipStream_tbNS1_7vsmem_tEEUlT_E_NS1_11comp_targetILNS1_3genE10ELNS1_11target_archE1200ELNS1_3gpuE4ELNS1_3repE0EEENS1_30default_config_static_selectorELNS0_4arch9wavefront6targetE0EEEvSM_.has_indirect_call, 0
	.section	.AMDGPU.csdata,"",@progbits
; Kernel info:
; codeLenInByte = 0
; TotalNumSgprs: 0
; NumVgprs: 0
; ScratchSize: 0
; MemoryBound: 0
; FloatMode: 240
; IeeeMode: 1
; LDSByteSize: 0 bytes/workgroup (compile time only)
; SGPRBlocks: 0
; VGPRBlocks: 0
; NumSGPRsForWavesPerEU: 1
; NumVGPRsForWavesPerEU: 1
; Occupancy: 16
; WaveLimiterHint : 0
; COMPUTE_PGM_RSRC2:SCRATCH_EN: 0
; COMPUTE_PGM_RSRC2:USER_SGPR: 6
; COMPUTE_PGM_RSRC2:TRAP_HANDLER: 0
; COMPUTE_PGM_RSRC2:TGID_X_EN: 1
; COMPUTE_PGM_RSRC2:TGID_Y_EN: 0
; COMPUTE_PGM_RSRC2:TGID_Z_EN: 0
; COMPUTE_PGM_RSRC2:TIDIG_COMP_CNT: 0
	.section	.text._ZN7rocprim17ROCPRIM_400000_NS6detail17trampoline_kernelINS0_14default_configENS1_37merge_sort_block_sort_config_selectorIN6thrust23THRUST_200600_302600_NS4pairIiiEENS0_10empty_typeEEEZNS1_21merge_sort_block_sortIS3_NS6_6detail15normal_iteratorINS6_10device_ptrIS8_EEEESG_PS9_SH_NS6_4lessIS8_EEEE10hipError_tT0_T1_T2_T3_mRjT4_P12ihipStream_tbNS1_7vsmem_tEEUlT_E_NS1_11comp_targetILNS1_3genE9ELNS1_11target_archE1100ELNS1_3gpuE3ELNS1_3repE0EEENS1_30default_config_static_selectorELNS0_4arch9wavefront6targetE0EEEvSM_,"axG",@progbits,_ZN7rocprim17ROCPRIM_400000_NS6detail17trampoline_kernelINS0_14default_configENS1_37merge_sort_block_sort_config_selectorIN6thrust23THRUST_200600_302600_NS4pairIiiEENS0_10empty_typeEEEZNS1_21merge_sort_block_sortIS3_NS6_6detail15normal_iteratorINS6_10device_ptrIS8_EEEESG_PS9_SH_NS6_4lessIS8_EEEE10hipError_tT0_T1_T2_T3_mRjT4_P12ihipStream_tbNS1_7vsmem_tEEUlT_E_NS1_11comp_targetILNS1_3genE9ELNS1_11target_archE1100ELNS1_3gpuE3ELNS1_3repE0EEENS1_30default_config_static_selectorELNS0_4arch9wavefront6targetE0EEEvSM_,comdat
	.protected	_ZN7rocprim17ROCPRIM_400000_NS6detail17trampoline_kernelINS0_14default_configENS1_37merge_sort_block_sort_config_selectorIN6thrust23THRUST_200600_302600_NS4pairIiiEENS0_10empty_typeEEEZNS1_21merge_sort_block_sortIS3_NS6_6detail15normal_iteratorINS6_10device_ptrIS8_EEEESG_PS9_SH_NS6_4lessIS8_EEEE10hipError_tT0_T1_T2_T3_mRjT4_P12ihipStream_tbNS1_7vsmem_tEEUlT_E_NS1_11comp_targetILNS1_3genE9ELNS1_11target_archE1100ELNS1_3gpuE3ELNS1_3repE0EEENS1_30default_config_static_selectorELNS0_4arch9wavefront6targetE0EEEvSM_ ; -- Begin function _ZN7rocprim17ROCPRIM_400000_NS6detail17trampoline_kernelINS0_14default_configENS1_37merge_sort_block_sort_config_selectorIN6thrust23THRUST_200600_302600_NS4pairIiiEENS0_10empty_typeEEEZNS1_21merge_sort_block_sortIS3_NS6_6detail15normal_iteratorINS6_10device_ptrIS8_EEEESG_PS9_SH_NS6_4lessIS8_EEEE10hipError_tT0_T1_T2_T3_mRjT4_P12ihipStream_tbNS1_7vsmem_tEEUlT_E_NS1_11comp_targetILNS1_3genE9ELNS1_11target_archE1100ELNS1_3gpuE3ELNS1_3repE0EEENS1_30default_config_static_selectorELNS0_4arch9wavefront6targetE0EEEvSM_
	.globl	_ZN7rocprim17ROCPRIM_400000_NS6detail17trampoline_kernelINS0_14default_configENS1_37merge_sort_block_sort_config_selectorIN6thrust23THRUST_200600_302600_NS4pairIiiEENS0_10empty_typeEEEZNS1_21merge_sort_block_sortIS3_NS6_6detail15normal_iteratorINS6_10device_ptrIS8_EEEESG_PS9_SH_NS6_4lessIS8_EEEE10hipError_tT0_T1_T2_T3_mRjT4_P12ihipStream_tbNS1_7vsmem_tEEUlT_E_NS1_11comp_targetILNS1_3genE9ELNS1_11target_archE1100ELNS1_3gpuE3ELNS1_3repE0EEENS1_30default_config_static_selectorELNS0_4arch9wavefront6targetE0EEEvSM_
	.p2align	8
	.type	_ZN7rocprim17ROCPRIM_400000_NS6detail17trampoline_kernelINS0_14default_configENS1_37merge_sort_block_sort_config_selectorIN6thrust23THRUST_200600_302600_NS4pairIiiEENS0_10empty_typeEEEZNS1_21merge_sort_block_sortIS3_NS6_6detail15normal_iteratorINS6_10device_ptrIS8_EEEESG_PS9_SH_NS6_4lessIS8_EEEE10hipError_tT0_T1_T2_T3_mRjT4_P12ihipStream_tbNS1_7vsmem_tEEUlT_E_NS1_11comp_targetILNS1_3genE9ELNS1_11target_archE1100ELNS1_3gpuE3ELNS1_3repE0EEENS1_30default_config_static_selectorELNS0_4arch9wavefront6targetE0EEEvSM_,@function
_ZN7rocprim17ROCPRIM_400000_NS6detail17trampoline_kernelINS0_14default_configENS1_37merge_sort_block_sort_config_selectorIN6thrust23THRUST_200600_302600_NS4pairIiiEENS0_10empty_typeEEEZNS1_21merge_sort_block_sortIS3_NS6_6detail15normal_iteratorINS6_10device_ptrIS8_EEEESG_PS9_SH_NS6_4lessIS8_EEEE10hipError_tT0_T1_T2_T3_mRjT4_P12ihipStream_tbNS1_7vsmem_tEEUlT_E_NS1_11comp_targetILNS1_3genE9ELNS1_11target_archE1100ELNS1_3gpuE3ELNS1_3repE0EEENS1_30default_config_static_selectorELNS0_4arch9wavefront6targetE0EEEvSM_: ; @_ZN7rocprim17ROCPRIM_400000_NS6detail17trampoline_kernelINS0_14default_configENS1_37merge_sort_block_sort_config_selectorIN6thrust23THRUST_200600_302600_NS4pairIiiEENS0_10empty_typeEEEZNS1_21merge_sort_block_sortIS3_NS6_6detail15normal_iteratorINS6_10device_ptrIS8_EEEESG_PS9_SH_NS6_4lessIS8_EEEE10hipError_tT0_T1_T2_T3_mRjT4_P12ihipStream_tbNS1_7vsmem_tEEUlT_E_NS1_11comp_targetILNS1_3genE9ELNS1_11target_archE1100ELNS1_3gpuE3ELNS1_3repE0EEENS1_30default_config_static_selectorELNS0_4arch9wavefront6targetE0EEEvSM_
; %bb.0:
	.section	.rodata,"a",@progbits
	.p2align	6, 0x0
	.amdhsa_kernel _ZN7rocprim17ROCPRIM_400000_NS6detail17trampoline_kernelINS0_14default_configENS1_37merge_sort_block_sort_config_selectorIN6thrust23THRUST_200600_302600_NS4pairIiiEENS0_10empty_typeEEEZNS1_21merge_sort_block_sortIS3_NS6_6detail15normal_iteratorINS6_10device_ptrIS8_EEEESG_PS9_SH_NS6_4lessIS8_EEEE10hipError_tT0_T1_T2_T3_mRjT4_P12ihipStream_tbNS1_7vsmem_tEEUlT_E_NS1_11comp_targetILNS1_3genE9ELNS1_11target_archE1100ELNS1_3gpuE3ELNS1_3repE0EEENS1_30default_config_static_selectorELNS0_4arch9wavefront6targetE0EEEvSM_
		.amdhsa_group_segment_fixed_size 0
		.amdhsa_private_segment_fixed_size 0
		.amdhsa_kernarg_size 64
		.amdhsa_user_sgpr_count 6
		.amdhsa_user_sgpr_private_segment_buffer 1
		.amdhsa_user_sgpr_dispatch_ptr 0
		.amdhsa_user_sgpr_queue_ptr 0
		.amdhsa_user_sgpr_kernarg_segment_ptr 1
		.amdhsa_user_sgpr_dispatch_id 0
		.amdhsa_user_sgpr_flat_scratch_init 0
		.amdhsa_user_sgpr_private_segment_size 0
		.amdhsa_wavefront_size32 1
		.amdhsa_uses_dynamic_stack 0
		.amdhsa_system_sgpr_private_segment_wavefront_offset 0
		.amdhsa_system_sgpr_workgroup_id_x 1
		.amdhsa_system_sgpr_workgroup_id_y 0
		.amdhsa_system_sgpr_workgroup_id_z 0
		.amdhsa_system_sgpr_workgroup_info 0
		.amdhsa_system_vgpr_workitem_id 0
		.amdhsa_next_free_vgpr 1
		.amdhsa_next_free_sgpr 1
		.amdhsa_reserve_vcc 0
		.amdhsa_reserve_flat_scratch 0
		.amdhsa_float_round_mode_32 0
		.amdhsa_float_round_mode_16_64 0
		.amdhsa_float_denorm_mode_32 3
		.amdhsa_float_denorm_mode_16_64 3
		.amdhsa_dx10_clamp 1
		.amdhsa_ieee_mode 1
		.amdhsa_fp16_overflow 0
		.amdhsa_workgroup_processor_mode 1
		.amdhsa_memory_ordered 1
		.amdhsa_forward_progress 1
		.amdhsa_shared_vgpr_count 0
		.amdhsa_exception_fp_ieee_invalid_op 0
		.amdhsa_exception_fp_denorm_src 0
		.amdhsa_exception_fp_ieee_div_zero 0
		.amdhsa_exception_fp_ieee_overflow 0
		.amdhsa_exception_fp_ieee_underflow 0
		.amdhsa_exception_fp_ieee_inexact 0
		.amdhsa_exception_int_div_zero 0
	.end_amdhsa_kernel
	.section	.text._ZN7rocprim17ROCPRIM_400000_NS6detail17trampoline_kernelINS0_14default_configENS1_37merge_sort_block_sort_config_selectorIN6thrust23THRUST_200600_302600_NS4pairIiiEENS0_10empty_typeEEEZNS1_21merge_sort_block_sortIS3_NS6_6detail15normal_iteratorINS6_10device_ptrIS8_EEEESG_PS9_SH_NS6_4lessIS8_EEEE10hipError_tT0_T1_T2_T3_mRjT4_P12ihipStream_tbNS1_7vsmem_tEEUlT_E_NS1_11comp_targetILNS1_3genE9ELNS1_11target_archE1100ELNS1_3gpuE3ELNS1_3repE0EEENS1_30default_config_static_selectorELNS0_4arch9wavefront6targetE0EEEvSM_,"axG",@progbits,_ZN7rocprim17ROCPRIM_400000_NS6detail17trampoline_kernelINS0_14default_configENS1_37merge_sort_block_sort_config_selectorIN6thrust23THRUST_200600_302600_NS4pairIiiEENS0_10empty_typeEEEZNS1_21merge_sort_block_sortIS3_NS6_6detail15normal_iteratorINS6_10device_ptrIS8_EEEESG_PS9_SH_NS6_4lessIS8_EEEE10hipError_tT0_T1_T2_T3_mRjT4_P12ihipStream_tbNS1_7vsmem_tEEUlT_E_NS1_11comp_targetILNS1_3genE9ELNS1_11target_archE1100ELNS1_3gpuE3ELNS1_3repE0EEENS1_30default_config_static_selectorELNS0_4arch9wavefront6targetE0EEEvSM_,comdat
.Lfunc_end631:
	.size	_ZN7rocprim17ROCPRIM_400000_NS6detail17trampoline_kernelINS0_14default_configENS1_37merge_sort_block_sort_config_selectorIN6thrust23THRUST_200600_302600_NS4pairIiiEENS0_10empty_typeEEEZNS1_21merge_sort_block_sortIS3_NS6_6detail15normal_iteratorINS6_10device_ptrIS8_EEEESG_PS9_SH_NS6_4lessIS8_EEEE10hipError_tT0_T1_T2_T3_mRjT4_P12ihipStream_tbNS1_7vsmem_tEEUlT_E_NS1_11comp_targetILNS1_3genE9ELNS1_11target_archE1100ELNS1_3gpuE3ELNS1_3repE0EEENS1_30default_config_static_selectorELNS0_4arch9wavefront6targetE0EEEvSM_, .Lfunc_end631-_ZN7rocprim17ROCPRIM_400000_NS6detail17trampoline_kernelINS0_14default_configENS1_37merge_sort_block_sort_config_selectorIN6thrust23THRUST_200600_302600_NS4pairIiiEENS0_10empty_typeEEEZNS1_21merge_sort_block_sortIS3_NS6_6detail15normal_iteratorINS6_10device_ptrIS8_EEEESG_PS9_SH_NS6_4lessIS8_EEEE10hipError_tT0_T1_T2_T3_mRjT4_P12ihipStream_tbNS1_7vsmem_tEEUlT_E_NS1_11comp_targetILNS1_3genE9ELNS1_11target_archE1100ELNS1_3gpuE3ELNS1_3repE0EEENS1_30default_config_static_selectorELNS0_4arch9wavefront6targetE0EEEvSM_
                                        ; -- End function
	.set _ZN7rocprim17ROCPRIM_400000_NS6detail17trampoline_kernelINS0_14default_configENS1_37merge_sort_block_sort_config_selectorIN6thrust23THRUST_200600_302600_NS4pairIiiEENS0_10empty_typeEEEZNS1_21merge_sort_block_sortIS3_NS6_6detail15normal_iteratorINS6_10device_ptrIS8_EEEESG_PS9_SH_NS6_4lessIS8_EEEE10hipError_tT0_T1_T2_T3_mRjT4_P12ihipStream_tbNS1_7vsmem_tEEUlT_E_NS1_11comp_targetILNS1_3genE9ELNS1_11target_archE1100ELNS1_3gpuE3ELNS1_3repE0EEENS1_30default_config_static_selectorELNS0_4arch9wavefront6targetE0EEEvSM_.num_vgpr, 0
	.set _ZN7rocprim17ROCPRIM_400000_NS6detail17trampoline_kernelINS0_14default_configENS1_37merge_sort_block_sort_config_selectorIN6thrust23THRUST_200600_302600_NS4pairIiiEENS0_10empty_typeEEEZNS1_21merge_sort_block_sortIS3_NS6_6detail15normal_iteratorINS6_10device_ptrIS8_EEEESG_PS9_SH_NS6_4lessIS8_EEEE10hipError_tT0_T1_T2_T3_mRjT4_P12ihipStream_tbNS1_7vsmem_tEEUlT_E_NS1_11comp_targetILNS1_3genE9ELNS1_11target_archE1100ELNS1_3gpuE3ELNS1_3repE0EEENS1_30default_config_static_selectorELNS0_4arch9wavefront6targetE0EEEvSM_.num_agpr, 0
	.set _ZN7rocprim17ROCPRIM_400000_NS6detail17trampoline_kernelINS0_14default_configENS1_37merge_sort_block_sort_config_selectorIN6thrust23THRUST_200600_302600_NS4pairIiiEENS0_10empty_typeEEEZNS1_21merge_sort_block_sortIS3_NS6_6detail15normal_iteratorINS6_10device_ptrIS8_EEEESG_PS9_SH_NS6_4lessIS8_EEEE10hipError_tT0_T1_T2_T3_mRjT4_P12ihipStream_tbNS1_7vsmem_tEEUlT_E_NS1_11comp_targetILNS1_3genE9ELNS1_11target_archE1100ELNS1_3gpuE3ELNS1_3repE0EEENS1_30default_config_static_selectorELNS0_4arch9wavefront6targetE0EEEvSM_.numbered_sgpr, 0
	.set _ZN7rocprim17ROCPRIM_400000_NS6detail17trampoline_kernelINS0_14default_configENS1_37merge_sort_block_sort_config_selectorIN6thrust23THRUST_200600_302600_NS4pairIiiEENS0_10empty_typeEEEZNS1_21merge_sort_block_sortIS3_NS6_6detail15normal_iteratorINS6_10device_ptrIS8_EEEESG_PS9_SH_NS6_4lessIS8_EEEE10hipError_tT0_T1_T2_T3_mRjT4_P12ihipStream_tbNS1_7vsmem_tEEUlT_E_NS1_11comp_targetILNS1_3genE9ELNS1_11target_archE1100ELNS1_3gpuE3ELNS1_3repE0EEENS1_30default_config_static_selectorELNS0_4arch9wavefront6targetE0EEEvSM_.num_named_barrier, 0
	.set _ZN7rocprim17ROCPRIM_400000_NS6detail17trampoline_kernelINS0_14default_configENS1_37merge_sort_block_sort_config_selectorIN6thrust23THRUST_200600_302600_NS4pairIiiEENS0_10empty_typeEEEZNS1_21merge_sort_block_sortIS3_NS6_6detail15normal_iteratorINS6_10device_ptrIS8_EEEESG_PS9_SH_NS6_4lessIS8_EEEE10hipError_tT0_T1_T2_T3_mRjT4_P12ihipStream_tbNS1_7vsmem_tEEUlT_E_NS1_11comp_targetILNS1_3genE9ELNS1_11target_archE1100ELNS1_3gpuE3ELNS1_3repE0EEENS1_30default_config_static_selectorELNS0_4arch9wavefront6targetE0EEEvSM_.private_seg_size, 0
	.set _ZN7rocprim17ROCPRIM_400000_NS6detail17trampoline_kernelINS0_14default_configENS1_37merge_sort_block_sort_config_selectorIN6thrust23THRUST_200600_302600_NS4pairIiiEENS0_10empty_typeEEEZNS1_21merge_sort_block_sortIS3_NS6_6detail15normal_iteratorINS6_10device_ptrIS8_EEEESG_PS9_SH_NS6_4lessIS8_EEEE10hipError_tT0_T1_T2_T3_mRjT4_P12ihipStream_tbNS1_7vsmem_tEEUlT_E_NS1_11comp_targetILNS1_3genE9ELNS1_11target_archE1100ELNS1_3gpuE3ELNS1_3repE0EEENS1_30default_config_static_selectorELNS0_4arch9wavefront6targetE0EEEvSM_.uses_vcc, 0
	.set _ZN7rocprim17ROCPRIM_400000_NS6detail17trampoline_kernelINS0_14default_configENS1_37merge_sort_block_sort_config_selectorIN6thrust23THRUST_200600_302600_NS4pairIiiEENS0_10empty_typeEEEZNS1_21merge_sort_block_sortIS3_NS6_6detail15normal_iteratorINS6_10device_ptrIS8_EEEESG_PS9_SH_NS6_4lessIS8_EEEE10hipError_tT0_T1_T2_T3_mRjT4_P12ihipStream_tbNS1_7vsmem_tEEUlT_E_NS1_11comp_targetILNS1_3genE9ELNS1_11target_archE1100ELNS1_3gpuE3ELNS1_3repE0EEENS1_30default_config_static_selectorELNS0_4arch9wavefront6targetE0EEEvSM_.uses_flat_scratch, 0
	.set _ZN7rocprim17ROCPRIM_400000_NS6detail17trampoline_kernelINS0_14default_configENS1_37merge_sort_block_sort_config_selectorIN6thrust23THRUST_200600_302600_NS4pairIiiEENS0_10empty_typeEEEZNS1_21merge_sort_block_sortIS3_NS6_6detail15normal_iteratorINS6_10device_ptrIS8_EEEESG_PS9_SH_NS6_4lessIS8_EEEE10hipError_tT0_T1_T2_T3_mRjT4_P12ihipStream_tbNS1_7vsmem_tEEUlT_E_NS1_11comp_targetILNS1_3genE9ELNS1_11target_archE1100ELNS1_3gpuE3ELNS1_3repE0EEENS1_30default_config_static_selectorELNS0_4arch9wavefront6targetE0EEEvSM_.has_dyn_sized_stack, 0
	.set _ZN7rocprim17ROCPRIM_400000_NS6detail17trampoline_kernelINS0_14default_configENS1_37merge_sort_block_sort_config_selectorIN6thrust23THRUST_200600_302600_NS4pairIiiEENS0_10empty_typeEEEZNS1_21merge_sort_block_sortIS3_NS6_6detail15normal_iteratorINS6_10device_ptrIS8_EEEESG_PS9_SH_NS6_4lessIS8_EEEE10hipError_tT0_T1_T2_T3_mRjT4_P12ihipStream_tbNS1_7vsmem_tEEUlT_E_NS1_11comp_targetILNS1_3genE9ELNS1_11target_archE1100ELNS1_3gpuE3ELNS1_3repE0EEENS1_30default_config_static_selectorELNS0_4arch9wavefront6targetE0EEEvSM_.has_recursion, 0
	.set _ZN7rocprim17ROCPRIM_400000_NS6detail17trampoline_kernelINS0_14default_configENS1_37merge_sort_block_sort_config_selectorIN6thrust23THRUST_200600_302600_NS4pairIiiEENS0_10empty_typeEEEZNS1_21merge_sort_block_sortIS3_NS6_6detail15normal_iteratorINS6_10device_ptrIS8_EEEESG_PS9_SH_NS6_4lessIS8_EEEE10hipError_tT0_T1_T2_T3_mRjT4_P12ihipStream_tbNS1_7vsmem_tEEUlT_E_NS1_11comp_targetILNS1_3genE9ELNS1_11target_archE1100ELNS1_3gpuE3ELNS1_3repE0EEENS1_30default_config_static_selectorELNS0_4arch9wavefront6targetE0EEEvSM_.has_indirect_call, 0
	.section	.AMDGPU.csdata,"",@progbits
; Kernel info:
; codeLenInByte = 0
; TotalNumSgprs: 0
; NumVgprs: 0
; ScratchSize: 0
; MemoryBound: 0
; FloatMode: 240
; IeeeMode: 1
; LDSByteSize: 0 bytes/workgroup (compile time only)
; SGPRBlocks: 0
; VGPRBlocks: 0
; NumSGPRsForWavesPerEU: 1
; NumVGPRsForWavesPerEU: 1
; Occupancy: 16
; WaveLimiterHint : 0
; COMPUTE_PGM_RSRC2:SCRATCH_EN: 0
; COMPUTE_PGM_RSRC2:USER_SGPR: 6
; COMPUTE_PGM_RSRC2:TRAP_HANDLER: 0
; COMPUTE_PGM_RSRC2:TGID_X_EN: 1
; COMPUTE_PGM_RSRC2:TGID_Y_EN: 0
; COMPUTE_PGM_RSRC2:TGID_Z_EN: 0
; COMPUTE_PGM_RSRC2:TIDIG_COMP_CNT: 0
	.section	.text._ZN7rocprim17ROCPRIM_400000_NS6detail17trampoline_kernelINS0_14default_configENS1_37merge_sort_block_sort_config_selectorIN6thrust23THRUST_200600_302600_NS4pairIiiEENS0_10empty_typeEEEZNS1_21merge_sort_block_sortIS3_NS6_6detail15normal_iteratorINS6_10device_ptrIS8_EEEESG_PS9_SH_NS6_4lessIS8_EEEE10hipError_tT0_T1_T2_T3_mRjT4_P12ihipStream_tbNS1_7vsmem_tEEUlT_E_NS1_11comp_targetILNS1_3genE8ELNS1_11target_archE1030ELNS1_3gpuE2ELNS1_3repE0EEENS1_30default_config_static_selectorELNS0_4arch9wavefront6targetE0EEEvSM_,"axG",@progbits,_ZN7rocprim17ROCPRIM_400000_NS6detail17trampoline_kernelINS0_14default_configENS1_37merge_sort_block_sort_config_selectorIN6thrust23THRUST_200600_302600_NS4pairIiiEENS0_10empty_typeEEEZNS1_21merge_sort_block_sortIS3_NS6_6detail15normal_iteratorINS6_10device_ptrIS8_EEEESG_PS9_SH_NS6_4lessIS8_EEEE10hipError_tT0_T1_T2_T3_mRjT4_P12ihipStream_tbNS1_7vsmem_tEEUlT_E_NS1_11comp_targetILNS1_3genE8ELNS1_11target_archE1030ELNS1_3gpuE2ELNS1_3repE0EEENS1_30default_config_static_selectorELNS0_4arch9wavefront6targetE0EEEvSM_,comdat
	.protected	_ZN7rocprim17ROCPRIM_400000_NS6detail17trampoline_kernelINS0_14default_configENS1_37merge_sort_block_sort_config_selectorIN6thrust23THRUST_200600_302600_NS4pairIiiEENS0_10empty_typeEEEZNS1_21merge_sort_block_sortIS3_NS6_6detail15normal_iteratorINS6_10device_ptrIS8_EEEESG_PS9_SH_NS6_4lessIS8_EEEE10hipError_tT0_T1_T2_T3_mRjT4_P12ihipStream_tbNS1_7vsmem_tEEUlT_E_NS1_11comp_targetILNS1_3genE8ELNS1_11target_archE1030ELNS1_3gpuE2ELNS1_3repE0EEENS1_30default_config_static_selectorELNS0_4arch9wavefront6targetE0EEEvSM_ ; -- Begin function _ZN7rocprim17ROCPRIM_400000_NS6detail17trampoline_kernelINS0_14default_configENS1_37merge_sort_block_sort_config_selectorIN6thrust23THRUST_200600_302600_NS4pairIiiEENS0_10empty_typeEEEZNS1_21merge_sort_block_sortIS3_NS6_6detail15normal_iteratorINS6_10device_ptrIS8_EEEESG_PS9_SH_NS6_4lessIS8_EEEE10hipError_tT0_T1_T2_T3_mRjT4_P12ihipStream_tbNS1_7vsmem_tEEUlT_E_NS1_11comp_targetILNS1_3genE8ELNS1_11target_archE1030ELNS1_3gpuE2ELNS1_3repE0EEENS1_30default_config_static_selectorELNS0_4arch9wavefront6targetE0EEEvSM_
	.globl	_ZN7rocprim17ROCPRIM_400000_NS6detail17trampoline_kernelINS0_14default_configENS1_37merge_sort_block_sort_config_selectorIN6thrust23THRUST_200600_302600_NS4pairIiiEENS0_10empty_typeEEEZNS1_21merge_sort_block_sortIS3_NS6_6detail15normal_iteratorINS6_10device_ptrIS8_EEEESG_PS9_SH_NS6_4lessIS8_EEEE10hipError_tT0_T1_T2_T3_mRjT4_P12ihipStream_tbNS1_7vsmem_tEEUlT_E_NS1_11comp_targetILNS1_3genE8ELNS1_11target_archE1030ELNS1_3gpuE2ELNS1_3repE0EEENS1_30default_config_static_selectorELNS0_4arch9wavefront6targetE0EEEvSM_
	.p2align	8
	.type	_ZN7rocprim17ROCPRIM_400000_NS6detail17trampoline_kernelINS0_14default_configENS1_37merge_sort_block_sort_config_selectorIN6thrust23THRUST_200600_302600_NS4pairIiiEENS0_10empty_typeEEEZNS1_21merge_sort_block_sortIS3_NS6_6detail15normal_iteratorINS6_10device_ptrIS8_EEEESG_PS9_SH_NS6_4lessIS8_EEEE10hipError_tT0_T1_T2_T3_mRjT4_P12ihipStream_tbNS1_7vsmem_tEEUlT_E_NS1_11comp_targetILNS1_3genE8ELNS1_11target_archE1030ELNS1_3gpuE2ELNS1_3repE0EEENS1_30default_config_static_selectorELNS0_4arch9wavefront6targetE0EEEvSM_,@function
_ZN7rocprim17ROCPRIM_400000_NS6detail17trampoline_kernelINS0_14default_configENS1_37merge_sort_block_sort_config_selectorIN6thrust23THRUST_200600_302600_NS4pairIiiEENS0_10empty_typeEEEZNS1_21merge_sort_block_sortIS3_NS6_6detail15normal_iteratorINS6_10device_ptrIS8_EEEESG_PS9_SH_NS6_4lessIS8_EEEE10hipError_tT0_T1_T2_T3_mRjT4_P12ihipStream_tbNS1_7vsmem_tEEUlT_E_NS1_11comp_targetILNS1_3genE8ELNS1_11target_archE1030ELNS1_3gpuE2ELNS1_3repE0EEENS1_30default_config_static_selectorELNS0_4arch9wavefront6targetE0EEEvSM_: ; @_ZN7rocprim17ROCPRIM_400000_NS6detail17trampoline_kernelINS0_14default_configENS1_37merge_sort_block_sort_config_selectorIN6thrust23THRUST_200600_302600_NS4pairIiiEENS0_10empty_typeEEEZNS1_21merge_sort_block_sortIS3_NS6_6detail15normal_iteratorINS6_10device_ptrIS8_EEEESG_PS9_SH_NS6_4lessIS8_EEEE10hipError_tT0_T1_T2_T3_mRjT4_P12ihipStream_tbNS1_7vsmem_tEEUlT_E_NS1_11comp_targetILNS1_3genE8ELNS1_11target_archE1030ELNS1_3gpuE2ELNS1_3repE0EEENS1_30default_config_static_selectorELNS0_4arch9wavefront6targetE0EEEvSM_
; %bb.0:
	s_clause 0x1
	s_load_dwordx2 s[12:13], s[4:5], 0x40
	s_load_dword s0, s[4:5], 0x0
	s_add_u32 s10, s4, 64
	s_addc_u32 s11, s5, 0
	s_waitcnt lgkmcnt(0)
	s_mul_i32 s1, s13, s8
	s_add_i32 s1, s1, s7
	s_mul_i32 s1, s1, s12
	s_add_i32 s8, s1, s6
	s_cmp_ge_u32 s8, s0
	s_cbranch_scc1 .LBB632_199
; %bb.1:
	s_clause 0x1
	s_load_dwordx2 s[14:15], s[4:5], 0x8
	s_load_dwordx4 s[0:3], s[4:5], 0x18
	s_mov_b32 s9, 0
	v_mov_b32_e32 v3, v1
	s_lshl_b64 s[4:5], s[8:9], 13
	v_lshlrev_b32_e32 v18, 3, v0
	v_lshrrev_b32_e32 v21, 2, v0
	v_or_b32_e32 v24, 0x100, v0
	v_or_b32_e32 v23, 0x200, v0
	;; [unrolled: 1-line block ×3, first 2 shown]
	v_and_b32_e32 v20, 0xf8, v0
	v_lshlrev_b32_e32 v19, 5, v0
	s_waitcnt lgkmcnt(0)
	s_lshr_b64 s[18:19], s[14:15], 10
	s_add_u32 s7, s0, s4
	s_addc_u32 s16, s1, s5
	s_add_u32 s13, s2, s4
	s_addc_u32 s15, s3, s5
	s_cmp_lg_u64 s[18:19], s[8:9]
	s_cbranch_scc0 .LBB632_111
; %bb.2:
	v_add_co_u32 v4, s0, s7, v18
	v_add_co_ci_u32_e64 v5, null, s16, 0, s0
	v_lshrrev_b32_e32 v1, 2, v24
	v_add_co_u32 v6, vcc_lo, 0x800, v4
	v_add_co_ci_u32_e64 v7, null, 0, v5, vcc_lo
	v_add_co_u32 v8, vcc_lo, 0x1000, v4
	v_add_co_ci_u32_e64 v9, null, 0, v5, vcc_lo
	;; [unrolled: 2-line block ×3, first 2 shown]
	s_clause 0x3
	flat_load_dwordx2 v[4:5], v[4:5]
	flat_load_dwordx2 v[6:7], v[6:7]
	;; [unrolled: 1-line block ×4, first 2 shown]
	v_lshrrev_b32_e32 v12, 2, v23
	v_lshrrev_b32_e32 v13, 2, v22
	v_and_b32_e32 v14, 56, v21
	v_and_b32_e32 v1, 0x78, v1
	v_add_nc_u32_e32 v29, v20, v19
	v_and_b32_e32 v12, 0xb8, v12
	v_and_b32_e32 v13, 0xf8, v13
	v_add_nc_u32_e32 v25, v14, v18
	v_add_nc_u32_e32 v26, v1, v18
	v_mov_b32_e32 v1, 0
	v_add_nc_u32_e32 v27, v12, v18
	v_add_nc_u32_e32 v28, v13, v18
	s_waitcnt vmcnt(3) lgkmcnt(3)
	ds_write_b64 v25, v[4:5]
	s_waitcnt vmcnt(2) lgkmcnt(3)
	ds_write_b64 v26, v[6:7] offset:2048
	s_waitcnt vmcnt(1) lgkmcnt(3)
	ds_write_b64 v27, v[8:9] offset:4096
	s_waitcnt vmcnt(0) lgkmcnt(3)
	ds_write_b64 v28, v[10:11] offset:6144
	s_waitcnt lgkmcnt(0)
	s_barrier
	buffer_gl0_inv
	ds_read2_b64 v[4:7], v29 offset1:1
	ds_read2_b64 v[8:11], v29 offset0:2 offset1:3
	s_waitcnt lgkmcnt(0)
	s_barrier
	buffer_gl0_inv
	s_load_dword s0, s[10:11], 0xc
	s_waitcnt lgkmcnt(0)
	s_lshr_b32 s2, s0, 16
	s_cmp_lt_u32 s6, s12
	v_mad_u32_u24 v13, v2, s2, v3
	s_cselect_b32 s0, 12, 18
	s_mov_b32 s2, exec_lo
	s_add_u32 s0, s10, s0
	s_addc_u32 s1, s11, 0
	global_load_ushort v12, v1, s[0:1]
	s_waitcnt vmcnt(0)
	v_mul_lo_u32 v12, v13, v12
	v_mov_b32_e32 v13, v9
	v_add_lshl_u32 v30, v12, v0, 2
	v_mov_b32_e32 v12, v8
	v_cmpx_gt_u32_e32 0x400, v30
	s_cbranch_execz .LBB632_14
; %bb.3:
	v_cmp_ge_i32_e32 vcc_lo, v4, v6
	v_cmp_lt_i32_e64 s0, v7, v5
	v_cmp_lt_i32_e64 s1, v6, v4
	v_mov_b32_e32 v15, v7
	v_mov_b32_e32 v16, v5
	;; [unrolled: 1-line block ×6, first 2 shown]
	s_and_b32 s0, vcc_lo, s0
	s_or_b32 s1, s1, s0
	s_and_saveexec_b32 s0, s1
	s_cbranch_execz .LBB632_5
; %bb.4:
	v_mov_b32_e32 v15, v5
	v_mov_b32_e32 v14, v4
	;; [unrolled: 1-line block ×8, first 2 shown]
.LBB632_5:
	s_or_b32 exec_lo, exec_lo, s0
	v_cmp_ge_i32_e32 vcc_lo, v8, v10
	v_cmp_lt_i32_e64 s0, v11, v9
	v_cmp_lt_i32_e64 s1, v10, v8
	v_mov_b32_e32 v6, v10
	v_mov_b32_e32 v7, v11
	;; [unrolled: 1-line block ×4, first 2 shown]
	s_and_b32 s0, vcc_lo, s0
	s_or_b32 s1, s1, s0
	s_and_saveexec_b32 s0, s1
	s_cbranch_execz .LBB632_7
; %bb.6:
	v_mov_b32_e32 v6, v12
	v_mov_b32_e32 v7, v13
	;; [unrolled: 1-line block ×8, first 2 shown]
.LBB632_7:
	s_or_b32 exec_lo, exec_lo, s0
	v_cmp_ge_i32_e32 vcc_lo, v32, v34
	v_cmp_lt_i32_e64 s0, v33, v31
	v_cmp_lt_i32_e64 s1, v34, v32
	v_mov_b32_e32 v8, v12
	v_mov_b32_e32 v9, v13
	s_and_b32 s0, vcc_lo, s0
	s_or_b32 s0, s1, s0
	s_and_saveexec_b32 s1, s0
	s_xor_b32 s0, exec_lo, s1
	s_cbranch_execz .LBB632_9
; %bb.8:
	v_mov_b32_e32 v8, v14
	v_mov_b32_e32 v34, v14
	;; [unrolled: 1-line block ×8, first 2 shown]
.LBB632_9:
	s_or_b32 exec_lo, exec_lo, s0
	v_cmp_ge_i32_e32 vcc_lo, v17, v32
	v_cmp_lt_i32_e64 s0, v31, v16
	v_cmp_lt_i32_e64 s1, v32, v17
	v_mov_b32_e32 v17, v15
	v_mov_b32_e32 v16, v14
	s_and_b32 s0, vcc_lo, s0
	s_or_b32 s1, s1, s0
	s_and_saveexec_b32 s0, s1
; %bb.10:
	v_mov_b32_e32 v17, v5
	v_mov_b32_e32 v32, v4
	;; [unrolled: 1-line block ×6, first 2 shown]
; %bb.11:
	s_or_b32 exec_lo, exec_lo, s0
	v_cmp_ge_i32_e32 vcc_lo, v34, v10
	v_cmp_lt_i32_e64 s0, v11, v33
	v_cmp_lt_i32_e64 s1, v10, v34
	v_mov_b32_e32 v11, v7
	v_mov_b32_e32 v10, v6
	s_and_b32 s0, vcc_lo, s0
	s_or_b32 s1, s1, s0
	s_and_saveexec_b32 s0, s1
; %bb.12:
	v_mov_b32_e32 v11, v9
	v_mov_b32_e32 v10, v8
	;; [unrolled: 1-line block ×6, first 2 shown]
; %bb.13:
	s_or_b32 exec_lo, exec_lo, s0
	v_cmp_ge_i32_e32 vcc_lo, v32, v34
	v_cmp_lt_i32_e64 s0, v33, v31
	v_cmp_lt_i32_e64 s1, v34, v32
	s_and_b32 s0, vcc_lo, s0
	s_or_b32 vcc_lo, s1, s0
	v_cndmask_b32_e32 v13, v9, v17, vcc_lo
	v_cndmask_b32_e32 v12, v8, v16, vcc_lo
	;; [unrolled: 1-line block ×4, first 2 shown]
.LBB632_14:
	s_or_b32 exec_lo, exec_lo, s2
	v_mbcnt_lo_u32_b32 v14, -1, 0
	v_and_b32_e32 v8, 0xffffff80, v30
	s_mov_b32 s2, 0
	s_mov_b32 s3, exec_lo
	v_lshlrev_b32_e32 v16, 2, v14
	v_sub_nc_u32_e64 v9, 0x400, v8 clamp
	v_lshlrev_b32_e32 v8, 3, v8
	v_lshlrev_b32_e32 v17, 5, v14
	v_or_b32_e32 v15, 4, v16
	v_and_b32_e32 v32, 4, v16
	v_and_b32_e32 v34, 0x78, v16
	v_or_b32_e32 v37, v8, v17
	v_min_u32_e32 v30, v9, v15
	v_min_u32_e32 v35, v9, v32
	v_lshl_or_b32 v33, v34, 3, v8
	v_add_nc_u32_e32 v15, 4, v30
	v_min_u32_e32 v31, v9, v15
	v_sub_nc_u32_e32 v15, v30, v34
	v_sub_nc_u32_e32 v14, v31, v30
	v_min_u32_e32 v36, v35, v15
	v_mov_b32_e32 v15, v11
	v_sub_nc_u32_e64 v32, v35, v14 clamp
	v_mov_b32_e32 v14, v10
	ds_write_b128 v37, v[4:7]
	ds_write_b128 v37, v[12:15] offset:16
	; wave barrier
	v_cmpx_lt_u32_e64 v32, v36
	s_cbranch_execz .LBB632_18
; %bb.15:
	v_lshlrev_b32_e32 v14, 3, v30
	v_lshlrev_b32_e32 v15, 3, v35
	v_add3_u32 v14, v8, v14, v15
	.p2align	6
.LBB632_16:                             ; =>This Inner Loop Header: Depth=1
	v_add_nc_u32_e32 v15, v36, v32
	v_lshrrev_b32_e32 v15, 1, v15
	v_not_b32_e32 v37, v15
	v_lshl_add_u32 v38, v15, 3, v33
	v_lshl_add_u32 v39, v37, 3, v14
	ds_read_b64 v[37:38], v38
	ds_read_b64 v[39:40], v39
	s_waitcnt lgkmcnt(0)
	v_cmp_ge_i32_e32 vcc_lo, v37, v39
	v_cmp_lt_i32_e64 s0, v40, v38
	v_cmp_lt_i32_e64 s1, v39, v37
	v_add_nc_u32_e32 v37, 1, v15
	s_and_b32 s0, vcc_lo, s0
	s_or_b32 vcc_lo, s1, s0
	v_cndmask_b32_e32 v36, v36, v15, vcc_lo
	v_cndmask_b32_e32 v32, v37, v32, vcc_lo
	v_cmp_ge_u32_e32 vcc_lo, v32, v36
	s_or_b32 s2, vcc_lo, s2
	s_andn2_b32 exec_lo, exec_lo, s2
	s_cbranch_execnz .LBB632_16
; %bb.17:
	s_or_b32 exec_lo, exec_lo, s2
.LBB632_18:
	s_or_b32 exec_lo, exec_lo, s3
	v_add_nc_u32_e32 v14, v30, v35
	v_add_nc_u32_e32 v15, v32, v34
	v_sub_nc_u32_e32 v14, v14, v32
	v_cmp_le_u32_e32 vcc_lo, v15, v30
	v_cmp_le_u32_e64 s0, v14, v31
	s_or_b32 s0, vcc_lo, s0
	s_and_saveexec_b32 s17, s0
	s_cbranch_execz .LBB632_26
; %bb.19:
	v_cmp_lt_u32_e32 vcc_lo, v15, v30
	v_mov_b32_e32 v4, 0
	v_mov_b32_e32 v6, 0
	;; [unrolled: 1-line block ×3, first 2 shown]
	s_and_saveexec_b32 s0, vcc_lo
; %bb.20:
	v_lshl_add_u32 v5, v32, 3, v33
	ds_read_b64 v[6:7], v5
; %bb.21:
	s_or_b32 exec_lo, exec_lo, s0
	v_cmp_ge_u32_e64 s0, v14, v31
	v_mov_b32_e32 v5, 0
	s_mov_b32 s2, exec_lo
	v_cmpx_lt_u32_e64 v14, v31
; %bb.22:
	v_lshl_add_u32 v4, v14, 3, v8
	ds_read_b64 v[4:5], v4
; %bb.23:
	s_or_b32 exec_lo, exec_lo, s2
	s_waitcnt lgkmcnt(0)
	v_cmp_lt_i32_e64 s1, v6, v4
	v_cmp_ge_i32_e64 s2, v5, v7
	v_cmp_ge_i32_e64 s3, v4, v6
	s_mov_b32 s18, exec_lo
	s_or_b32 s1, s1, s2
	s_and_b32 s2, vcc_lo, s3
	s_and_b32 s1, s2, s1
	s_or_b32 vcc_lo, s0, s1
	v_cndmask_b32_e32 v10, v14, v15, vcc_lo
	v_cndmask_b32_e32 v11, v31, v30, vcc_lo
	v_add_nc_u32_e32 v32, 1, v10
	v_add_nc_u32_e32 v10, -1, v11
	v_cndmask_b32_e32 v15, v15, v32, vcc_lo
	v_min_u32_e32 v10, v32, v10
	v_cndmask_b32_e32 v34, v32, v14, vcc_lo
	v_cmp_lt_u32_e64 s0, v15, v30
	v_lshl_add_u32 v10, v10, 3, v8
	v_cmp_ge_u32_e64 s4, v34, v31
	ds_read_b64 v[12:13], v10
	s_waitcnt lgkmcnt(0)
	v_cndmask_b32_e32 v10, v12, v4, vcc_lo
	v_cndmask_b32_e32 v11, v13, v5, vcc_lo
	;; [unrolled: 1-line block ×4, first 2 shown]
	v_cmp_lt_i32_e64 s1, v12, v10
	v_cmp_ge_i32_e64 s2, v11, v13
	v_cmp_ge_i32_e64 s3, v10, v12
	s_or_b32 s1, s1, s2
	s_and_b32 s0, s0, s3
	s_and_b32 s0, s0, s1
	s_or_b32 s0, s4, s0
	v_cndmask_b32_e64 v14, v34, v15, s0
	v_cndmask_b32_e64 v32, v31, v30, s0
	v_add_nc_u32_e32 v35, 1, v14
	v_add_nc_u32_e32 v14, -1, v32
	v_cndmask_b32_e64 v37, v15, v35, s0
	v_min_u32_e32 v14, v35, v14
	v_cndmask_b32_e64 v34, v35, v34, s0
	v_cmp_lt_u32_e64 s1, v37, v30
	v_lshl_add_u32 v14, v14, 3, v8
	v_cmp_ge_u32_e64 s5, v34, v31
	ds_read_b64 v[32:33], v14
	s_waitcnt lgkmcnt(0)
	v_cndmask_b32_e64 v14, v32, v10, s0
	v_cndmask_b32_e64 v15, v33, v11, s0
	;; [unrolled: 1-line block ×4, first 2 shown]
	v_cmp_lt_i32_e64 s2, v32, v14
	v_cmp_ge_i32_e64 s3, v15, v33
	v_cmp_ge_i32_e64 s4, v14, v32
	s_or_b32 s2, s2, s3
	s_and_b32 s1, s1, s4
	s_mov_b32 s3, -1
	s_and_b32 s1, s1, s2
	s_or_b32 s1, s5, s1
	v_cndmask_b32_e64 v35, v34, v37, s1
	v_cndmask_b32_e64 v36, v31, v30, s1
	v_add_nc_u32_e32 v39, 1, v35
	v_add_nc_u32_e32 v35, -1, v36
	v_cndmask_b32_e64 v42, v39, v34, s1
	v_min_u32_e32 v35, v39, v35
	v_lshl_add_u32 v35, v35, 3, v8
	ds_read_b64 v[40:41], v35
	s_waitcnt lgkmcnt(0)
	v_cndmask_b32_e64 v34, v40, v14, s1
	v_cndmask_b32_e64 v35, v41, v15, s1
	;; [unrolled: 1-line block ×4, first 2 shown]
	v_cmpx_lt_u32_e64 v42, v31
; %bb.24:
	v_cndmask_b32_e64 v31, v37, v39, s1
	v_cmp_lt_i32_e64 s2, v36, v34
	v_cmp_ge_i32_e64 s3, v35, v38
	v_cmp_ge_i32_e64 s5, v34, v36
	v_cmp_lt_u32_e64 s4, v31, v30
	s_or_b32 s2, s2, s3
	s_and_b32 s3, s4, s5
	s_and_b32 s2, s3, s2
	s_orn2_b32 s3, s2, exec_lo
; %bb.25:
	s_or_b32 exec_lo, exec_lo, s18
	v_cndmask_b32_e32 v5, v5, v7, vcc_lo
	v_cndmask_b32_e32 v4, v4, v6, vcc_lo
	v_cndmask_b32_e64 v7, v11, v13, s0
	v_cndmask_b32_e64 v6, v10, v12, s0
	;; [unrolled: 1-line block ×6, first 2 shown]
.LBB632_26:
	s_or_b32 exec_lo, exec_lo, s17
	v_and_b32_e32 v34, 0x70, v16
	v_and_b32_e32 v15, 12, v16
	v_add_nc_u32_e32 v17, v8, v17
	s_mov_b32 s2, exec_lo
	v_or_b32_e32 v14, 8, v34
	v_min_u32_e32 v35, v9, v15
	v_lshl_add_u32 v33, v34, 3, v8
	; wave barrier
	v_min_u32_e32 v30, v9, v14
	v_add_nc_u32_e32 v14, 8, v30
	v_sub_nc_u32_e32 v15, v30, v34
	v_min_u32_e32 v31, v9, v14
	v_min_u32_e32 v36, v35, v15
	v_mov_b32_e32 v15, v11
	v_sub_nc_u32_e32 v14, v31, v30
	v_sub_nc_u32_e64 v32, v35, v14 clamp
	v_mov_b32_e32 v14, v10
	ds_write_b128 v17, v[4:7]
	ds_write_b128 v17, v[12:15] offset:16
	; wave barrier
	v_cmpx_lt_u32_e64 v32, v36
	s_cbranch_execz .LBB632_30
; %bb.27:
	v_lshlrev_b32_e32 v14, 3, v30
	v_lshlrev_b32_e32 v15, 3, v35
	s_mov_b32 s3, 0
	v_add3_u32 v14, v8, v14, v15
	.p2align	6
.LBB632_28:                             ; =>This Inner Loop Header: Depth=1
	v_add_nc_u32_e32 v15, v36, v32
	v_lshrrev_b32_e32 v15, 1, v15
	v_not_b32_e32 v37, v15
	v_lshl_add_u32 v38, v15, 3, v33
	v_lshl_add_u32 v39, v37, 3, v14
	ds_read_b64 v[37:38], v38
	ds_read_b64 v[39:40], v39
	s_waitcnt lgkmcnt(0)
	v_cmp_ge_i32_e32 vcc_lo, v37, v39
	v_cmp_lt_i32_e64 s0, v40, v38
	v_cmp_lt_i32_e64 s1, v39, v37
	v_add_nc_u32_e32 v37, 1, v15
	s_and_b32 s0, vcc_lo, s0
	s_or_b32 vcc_lo, s1, s0
	v_cndmask_b32_e32 v36, v36, v15, vcc_lo
	v_cndmask_b32_e32 v32, v37, v32, vcc_lo
	v_cmp_ge_u32_e32 vcc_lo, v32, v36
	s_or_b32 s3, vcc_lo, s3
	s_andn2_b32 exec_lo, exec_lo, s3
	s_cbranch_execnz .LBB632_28
; %bb.29:
	s_or_b32 exec_lo, exec_lo, s3
.LBB632_30:
	s_or_b32 exec_lo, exec_lo, s2
	v_add_nc_u32_e32 v14, v30, v35
	v_add_nc_u32_e32 v15, v32, v34
	v_sub_nc_u32_e32 v14, v14, v32
	v_cmp_le_u32_e32 vcc_lo, v15, v30
	v_cmp_le_u32_e64 s0, v14, v31
	s_or_b32 s0, vcc_lo, s0
	s_and_saveexec_b32 s17, s0
	s_cbranch_execz .LBB632_38
; %bb.31:
	v_cmp_lt_u32_e32 vcc_lo, v15, v30
	v_mov_b32_e32 v4, 0
	v_mov_b32_e32 v6, 0
	;; [unrolled: 1-line block ×3, first 2 shown]
	s_and_saveexec_b32 s0, vcc_lo
; %bb.32:
	v_lshl_add_u32 v5, v32, 3, v33
	ds_read_b64 v[6:7], v5
; %bb.33:
	s_or_b32 exec_lo, exec_lo, s0
	v_cmp_ge_u32_e64 s0, v14, v31
	v_mov_b32_e32 v5, 0
	s_mov_b32 s2, exec_lo
	v_cmpx_lt_u32_e64 v14, v31
; %bb.34:
	v_lshl_add_u32 v4, v14, 3, v8
	ds_read_b64 v[4:5], v4
; %bb.35:
	s_or_b32 exec_lo, exec_lo, s2
	s_waitcnt lgkmcnt(0)
	v_cmp_lt_i32_e64 s1, v6, v4
	v_cmp_ge_i32_e64 s2, v5, v7
	v_cmp_ge_i32_e64 s3, v4, v6
	s_mov_b32 s18, exec_lo
	s_or_b32 s1, s1, s2
	s_and_b32 s2, vcc_lo, s3
	s_and_b32 s1, s2, s1
	s_or_b32 vcc_lo, s0, s1
	v_cndmask_b32_e32 v10, v14, v15, vcc_lo
	v_cndmask_b32_e32 v11, v31, v30, vcc_lo
	v_add_nc_u32_e32 v32, 1, v10
	v_add_nc_u32_e32 v10, -1, v11
	v_cndmask_b32_e32 v15, v15, v32, vcc_lo
	v_min_u32_e32 v10, v32, v10
	v_cndmask_b32_e32 v34, v32, v14, vcc_lo
	v_cmp_lt_u32_e64 s0, v15, v30
	v_lshl_add_u32 v10, v10, 3, v8
	v_cmp_ge_u32_e64 s4, v34, v31
	ds_read_b64 v[12:13], v10
	s_waitcnt lgkmcnt(0)
	v_cndmask_b32_e32 v10, v12, v4, vcc_lo
	v_cndmask_b32_e32 v11, v13, v5, vcc_lo
	;; [unrolled: 1-line block ×4, first 2 shown]
	v_cmp_lt_i32_e64 s1, v12, v10
	v_cmp_ge_i32_e64 s2, v11, v13
	v_cmp_ge_i32_e64 s3, v10, v12
	s_or_b32 s1, s1, s2
	s_and_b32 s0, s0, s3
	s_and_b32 s0, s0, s1
	s_or_b32 s0, s4, s0
	v_cndmask_b32_e64 v14, v34, v15, s0
	v_cndmask_b32_e64 v32, v31, v30, s0
	v_add_nc_u32_e32 v35, 1, v14
	v_add_nc_u32_e32 v14, -1, v32
	v_cndmask_b32_e64 v37, v15, v35, s0
	v_min_u32_e32 v14, v35, v14
	v_cndmask_b32_e64 v34, v35, v34, s0
	v_cmp_lt_u32_e64 s1, v37, v30
	v_lshl_add_u32 v14, v14, 3, v8
	v_cmp_ge_u32_e64 s5, v34, v31
	ds_read_b64 v[32:33], v14
	s_waitcnt lgkmcnt(0)
	v_cndmask_b32_e64 v14, v32, v10, s0
	v_cndmask_b32_e64 v15, v33, v11, s0
	;; [unrolled: 1-line block ×4, first 2 shown]
	v_cmp_lt_i32_e64 s2, v32, v14
	v_cmp_ge_i32_e64 s3, v15, v33
	v_cmp_ge_i32_e64 s4, v14, v32
	s_or_b32 s2, s2, s3
	s_and_b32 s1, s1, s4
	s_mov_b32 s3, -1
	s_and_b32 s1, s1, s2
	s_or_b32 s1, s5, s1
	v_cndmask_b32_e64 v35, v34, v37, s1
	v_cndmask_b32_e64 v36, v31, v30, s1
	v_add_nc_u32_e32 v39, 1, v35
	v_add_nc_u32_e32 v35, -1, v36
	v_cndmask_b32_e64 v42, v39, v34, s1
	v_min_u32_e32 v35, v39, v35
	v_lshl_add_u32 v35, v35, 3, v8
	ds_read_b64 v[40:41], v35
	s_waitcnt lgkmcnt(0)
	v_cndmask_b32_e64 v34, v40, v14, s1
	v_cndmask_b32_e64 v35, v41, v15, s1
	;; [unrolled: 1-line block ×4, first 2 shown]
	v_cmpx_lt_u32_e64 v42, v31
; %bb.36:
	v_cndmask_b32_e64 v31, v37, v39, s1
	v_cmp_lt_i32_e64 s2, v36, v34
	v_cmp_ge_i32_e64 s3, v35, v38
	v_cmp_ge_i32_e64 s5, v34, v36
	v_cmp_lt_u32_e64 s4, v31, v30
	s_or_b32 s2, s2, s3
	s_and_b32 s3, s4, s5
	s_and_b32 s2, s3, s2
	s_orn2_b32 s3, s2, exec_lo
; %bb.37:
	s_or_b32 exec_lo, exec_lo, s18
	v_cndmask_b32_e32 v5, v5, v7, vcc_lo
	v_cndmask_b32_e32 v4, v4, v6, vcc_lo
	v_cndmask_b32_e64 v7, v11, v13, s0
	v_cndmask_b32_e64 v6, v10, v12, s0
	;; [unrolled: 1-line block ×6, first 2 shown]
.LBB632_38:
	s_or_b32 exec_lo, exec_lo, s17
	v_and_b32_e32 v34, 0x60, v16
	v_and_b32_e32 v15, 28, v16
	s_mov_b32 s2, exec_lo
	; wave barrier
	v_or_b32_e32 v14, 16, v34
	v_min_u32_e32 v35, v9, v15
	v_lshl_add_u32 v33, v34, 3, v8
	v_min_u32_e32 v30, v9, v14
	v_add_nc_u32_e32 v14, 16, v30
	v_sub_nc_u32_e32 v15, v30, v34
	v_min_u32_e32 v31, v9, v14
	v_min_u32_e32 v36, v35, v15
	v_mov_b32_e32 v15, v11
	v_sub_nc_u32_e32 v14, v31, v30
	v_sub_nc_u32_e64 v32, v35, v14 clamp
	v_mov_b32_e32 v14, v10
	ds_write_b128 v17, v[4:7]
	ds_write_b128 v17, v[12:15] offset:16
	; wave barrier
	v_cmpx_lt_u32_e64 v32, v36
	s_cbranch_execz .LBB632_42
; %bb.39:
	v_lshlrev_b32_e32 v14, 3, v30
	v_lshlrev_b32_e32 v15, 3, v35
	s_mov_b32 s3, 0
	v_add3_u32 v14, v8, v14, v15
	.p2align	6
.LBB632_40:                             ; =>This Inner Loop Header: Depth=1
	v_add_nc_u32_e32 v15, v36, v32
	v_lshrrev_b32_e32 v15, 1, v15
	v_not_b32_e32 v37, v15
	v_lshl_add_u32 v38, v15, 3, v33
	v_lshl_add_u32 v39, v37, 3, v14
	ds_read_b64 v[37:38], v38
	ds_read_b64 v[39:40], v39
	s_waitcnt lgkmcnt(0)
	v_cmp_ge_i32_e32 vcc_lo, v37, v39
	v_cmp_lt_i32_e64 s0, v40, v38
	v_cmp_lt_i32_e64 s1, v39, v37
	v_add_nc_u32_e32 v37, 1, v15
	s_and_b32 s0, vcc_lo, s0
	s_or_b32 vcc_lo, s1, s0
	v_cndmask_b32_e32 v36, v36, v15, vcc_lo
	v_cndmask_b32_e32 v32, v37, v32, vcc_lo
	v_cmp_ge_u32_e32 vcc_lo, v32, v36
	s_or_b32 s3, vcc_lo, s3
	s_andn2_b32 exec_lo, exec_lo, s3
	s_cbranch_execnz .LBB632_40
; %bb.41:
	s_or_b32 exec_lo, exec_lo, s3
.LBB632_42:
	s_or_b32 exec_lo, exec_lo, s2
	v_add_nc_u32_e32 v14, v30, v35
	v_add_nc_u32_e32 v15, v32, v34
	v_sub_nc_u32_e32 v14, v14, v32
	v_cmp_le_u32_e32 vcc_lo, v15, v30
	v_cmp_le_u32_e64 s0, v14, v31
	s_or_b32 s0, vcc_lo, s0
	s_and_saveexec_b32 s17, s0
	s_cbranch_execz .LBB632_50
; %bb.43:
	v_cmp_lt_u32_e32 vcc_lo, v15, v30
	v_mov_b32_e32 v4, 0
	v_mov_b32_e32 v6, 0
	;; [unrolled: 1-line block ×3, first 2 shown]
	s_and_saveexec_b32 s0, vcc_lo
; %bb.44:
	v_lshl_add_u32 v5, v32, 3, v33
	ds_read_b64 v[6:7], v5
; %bb.45:
	s_or_b32 exec_lo, exec_lo, s0
	v_cmp_ge_u32_e64 s0, v14, v31
	v_mov_b32_e32 v5, 0
	s_mov_b32 s2, exec_lo
	v_cmpx_lt_u32_e64 v14, v31
; %bb.46:
	v_lshl_add_u32 v4, v14, 3, v8
	ds_read_b64 v[4:5], v4
; %bb.47:
	s_or_b32 exec_lo, exec_lo, s2
	s_waitcnt lgkmcnt(0)
	v_cmp_lt_i32_e64 s1, v6, v4
	v_cmp_ge_i32_e64 s2, v5, v7
	v_cmp_ge_i32_e64 s3, v4, v6
	s_mov_b32 s18, exec_lo
	s_or_b32 s1, s1, s2
	s_and_b32 s2, vcc_lo, s3
	s_and_b32 s1, s2, s1
	s_or_b32 vcc_lo, s0, s1
	v_cndmask_b32_e32 v10, v14, v15, vcc_lo
	v_cndmask_b32_e32 v11, v31, v30, vcc_lo
	v_add_nc_u32_e32 v32, 1, v10
	v_add_nc_u32_e32 v10, -1, v11
	v_cndmask_b32_e32 v15, v15, v32, vcc_lo
	v_min_u32_e32 v10, v32, v10
	v_cndmask_b32_e32 v34, v32, v14, vcc_lo
	v_cmp_lt_u32_e64 s0, v15, v30
	v_lshl_add_u32 v10, v10, 3, v8
	v_cmp_ge_u32_e64 s4, v34, v31
	ds_read_b64 v[12:13], v10
	s_waitcnt lgkmcnt(0)
	v_cndmask_b32_e32 v10, v12, v4, vcc_lo
	v_cndmask_b32_e32 v11, v13, v5, vcc_lo
	;; [unrolled: 1-line block ×4, first 2 shown]
	v_cmp_lt_i32_e64 s1, v12, v10
	v_cmp_ge_i32_e64 s2, v11, v13
	v_cmp_ge_i32_e64 s3, v10, v12
	s_or_b32 s1, s1, s2
	s_and_b32 s0, s0, s3
	s_and_b32 s0, s0, s1
	s_or_b32 s0, s4, s0
	v_cndmask_b32_e64 v14, v34, v15, s0
	v_cndmask_b32_e64 v32, v31, v30, s0
	v_add_nc_u32_e32 v35, 1, v14
	v_add_nc_u32_e32 v14, -1, v32
	v_cndmask_b32_e64 v37, v15, v35, s0
	v_min_u32_e32 v14, v35, v14
	v_cndmask_b32_e64 v34, v35, v34, s0
	v_cmp_lt_u32_e64 s1, v37, v30
	v_lshl_add_u32 v14, v14, 3, v8
	v_cmp_ge_u32_e64 s5, v34, v31
	ds_read_b64 v[32:33], v14
	s_waitcnt lgkmcnt(0)
	v_cndmask_b32_e64 v14, v32, v10, s0
	v_cndmask_b32_e64 v15, v33, v11, s0
	;; [unrolled: 1-line block ×4, first 2 shown]
	v_cmp_lt_i32_e64 s2, v32, v14
	v_cmp_ge_i32_e64 s3, v15, v33
	v_cmp_ge_i32_e64 s4, v14, v32
	s_or_b32 s2, s2, s3
	s_and_b32 s1, s1, s4
	s_mov_b32 s3, -1
	s_and_b32 s1, s1, s2
	s_or_b32 s1, s5, s1
	v_cndmask_b32_e64 v35, v34, v37, s1
	v_cndmask_b32_e64 v36, v31, v30, s1
	v_add_nc_u32_e32 v39, 1, v35
	v_add_nc_u32_e32 v35, -1, v36
	v_cndmask_b32_e64 v42, v39, v34, s1
	v_min_u32_e32 v35, v39, v35
	v_lshl_add_u32 v35, v35, 3, v8
	ds_read_b64 v[40:41], v35
	s_waitcnt lgkmcnt(0)
	v_cndmask_b32_e64 v34, v40, v14, s1
	v_cndmask_b32_e64 v35, v41, v15, s1
	;; [unrolled: 1-line block ×4, first 2 shown]
	v_cmpx_lt_u32_e64 v42, v31
; %bb.48:
	v_cndmask_b32_e64 v31, v37, v39, s1
	v_cmp_lt_i32_e64 s2, v36, v34
	v_cmp_ge_i32_e64 s3, v35, v38
	v_cmp_ge_i32_e64 s5, v34, v36
	v_cmp_lt_u32_e64 s4, v31, v30
	s_or_b32 s2, s2, s3
	s_and_b32 s3, s4, s5
	s_and_b32 s2, s3, s2
	s_orn2_b32 s3, s2, exec_lo
; %bb.49:
	s_or_b32 exec_lo, exec_lo, s18
	v_cndmask_b32_e32 v5, v5, v7, vcc_lo
	v_cndmask_b32_e32 v4, v4, v6, vcc_lo
	v_cndmask_b32_e64 v7, v11, v13, s0
	v_cndmask_b32_e64 v6, v10, v12, s0
	;; [unrolled: 1-line block ×6, first 2 shown]
.LBB632_50:
	s_or_b32 exec_lo, exec_lo, s17
	v_and_b32_e32 v32, 64, v16
	v_and_b32_e32 v15, 60, v16
	s_mov_b32 s2, exec_lo
	; wave barrier
	v_or_b32_e32 v14, 32, v32
	v_min_u32_e32 v33, v9, v15
	v_lshl_add_u32 v31, v32, 3, v8
	v_mov_b32_e32 v15, v11
	v_min_u32_e32 v30, v9, v14
	v_add_nc_u32_e32 v14, 32, v30
	v_min_u32_e32 v16, v9, v14
	v_sub_nc_u32_e32 v14, v30, v32
	v_sub_nc_u32_e32 v9, v16, v30
	v_min_u32_e32 v34, v33, v14
	v_mov_b32_e32 v14, v10
	ds_write_b128 v17, v[4:7]
	ds_write_b128 v17, v[12:15] offset:16
	v_sub_nc_u32_e64 v9, v33, v9 clamp
	; wave barrier
	v_cmpx_lt_u32_e64 v9, v34
	s_cbranch_execz .LBB632_54
; %bb.51:
	v_lshlrev_b32_e32 v14, 3, v30
	v_lshlrev_b32_e32 v15, 3, v33
	s_mov_b32 s3, 0
	v_add3_u32 v14, v8, v14, v15
	.p2align	6
.LBB632_52:                             ; =>This Inner Loop Header: Depth=1
	v_add_nc_u32_e32 v15, v34, v9
	v_lshrrev_b32_e32 v15, 1, v15
	v_not_b32_e32 v17, v15
	v_lshl_add_u32 v35, v15, 3, v31
	v_lshl_add_u32 v17, v17, 3, v14
	ds_read_b64 v[35:36], v35
	ds_read_b64 v[37:38], v17
	v_add_nc_u32_e32 v17, 1, v15
	s_waitcnt lgkmcnt(0)
	v_cmp_ge_i32_e32 vcc_lo, v35, v37
	v_cmp_lt_i32_e64 s0, v38, v36
	v_cmp_lt_i32_e64 s1, v37, v35
	s_and_b32 s0, vcc_lo, s0
	s_or_b32 vcc_lo, s1, s0
	v_cndmask_b32_e32 v34, v34, v15, vcc_lo
	v_cndmask_b32_e32 v9, v17, v9, vcc_lo
	v_cmp_ge_u32_e32 vcc_lo, v9, v34
	s_or_b32 s3, vcc_lo, s3
	s_andn2_b32 exec_lo, exec_lo, s3
	s_cbranch_execnz .LBB632_52
; %bb.53:
	s_or_b32 exec_lo, exec_lo, s3
.LBB632_54:
	s_or_b32 exec_lo, exec_lo, s2
	v_add_nc_u32_e32 v14, v30, v33
	v_add_nc_u32_e32 v15, v9, v32
	v_sub_nc_u32_e32 v14, v14, v9
	v_cmp_le_u32_e32 vcc_lo, v15, v30
	v_cmp_le_u32_e64 s0, v14, v16
	s_or_b32 s0, vcc_lo, s0
	s_and_saveexec_b32 s17, s0
	s_cbranch_execz .LBB632_62
; %bb.55:
	v_cmp_lt_u32_e32 vcc_lo, v15, v30
	v_mov_b32_e32 v4, 0
	v_mov_b32_e32 v6, 0
	;; [unrolled: 1-line block ×3, first 2 shown]
	s_and_saveexec_b32 s0, vcc_lo
; %bb.56:
	v_lshl_add_u32 v5, v9, 3, v31
	ds_read_b64 v[6:7], v5
; %bb.57:
	s_or_b32 exec_lo, exec_lo, s0
	v_cmp_ge_u32_e64 s0, v14, v16
	v_mov_b32_e32 v5, 0
	s_mov_b32 s2, exec_lo
	v_cmpx_lt_u32_e64 v14, v16
; %bb.58:
	v_lshl_add_u32 v4, v14, 3, v8
	ds_read_b64 v[4:5], v4
; %bb.59:
	s_or_b32 exec_lo, exec_lo, s2
	s_waitcnt lgkmcnt(0)
	v_cmp_lt_i32_e64 s1, v6, v4
	v_cmp_ge_i32_e64 s2, v5, v7
	v_cmp_ge_i32_e64 s3, v4, v6
	s_mov_b32 s18, exec_lo
	s_or_b32 s1, s1, s2
	s_and_b32 s2, vcc_lo, s3
	s_and_b32 s1, s2, s1
	s_or_b32 vcc_lo, s0, s1
	v_cndmask_b32_e32 v9, v14, v15, vcc_lo
	v_cndmask_b32_e32 v10, v16, v30, vcc_lo
	v_add_nc_u32_e32 v13, 1, v9
	v_add_nc_u32_e32 v9, -1, v10
	v_cndmask_b32_e32 v15, v15, v13, vcc_lo
	v_min_u32_e32 v9, v13, v9
	v_cndmask_b32_e32 v34, v13, v14, vcc_lo
	v_cmp_lt_u32_e64 s0, v15, v30
	v_lshl_add_u32 v9, v9, 3, v8
	v_cmp_ge_u32_e64 s4, v34, v16
	ds_read_b64 v[11:12], v9
	s_waitcnt lgkmcnt(0)
	v_cndmask_b32_e32 v9, v11, v4, vcc_lo
	v_cndmask_b32_e32 v10, v12, v5, vcc_lo
	;; [unrolled: 1-line block ×4, first 2 shown]
	v_cmp_lt_i32_e64 s1, v11, v9
	v_cmp_ge_i32_e64 s2, v10, v12
	v_cmp_ge_i32_e64 s3, v9, v11
	s_or_b32 s1, s1, s2
	s_and_b32 s0, s0, s3
	s_and_b32 s0, s0, s1
	s_or_b32 s0, s4, s0
	v_cndmask_b32_e64 v13, v34, v15, s0
	v_cndmask_b32_e64 v14, v16, v30, s0
	v_add_nc_u32_e32 v35, 1, v13
	v_add_nc_u32_e32 v13, -1, v14
	v_cndmask_b32_e64 v33, v15, v35, s0
	v_min_u32_e32 v13, v35, v13
	v_cmp_lt_u32_e64 s1, v33, v30
	v_lshl_add_u32 v13, v13, 3, v8
	ds_read_b64 v[31:32], v13
	s_waitcnt lgkmcnt(0)
	v_cndmask_b32_e64 v14, v31, v9, s0
	v_cndmask_b32_e64 v13, v32, v10, s0
	;; [unrolled: 1-line block ×5, first 2 shown]
	v_cmp_lt_i32_e64 s2, v15, v14
	v_cmp_ge_i32_e64 s3, v13, v17
	v_cmp_ge_i32_e64 s4, v14, v15
	v_cmp_ge_u32_e64 s5, v31, v16
	s_or_b32 s2, s2, s3
	s_and_b32 s1, s1, s4
	s_mov_b32 s3, -1
	s_and_b32 s1, s1, s2
	s_or_b32 s1, s5, s1
	v_cndmask_b32_e64 v32, v31, v33, s1
	v_cndmask_b32_e64 v34, v16, v30, s1
	v_add_nc_u32_e32 v35, 1, v32
	v_add_nc_u32_e32 v32, -1, v34
	v_cndmask_b32_e64 v38, v35, v31, s1
	v_min_u32_e32 v32, v35, v32
	v_lshl_add_u32 v8, v32, 3, v8
	ds_read_b64 v[36:37], v8
	s_waitcnt lgkmcnt(0)
	v_cndmask_b32_e64 v8, v36, v14, s1
	v_cndmask_b32_e64 v31, v37, v13, s1
	;; [unrolled: 1-line block ×4, first 2 shown]
	v_cmpx_lt_u32_e64 v38, v16
; %bb.60:
	v_cndmask_b32_e64 v16, v33, v35, s1
	v_cmp_lt_i32_e64 s2, v32, v8
	v_cmp_ge_i32_e64 s3, v31, v34
	v_cmp_ge_i32_e64 s5, v8, v32
	v_cmp_lt_u32_e64 s4, v16, v30
	s_or_b32 s2, s2, s3
	s_and_b32 s3, s4, s5
	s_and_b32 s2, s3, s2
	s_orn2_b32 s3, s2, exec_lo
; %bb.61:
	s_or_b32 exec_lo, exec_lo, s18
	v_cndmask_b32_e32 v5, v5, v7, vcc_lo
	v_cndmask_b32_e32 v4, v4, v6, vcc_lo
	v_cndmask_b32_e64 v7, v10, v12, s0
	v_cndmask_b32_e64 v6, v9, v11, s0
	;; [unrolled: 1-line block ×6, first 2 shown]
.LBB632_62:
	s_or_b32 exec_lo, exec_lo, s17
	v_lshlrev_b32_e32 v8, 2, v0
	v_mov_b32_e32 v14, v10
	s_mov_b32 s2, exec_lo
	; wave barrier
	v_and_b32_e32 v31, 0x380, v8
	v_and_b32_e32 v32, 0x7c, v8
	s_waitcnt lgkmcnt(0)
	s_barrier
	buffer_gl0_inv
	v_or_b32_e32 v9, 64, v31
	v_add_nc_u32_e32 v16, 0x80, v31
	ds_write_b128 v19, v[4:7]
	v_sub_nc_u32_e32 v30, v9, v31
	v_sub_nc_u32_e32 v15, v16, v9
	v_min_u32_e32 v33, v32, v30
	v_sub_nc_u32_e64 v17, v32, v15 clamp
	v_mov_b32_e32 v15, v11
	v_lshlrev_b32_e32 v30, 3, v31
	ds_write_b128 v19, v[12:15] offset:16
	s_waitcnt lgkmcnt(0)
	s_barrier
	buffer_gl0_inv
	v_cmpx_lt_u32_e64 v17, v33
	s_cbranch_execz .LBB632_66
; %bb.63:
	v_lshlrev_b32_e32 v14, 3, v32
	s_mov_b32 s3, 0
	v_lshl_add_u32 v14, v9, 3, v14
	.p2align	6
.LBB632_64:                             ; =>This Inner Loop Header: Depth=1
	v_add_nc_u32_e32 v15, v33, v17
	v_lshrrev_b32_e32 v15, 1, v15
	v_not_b32_e32 v34, v15
	v_lshl_add_u32 v35, v15, 3, v30
	v_lshl_add_u32 v36, v34, 3, v14
	ds_read_b64 v[34:35], v35
	ds_read_b64 v[36:37], v36
	s_waitcnt lgkmcnt(0)
	v_cmp_ge_i32_e32 vcc_lo, v34, v36
	v_cmp_lt_i32_e64 s0, v37, v35
	v_cmp_lt_i32_e64 s1, v36, v34
	v_add_nc_u32_e32 v34, 1, v15
	s_and_b32 s0, vcc_lo, s0
	s_or_b32 vcc_lo, s1, s0
	v_cndmask_b32_e32 v33, v33, v15, vcc_lo
	v_cndmask_b32_e32 v17, v34, v17, vcc_lo
	v_cmp_ge_u32_e32 vcc_lo, v17, v33
	s_or_b32 s3, vcc_lo, s3
	s_andn2_b32 exec_lo, exec_lo, s3
	s_cbranch_execnz .LBB632_64
; %bb.65:
	s_or_b32 exec_lo, exec_lo, s3
.LBB632_66:
	s_or_b32 exec_lo, exec_lo, s2
	v_sub_nc_u32_e32 v14, v32, v17
	v_add_nc_u32_e32 v15, v17, v31
	v_add_nc_u32_e32 v14, v14, v9
	v_cmp_le_u32_e32 vcc_lo, v15, v9
	v_cmp_le_u32_e64 s0, v14, v16
	s_or_b32 s0, vcc_lo, s0
	s_and_saveexec_b32 s17, s0
	s_cbranch_execz .LBB632_74
; %bb.67:
	v_cmp_lt_u32_e32 vcc_lo, v15, v9
	v_mov_b32_e32 v4, 0
	v_mov_b32_e32 v6, 0
	;; [unrolled: 1-line block ×3, first 2 shown]
	s_and_saveexec_b32 s0, vcc_lo
; %bb.68:
	v_lshl_add_u32 v5, v17, 3, v30
	ds_read_b64 v[6:7], v5
; %bb.69:
	s_or_b32 exec_lo, exec_lo, s0
	v_cmp_ge_u32_e64 s0, v14, v16
	v_mov_b32_e32 v5, 0
	s_mov_b32 s2, exec_lo
	v_cmpx_lt_u32_e64 v14, v16
; %bb.70:
	v_lshlrev_b32_e32 v4, 3, v14
	ds_read_b64 v[4:5], v4
; %bb.71:
	s_or_b32 exec_lo, exec_lo, s2
	s_waitcnt lgkmcnt(0)
	v_cmp_lt_i32_e64 s1, v6, v4
	v_cmp_ge_i32_e64 s2, v5, v7
	v_cmp_ge_i32_e64 s3, v4, v6
	s_mov_b32 s18, exec_lo
	s_or_b32 s1, s1, s2
	s_and_b32 s2, vcc_lo, s3
	s_and_b32 s1, s2, s1
	s_or_b32 vcc_lo, s0, s1
	v_cndmask_b32_e32 v10, v14, v15, vcc_lo
	v_cndmask_b32_e32 v11, v16, v9, vcc_lo
	v_add_nc_u32_e32 v17, 1, v10
	v_add_nc_u32_e32 v10, -1, v11
	v_cndmask_b32_e32 v15, v15, v17, vcc_lo
	v_min_u32_e32 v10, v17, v10
	v_cndmask_b32_e32 v32, v17, v14, vcc_lo
	v_cmp_lt_u32_e64 s0, v15, v9
	v_lshlrev_b32_e32 v10, 3, v10
	v_cmp_ge_u32_e64 s4, v32, v16
	ds_read_b64 v[12:13], v10
	s_waitcnt lgkmcnt(0)
	v_cndmask_b32_e32 v10, v12, v4, vcc_lo
	v_cndmask_b32_e32 v11, v13, v5, vcc_lo
	;; [unrolled: 1-line block ×4, first 2 shown]
	v_cmp_lt_i32_e64 s1, v12, v10
	v_cmp_ge_i32_e64 s2, v11, v13
	v_cmp_ge_i32_e64 s3, v10, v12
	s_or_b32 s1, s1, s2
	s_and_b32 s0, s0, s3
	s_and_b32 s0, s0, s1
	s_or_b32 s0, s4, s0
	v_cndmask_b32_e64 v14, v32, v15, s0
	v_cndmask_b32_e64 v17, v16, v9, s0
	v_add_nc_u32_e32 v33, 1, v14
	v_add_nc_u32_e32 v14, -1, v17
	v_cndmask_b32_e64 v34, v15, v33, s0
	v_min_u32_e32 v14, v33, v14
	v_cmp_lt_u32_e64 s1, v34, v9
	v_lshlrev_b32_e32 v14, 3, v14
	ds_read_b64 v[30:31], v14
	s_waitcnt lgkmcnt(0)
	v_cndmask_b32_e64 v14, v30, v10, s0
	v_cndmask_b32_e64 v15, v31, v11, s0
	;; [unrolled: 1-line block ×5, first 2 shown]
	v_cmp_lt_i32_e64 s2, v17, v14
	v_cmp_ge_i32_e64 s3, v15, v30
	v_cmp_ge_i32_e64 s4, v14, v17
	v_cmp_ge_u32_e64 s5, v31, v16
	s_or_b32 s2, s2, s3
	s_and_b32 s1, s1, s4
	s_mov_b32 s3, -1
	s_and_b32 s1, s1, s2
	s_or_b32 s1, s5, s1
	v_cndmask_b32_e64 v32, v31, v34, s1
	v_cndmask_b32_e64 v33, v16, v9, s1
	v_add_nc_u32_e32 v36, 1, v32
	v_add_nc_u32_e32 v32, -1, v33
	v_cndmask_b32_e64 v39, v36, v31, s1
	v_min_u32_e32 v32, v36, v32
	v_lshlrev_b32_e32 v32, 3, v32
	ds_read_b64 v[37:38], v32
	s_waitcnt lgkmcnt(0)
	v_cndmask_b32_e64 v31, v37, v14, s1
	v_cndmask_b32_e64 v32, v38, v15, s1
	v_cndmask_b32_e64 v33, v17, v37, s1
	v_cndmask_b32_e64 v35, v30, v38, s1
	v_cmpx_lt_u32_e64 v39, v16
; %bb.72:
	v_cndmask_b32_e64 v16, v34, v36, s1
	v_cmp_lt_i32_e64 s2, v33, v31
	v_cmp_ge_i32_e64 s3, v32, v35
	v_cmp_ge_i32_e64 s5, v31, v33
	v_cmp_lt_u32_e64 s4, v16, v9
	s_or_b32 s2, s2, s3
	s_and_b32 s3, s4, s5
	s_and_b32 s2, s3, s2
	s_orn2_b32 s3, s2, exec_lo
; %bb.73:
	s_or_b32 exec_lo, exec_lo, s18
	v_cndmask_b32_e32 v5, v5, v7, vcc_lo
	v_cndmask_b32_e32 v4, v4, v6, vcc_lo
	v_cndmask_b32_e64 v7, v11, v13, s0
	v_cndmask_b32_e64 v6, v10, v12, s0
	;; [unrolled: 1-line block ×6, first 2 shown]
.LBB632_74:
	s_or_b32 exec_lo, exec_lo, s17
	v_and_b32_e32 v31, 0x300, v8
	v_and_b32_e32 v32, 0xfc, v8
	v_mov_b32_e32 v14, v10
	s_mov_b32 s2, exec_lo
	v_or_b32_e32 v9, 0x80, v31
	v_add_nc_u32_e32 v16, 0x100, v31
	s_barrier
	buffer_gl0_inv
	ds_write_b128 v19, v[4:7]
	v_sub_nc_u32_e32 v30, v9, v31
	v_sub_nc_u32_e32 v15, v16, v9
	v_min_u32_e32 v33, v32, v30
	v_sub_nc_u32_e64 v17, v32, v15 clamp
	v_mov_b32_e32 v15, v11
	v_lshlrev_b32_e32 v30, 3, v31
	ds_write_b128 v19, v[12:15] offset:16
	s_waitcnt lgkmcnt(0)
	s_barrier
	buffer_gl0_inv
	v_cmpx_lt_u32_e64 v17, v33
	s_cbranch_execz .LBB632_78
; %bb.75:
	v_lshlrev_b32_e32 v14, 3, v32
	s_mov_b32 s3, 0
	v_lshl_add_u32 v14, v9, 3, v14
	.p2align	6
.LBB632_76:                             ; =>This Inner Loop Header: Depth=1
	v_add_nc_u32_e32 v15, v33, v17
	v_lshrrev_b32_e32 v15, 1, v15
	v_not_b32_e32 v34, v15
	v_lshl_add_u32 v35, v15, 3, v30
	v_lshl_add_u32 v36, v34, 3, v14
	ds_read_b64 v[34:35], v35
	ds_read_b64 v[36:37], v36
	s_waitcnt lgkmcnt(0)
	v_cmp_ge_i32_e32 vcc_lo, v34, v36
	v_cmp_lt_i32_e64 s0, v37, v35
	v_cmp_lt_i32_e64 s1, v36, v34
	v_add_nc_u32_e32 v34, 1, v15
	s_and_b32 s0, vcc_lo, s0
	s_or_b32 vcc_lo, s1, s0
	v_cndmask_b32_e32 v33, v33, v15, vcc_lo
	v_cndmask_b32_e32 v17, v34, v17, vcc_lo
	v_cmp_ge_u32_e32 vcc_lo, v17, v33
	s_or_b32 s3, vcc_lo, s3
	s_andn2_b32 exec_lo, exec_lo, s3
	s_cbranch_execnz .LBB632_76
; %bb.77:
	s_or_b32 exec_lo, exec_lo, s3
.LBB632_78:
	s_or_b32 exec_lo, exec_lo, s2
	v_sub_nc_u32_e32 v14, v32, v17
	v_add_nc_u32_e32 v15, v17, v31
	v_add_nc_u32_e32 v14, v14, v9
	v_cmp_le_u32_e32 vcc_lo, v15, v9
	v_cmp_le_u32_e64 s0, v14, v16
	s_or_b32 s0, vcc_lo, s0
	s_and_saveexec_b32 s17, s0
	s_cbranch_execz .LBB632_86
; %bb.79:
	v_cmp_lt_u32_e32 vcc_lo, v15, v9
	v_mov_b32_e32 v4, 0
	v_mov_b32_e32 v6, 0
	;; [unrolled: 1-line block ×3, first 2 shown]
	s_and_saveexec_b32 s0, vcc_lo
; %bb.80:
	v_lshl_add_u32 v5, v17, 3, v30
	ds_read_b64 v[6:7], v5
; %bb.81:
	s_or_b32 exec_lo, exec_lo, s0
	v_cmp_ge_u32_e64 s0, v14, v16
	v_mov_b32_e32 v5, 0
	s_mov_b32 s2, exec_lo
	v_cmpx_lt_u32_e64 v14, v16
; %bb.82:
	v_lshlrev_b32_e32 v4, 3, v14
	ds_read_b64 v[4:5], v4
; %bb.83:
	s_or_b32 exec_lo, exec_lo, s2
	s_waitcnt lgkmcnt(0)
	v_cmp_lt_i32_e64 s1, v6, v4
	v_cmp_ge_i32_e64 s2, v5, v7
	v_cmp_ge_i32_e64 s3, v4, v6
	s_mov_b32 s18, exec_lo
	s_or_b32 s1, s1, s2
	s_and_b32 s2, vcc_lo, s3
	s_and_b32 s1, s2, s1
	s_or_b32 vcc_lo, s0, s1
	v_cndmask_b32_e32 v10, v14, v15, vcc_lo
	v_cndmask_b32_e32 v11, v16, v9, vcc_lo
	v_add_nc_u32_e32 v17, 1, v10
	v_add_nc_u32_e32 v10, -1, v11
	v_cndmask_b32_e32 v15, v15, v17, vcc_lo
	v_min_u32_e32 v10, v17, v10
	v_cndmask_b32_e32 v32, v17, v14, vcc_lo
	v_cmp_lt_u32_e64 s0, v15, v9
	v_lshlrev_b32_e32 v10, 3, v10
	v_cmp_ge_u32_e64 s4, v32, v16
	ds_read_b64 v[12:13], v10
	s_waitcnt lgkmcnt(0)
	v_cndmask_b32_e32 v10, v12, v4, vcc_lo
	v_cndmask_b32_e32 v11, v13, v5, vcc_lo
	;; [unrolled: 1-line block ×4, first 2 shown]
	v_cmp_lt_i32_e64 s1, v12, v10
	v_cmp_ge_i32_e64 s2, v11, v13
	v_cmp_ge_i32_e64 s3, v10, v12
	s_or_b32 s1, s1, s2
	s_and_b32 s0, s0, s3
	s_and_b32 s0, s0, s1
	s_or_b32 s0, s4, s0
	v_cndmask_b32_e64 v14, v32, v15, s0
	v_cndmask_b32_e64 v17, v16, v9, s0
	v_add_nc_u32_e32 v33, 1, v14
	v_add_nc_u32_e32 v14, -1, v17
	v_cndmask_b32_e64 v34, v15, v33, s0
	v_min_u32_e32 v14, v33, v14
	v_cmp_lt_u32_e64 s1, v34, v9
	v_lshlrev_b32_e32 v14, 3, v14
	ds_read_b64 v[30:31], v14
	s_waitcnt lgkmcnt(0)
	v_cndmask_b32_e64 v14, v30, v10, s0
	v_cndmask_b32_e64 v15, v31, v11, s0
	;; [unrolled: 1-line block ×5, first 2 shown]
	v_cmp_lt_i32_e64 s2, v17, v14
	v_cmp_ge_i32_e64 s3, v15, v30
	v_cmp_ge_i32_e64 s4, v14, v17
	v_cmp_ge_u32_e64 s5, v31, v16
	s_or_b32 s2, s2, s3
	s_and_b32 s1, s1, s4
	s_mov_b32 s3, -1
	s_and_b32 s1, s1, s2
	s_or_b32 s1, s5, s1
	v_cndmask_b32_e64 v32, v31, v34, s1
	v_cndmask_b32_e64 v33, v16, v9, s1
	v_add_nc_u32_e32 v36, 1, v32
	v_add_nc_u32_e32 v32, -1, v33
	v_cndmask_b32_e64 v39, v36, v31, s1
	v_min_u32_e32 v32, v36, v32
	v_lshlrev_b32_e32 v32, 3, v32
	ds_read_b64 v[37:38], v32
	s_waitcnt lgkmcnt(0)
	v_cndmask_b32_e64 v31, v37, v14, s1
	v_cndmask_b32_e64 v32, v38, v15, s1
	v_cndmask_b32_e64 v33, v17, v37, s1
	v_cndmask_b32_e64 v35, v30, v38, s1
	v_cmpx_lt_u32_e64 v39, v16
; %bb.84:
	v_cndmask_b32_e64 v16, v34, v36, s1
	v_cmp_lt_i32_e64 s2, v33, v31
	v_cmp_ge_i32_e64 s3, v32, v35
	v_cmp_ge_i32_e64 s5, v31, v33
	v_cmp_lt_u32_e64 s4, v16, v9
	s_or_b32 s2, s2, s3
	s_and_b32 s3, s4, s5
	s_and_b32 s2, s3, s2
	s_orn2_b32 s3, s2, exec_lo
; %bb.85:
	s_or_b32 exec_lo, exec_lo, s18
	v_cndmask_b32_e32 v5, v5, v7, vcc_lo
	v_cndmask_b32_e32 v4, v4, v6, vcc_lo
	v_cndmask_b32_e64 v7, v11, v13, s0
	v_cndmask_b32_e64 v6, v10, v12, s0
	;; [unrolled: 1-line block ×6, first 2 shown]
.LBB632_86:
	s_or_b32 exec_lo, exec_lo, s17
	v_and_b32_e32 v31, 0x200, v8
	v_and_b32_e32 v32, 0x1fc, v8
	v_mov_b32_e32 v14, v10
	s_mov_b32 s2, exec_lo
	v_or_b32_e32 v9, 0x100, v31
	v_add_nc_u32_e32 v16, 0x200, v31
	s_barrier
	buffer_gl0_inv
	ds_write_b128 v19, v[4:7]
	v_sub_nc_u32_e32 v30, v9, v31
	v_sub_nc_u32_e32 v15, v16, v9
	v_min_u32_e32 v33, v32, v30
	v_sub_nc_u32_e64 v17, v32, v15 clamp
	v_mov_b32_e32 v15, v11
	v_lshlrev_b32_e32 v30, 3, v31
	ds_write_b128 v19, v[12:15] offset:16
	s_waitcnt lgkmcnt(0)
	s_barrier
	buffer_gl0_inv
	v_cmpx_lt_u32_e64 v17, v33
	s_cbranch_execz .LBB632_90
; %bb.87:
	v_lshlrev_b32_e32 v14, 3, v32
	s_mov_b32 s3, 0
	v_lshl_add_u32 v14, v9, 3, v14
	.p2align	6
.LBB632_88:                             ; =>This Inner Loop Header: Depth=1
	v_add_nc_u32_e32 v15, v33, v17
	v_lshrrev_b32_e32 v15, 1, v15
	v_not_b32_e32 v34, v15
	v_lshl_add_u32 v35, v15, 3, v30
	v_lshl_add_u32 v36, v34, 3, v14
	ds_read_b64 v[34:35], v35
	ds_read_b64 v[36:37], v36
	s_waitcnt lgkmcnt(0)
	v_cmp_ge_i32_e32 vcc_lo, v34, v36
	v_cmp_lt_i32_e64 s0, v37, v35
	v_cmp_lt_i32_e64 s1, v36, v34
	v_add_nc_u32_e32 v34, 1, v15
	s_and_b32 s0, vcc_lo, s0
	s_or_b32 vcc_lo, s1, s0
	v_cndmask_b32_e32 v33, v33, v15, vcc_lo
	v_cndmask_b32_e32 v17, v34, v17, vcc_lo
	v_cmp_ge_u32_e32 vcc_lo, v17, v33
	s_or_b32 s3, vcc_lo, s3
	s_andn2_b32 exec_lo, exec_lo, s3
	s_cbranch_execnz .LBB632_88
; %bb.89:
	s_or_b32 exec_lo, exec_lo, s3
.LBB632_90:
	s_or_b32 exec_lo, exec_lo, s2
	v_sub_nc_u32_e32 v14, v32, v17
	v_add_nc_u32_e32 v15, v17, v31
	v_add_nc_u32_e32 v14, v14, v9
	v_cmp_le_u32_e32 vcc_lo, v15, v9
	v_cmp_le_u32_e64 s0, v14, v16
	s_or_b32 s0, vcc_lo, s0
	s_and_saveexec_b32 s17, s0
	s_cbranch_execz .LBB632_98
; %bb.91:
	v_cmp_lt_u32_e32 vcc_lo, v15, v9
	v_mov_b32_e32 v4, 0
	v_mov_b32_e32 v6, 0
	;; [unrolled: 1-line block ×3, first 2 shown]
	s_and_saveexec_b32 s0, vcc_lo
; %bb.92:
	v_lshl_add_u32 v5, v17, 3, v30
	ds_read_b64 v[6:7], v5
; %bb.93:
	s_or_b32 exec_lo, exec_lo, s0
	v_cmp_ge_u32_e64 s0, v14, v16
	v_mov_b32_e32 v5, 0
	s_mov_b32 s2, exec_lo
	v_cmpx_lt_u32_e64 v14, v16
; %bb.94:
	v_lshlrev_b32_e32 v4, 3, v14
	ds_read_b64 v[4:5], v4
; %bb.95:
	s_or_b32 exec_lo, exec_lo, s2
	s_waitcnt lgkmcnt(0)
	v_cmp_lt_i32_e64 s1, v6, v4
	v_cmp_ge_i32_e64 s2, v5, v7
	v_cmp_ge_i32_e64 s3, v4, v6
	s_mov_b32 s18, exec_lo
	s_or_b32 s1, s1, s2
	s_and_b32 s2, vcc_lo, s3
	s_and_b32 s1, s2, s1
	s_or_b32 vcc_lo, s0, s1
	v_cndmask_b32_e32 v10, v14, v15, vcc_lo
	v_cndmask_b32_e32 v11, v16, v9, vcc_lo
	v_add_nc_u32_e32 v17, 1, v10
	v_add_nc_u32_e32 v10, -1, v11
	v_cndmask_b32_e32 v15, v15, v17, vcc_lo
	v_min_u32_e32 v10, v17, v10
	v_cndmask_b32_e32 v32, v17, v14, vcc_lo
	v_cmp_lt_u32_e64 s0, v15, v9
	v_lshlrev_b32_e32 v10, 3, v10
	v_cmp_ge_u32_e64 s4, v32, v16
	ds_read_b64 v[12:13], v10
	s_waitcnt lgkmcnt(0)
	v_cndmask_b32_e32 v10, v12, v4, vcc_lo
	v_cndmask_b32_e32 v11, v13, v5, vcc_lo
	;; [unrolled: 1-line block ×4, first 2 shown]
	v_cmp_lt_i32_e64 s1, v12, v10
	v_cmp_ge_i32_e64 s2, v11, v13
	v_cmp_ge_i32_e64 s3, v10, v12
	s_or_b32 s1, s1, s2
	s_and_b32 s0, s0, s3
	s_and_b32 s0, s0, s1
	s_or_b32 s0, s4, s0
	v_cndmask_b32_e64 v14, v32, v15, s0
	v_cndmask_b32_e64 v17, v16, v9, s0
	v_add_nc_u32_e32 v33, 1, v14
	v_add_nc_u32_e32 v14, -1, v17
	v_cndmask_b32_e64 v34, v15, v33, s0
	v_min_u32_e32 v14, v33, v14
	v_cmp_lt_u32_e64 s1, v34, v9
	v_lshlrev_b32_e32 v14, 3, v14
	ds_read_b64 v[30:31], v14
	s_waitcnt lgkmcnt(0)
	v_cndmask_b32_e64 v14, v30, v10, s0
	v_cndmask_b32_e64 v15, v31, v11, s0
	;; [unrolled: 1-line block ×5, first 2 shown]
	v_cmp_lt_i32_e64 s2, v17, v14
	v_cmp_ge_i32_e64 s3, v15, v30
	v_cmp_ge_i32_e64 s4, v14, v17
	v_cmp_ge_u32_e64 s5, v31, v16
	s_or_b32 s2, s2, s3
	s_and_b32 s1, s1, s4
	s_mov_b32 s3, -1
	s_and_b32 s1, s1, s2
	s_or_b32 s1, s5, s1
	v_cndmask_b32_e64 v32, v31, v34, s1
	v_cndmask_b32_e64 v33, v16, v9, s1
	v_add_nc_u32_e32 v36, 1, v32
	v_add_nc_u32_e32 v32, -1, v33
	v_cndmask_b32_e64 v39, v36, v31, s1
	v_min_u32_e32 v32, v36, v32
	v_lshlrev_b32_e32 v32, 3, v32
	ds_read_b64 v[37:38], v32
	s_waitcnt lgkmcnt(0)
	v_cndmask_b32_e64 v31, v37, v14, s1
	v_cndmask_b32_e64 v32, v38, v15, s1
	;; [unrolled: 1-line block ×4, first 2 shown]
	v_cmpx_lt_u32_e64 v39, v16
; %bb.96:
	v_cndmask_b32_e64 v16, v34, v36, s1
	v_cmp_lt_i32_e64 s2, v33, v31
	v_cmp_ge_i32_e64 s3, v32, v35
	v_cmp_ge_i32_e64 s5, v31, v33
	v_cmp_lt_u32_e64 s4, v16, v9
	s_or_b32 s2, s2, s3
	s_and_b32 s3, s4, s5
	s_and_b32 s2, s3, s2
	s_orn2_b32 s3, s2, exec_lo
; %bb.97:
	s_or_b32 exec_lo, exec_lo, s18
	v_cndmask_b32_e32 v5, v5, v7, vcc_lo
	v_cndmask_b32_e32 v4, v4, v6, vcc_lo
	v_cndmask_b32_e64 v7, v11, v13, s0
	v_cndmask_b32_e64 v6, v10, v12, s0
	;; [unrolled: 1-line block ×6, first 2 shown]
.LBB632_98:
	s_or_b32 exec_lo, exec_lo, s17
	v_and_b32_e32 v9, 0x3fc, v8
	v_mov_b32_e32 v14, v10
	v_mov_b32_e32 v15, v11
	s_mov_b32 s2, exec_lo
	v_subrev_nc_u32_e64 v8, 0x200, v9 clamp
	v_min_u32_e32 v16, 0x200, v9
	s_barrier
	buffer_gl0_inv
	ds_write_b128 v19, v[4:7]
	ds_write_b128 v19, v[12:15] offset:16
	s_waitcnt lgkmcnt(0)
	s_barrier
	buffer_gl0_inv
	v_cmpx_lt_u32_e64 v8, v16
	s_cbranch_execz .LBB632_102
; %bb.99:
	v_lshlrev_b32_e32 v14, 3, v9
	s_mov_b32 s3, 0
	v_lshl_add_u32 v14, 0x200, 3, v14
	.p2align	6
.LBB632_100:                            ; =>This Inner Loop Header: Depth=1
	v_add_nc_u32_e32 v15, v16, v8
	v_lshrrev_b32_e32 v15, 1, v15
	v_not_b32_e32 v17, v15
	v_lshlrev_b32_e32 v30, 3, v15
	v_lshl_add_u32 v17, v17, 3, v14
	ds_read_b64 v[30:31], v30
	ds_read_b64 v[32:33], v17
	v_add_nc_u32_e32 v17, 1, v15
	s_waitcnt lgkmcnt(0)
	v_cmp_ge_i32_e32 vcc_lo, v30, v32
	v_cmp_lt_i32_e64 s0, v33, v31
	v_cmp_lt_i32_e64 s1, v32, v30
	s_and_b32 s0, vcc_lo, s0
	s_or_b32 vcc_lo, s1, s0
	v_cndmask_b32_e32 v16, v16, v15, vcc_lo
	v_cndmask_b32_e32 v8, v17, v8, vcc_lo
	v_cmp_ge_u32_e32 vcc_lo, v8, v16
	s_or_b32 s3, vcc_lo, s3
	s_andn2_b32 exec_lo, exec_lo, s3
	s_cbranch_execnz .LBB632_100
; %bb.101:
	s_or_b32 exec_lo, exec_lo, s3
.LBB632_102:
	s_or_b32 exec_lo, exec_lo, s2
	v_sub_nc_u32_e32 v9, v9, v8
	v_cmp_ge_u32_e32 vcc_lo, 0x200, v8
	v_add_nc_u32_e32 v14, 0x200, v9
	v_cmp_gt_u32_e64 s0, 0x401, v14
	s_or_b32 s0, vcc_lo, s0
	s_and_saveexec_b32 s17, s0
	s_cbranch_execz .LBB632_110
; %bb.103:
	v_cmp_gt_u32_e32 vcc_lo, 0x200, v8
	v_mov_b32_e32 v4, 0
	v_mov_b32_e32 v6, 0
	;; [unrolled: 1-line block ×3, first 2 shown]
	s_and_saveexec_b32 s0, vcc_lo
; %bb.104:
	v_lshlrev_b32_e32 v5, 3, v8
	ds_read_b64 v[6:7], v5
; %bb.105:
	s_or_b32 exec_lo, exec_lo, s0
	v_cmp_lt_u32_e64 s0, 0x3ff, v14
	v_mov_b32_e32 v5, 0
	s_mov_b32 s2, exec_lo
	v_cmpx_gt_u32_e32 0x400, v14
; %bb.106:
	v_lshlrev_b32_e32 v4, 3, v14
	ds_read_b64 v[4:5], v4
; %bb.107:
	s_or_b32 exec_lo, exec_lo, s2
	s_waitcnt lgkmcnt(0)
	v_cmp_lt_i32_e64 s1, v6, v4
	v_cmp_ge_i32_e64 s2, v5, v7
	v_cmp_ge_i32_e64 s3, v4, v6
	v_add_nc_u32_e64 v16, 0x200, -1
	s_mov_b32 s18, exec_lo
	s_or_b32 s1, s1, s2
	s_and_b32 s2, vcc_lo, s3
	s_and_b32 s1, s2, s1
	s_or_b32 vcc_lo, s0, s1
	v_cndmask_b32_e32 v9, v14, v8, vcc_lo
	v_cndmask_b32_e32 v10, 0x3ff, v16, vcc_lo
	v_add_nc_u32_e32 v12, 1, v9
	v_min_u32_e32 v9, v12, v10
	v_cndmask_b32_e32 v13, v8, v12, vcc_lo
	v_cndmask_b32_e32 v17, v12, v14, vcc_lo
	v_lshlrev_b32_e32 v9, 3, v9
	v_cmp_gt_u32_e64 s0, 0x200, v13
	v_cmp_lt_u32_e64 s4, 0x3ff, v17
	ds_read_b64 v[10:11], v9
	s_waitcnt lgkmcnt(0)
	v_cndmask_b32_e32 v8, v10, v4, vcc_lo
	v_cndmask_b32_e32 v9, v11, v5, vcc_lo
	;; [unrolled: 1-line block ×4, first 2 shown]
	v_cmp_lt_i32_e64 s1, v10, v8
	v_cmp_ge_i32_e64 s2, v9, v11
	v_cmp_ge_i32_e64 s3, v8, v10
	s_or_b32 s1, s1, s2
	s_and_b32 s0, s0, s3
	s_and_b32 s0, s0, s1
	s_or_b32 s0, s4, s0
	v_cndmask_b32_e64 v12, v17, v13, s0
	v_cndmask_b32_e64 v14, 0x3ff, v16, s0
	v_add_nc_u32_e32 v30, 1, v12
	v_min_u32_e32 v12, v30, v14
	v_cndmask_b32_e64 v31, v13, v30, s0
	v_cndmask_b32_e64 v17, v30, v17, s0
	v_lshlrev_b32_e32 v12, 3, v12
	v_cmp_gt_u32_e64 s1, 0x200, v31
	v_cmp_lt_u32_e64 s5, 0x3ff, v17
	ds_read_b64 v[14:15], v12
	s_waitcnt lgkmcnt(0)
	v_cndmask_b32_e64 v12, v14, v8, s0
	v_cndmask_b32_e64 v13, v15, v9, s0
	;; [unrolled: 1-line block ×4, first 2 shown]
	v_cmp_lt_i32_e64 s2, v14, v12
	v_cmp_ge_i32_e64 s3, v13, v15
	v_cmp_ge_i32_e64 s4, v12, v14
	s_or_b32 s2, s2, s3
	s_and_b32 s1, s1, s4
	s_mov_b32 s3, -1
	s_and_b32 s1, s1, s2
	s_or_b32 s1, s5, s1
	v_cndmask_b32_e64 v30, v17, v31, s1
	v_cndmask_b32_e64 v16, 0x3ff, v16, s1
	v_add_nc_u32_e32 v33, 1, v30
	v_min_u32_e32 v16, v33, v16
	v_cndmask_b32_e64 v36, v33, v17, s1
	v_lshlrev_b32_e32 v16, 3, v16
	ds_read_b64 v[34:35], v16
	s_waitcnt lgkmcnt(0)
	v_cndmask_b32_e64 v16, v34, v12, s1
	v_cndmask_b32_e64 v17, v35, v13, s1
	;; [unrolled: 1-line block ×4, first 2 shown]
	v_cmpx_gt_u32_e32 0x400, v36
; %bb.108:
	v_cndmask_b32_e64 v31, v31, v33, s1
	v_cmp_lt_i32_e64 s2, v30, v16
	v_cmp_ge_i32_e64 s3, v17, v32
	v_cmp_ge_i32_e64 s5, v16, v30
	v_cmp_gt_u32_e64 s4, 0x200, v31
	s_or_b32 s2, s2, s3
	s_and_b32 s3, s4, s5
	s_and_b32 s2, s3, s2
	s_orn2_b32 s3, s2, exec_lo
; %bb.109:
	s_or_b32 exec_lo, exec_lo, s18
	v_cndmask_b32_e32 v5, v5, v7, vcc_lo
	v_cndmask_b32_e32 v4, v4, v6, vcc_lo
	v_cndmask_b32_e64 v7, v9, v11, s0
	v_cndmask_b32_e64 v6, v8, v10, s0
	;; [unrolled: 1-line block ×6, first 2 shown]
.LBB632_110:
	s_or_b32 exec_lo, exec_lo, s17
	v_mov_b32_e32 v8, v10
	v_mov_b32_e32 v9, v11
	s_barrier
	buffer_gl0_inv
	s_barrier
	buffer_gl0_inv
	ds_write2_b64 v29, v[4:5], v[6:7] offset1:1
	ds_write2_b64 v29, v[12:13], v[8:9] offset0:2 offset1:3
	s_waitcnt lgkmcnt(0)
	s_barrier
	buffer_gl0_inv
	ds_read_b64 v[6:7], v25
	ds_read_b64 v[8:9], v26 offset:2048
	ds_read_b64 v[10:11], v27 offset:4096
	;; [unrolled: 1-line block ×3, first 2 shown]
	v_add_co_u32 v12, s0, s13, v18
	v_add_co_ci_u32_e64 v13, null, s15, 0, s0
	v_add_co_u32 v14, vcc_lo, 0x800, v12
	v_add_co_ci_u32_e64 v15, null, 0, v13, vcc_lo
	v_add_co_u32 v16, vcc_lo, 0x1000, v12
	v_add_co_ci_u32_e64 v17, null, 0, v13, vcc_lo
	s_mov_b32 s17, -1
	s_waitcnt lgkmcnt(3)
	flat_store_dwordx2 v[12:13], v[6:7]
	s_waitcnt lgkmcnt(3)
	flat_store_dwordx2 v[14:15], v[8:9]
	;; [unrolled: 2-line block ×3, first 2 shown]
	s_branch .LBB632_197
.LBB632_111:
	s_mov_b32 s17, s9
                                        ; implicit-def: $vgpr4_vgpr5
	s_cbranch_execz .LBB632_197
; %bb.112:
	s_lshl_b64 s[0:1], s[8:9], 10
	s_waitcnt lgkmcnt(3)
	v_mov_b32_e32 v4, 0
	s_sub_i32 s9, s14, s0
	v_mov_b32_e32 v6, 0
	v_mov_b32_e32 v5, 0
	;; [unrolled: 1-line block ×3, first 2 shown]
	v_cmp_gt_u32_e32 vcc_lo, s9, v0
	s_and_saveexec_b32 s0, vcc_lo
	s_cbranch_execz .LBB632_114
; %bb.113:
	v_add_co_u32 v6, s1, s7, v18
	v_add_co_ci_u32_e64 v7, null, s16, 0, s1
	flat_load_dwordx2 v[6:7], v[6:7]
.LBB632_114:
	s_or_b32 exec_lo, exec_lo, s0
	v_cmp_gt_u32_e64 s0, s9, v24
	s_and_saveexec_b32 s1, s0
	s_cbranch_execz .LBB632_116
; %bb.115:
	v_lshlrev_b32_e32 v1, 3, v24
	v_add_co_u32 v4, s2, s7, v1
	v_add_co_ci_u32_e64 v5, null, s16, 0, s2
	flat_load_dwordx2 v[4:5], v[4:5]
.LBB632_116:
	s_or_b32 exec_lo, exec_lo, s1
	v_mov_b32_e32 v8, 0
	v_mov_b32_e32 v10, 0
	;; [unrolled: 1-line block ×4, first 2 shown]
	v_cmp_gt_u32_e64 s1, s9, v23
	s_and_saveexec_b32 s2, s1
	s_cbranch_execz .LBB632_118
; %bb.117:
	v_lshlrev_b32_e32 v1, 3, v23
	v_add_co_u32 v10, s3, s7, v1
	v_add_co_ci_u32_e64 v11, null, s16, 0, s3
	flat_load_dwordx2 v[10:11], v[10:11]
.LBB632_118:
	s_or_b32 exec_lo, exec_lo, s2
	v_cmp_gt_u32_e64 s17, s9, v22
	s_and_saveexec_b32 s2, s17
	s_cbranch_execz .LBB632_120
; %bb.119:
	v_lshlrev_b32_e32 v1, 3, v22
	v_add_co_u32 v8, s3, s7, v1
	v_add_co_ci_u32_e64 v9, null, s16, 0, s3
	flat_load_dwordx2 v[8:9], v[8:9]
.LBB632_120:
	s_or_b32 exec_lo, exec_lo, s2
	v_lshrrev_b32_e32 v12, 2, v23
	v_lshrrev_b32_e32 v13, 2, v22
	;; [unrolled: 1-line block ×3, first 2 shown]
	v_and_b32_e32 v14, 56, v21
	v_and_b32_e32 v15, 0xf8, v12
	;; [unrolled: 1-line block ×4, first 2 shown]
	v_add_nc_u32_e32 v12, v14, v18
	v_add_nc_u32_e32 v14, v15, v18
	;; [unrolled: 1-line block ×5, first 2 shown]
	s_waitcnt vmcnt(0) lgkmcnt(0)
	ds_write_b64 v12, v[6:7]
	ds_write_b64 v13, v[4:5] offset:2048
	ds_write_b64 v14, v[10:11] offset:4096
	;; [unrolled: 1-line block ×3, first 2 shown]
	s_waitcnt lgkmcnt(0)
	s_waitcnt_vscnt null, 0x0
	s_barrier
	buffer_gl0_inv
	ds_read2_b64 v[4:7], v16 offset1:1
	ds_read2_b64 v[8:11], v16 offset0:2 offset1:3
	s_waitcnt lgkmcnt(0)
	s_barrier
	buffer_gl0_inv
	s_load_dword s2, s[10:11], 0xc
	v_mov_b32_e32 v1, 0
	s_waitcnt lgkmcnt(0)
	s_lshr_b32 s4, s2, 16
	s_cmp_lt_u32 s6, s12
	v_mad_u32_u24 v2, v2, s4, v3
	s_cselect_b32 s2, 12, 18
	s_add_u32 s2, s10, s2
	s_addc_u32 s3, s11, 0
	global_load_ushort v1, v1, s[2:3]
	s_waitcnt vmcnt(0)
	v_mul_lo_u32 v1, v2, v1
	v_add_lshl_u32 v1, v1, v0, 2
	v_sub_nc_u32_e64 v2, s9, v1 clamp
	v_cmp_lt_u32_e64 s2, 1, v2
	s_and_saveexec_b32 s6, s2
	s_cbranch_execz .LBB632_122
; %bb.121:
	v_cmp_ge_i32_e64 s3, v4, v6
	v_cmp_lt_i32_e64 s4, v7, v5
	v_cmp_lt_i32_e64 s5, v6, v4
	s_and_b32 s3, s3, s4
	s_or_b32 s3, s5, s3
	v_cndmask_b32_e64 v20, v6, v4, s3
	v_cndmask_b32_e64 v21, v7, v5, s3
	;; [unrolled: 1-line block ×4, first 2 shown]
	v_mov_b32_e32 v6, v20
	v_mov_b32_e32 v7, v21
.LBB632_122:
	s_or_b32 exec_lo, exec_lo, s6
	v_cmp_lt_u32_e64 s3, 3, v2
	s_and_saveexec_b32 s7, s3
	s_cbranch_execz .LBB632_124
; %bb.123:
	v_cmp_ge_i32_e64 s4, v8, v10
	v_cmp_lt_i32_e64 s5, v11, v9
	v_cmp_lt_i32_e64 s6, v10, v8
	s_and_b32 s4, s4, s5
	s_or_b32 s4, s6, s4
	v_cndmask_b32_e64 v20, v10, v8, s4
	v_cndmask_b32_e64 v21, v11, v9, s4
	;; [unrolled: 1-line block ×4, first 2 shown]
	v_mov_b32_e32 v10, v20
	v_mov_b32_e32 v11, v21
.LBB632_124:
	s_or_b32 exec_lo, exec_lo, s7
	v_cmp_lt_u32_e64 s4, 2, v2
	s_and_saveexec_b32 s5, s4
	s_xor_b32 s8, exec_lo, s5
	s_cbranch_execnz .LBB632_200
; %bb.125:
	s_or_b32 exec_lo, exec_lo, s8
	s_and_saveexec_b32 s7, s2
	s_cbranch_execnz .LBB632_201
.LBB632_126:
	s_or_b32 exec_lo, exec_lo, s7
	s_and_saveexec_b32 s6, s3
	s_cbranch_execnz .LBB632_202
.LBB632_127:
	s_or_b32 exec_lo, exec_lo, s6
	s_and_saveexec_b32 s5, s4
	s_cbranch_execz .LBB632_129
.LBB632_128:
	v_cmp_ge_i32_e64 s2, v6, v8
	v_cmp_lt_i32_e64 s3, v9, v7
	v_cmp_lt_i32_e64 s4, v8, v6
	s_and_b32 s2, s2, s3
	s_or_b32 s2, s4, s2
	v_cndmask_b32_e64 v3, v9, v7, s2
	v_cndmask_b32_e64 v2, v8, v6, s2
	;; [unrolled: 1-line block ×4, first 2 shown]
	v_mov_b32_e32 v9, v3
	v_mov_b32_e32 v8, v2
.LBB632_129:
	s_or_b32 exec_lo, exec_lo, s5
	v_mbcnt_lo_u32_b32 v2, -1, 0
	v_and_b32_e32 v3, 0xffffff80, v1
	s_mov_b32 s5, 0
	s_mov_b32 s6, exec_lo
	v_lshlrev_b32_e32 v21, 2, v2
	v_sub_nc_u32_e64 v20, s9, v3 clamp
	v_lshlrev_b32_e32 v17, 3, v3
	v_or_b32_e32 v1, 4, v21
	v_and_b32_e32 v22, 4, v21
	v_min_u32_e32 v23, v20, v1
	v_min_u32_e32 v3, v20, v22
	v_lshlrev_b32_e32 v22, 5, v2
	v_add_nc_u32_e32 v1, 4, v23
	v_or_b32_e32 v27, v17, v22
	ds_write_b128 v27, v[4:7]
	ds_write_b128 v27, v[8:11] offset:16
	v_min_u32_e32 v24, v20, v1
	v_and_b32_e32 v1, 0x78, v21
	; wave barrier
	v_sub_nc_u32_e32 v25, v24, v23
	v_sub_nc_u32_e32 v26, v23, v1
	v_sub_nc_u32_e64 v2, v3, v25 clamp
	v_min_u32_e32 v26, v3, v26
	v_lshl_or_b32 v25, v1, 3, v17
	v_cmpx_lt_u32_e64 v2, v26
	s_cbranch_execz .LBB632_133
; %bb.130:
	v_lshlrev_b32_e32 v27, 3, v23
	v_lshlrev_b32_e32 v28, 3, v3
	v_add3_u32 v27, v17, v27, v28
	.p2align	6
.LBB632_131:                            ; =>This Inner Loop Header: Depth=1
	v_add_nc_u32_e32 v28, v26, v2
	v_lshrrev_b32_e32 v32, 1, v28
	v_not_b32_e32 v28, v32
	v_lshl_add_u32 v29, v32, 3, v25
	v_lshl_add_u32 v30, v28, 3, v27
	ds_read_b64 v[28:29], v29
	ds_read_b64 v[30:31], v30
	s_waitcnt lgkmcnt(0)
	v_cmp_ge_i32_e64 s2, v28, v30
	v_cmp_lt_i32_e64 s3, v31, v29
	v_cmp_lt_i32_e64 s4, v30, v28
	v_add_nc_u32_e32 v28, 1, v32
	s_and_b32 s2, s2, s3
	s_or_b32 s2, s4, s2
	v_cndmask_b32_e64 v26, v26, v32, s2
	v_cndmask_b32_e64 v2, v28, v2, s2
	v_cmp_ge_u32_e64 s2, v2, v26
	s_or_b32 s5, s2, s5
	s_andn2_b32 exec_lo, exec_lo, s5
	s_cbranch_execnz .LBB632_131
; %bb.132:
	s_or_b32 exec_lo, exec_lo, s5
.LBB632_133:
	s_or_b32 exec_lo, exec_lo, s6
	v_add_nc_u32_e32 v3, v23, v3
	v_add_nc_u32_e32 v27, v2, v1
	v_sub_nc_u32_e32 v26, v3, v2
	v_cmp_le_u32_e64 s2, v27, v23
	v_cmp_le_u32_e64 s3, v26, v24
	s_or_b32 s2, s2, s3
	s_and_saveexec_b32 s10, s2
	s_cbranch_execz .LBB632_141
; %bb.134:
	v_cmp_lt_u32_e64 s2, v27, v23
	v_mov_b32_e32 v1, 0
	v_mov_b32_e32 v3, 0
	v_mov_b32_e32 v4, 0
	s_and_saveexec_b32 s3, s2
; %bb.135:
	v_lshl_add_u32 v2, v2, 3, v25
	ds_read_b64 v[3:4], v2
; %bb.136:
	s_or_b32 exec_lo, exec_lo, s3
	v_cmp_ge_u32_e64 s3, v26, v24
	v_mov_b32_e32 v2, 0
	s_mov_b32 s5, exec_lo
	v_cmpx_lt_u32_e64 v26, v24
; %bb.137:
	v_lshl_add_u32 v1, v26, 3, v17
	ds_read_b64 v[1:2], v1
; %bb.138:
	s_or_b32 exec_lo, exec_lo, s5
	s_waitcnt lgkmcnt(0)
	v_cmp_lt_i32_e64 s4, v3, v1
	v_cmp_ge_i32_e64 s5, v2, v4
	v_cmp_ge_i32_e64 s6, v1, v3
	s_mov_b32 s11, exec_lo
	s_or_b32 s4, s4, s5
	s_and_b32 s2, s2, s6
	s_and_b32 s2, s2, s4
	s_or_b32 s2, s3, s2
	v_cndmask_b32_e64 v5, v26, v27, s2
	v_cndmask_b32_e64 v6, v24, v23, s2
	v_add_nc_u32_e32 v5, 1, v5
	v_add_nc_u32_e32 v6, -1, v6
	v_cndmask_b32_e64 v10, v27, v5, s2
	v_min_u32_e32 v6, v5, v6
	v_cndmask_b32_e64 v27, v5, v26, s2
	v_cmp_lt_u32_e64 s3, v10, v23
	v_lshl_add_u32 v6, v6, 3, v17
	v_cmp_ge_u32_e64 s7, v27, v24
	ds_read_b64 v[8:9], v6
	s_waitcnt lgkmcnt(0)
	v_cndmask_b32_e64 v6, v8, v1, s2
	v_cndmask_b32_e64 v7, v9, v2, s2
	;; [unrolled: 1-line block ×4, first 2 shown]
	v_cmp_lt_i32_e64 s4, v8, v6
	v_cmp_ge_i32_e64 s5, v7, v9
	v_cmp_ge_i32_e64 s6, v6, v8
	s_or_b32 s4, s4, s5
	s_and_b32 s3, s3, s6
	s_and_b32 s3, s3, s4
	s_or_b32 s3, s7, s3
	v_cndmask_b32_e64 v5, v27, v10, s3
	v_cndmask_b32_e64 v11, v24, v23, s3
	v_add_nc_u32_e32 v28, 1, v5
	v_add_nc_u32_e32 v5, -1, v11
	v_cndmask_b32_e64 v27, v28, v27, s3
	v_min_u32_e32 v5, v28, v5
	v_cmp_ge_u32_e64 s8, v27, v24
	v_lshl_add_u32 v5, v5, 3, v17
	ds_read_b64 v[25:26], v5
	v_cndmask_b32_e64 v5, v10, v28, s3
	v_cmp_lt_u32_e64 s4, v5, v23
	s_waitcnt lgkmcnt(0)
	v_cndmask_b32_e64 v10, v25, v6, s3
	v_cndmask_b32_e64 v11, v26, v7, s3
	;; [unrolled: 1-line block ×4, first 2 shown]
	v_cmp_lt_i32_e64 s5, v25, v10
	v_cmp_ge_i32_e64 s6, v11, v26
	v_cmp_ge_i32_e64 s7, v10, v25
	s_or_b32 s5, s5, s6
	s_and_b32 s4, s4, s7
	s_mov_b32 s6, -1
	s_and_b32 s4, s4, s5
	s_or_b32 s4, s8, s4
	v_cndmask_b32_e64 v28, v27, v5, s4
	v_cndmask_b32_e64 v29, v24, v23, s4
	v_add_nc_u32_e32 v31, 1, v28
	v_add_nc_u32_e32 v28, -1, v29
	v_cndmask_b32_e64 v32, v31, v27, s4
	v_min_u32_e32 v28, v31, v28
	v_lshl_add_u32 v28, v28, 3, v17
	ds_read_b64 v[29:30], v28
	s_waitcnt lgkmcnt(0)
	v_cndmask_b32_e64 v27, v29, v10, s4
	v_cndmask_b32_e64 v28, v30, v11, s4
	;; [unrolled: 1-line block ×4, first 2 shown]
	v_cmpx_lt_u32_e64 v32, v24
; %bb.139:
	v_cndmask_b32_e64 v5, v5, v31, s4
	v_cmp_lt_i32_e64 s5, v29, v27
	v_cmp_ge_i32_e64 s6, v28, v30
	v_cmp_ge_i32_e64 s8, v27, v29
	v_cmp_lt_u32_e64 s7, v5, v23
	s_or_b32 s5, s5, s6
	s_and_b32 s6, s7, s8
	s_and_b32 s5, s6, s5
	s_orn2_b32 s6, s5, exec_lo
; %bb.140:
	s_or_b32 exec_lo, exec_lo, s11
	v_cndmask_b32_e64 v5, v2, v4, s2
	v_cndmask_b32_e64 v4, v1, v3, s2
	;; [unrolled: 1-line block ×8, first 2 shown]
.LBB632_141:
	s_or_b32 exec_lo, exec_lo, s10
	v_and_b32_e32 v1, 0x70, v21
	v_and_b32_e32 v3, 12, v21
	v_add_nc_u32_e32 v22, v17, v22
	s_mov_b32 s5, exec_lo
	v_or_b32_e32 v2, 8, v1
	v_min_u32_e32 v3, v20, v3
	; wave barrier
	ds_write_b128 v22, v[4:7]
	ds_write_b128 v22, v[8:11] offset:16
	v_min_u32_e32 v23, v20, v2
	; wave barrier
	v_add_nc_u32_e32 v2, 8, v23
	v_sub_nc_u32_e32 v25, v23, v1
	v_min_u32_e32 v24, v20, v2
	v_min_u32_e32 v26, v3, v25
	v_lshl_add_u32 v25, v1, 3, v17
	v_sub_nc_u32_e32 v2, v24, v23
	v_sub_nc_u32_e64 v2, v3, v2 clamp
	v_cmpx_lt_u32_e64 v2, v26
	s_cbranch_execz .LBB632_145
; %bb.142:
	v_lshlrev_b32_e32 v27, 3, v23
	v_lshlrev_b32_e32 v28, 3, v3
	s_mov_b32 s6, 0
	v_add3_u32 v27, v17, v27, v28
	.p2align	6
.LBB632_143:                            ; =>This Inner Loop Header: Depth=1
	v_add_nc_u32_e32 v28, v26, v2
	v_lshrrev_b32_e32 v32, 1, v28
	v_not_b32_e32 v28, v32
	v_lshl_add_u32 v29, v32, 3, v25
	v_lshl_add_u32 v30, v28, 3, v27
	ds_read_b64 v[28:29], v29
	ds_read_b64 v[30:31], v30
	s_waitcnt lgkmcnt(0)
	v_cmp_ge_i32_e64 s2, v28, v30
	v_cmp_lt_i32_e64 s3, v31, v29
	v_cmp_lt_i32_e64 s4, v30, v28
	v_add_nc_u32_e32 v28, 1, v32
	s_and_b32 s2, s2, s3
	s_or_b32 s2, s4, s2
	v_cndmask_b32_e64 v26, v26, v32, s2
	v_cndmask_b32_e64 v2, v28, v2, s2
	v_cmp_ge_u32_e64 s2, v2, v26
	s_or_b32 s6, s2, s6
	s_andn2_b32 exec_lo, exec_lo, s6
	s_cbranch_execnz .LBB632_143
; %bb.144:
	s_or_b32 exec_lo, exec_lo, s6
.LBB632_145:
	s_or_b32 exec_lo, exec_lo, s5
	v_add_nc_u32_e32 v3, v23, v3
	v_add_nc_u32_e32 v27, v2, v1
	v_sub_nc_u32_e32 v26, v3, v2
	v_cmp_le_u32_e64 s2, v27, v23
	v_cmp_le_u32_e64 s3, v26, v24
	s_or_b32 s2, s2, s3
	s_and_saveexec_b32 s10, s2
	s_cbranch_execz .LBB632_153
; %bb.146:
	v_cmp_lt_u32_e64 s2, v27, v23
	v_mov_b32_e32 v1, 0
	v_mov_b32_e32 v3, 0
	;; [unrolled: 1-line block ×3, first 2 shown]
	s_and_saveexec_b32 s3, s2
; %bb.147:
	v_lshl_add_u32 v2, v2, 3, v25
	ds_read_b64 v[3:4], v2
; %bb.148:
	s_or_b32 exec_lo, exec_lo, s3
	v_cmp_ge_u32_e64 s3, v26, v24
	v_mov_b32_e32 v2, 0
	s_mov_b32 s5, exec_lo
	v_cmpx_lt_u32_e64 v26, v24
; %bb.149:
	v_lshl_add_u32 v1, v26, 3, v17
	ds_read_b64 v[1:2], v1
; %bb.150:
	s_or_b32 exec_lo, exec_lo, s5
	s_waitcnt lgkmcnt(0)
	v_cmp_lt_i32_e64 s4, v3, v1
	v_cmp_ge_i32_e64 s5, v2, v4
	v_cmp_ge_i32_e64 s6, v1, v3
	s_mov_b32 s11, exec_lo
	s_or_b32 s4, s4, s5
	s_and_b32 s2, s2, s6
	s_and_b32 s2, s2, s4
	s_or_b32 s2, s3, s2
	v_cndmask_b32_e64 v5, v26, v27, s2
	v_cndmask_b32_e64 v6, v24, v23, s2
	v_add_nc_u32_e32 v5, 1, v5
	v_add_nc_u32_e32 v6, -1, v6
	v_cndmask_b32_e64 v10, v27, v5, s2
	v_min_u32_e32 v6, v5, v6
	v_cndmask_b32_e64 v27, v5, v26, s2
	v_cmp_lt_u32_e64 s3, v10, v23
	v_lshl_add_u32 v6, v6, 3, v17
	v_cmp_ge_u32_e64 s7, v27, v24
	ds_read_b64 v[8:9], v6
	s_waitcnt lgkmcnt(0)
	v_cndmask_b32_e64 v6, v8, v1, s2
	v_cndmask_b32_e64 v7, v9, v2, s2
	;; [unrolled: 1-line block ×4, first 2 shown]
	v_cmp_lt_i32_e64 s4, v8, v6
	v_cmp_ge_i32_e64 s5, v7, v9
	v_cmp_ge_i32_e64 s6, v6, v8
	s_or_b32 s4, s4, s5
	s_and_b32 s3, s3, s6
	s_and_b32 s3, s3, s4
	s_or_b32 s3, s7, s3
	v_cndmask_b32_e64 v5, v27, v10, s3
	v_cndmask_b32_e64 v11, v24, v23, s3
	v_add_nc_u32_e32 v28, 1, v5
	v_add_nc_u32_e32 v5, -1, v11
	v_cndmask_b32_e64 v27, v28, v27, s3
	v_min_u32_e32 v5, v28, v5
	v_cmp_ge_u32_e64 s8, v27, v24
	v_lshl_add_u32 v5, v5, 3, v17
	ds_read_b64 v[25:26], v5
	v_cndmask_b32_e64 v5, v10, v28, s3
	v_cmp_lt_u32_e64 s4, v5, v23
	s_waitcnt lgkmcnt(0)
	v_cndmask_b32_e64 v10, v25, v6, s3
	v_cndmask_b32_e64 v11, v26, v7, s3
	;; [unrolled: 1-line block ×4, first 2 shown]
	v_cmp_lt_i32_e64 s5, v25, v10
	v_cmp_ge_i32_e64 s6, v11, v26
	v_cmp_ge_i32_e64 s7, v10, v25
	s_or_b32 s5, s5, s6
	s_and_b32 s4, s4, s7
	s_mov_b32 s6, -1
	s_and_b32 s4, s4, s5
	s_or_b32 s4, s8, s4
	v_cndmask_b32_e64 v28, v27, v5, s4
	v_cndmask_b32_e64 v29, v24, v23, s4
	v_add_nc_u32_e32 v31, 1, v28
	v_add_nc_u32_e32 v28, -1, v29
	v_cndmask_b32_e64 v32, v31, v27, s4
	v_min_u32_e32 v28, v31, v28
	v_lshl_add_u32 v28, v28, 3, v17
	ds_read_b64 v[29:30], v28
	s_waitcnt lgkmcnt(0)
	v_cndmask_b32_e64 v27, v29, v10, s4
	v_cndmask_b32_e64 v28, v30, v11, s4
	;; [unrolled: 1-line block ×4, first 2 shown]
	v_cmpx_lt_u32_e64 v32, v24
; %bb.151:
	v_cndmask_b32_e64 v5, v5, v31, s4
	v_cmp_lt_i32_e64 s5, v29, v27
	v_cmp_ge_i32_e64 s6, v28, v30
	v_cmp_ge_i32_e64 s8, v27, v29
	v_cmp_lt_u32_e64 s7, v5, v23
	s_or_b32 s5, s5, s6
	s_and_b32 s6, s7, s8
	s_and_b32 s5, s6, s5
	s_orn2_b32 s6, s5, exec_lo
; %bb.152:
	s_or_b32 exec_lo, exec_lo, s11
	v_cndmask_b32_e64 v5, v2, v4, s2
	v_cndmask_b32_e64 v4, v1, v3, s2
	;; [unrolled: 1-line block ×8, first 2 shown]
.LBB632_153:
	s_or_b32 exec_lo, exec_lo, s10
	v_and_b32_e32 v1, 0x60, v21
	v_and_b32_e32 v3, 28, v21
	s_mov_b32 s5, exec_lo
	; wave barrier
	v_or_b32_e32 v2, 16, v1
	v_min_u32_e32 v3, v20, v3
	ds_write_b128 v22, v[4:7]
	ds_write_b128 v22, v[8:11] offset:16
	; wave barrier
	v_min_u32_e32 v23, v20, v2
	v_add_nc_u32_e32 v2, 16, v23
	v_sub_nc_u32_e32 v25, v23, v1
	v_min_u32_e32 v24, v20, v2
	v_min_u32_e32 v26, v3, v25
	v_lshl_add_u32 v25, v1, 3, v17
	v_sub_nc_u32_e32 v2, v24, v23
	v_sub_nc_u32_e64 v2, v3, v2 clamp
	v_cmpx_lt_u32_e64 v2, v26
	s_cbranch_execz .LBB632_157
; %bb.154:
	v_lshlrev_b32_e32 v27, 3, v23
	v_lshlrev_b32_e32 v28, 3, v3
	s_mov_b32 s6, 0
	v_add3_u32 v27, v17, v27, v28
	.p2align	6
.LBB632_155:                            ; =>This Inner Loop Header: Depth=1
	v_add_nc_u32_e32 v28, v26, v2
	v_lshrrev_b32_e32 v32, 1, v28
	v_not_b32_e32 v28, v32
	v_lshl_add_u32 v29, v32, 3, v25
	v_lshl_add_u32 v30, v28, 3, v27
	ds_read_b64 v[28:29], v29
	ds_read_b64 v[30:31], v30
	s_waitcnt lgkmcnt(0)
	v_cmp_ge_i32_e64 s2, v28, v30
	v_cmp_lt_i32_e64 s3, v31, v29
	v_cmp_lt_i32_e64 s4, v30, v28
	v_add_nc_u32_e32 v28, 1, v32
	s_and_b32 s2, s2, s3
	s_or_b32 s2, s4, s2
	v_cndmask_b32_e64 v26, v26, v32, s2
	v_cndmask_b32_e64 v2, v28, v2, s2
	v_cmp_ge_u32_e64 s2, v2, v26
	s_or_b32 s6, s2, s6
	s_andn2_b32 exec_lo, exec_lo, s6
	s_cbranch_execnz .LBB632_155
; %bb.156:
	s_or_b32 exec_lo, exec_lo, s6
.LBB632_157:
	s_or_b32 exec_lo, exec_lo, s5
	v_add_nc_u32_e32 v3, v23, v3
	v_add_nc_u32_e32 v27, v2, v1
	v_sub_nc_u32_e32 v26, v3, v2
	v_cmp_le_u32_e64 s2, v27, v23
	v_cmp_le_u32_e64 s3, v26, v24
	s_or_b32 s2, s2, s3
	s_and_saveexec_b32 s10, s2
	s_cbranch_execz .LBB632_165
; %bb.158:
	v_cmp_lt_u32_e64 s2, v27, v23
	v_mov_b32_e32 v1, 0
	v_mov_b32_e32 v3, 0
	;; [unrolled: 1-line block ×3, first 2 shown]
	s_and_saveexec_b32 s3, s2
; %bb.159:
	v_lshl_add_u32 v2, v2, 3, v25
	ds_read_b64 v[3:4], v2
; %bb.160:
	s_or_b32 exec_lo, exec_lo, s3
	v_cmp_ge_u32_e64 s3, v26, v24
	v_mov_b32_e32 v2, 0
	s_mov_b32 s5, exec_lo
	v_cmpx_lt_u32_e64 v26, v24
; %bb.161:
	v_lshl_add_u32 v1, v26, 3, v17
	ds_read_b64 v[1:2], v1
; %bb.162:
	s_or_b32 exec_lo, exec_lo, s5
	s_waitcnt lgkmcnt(0)
	v_cmp_lt_i32_e64 s4, v3, v1
	v_cmp_ge_i32_e64 s5, v2, v4
	v_cmp_ge_i32_e64 s6, v1, v3
	s_mov_b32 s11, exec_lo
	s_or_b32 s4, s4, s5
	s_and_b32 s2, s2, s6
	s_and_b32 s2, s2, s4
	s_or_b32 s2, s3, s2
	v_cndmask_b32_e64 v5, v26, v27, s2
	v_cndmask_b32_e64 v6, v24, v23, s2
	v_add_nc_u32_e32 v5, 1, v5
	v_add_nc_u32_e32 v6, -1, v6
	v_cndmask_b32_e64 v10, v27, v5, s2
	v_min_u32_e32 v6, v5, v6
	v_cndmask_b32_e64 v27, v5, v26, s2
	v_cmp_lt_u32_e64 s3, v10, v23
	v_lshl_add_u32 v6, v6, 3, v17
	v_cmp_ge_u32_e64 s7, v27, v24
	ds_read_b64 v[8:9], v6
	s_waitcnt lgkmcnt(0)
	v_cndmask_b32_e64 v6, v8, v1, s2
	v_cndmask_b32_e64 v7, v9, v2, s2
	;; [unrolled: 1-line block ×4, first 2 shown]
	v_cmp_lt_i32_e64 s4, v8, v6
	v_cmp_ge_i32_e64 s5, v7, v9
	v_cmp_ge_i32_e64 s6, v6, v8
	s_or_b32 s4, s4, s5
	s_and_b32 s3, s3, s6
	s_and_b32 s3, s3, s4
	s_or_b32 s3, s7, s3
	v_cndmask_b32_e64 v5, v27, v10, s3
	v_cndmask_b32_e64 v11, v24, v23, s3
	v_add_nc_u32_e32 v28, 1, v5
	v_add_nc_u32_e32 v5, -1, v11
	v_cndmask_b32_e64 v27, v28, v27, s3
	v_min_u32_e32 v5, v28, v5
	v_cmp_ge_u32_e64 s8, v27, v24
	v_lshl_add_u32 v5, v5, 3, v17
	ds_read_b64 v[25:26], v5
	v_cndmask_b32_e64 v5, v10, v28, s3
	v_cmp_lt_u32_e64 s4, v5, v23
	s_waitcnt lgkmcnt(0)
	v_cndmask_b32_e64 v10, v25, v6, s3
	v_cndmask_b32_e64 v11, v26, v7, s3
	;; [unrolled: 1-line block ×4, first 2 shown]
	v_cmp_lt_i32_e64 s5, v25, v10
	v_cmp_ge_i32_e64 s6, v11, v26
	v_cmp_ge_i32_e64 s7, v10, v25
	s_or_b32 s5, s5, s6
	s_and_b32 s4, s4, s7
	s_mov_b32 s6, -1
	s_and_b32 s4, s4, s5
	s_or_b32 s4, s8, s4
	v_cndmask_b32_e64 v28, v27, v5, s4
	v_cndmask_b32_e64 v29, v24, v23, s4
	v_add_nc_u32_e32 v31, 1, v28
	v_add_nc_u32_e32 v28, -1, v29
	v_cndmask_b32_e64 v32, v31, v27, s4
	v_min_u32_e32 v28, v31, v28
	v_lshl_add_u32 v28, v28, 3, v17
	ds_read_b64 v[29:30], v28
	s_waitcnt lgkmcnt(0)
	v_cndmask_b32_e64 v27, v29, v10, s4
	v_cndmask_b32_e64 v28, v30, v11, s4
	;; [unrolled: 1-line block ×4, first 2 shown]
	v_cmpx_lt_u32_e64 v32, v24
; %bb.163:
	v_cndmask_b32_e64 v5, v5, v31, s4
	v_cmp_lt_i32_e64 s5, v29, v27
	v_cmp_ge_i32_e64 s6, v28, v30
	v_cmp_ge_i32_e64 s8, v27, v29
	v_cmp_lt_u32_e64 s7, v5, v23
	s_or_b32 s5, s5, s6
	s_and_b32 s6, s7, s8
	s_and_b32 s5, s6, s5
	s_orn2_b32 s6, s5, exec_lo
; %bb.164:
	s_or_b32 exec_lo, exec_lo, s11
	v_cndmask_b32_e64 v5, v2, v4, s2
	v_cndmask_b32_e64 v4, v1, v3, s2
	;; [unrolled: 1-line block ×8, first 2 shown]
.LBB632_165:
	s_or_b32 exec_lo, exec_lo, s10
	v_and_b32_e32 v1, 64, v21
	v_and_b32_e32 v3, 60, v21
	s_mov_b32 s5, exec_lo
	; wave barrier
	v_or_b32_e32 v2, 32, v1
	v_min_u32_e32 v3, v20, v3
	ds_write_b128 v22, v[4:7]
	ds_write_b128 v22, v[8:11] offset:16
	; wave barrier
	v_min_u32_e32 v23, v20, v2
	v_add_nc_u32_e32 v2, 32, v23
	v_min_u32_e32 v21, v20, v2
	v_sub_nc_u32_e32 v20, v23, v1
	v_sub_nc_u32_e32 v2, v21, v23
	v_min_u32_e32 v24, v3, v20
	v_lshl_add_u32 v20, v1, 3, v17
	v_sub_nc_u32_e64 v2, v3, v2 clamp
	v_cmpx_lt_u32_e64 v2, v24
	s_cbranch_execz .LBB632_169
; %bb.166:
	v_lshlrev_b32_e32 v22, 3, v23
	v_lshlrev_b32_e32 v25, 3, v3
	s_mov_b32 s6, 0
	v_add3_u32 v22, v17, v22, v25
	.p2align	6
.LBB632_167:                            ; =>This Inner Loop Header: Depth=1
	v_add_nc_u32_e32 v25, v24, v2
	v_lshrrev_b32_e32 v29, 1, v25
	v_not_b32_e32 v25, v29
	v_lshl_add_u32 v26, v29, 3, v20
	v_lshl_add_u32 v27, v25, 3, v22
	ds_read_b64 v[25:26], v26
	ds_read_b64 v[27:28], v27
	s_waitcnt lgkmcnt(0)
	v_cmp_ge_i32_e64 s2, v25, v27
	v_cmp_lt_i32_e64 s3, v28, v26
	v_cmp_lt_i32_e64 s4, v27, v25
	v_add_nc_u32_e32 v25, 1, v29
	s_and_b32 s2, s2, s3
	s_or_b32 s2, s4, s2
	v_cndmask_b32_e64 v24, v24, v29, s2
	v_cndmask_b32_e64 v2, v25, v2, s2
	v_cmp_ge_u32_e64 s2, v2, v24
	s_or_b32 s6, s2, s6
	s_andn2_b32 exec_lo, exec_lo, s6
	s_cbranch_execnz .LBB632_167
; %bb.168:
	s_or_b32 exec_lo, exec_lo, s6
.LBB632_169:
	s_or_b32 exec_lo, exec_lo, s5
	v_add_nc_u32_e32 v3, v23, v3
	v_add_nc_u32_e32 v24, v2, v1
	v_sub_nc_u32_e32 v22, v3, v2
	v_cmp_le_u32_e64 s2, v24, v23
	v_cmp_le_u32_e64 s3, v22, v21
	s_or_b32 s2, s2, s3
	s_and_saveexec_b32 s10, s2
	s_cbranch_execz .LBB632_177
; %bb.170:
	v_cmp_lt_u32_e64 s2, v24, v23
	v_mov_b32_e32 v1, 0
	v_mov_b32_e32 v3, 0
	;; [unrolled: 1-line block ×3, first 2 shown]
	s_and_saveexec_b32 s3, s2
; %bb.171:
	v_lshl_add_u32 v2, v2, 3, v20
	ds_read_b64 v[3:4], v2
; %bb.172:
	s_or_b32 exec_lo, exec_lo, s3
	v_cmp_ge_u32_e64 s3, v22, v21
	v_mov_b32_e32 v2, 0
	s_mov_b32 s5, exec_lo
	v_cmpx_lt_u32_e64 v22, v21
; %bb.173:
	v_lshl_add_u32 v1, v22, 3, v17
	ds_read_b64 v[1:2], v1
; %bb.174:
	s_or_b32 exec_lo, exec_lo, s5
	s_waitcnt lgkmcnt(0)
	v_cmp_lt_i32_e64 s4, v3, v1
	v_cmp_ge_i32_e64 s5, v2, v4
	v_cmp_ge_i32_e64 s6, v1, v3
	s_mov_b32 s11, exec_lo
	s_or_b32 s4, s4, s5
	s_and_b32 s2, s2, s6
	s_and_b32 s2, s2, s4
	s_or_b32 s2, s3, s2
	v_cndmask_b32_e64 v5, v22, v24, s2
	v_cndmask_b32_e64 v6, v21, v23, s2
	v_add_nc_u32_e32 v5, 1, v5
	v_add_nc_u32_e32 v6, -1, v6
	v_cndmask_b32_e64 v10, v24, v5, s2
	v_min_u32_e32 v6, v5, v6
	v_cndmask_b32_e64 v26, v5, v22, s2
	v_cmp_lt_u32_e64 s3, v10, v23
	v_lshl_add_u32 v6, v6, 3, v17
	v_cmp_ge_u32_e64 s7, v26, v21
	ds_read_b64 v[8:9], v6
	s_waitcnt lgkmcnt(0)
	v_cndmask_b32_e64 v6, v8, v1, s2
	v_cndmask_b32_e64 v7, v9, v2, s2
	;; [unrolled: 1-line block ×4, first 2 shown]
	v_cmp_lt_i32_e64 s4, v8, v6
	v_cmp_ge_i32_e64 s5, v7, v9
	v_cmp_ge_i32_e64 s6, v6, v8
	s_or_b32 s4, s4, s5
	s_and_b32 s3, s3, s6
	s_and_b32 s3, s3, s4
	s_or_b32 s3, s7, s3
	v_cndmask_b32_e64 v5, v26, v10, s3
	v_cndmask_b32_e64 v11, v21, v23, s3
	v_add_nc_u32_e32 v27, 1, v5
	v_add_nc_u32_e32 v5, -1, v11
	v_min_u32_e32 v5, v27, v5
	v_lshl_add_u32 v5, v5, 3, v17
	ds_read_b64 v[24:25], v5
	v_cndmask_b32_e64 v5, v10, v27, s3
	v_cmp_lt_u32_e64 s4, v5, v23
	s_waitcnt lgkmcnt(0)
	v_cndmask_b32_e64 v10, v24, v6, s3
	v_cndmask_b32_e64 v11, v25, v7, s3
	;; [unrolled: 1-line block ×5, first 2 shown]
	v_cmp_lt_i32_e64 s5, v20, v10
	v_cmp_ge_i32_e64 s6, v11, v22
	v_cmp_ge_i32_e64 s7, v10, v20
	v_cmp_ge_u32_e64 s8, v24, v21
	s_or_b32 s5, s5, s6
	s_and_b32 s4, s4, s7
	s_mov_b32 s6, -1
	s_and_b32 s4, s4, s5
	s_or_b32 s4, s8, s4
	v_cndmask_b32_e64 v25, v24, v5, s4
	v_cndmask_b32_e64 v26, v21, v23, s4
	v_add_nc_u32_e32 v27, 1, v25
	v_add_nc_u32_e32 v25, -1, v26
	v_cndmask_b32_e64 v28, v27, v24, s4
	v_min_u32_e32 v25, v27, v25
	v_lshl_add_u32 v17, v25, 3, v17
	ds_read_b64 v[25:26], v17
	s_waitcnt lgkmcnt(0)
	v_cndmask_b32_e64 v17, v25, v10, s4
	v_cndmask_b32_e64 v24, v26, v11, s4
	;; [unrolled: 1-line block ×4, first 2 shown]
	v_cmpx_lt_u32_e64 v28, v21
; %bb.175:
	v_cndmask_b32_e64 v5, v5, v27, s4
	v_cmp_lt_i32_e64 s5, v25, v17
	v_cmp_ge_i32_e64 s6, v24, v26
	v_cmp_ge_i32_e64 s8, v17, v25
	v_cmp_lt_u32_e64 s7, v5, v23
	s_or_b32 s5, s5, s6
	s_and_b32 s6, s7, s8
	s_and_b32 s5, s6, s5
	s_orn2_b32 s6, s5, exec_lo
; %bb.176:
	s_or_b32 exec_lo, exec_lo, s11
	v_cndmask_b32_e64 v5, v2, v4, s2
	v_cndmask_b32_e64 v4, v1, v3, s2
	;; [unrolled: 1-line block ×8, first 2 shown]
.LBB632_177:
	s_or_b32 exec_lo, exec_lo, s10
	s_cmpk_lt_u32 s9, 0x41
	; wave barrier
	s_waitcnt lgkmcnt(0)
	s_barrier
	buffer_gl0_inv
	s_cbranch_scc1 .LBB632_192
; %bb.178:
	v_lshlrev_b32_e32 v17, 2, v0
	s_mov_b32 s10, 64
	s_branch .LBB632_181
.LBB632_179:                            ;   in Loop: Header=BB632_181 Depth=1
	s_or_b32 exec_lo, exec_lo, s12
	v_cndmask_b32_e64 v5, v2, v4, s2
	v_cndmask_b32_e64 v4, v1, v3, s2
	;; [unrolled: 1-line block ×8, first 2 shown]
.LBB632_180:                            ;   in Loop: Header=BB632_181 Depth=1
	s_or_b32 exec_lo, exec_lo, s11
	s_cmp_lt_u32 s10, s9
	s_barrier
	buffer_gl0_inv
	s_cbranch_scc0 .LBB632_192
.LBB632_181:                            ; =>This Loop Header: Depth=1
                                        ;     Child Loop BB632_183 Depth 2
	s_mov_b32 s2, s10
	s_lshl_b32 s10, s10, 1
	s_mov_b32 s5, exec_lo
	s_sub_i32 s3, 0, s10
	ds_write_b128 v19, v[4:7]
	v_and_b32_e32 v1, s3, v17
	ds_write_b128 v19, v[8:11] offset:16
	s_waitcnt lgkmcnt(0)
	s_barrier
	buffer_gl0_inv
	v_add_nc_u32_e32 v2, s2, v1
	v_min_u32_e32 v20, s9, v2
	v_add_nc_u32_e32 v2, s2, v20
	s_add_i32 s2, s10, -1
	v_sub_nc_u32_e32 v22, v20, v1
	v_and_b32_e32 v3, s2, v17
	v_min_u32_e32 v21, s9, v2
	v_min_u32_e32 v3, s9, v3
	v_sub_nc_u32_e32 v2, v21, v20
	v_min_u32_e32 v23, v3, v22
	v_lshlrev_b32_e32 v22, 3, v1
	v_sub_nc_u32_e64 v2, v3, v2 clamp
	v_cmpx_lt_u32_e64 v2, v23
	s_cbranch_execz .LBB632_185
; %bb.182:                              ;   in Loop: Header=BB632_181 Depth=1
	v_lshlrev_b32_e32 v24, 3, v3
	s_mov_b32 s6, 0
	v_lshl_add_u32 v24, v20, 3, v24
	.p2align	6
.LBB632_183:                            ;   Parent Loop BB632_181 Depth=1
                                        ; =>  This Inner Loop Header: Depth=2
	v_add_nc_u32_e32 v25, v23, v2
	v_lshrrev_b32_e32 v29, 1, v25
	v_not_b32_e32 v25, v29
	v_lshl_add_u32 v26, v29, 3, v22
	v_lshl_add_u32 v27, v25, 3, v24
	ds_read_b64 v[25:26], v26
	ds_read_b64 v[27:28], v27
	s_waitcnt lgkmcnt(0)
	v_cmp_ge_i32_e64 s2, v25, v27
	v_cmp_lt_i32_e64 s3, v28, v26
	v_cmp_lt_i32_e64 s4, v27, v25
	v_add_nc_u32_e32 v25, 1, v29
	s_and_b32 s2, s2, s3
	s_or_b32 s2, s4, s2
	v_cndmask_b32_e64 v23, v23, v29, s2
	v_cndmask_b32_e64 v2, v25, v2, s2
	v_cmp_ge_u32_e64 s2, v2, v23
	s_or_b32 s6, s2, s6
	s_andn2_b32 exec_lo, exec_lo, s6
	s_cbranch_execnz .LBB632_183
; %bb.184:                              ;   in Loop: Header=BB632_181 Depth=1
	s_or_b32 exec_lo, exec_lo, s6
.LBB632_185:                            ;   in Loop: Header=BB632_181 Depth=1
	s_or_b32 exec_lo, exec_lo, s5
	v_sub_nc_u32_e32 v3, v3, v2
	v_add_nc_u32_e32 v24, v2, v1
	v_add_nc_u32_e32 v23, v3, v20
	v_cmp_le_u32_e64 s2, v24, v20
	v_cmp_le_u32_e64 s3, v23, v21
	s_or_b32 s2, s2, s3
	s_and_saveexec_b32 s11, s2
	s_cbranch_execz .LBB632_180
; %bb.186:                              ;   in Loop: Header=BB632_181 Depth=1
	v_cmp_lt_u32_e64 s2, v24, v20
	v_mov_b32_e32 v1, 0
	v_mov_b32_e32 v3, 0
	;; [unrolled: 1-line block ×3, first 2 shown]
	s_and_saveexec_b32 s3, s2
; %bb.187:                              ;   in Loop: Header=BB632_181 Depth=1
	v_lshl_add_u32 v2, v2, 3, v22
	ds_read_b64 v[3:4], v2
; %bb.188:                              ;   in Loop: Header=BB632_181 Depth=1
	s_or_b32 exec_lo, exec_lo, s3
	v_cmp_ge_u32_e64 s3, v23, v21
	v_mov_b32_e32 v2, 0
	s_mov_b32 s5, exec_lo
	v_cmpx_lt_u32_e64 v23, v21
; %bb.189:                              ;   in Loop: Header=BB632_181 Depth=1
	v_lshlrev_b32_e32 v1, 3, v23
	ds_read_b64 v[1:2], v1
; %bb.190:                              ;   in Loop: Header=BB632_181 Depth=1
	s_or_b32 exec_lo, exec_lo, s5
	s_waitcnt lgkmcnt(0)
	v_cmp_lt_i32_e64 s4, v3, v1
	v_cmp_ge_i32_e64 s5, v2, v4
	v_cmp_ge_i32_e64 s6, v1, v3
	s_mov_b32 s12, exec_lo
	s_or_b32 s4, s4, s5
	s_and_b32 s2, s2, s6
	s_and_b32 s2, s2, s4
	s_or_b32 s2, s3, s2
	v_cndmask_b32_e64 v5, v23, v24, s2
	v_cndmask_b32_e64 v6, v21, v20, s2
	v_add_nc_u32_e32 v5, 1, v5
	v_add_nc_u32_e32 v6, -1, v6
	v_cndmask_b32_e64 v10, v24, v5, s2
	v_min_u32_e32 v6, v5, v6
	v_cndmask_b32_e64 v24, v5, v23, s2
	v_cmp_lt_u32_e64 s3, v10, v20
	v_lshlrev_b32_e32 v6, 3, v6
	v_cmp_ge_u32_e64 s7, v24, v21
	ds_read_b64 v[8:9], v6
	s_waitcnt lgkmcnt(0)
	v_cndmask_b32_e64 v6, v8, v1, s2
	v_cndmask_b32_e64 v7, v9, v2, s2
	;; [unrolled: 1-line block ×4, first 2 shown]
	v_cmp_lt_i32_e64 s4, v8, v6
	v_cmp_ge_i32_e64 s5, v7, v9
	v_cmp_ge_i32_e64 s6, v6, v8
	s_or_b32 s4, s4, s5
	s_and_b32 s3, s3, s6
	s_and_b32 s3, s3, s4
	s_or_b32 s3, s7, s3
	v_cndmask_b32_e64 v5, v24, v10, s3
	v_cndmask_b32_e64 v11, v21, v20, s3
	v_add_nc_u32_e32 v25, 1, v5
	v_add_nc_u32_e32 v5, -1, v11
	v_cndmask_b32_e64 v24, v25, v24, s3
	v_min_u32_e32 v5, v25, v5
	v_cmp_ge_u32_e64 s8, v24, v21
	v_lshlrev_b32_e32 v5, 3, v5
	ds_read_b64 v[22:23], v5
	v_cndmask_b32_e64 v5, v10, v25, s3
	v_cmp_lt_u32_e64 s4, v5, v20
	s_waitcnt lgkmcnt(0)
	v_cndmask_b32_e64 v10, v22, v6, s3
	v_cndmask_b32_e64 v11, v23, v7, s3
	;; [unrolled: 1-line block ×4, first 2 shown]
	v_cmp_lt_i32_e64 s5, v22, v10
	v_cmp_ge_i32_e64 s6, v11, v23
	v_cmp_ge_i32_e64 s7, v10, v22
	s_or_b32 s5, s5, s6
	s_and_b32 s4, s4, s7
	s_mov_b32 s6, -1
	s_and_b32 s4, s4, s5
	s_or_b32 s4, s8, s4
	v_cndmask_b32_e64 v25, v24, v5, s4
	v_cndmask_b32_e64 v26, v21, v20, s4
	v_add_nc_u32_e32 v28, 1, v25
	v_add_nc_u32_e32 v25, -1, v26
	v_cndmask_b32_e64 v29, v28, v24, s4
	v_min_u32_e32 v25, v28, v25
	v_lshlrev_b32_e32 v25, 3, v25
	ds_read_b64 v[26:27], v25
	s_waitcnt lgkmcnt(0)
	v_cndmask_b32_e64 v24, v26, v10, s4
	v_cndmask_b32_e64 v25, v27, v11, s4
	;; [unrolled: 1-line block ×4, first 2 shown]
	v_cmpx_lt_u32_e64 v29, v21
	s_cbranch_execz .LBB632_179
; %bb.191:                              ;   in Loop: Header=BB632_181 Depth=1
	v_cndmask_b32_e64 v5, v5, v28, s4
	v_cmp_lt_i32_e64 s5, v26, v24
	v_cmp_ge_i32_e64 s6, v25, v27
	v_cmp_ge_i32_e64 s8, v24, v26
	v_cmp_lt_u32_e64 s7, v5, v20
	s_or_b32 s5, s5, s6
	s_and_b32 s6, s7, s8
	s_and_b32 s5, s6, s5
	s_orn2_b32 s6, s5, exec_lo
	s_branch .LBB632_179
.LBB632_192:
	s_barrier
	buffer_gl0_inv
	ds_write2_b64 v16, v[4:5], v[6:7] offset1:1
	ds_write2_b64 v16, v[8:9], v[10:11] offset0:2 offset1:3
	s_waitcnt lgkmcnt(0)
	s_barrier
	buffer_gl0_inv
	ds_read_b64 v[8:9], v13 offset:2048
	ds_read_b64 v[2:3], v14 offset:4096
	;; [unrolled: 1-line block ×3, first 2 shown]
	v_add_co_u32 v6, s2, s13, v18
	v_mov_b32_e32 v1, 0
	v_add_co_ci_u32_e64 v7, null, s15, 0, s2
	s_and_saveexec_b32 s2, vcc_lo
	s_cbranch_execnz .LBB632_203
; %bb.193:
	s_or_b32 exec_lo, exec_lo, s2
	s_and_saveexec_b32 s2, s0
	s_cbranch_execnz .LBB632_204
.LBB632_194:
	s_or_b32 exec_lo, exec_lo, s2
	s_and_saveexec_b32 s0, s1
	s_cbranch_execz .LBB632_196
.LBB632_195:
	v_add_co_u32 v6, vcc_lo, 0x1000, v6
	v_add_co_ci_u32_e64 v7, null, 0, v7, vcc_lo
	s_waitcnt lgkmcnt(1)
	flat_store_dwordx2 v[6:7], v[2:3]
.LBB632_196:
	s_or_b32 exec_lo, exec_lo, s0
.LBB632_197:
	s_and_saveexec_b32 s0, s17
	s_cbranch_execz .LBB632_199
; %bb.198:
	v_lshlrev_b64 v[0:1], 3, v[0:1]
	v_add_co_u32 v0, vcc_lo, s13, v0
	v_add_co_ci_u32_e64 v1, null, s15, v1, vcc_lo
	v_add_co_u32 v0, vcc_lo, 0x1800, v0
	v_add_co_ci_u32_e64 v1, null, 0, v1, vcc_lo
	s_waitcnt lgkmcnt(0)
	flat_store_dwordx2 v[0:1], v[4:5]
.LBB632_199:
	s_endpgm
.LBB632_200:
	v_cmp_ge_i32_e64 s5, v6, v8
	v_cmp_lt_i32_e64 s6, v9, v7
	v_cmp_lt_i32_e64 s7, v8, v6
	s_and_b32 s5, s5, s6
	s_or_b32 s5, s7, s5
	v_cndmask_b32_e64 v3, v9, v7, s5
	v_cndmask_b32_e64 v2, v8, v6, s5
	;; [unrolled: 1-line block ×4, first 2 shown]
	v_mov_b32_e32 v9, v3
	v_mov_b32_e32 v8, v2
	s_or_b32 exec_lo, exec_lo, s8
	s_and_saveexec_b32 s7, s2
	s_cbranch_execz .LBB632_126
.LBB632_201:
	v_cmp_ge_i32_e64 s2, v4, v6
	v_cmp_lt_i32_e64 s5, v7, v5
	v_cmp_lt_i32_e64 s6, v6, v4
	s_and_b32 s2, s2, s5
	s_or_b32 s2, s6, s2
	v_cndmask_b32_e64 v3, v7, v5, s2
	v_cndmask_b32_e64 v2, v6, v4, s2
	;; [unrolled: 1-line block ×4, first 2 shown]
	v_mov_b32_e32 v7, v3
	v_mov_b32_e32 v6, v2
	s_or_b32 exec_lo, exec_lo, s7
	s_and_saveexec_b32 s6, s3
	s_cbranch_execz .LBB632_127
.LBB632_202:
	v_cmp_ge_i32_e64 s2, v8, v10
	v_cmp_lt_i32_e64 s3, v11, v9
	v_cmp_lt_i32_e64 s5, v10, v8
	s_and_b32 s2, s2, s3
	s_or_b32 s2, s5, s2
	v_cndmask_b32_e64 v3, v11, v9, s2
	v_cndmask_b32_e64 v2, v10, v8, s2
	;; [unrolled: 1-line block ×4, first 2 shown]
	v_mov_b32_e32 v11, v3
	v_mov_b32_e32 v10, v2
	s_or_b32 exec_lo, exec_lo, s6
	s_and_saveexec_b32 s5, s4
	s_cbranch_execnz .LBB632_128
	s_branch .LBB632_129
.LBB632_203:
	ds_read_b64 v[10:11], v12
	s_waitcnt lgkmcnt(0)
	flat_store_dwordx2 v[6:7], v[10:11]
	s_or_b32 exec_lo, exec_lo, s2
	s_and_saveexec_b32 s2, s0
	s_cbranch_execz .LBB632_194
.LBB632_204:
	v_add_co_u32 v10, vcc_lo, 0x800, v6
	v_add_co_ci_u32_e64 v11, null, 0, v7, vcc_lo
	s_waitcnt lgkmcnt(2)
	flat_store_dwordx2 v[10:11], v[8:9]
	s_or_b32 exec_lo, exec_lo, s2
	s_and_saveexec_b32 s0, s1
	s_cbranch_execnz .LBB632_195
	s_branch .LBB632_196
	.section	.rodata,"a",@progbits
	.p2align	6, 0x0
	.amdhsa_kernel _ZN7rocprim17ROCPRIM_400000_NS6detail17trampoline_kernelINS0_14default_configENS1_37merge_sort_block_sort_config_selectorIN6thrust23THRUST_200600_302600_NS4pairIiiEENS0_10empty_typeEEEZNS1_21merge_sort_block_sortIS3_NS6_6detail15normal_iteratorINS6_10device_ptrIS8_EEEESG_PS9_SH_NS6_4lessIS8_EEEE10hipError_tT0_T1_T2_T3_mRjT4_P12ihipStream_tbNS1_7vsmem_tEEUlT_E_NS1_11comp_targetILNS1_3genE8ELNS1_11target_archE1030ELNS1_3gpuE2ELNS1_3repE0EEENS1_30default_config_static_selectorELNS0_4arch9wavefront6targetE0EEEvSM_
		.amdhsa_group_segment_fixed_size 8448
		.amdhsa_private_segment_fixed_size 0
		.amdhsa_kernarg_size 320
		.amdhsa_user_sgpr_count 6
		.amdhsa_user_sgpr_private_segment_buffer 1
		.amdhsa_user_sgpr_dispatch_ptr 0
		.amdhsa_user_sgpr_queue_ptr 0
		.amdhsa_user_sgpr_kernarg_segment_ptr 1
		.amdhsa_user_sgpr_dispatch_id 0
		.amdhsa_user_sgpr_flat_scratch_init 0
		.amdhsa_user_sgpr_private_segment_size 0
		.amdhsa_wavefront_size32 1
		.amdhsa_uses_dynamic_stack 0
		.amdhsa_system_sgpr_private_segment_wavefront_offset 0
		.amdhsa_system_sgpr_workgroup_id_x 1
		.amdhsa_system_sgpr_workgroup_id_y 1
		.amdhsa_system_sgpr_workgroup_id_z 1
		.amdhsa_system_sgpr_workgroup_info 0
		.amdhsa_system_vgpr_workitem_id 2
		.amdhsa_next_free_vgpr 43
		.amdhsa_next_free_sgpr 20
		.amdhsa_reserve_vcc 1
		.amdhsa_reserve_flat_scratch 1
		.amdhsa_float_round_mode_32 0
		.amdhsa_float_round_mode_16_64 0
		.amdhsa_float_denorm_mode_32 3
		.amdhsa_float_denorm_mode_16_64 3
		.amdhsa_dx10_clamp 1
		.amdhsa_ieee_mode 1
		.amdhsa_fp16_overflow 0
		.amdhsa_workgroup_processor_mode 1
		.amdhsa_memory_ordered 1
		.amdhsa_forward_progress 1
		.amdhsa_shared_vgpr_count 0
		.amdhsa_exception_fp_ieee_invalid_op 0
		.amdhsa_exception_fp_denorm_src 0
		.amdhsa_exception_fp_ieee_div_zero 0
		.amdhsa_exception_fp_ieee_overflow 0
		.amdhsa_exception_fp_ieee_underflow 0
		.amdhsa_exception_fp_ieee_inexact 0
		.amdhsa_exception_int_div_zero 0
	.end_amdhsa_kernel
	.section	.text._ZN7rocprim17ROCPRIM_400000_NS6detail17trampoline_kernelINS0_14default_configENS1_37merge_sort_block_sort_config_selectorIN6thrust23THRUST_200600_302600_NS4pairIiiEENS0_10empty_typeEEEZNS1_21merge_sort_block_sortIS3_NS6_6detail15normal_iteratorINS6_10device_ptrIS8_EEEESG_PS9_SH_NS6_4lessIS8_EEEE10hipError_tT0_T1_T2_T3_mRjT4_P12ihipStream_tbNS1_7vsmem_tEEUlT_E_NS1_11comp_targetILNS1_3genE8ELNS1_11target_archE1030ELNS1_3gpuE2ELNS1_3repE0EEENS1_30default_config_static_selectorELNS0_4arch9wavefront6targetE0EEEvSM_,"axG",@progbits,_ZN7rocprim17ROCPRIM_400000_NS6detail17trampoline_kernelINS0_14default_configENS1_37merge_sort_block_sort_config_selectorIN6thrust23THRUST_200600_302600_NS4pairIiiEENS0_10empty_typeEEEZNS1_21merge_sort_block_sortIS3_NS6_6detail15normal_iteratorINS6_10device_ptrIS8_EEEESG_PS9_SH_NS6_4lessIS8_EEEE10hipError_tT0_T1_T2_T3_mRjT4_P12ihipStream_tbNS1_7vsmem_tEEUlT_E_NS1_11comp_targetILNS1_3genE8ELNS1_11target_archE1030ELNS1_3gpuE2ELNS1_3repE0EEENS1_30default_config_static_selectorELNS0_4arch9wavefront6targetE0EEEvSM_,comdat
.Lfunc_end632:
	.size	_ZN7rocprim17ROCPRIM_400000_NS6detail17trampoline_kernelINS0_14default_configENS1_37merge_sort_block_sort_config_selectorIN6thrust23THRUST_200600_302600_NS4pairIiiEENS0_10empty_typeEEEZNS1_21merge_sort_block_sortIS3_NS6_6detail15normal_iteratorINS6_10device_ptrIS8_EEEESG_PS9_SH_NS6_4lessIS8_EEEE10hipError_tT0_T1_T2_T3_mRjT4_P12ihipStream_tbNS1_7vsmem_tEEUlT_E_NS1_11comp_targetILNS1_3genE8ELNS1_11target_archE1030ELNS1_3gpuE2ELNS1_3repE0EEENS1_30default_config_static_selectorELNS0_4arch9wavefront6targetE0EEEvSM_, .Lfunc_end632-_ZN7rocprim17ROCPRIM_400000_NS6detail17trampoline_kernelINS0_14default_configENS1_37merge_sort_block_sort_config_selectorIN6thrust23THRUST_200600_302600_NS4pairIiiEENS0_10empty_typeEEEZNS1_21merge_sort_block_sortIS3_NS6_6detail15normal_iteratorINS6_10device_ptrIS8_EEEESG_PS9_SH_NS6_4lessIS8_EEEE10hipError_tT0_T1_T2_T3_mRjT4_P12ihipStream_tbNS1_7vsmem_tEEUlT_E_NS1_11comp_targetILNS1_3genE8ELNS1_11target_archE1030ELNS1_3gpuE2ELNS1_3repE0EEENS1_30default_config_static_selectorELNS0_4arch9wavefront6targetE0EEEvSM_
                                        ; -- End function
	.set _ZN7rocprim17ROCPRIM_400000_NS6detail17trampoline_kernelINS0_14default_configENS1_37merge_sort_block_sort_config_selectorIN6thrust23THRUST_200600_302600_NS4pairIiiEENS0_10empty_typeEEEZNS1_21merge_sort_block_sortIS3_NS6_6detail15normal_iteratorINS6_10device_ptrIS8_EEEESG_PS9_SH_NS6_4lessIS8_EEEE10hipError_tT0_T1_T2_T3_mRjT4_P12ihipStream_tbNS1_7vsmem_tEEUlT_E_NS1_11comp_targetILNS1_3genE8ELNS1_11target_archE1030ELNS1_3gpuE2ELNS1_3repE0EEENS1_30default_config_static_selectorELNS0_4arch9wavefront6targetE0EEEvSM_.num_vgpr, 43
	.set _ZN7rocprim17ROCPRIM_400000_NS6detail17trampoline_kernelINS0_14default_configENS1_37merge_sort_block_sort_config_selectorIN6thrust23THRUST_200600_302600_NS4pairIiiEENS0_10empty_typeEEEZNS1_21merge_sort_block_sortIS3_NS6_6detail15normal_iteratorINS6_10device_ptrIS8_EEEESG_PS9_SH_NS6_4lessIS8_EEEE10hipError_tT0_T1_T2_T3_mRjT4_P12ihipStream_tbNS1_7vsmem_tEEUlT_E_NS1_11comp_targetILNS1_3genE8ELNS1_11target_archE1030ELNS1_3gpuE2ELNS1_3repE0EEENS1_30default_config_static_selectorELNS0_4arch9wavefront6targetE0EEEvSM_.num_agpr, 0
	.set _ZN7rocprim17ROCPRIM_400000_NS6detail17trampoline_kernelINS0_14default_configENS1_37merge_sort_block_sort_config_selectorIN6thrust23THRUST_200600_302600_NS4pairIiiEENS0_10empty_typeEEEZNS1_21merge_sort_block_sortIS3_NS6_6detail15normal_iteratorINS6_10device_ptrIS8_EEEESG_PS9_SH_NS6_4lessIS8_EEEE10hipError_tT0_T1_T2_T3_mRjT4_P12ihipStream_tbNS1_7vsmem_tEEUlT_E_NS1_11comp_targetILNS1_3genE8ELNS1_11target_archE1030ELNS1_3gpuE2ELNS1_3repE0EEENS1_30default_config_static_selectorELNS0_4arch9wavefront6targetE0EEEvSM_.numbered_sgpr, 20
	.set _ZN7rocprim17ROCPRIM_400000_NS6detail17trampoline_kernelINS0_14default_configENS1_37merge_sort_block_sort_config_selectorIN6thrust23THRUST_200600_302600_NS4pairIiiEENS0_10empty_typeEEEZNS1_21merge_sort_block_sortIS3_NS6_6detail15normal_iteratorINS6_10device_ptrIS8_EEEESG_PS9_SH_NS6_4lessIS8_EEEE10hipError_tT0_T1_T2_T3_mRjT4_P12ihipStream_tbNS1_7vsmem_tEEUlT_E_NS1_11comp_targetILNS1_3genE8ELNS1_11target_archE1030ELNS1_3gpuE2ELNS1_3repE0EEENS1_30default_config_static_selectorELNS0_4arch9wavefront6targetE0EEEvSM_.num_named_barrier, 0
	.set _ZN7rocprim17ROCPRIM_400000_NS6detail17trampoline_kernelINS0_14default_configENS1_37merge_sort_block_sort_config_selectorIN6thrust23THRUST_200600_302600_NS4pairIiiEENS0_10empty_typeEEEZNS1_21merge_sort_block_sortIS3_NS6_6detail15normal_iteratorINS6_10device_ptrIS8_EEEESG_PS9_SH_NS6_4lessIS8_EEEE10hipError_tT0_T1_T2_T3_mRjT4_P12ihipStream_tbNS1_7vsmem_tEEUlT_E_NS1_11comp_targetILNS1_3genE8ELNS1_11target_archE1030ELNS1_3gpuE2ELNS1_3repE0EEENS1_30default_config_static_selectorELNS0_4arch9wavefront6targetE0EEEvSM_.private_seg_size, 0
	.set _ZN7rocprim17ROCPRIM_400000_NS6detail17trampoline_kernelINS0_14default_configENS1_37merge_sort_block_sort_config_selectorIN6thrust23THRUST_200600_302600_NS4pairIiiEENS0_10empty_typeEEEZNS1_21merge_sort_block_sortIS3_NS6_6detail15normal_iteratorINS6_10device_ptrIS8_EEEESG_PS9_SH_NS6_4lessIS8_EEEE10hipError_tT0_T1_T2_T3_mRjT4_P12ihipStream_tbNS1_7vsmem_tEEUlT_E_NS1_11comp_targetILNS1_3genE8ELNS1_11target_archE1030ELNS1_3gpuE2ELNS1_3repE0EEENS1_30default_config_static_selectorELNS0_4arch9wavefront6targetE0EEEvSM_.uses_vcc, 1
	.set _ZN7rocprim17ROCPRIM_400000_NS6detail17trampoline_kernelINS0_14default_configENS1_37merge_sort_block_sort_config_selectorIN6thrust23THRUST_200600_302600_NS4pairIiiEENS0_10empty_typeEEEZNS1_21merge_sort_block_sortIS3_NS6_6detail15normal_iteratorINS6_10device_ptrIS8_EEEESG_PS9_SH_NS6_4lessIS8_EEEE10hipError_tT0_T1_T2_T3_mRjT4_P12ihipStream_tbNS1_7vsmem_tEEUlT_E_NS1_11comp_targetILNS1_3genE8ELNS1_11target_archE1030ELNS1_3gpuE2ELNS1_3repE0EEENS1_30default_config_static_selectorELNS0_4arch9wavefront6targetE0EEEvSM_.uses_flat_scratch, 1
	.set _ZN7rocprim17ROCPRIM_400000_NS6detail17trampoline_kernelINS0_14default_configENS1_37merge_sort_block_sort_config_selectorIN6thrust23THRUST_200600_302600_NS4pairIiiEENS0_10empty_typeEEEZNS1_21merge_sort_block_sortIS3_NS6_6detail15normal_iteratorINS6_10device_ptrIS8_EEEESG_PS9_SH_NS6_4lessIS8_EEEE10hipError_tT0_T1_T2_T3_mRjT4_P12ihipStream_tbNS1_7vsmem_tEEUlT_E_NS1_11comp_targetILNS1_3genE8ELNS1_11target_archE1030ELNS1_3gpuE2ELNS1_3repE0EEENS1_30default_config_static_selectorELNS0_4arch9wavefront6targetE0EEEvSM_.has_dyn_sized_stack, 0
	.set _ZN7rocprim17ROCPRIM_400000_NS6detail17trampoline_kernelINS0_14default_configENS1_37merge_sort_block_sort_config_selectorIN6thrust23THRUST_200600_302600_NS4pairIiiEENS0_10empty_typeEEEZNS1_21merge_sort_block_sortIS3_NS6_6detail15normal_iteratorINS6_10device_ptrIS8_EEEESG_PS9_SH_NS6_4lessIS8_EEEE10hipError_tT0_T1_T2_T3_mRjT4_P12ihipStream_tbNS1_7vsmem_tEEUlT_E_NS1_11comp_targetILNS1_3genE8ELNS1_11target_archE1030ELNS1_3gpuE2ELNS1_3repE0EEENS1_30default_config_static_selectorELNS0_4arch9wavefront6targetE0EEEvSM_.has_recursion, 0
	.set _ZN7rocprim17ROCPRIM_400000_NS6detail17trampoline_kernelINS0_14default_configENS1_37merge_sort_block_sort_config_selectorIN6thrust23THRUST_200600_302600_NS4pairIiiEENS0_10empty_typeEEEZNS1_21merge_sort_block_sortIS3_NS6_6detail15normal_iteratorINS6_10device_ptrIS8_EEEESG_PS9_SH_NS6_4lessIS8_EEEE10hipError_tT0_T1_T2_T3_mRjT4_P12ihipStream_tbNS1_7vsmem_tEEUlT_E_NS1_11comp_targetILNS1_3genE8ELNS1_11target_archE1030ELNS1_3gpuE2ELNS1_3repE0EEENS1_30default_config_static_selectorELNS0_4arch9wavefront6targetE0EEEvSM_.has_indirect_call, 0
	.section	.AMDGPU.csdata,"",@progbits
; Kernel info:
; codeLenInByte = 14820
; TotalNumSgprs: 22
; NumVgprs: 43
; ScratchSize: 0
; MemoryBound: 0
; FloatMode: 240
; IeeeMode: 1
; LDSByteSize: 8448 bytes/workgroup (compile time only)
; SGPRBlocks: 0
; VGPRBlocks: 5
; NumSGPRsForWavesPerEU: 22
; NumVGPRsForWavesPerEU: 43
; Occupancy: 16
; WaveLimiterHint : 1
; COMPUTE_PGM_RSRC2:SCRATCH_EN: 0
; COMPUTE_PGM_RSRC2:USER_SGPR: 6
; COMPUTE_PGM_RSRC2:TRAP_HANDLER: 0
; COMPUTE_PGM_RSRC2:TGID_X_EN: 1
; COMPUTE_PGM_RSRC2:TGID_Y_EN: 1
; COMPUTE_PGM_RSRC2:TGID_Z_EN: 1
; COMPUTE_PGM_RSRC2:TIDIG_COMP_CNT: 2
	.section	.text._ZN7rocprim17ROCPRIM_400000_NS6detail17trampoline_kernelINS0_14default_configENS1_38merge_sort_block_merge_config_selectorIN6thrust23THRUST_200600_302600_NS4pairIiiEENS0_10empty_typeEEEZZNS1_27merge_sort_block_merge_implIS3_NS6_6detail15normal_iteratorINS6_10device_ptrIS8_EEEEPS9_mNS6_4lessIS8_EEEE10hipError_tT0_T1_T2_jT3_P12ihipStream_tbPNSt15iterator_traitsISL_E10value_typeEPNSR_ISM_E10value_typeEPSN_NS1_7vsmem_tEENKUlT_SL_SM_SN_E_clIPS8_SG_SH_SH_EESK_S10_SL_SM_SN_EUlS10_E_NS1_11comp_targetILNS1_3genE0ELNS1_11target_archE4294967295ELNS1_3gpuE0ELNS1_3repE0EEENS1_48merge_mergepath_partition_config_static_selectorELNS0_4arch9wavefront6targetE0EEEvSM_,"axG",@progbits,_ZN7rocprim17ROCPRIM_400000_NS6detail17trampoline_kernelINS0_14default_configENS1_38merge_sort_block_merge_config_selectorIN6thrust23THRUST_200600_302600_NS4pairIiiEENS0_10empty_typeEEEZZNS1_27merge_sort_block_merge_implIS3_NS6_6detail15normal_iteratorINS6_10device_ptrIS8_EEEEPS9_mNS6_4lessIS8_EEEE10hipError_tT0_T1_T2_jT3_P12ihipStream_tbPNSt15iterator_traitsISL_E10value_typeEPNSR_ISM_E10value_typeEPSN_NS1_7vsmem_tEENKUlT_SL_SM_SN_E_clIPS8_SG_SH_SH_EESK_S10_SL_SM_SN_EUlS10_E_NS1_11comp_targetILNS1_3genE0ELNS1_11target_archE4294967295ELNS1_3gpuE0ELNS1_3repE0EEENS1_48merge_mergepath_partition_config_static_selectorELNS0_4arch9wavefront6targetE0EEEvSM_,comdat
	.protected	_ZN7rocprim17ROCPRIM_400000_NS6detail17trampoline_kernelINS0_14default_configENS1_38merge_sort_block_merge_config_selectorIN6thrust23THRUST_200600_302600_NS4pairIiiEENS0_10empty_typeEEEZZNS1_27merge_sort_block_merge_implIS3_NS6_6detail15normal_iteratorINS6_10device_ptrIS8_EEEEPS9_mNS6_4lessIS8_EEEE10hipError_tT0_T1_T2_jT3_P12ihipStream_tbPNSt15iterator_traitsISL_E10value_typeEPNSR_ISM_E10value_typeEPSN_NS1_7vsmem_tEENKUlT_SL_SM_SN_E_clIPS8_SG_SH_SH_EESK_S10_SL_SM_SN_EUlS10_E_NS1_11comp_targetILNS1_3genE0ELNS1_11target_archE4294967295ELNS1_3gpuE0ELNS1_3repE0EEENS1_48merge_mergepath_partition_config_static_selectorELNS0_4arch9wavefront6targetE0EEEvSM_ ; -- Begin function _ZN7rocprim17ROCPRIM_400000_NS6detail17trampoline_kernelINS0_14default_configENS1_38merge_sort_block_merge_config_selectorIN6thrust23THRUST_200600_302600_NS4pairIiiEENS0_10empty_typeEEEZZNS1_27merge_sort_block_merge_implIS3_NS6_6detail15normal_iteratorINS6_10device_ptrIS8_EEEEPS9_mNS6_4lessIS8_EEEE10hipError_tT0_T1_T2_jT3_P12ihipStream_tbPNSt15iterator_traitsISL_E10value_typeEPNSR_ISM_E10value_typeEPSN_NS1_7vsmem_tEENKUlT_SL_SM_SN_E_clIPS8_SG_SH_SH_EESK_S10_SL_SM_SN_EUlS10_E_NS1_11comp_targetILNS1_3genE0ELNS1_11target_archE4294967295ELNS1_3gpuE0ELNS1_3repE0EEENS1_48merge_mergepath_partition_config_static_selectorELNS0_4arch9wavefront6targetE0EEEvSM_
	.globl	_ZN7rocprim17ROCPRIM_400000_NS6detail17trampoline_kernelINS0_14default_configENS1_38merge_sort_block_merge_config_selectorIN6thrust23THRUST_200600_302600_NS4pairIiiEENS0_10empty_typeEEEZZNS1_27merge_sort_block_merge_implIS3_NS6_6detail15normal_iteratorINS6_10device_ptrIS8_EEEEPS9_mNS6_4lessIS8_EEEE10hipError_tT0_T1_T2_jT3_P12ihipStream_tbPNSt15iterator_traitsISL_E10value_typeEPNSR_ISM_E10value_typeEPSN_NS1_7vsmem_tEENKUlT_SL_SM_SN_E_clIPS8_SG_SH_SH_EESK_S10_SL_SM_SN_EUlS10_E_NS1_11comp_targetILNS1_3genE0ELNS1_11target_archE4294967295ELNS1_3gpuE0ELNS1_3repE0EEENS1_48merge_mergepath_partition_config_static_selectorELNS0_4arch9wavefront6targetE0EEEvSM_
	.p2align	8
	.type	_ZN7rocprim17ROCPRIM_400000_NS6detail17trampoline_kernelINS0_14default_configENS1_38merge_sort_block_merge_config_selectorIN6thrust23THRUST_200600_302600_NS4pairIiiEENS0_10empty_typeEEEZZNS1_27merge_sort_block_merge_implIS3_NS6_6detail15normal_iteratorINS6_10device_ptrIS8_EEEEPS9_mNS6_4lessIS8_EEEE10hipError_tT0_T1_T2_jT3_P12ihipStream_tbPNSt15iterator_traitsISL_E10value_typeEPNSR_ISM_E10value_typeEPSN_NS1_7vsmem_tEENKUlT_SL_SM_SN_E_clIPS8_SG_SH_SH_EESK_S10_SL_SM_SN_EUlS10_E_NS1_11comp_targetILNS1_3genE0ELNS1_11target_archE4294967295ELNS1_3gpuE0ELNS1_3repE0EEENS1_48merge_mergepath_partition_config_static_selectorELNS0_4arch9wavefront6targetE0EEEvSM_,@function
_ZN7rocprim17ROCPRIM_400000_NS6detail17trampoline_kernelINS0_14default_configENS1_38merge_sort_block_merge_config_selectorIN6thrust23THRUST_200600_302600_NS4pairIiiEENS0_10empty_typeEEEZZNS1_27merge_sort_block_merge_implIS3_NS6_6detail15normal_iteratorINS6_10device_ptrIS8_EEEEPS9_mNS6_4lessIS8_EEEE10hipError_tT0_T1_T2_jT3_P12ihipStream_tbPNSt15iterator_traitsISL_E10value_typeEPNSR_ISM_E10value_typeEPSN_NS1_7vsmem_tEENKUlT_SL_SM_SN_E_clIPS8_SG_SH_SH_EESK_S10_SL_SM_SN_EUlS10_E_NS1_11comp_targetILNS1_3genE0ELNS1_11target_archE4294967295ELNS1_3gpuE0ELNS1_3repE0EEENS1_48merge_mergepath_partition_config_static_selectorELNS0_4arch9wavefront6targetE0EEEvSM_: ; @_ZN7rocprim17ROCPRIM_400000_NS6detail17trampoline_kernelINS0_14default_configENS1_38merge_sort_block_merge_config_selectorIN6thrust23THRUST_200600_302600_NS4pairIiiEENS0_10empty_typeEEEZZNS1_27merge_sort_block_merge_implIS3_NS6_6detail15normal_iteratorINS6_10device_ptrIS8_EEEEPS9_mNS6_4lessIS8_EEEE10hipError_tT0_T1_T2_jT3_P12ihipStream_tbPNSt15iterator_traitsISL_E10value_typeEPNSR_ISM_E10value_typeEPSN_NS1_7vsmem_tEENKUlT_SL_SM_SN_E_clIPS8_SG_SH_SH_EESK_S10_SL_SM_SN_EUlS10_E_NS1_11comp_targetILNS1_3genE0ELNS1_11target_archE4294967295ELNS1_3gpuE0ELNS1_3repE0EEENS1_48merge_mergepath_partition_config_static_selectorELNS0_4arch9wavefront6targetE0EEEvSM_
; %bb.0:
	.section	.rodata,"a",@progbits
	.p2align	6, 0x0
	.amdhsa_kernel _ZN7rocprim17ROCPRIM_400000_NS6detail17trampoline_kernelINS0_14default_configENS1_38merge_sort_block_merge_config_selectorIN6thrust23THRUST_200600_302600_NS4pairIiiEENS0_10empty_typeEEEZZNS1_27merge_sort_block_merge_implIS3_NS6_6detail15normal_iteratorINS6_10device_ptrIS8_EEEEPS9_mNS6_4lessIS8_EEEE10hipError_tT0_T1_T2_jT3_P12ihipStream_tbPNSt15iterator_traitsISL_E10value_typeEPNSR_ISM_E10value_typeEPSN_NS1_7vsmem_tEENKUlT_SL_SM_SN_E_clIPS8_SG_SH_SH_EESK_S10_SL_SM_SN_EUlS10_E_NS1_11comp_targetILNS1_3genE0ELNS1_11target_archE4294967295ELNS1_3gpuE0ELNS1_3repE0EEENS1_48merge_mergepath_partition_config_static_selectorELNS0_4arch9wavefront6targetE0EEEvSM_
		.amdhsa_group_segment_fixed_size 0
		.amdhsa_private_segment_fixed_size 0
		.amdhsa_kernarg_size 48
		.amdhsa_user_sgpr_count 6
		.amdhsa_user_sgpr_private_segment_buffer 1
		.amdhsa_user_sgpr_dispatch_ptr 0
		.amdhsa_user_sgpr_queue_ptr 0
		.amdhsa_user_sgpr_kernarg_segment_ptr 1
		.amdhsa_user_sgpr_dispatch_id 0
		.amdhsa_user_sgpr_flat_scratch_init 0
		.amdhsa_user_sgpr_private_segment_size 0
		.amdhsa_wavefront_size32 1
		.amdhsa_uses_dynamic_stack 0
		.amdhsa_system_sgpr_private_segment_wavefront_offset 0
		.amdhsa_system_sgpr_workgroup_id_x 1
		.amdhsa_system_sgpr_workgroup_id_y 0
		.amdhsa_system_sgpr_workgroup_id_z 0
		.amdhsa_system_sgpr_workgroup_info 0
		.amdhsa_system_vgpr_workitem_id 0
		.amdhsa_next_free_vgpr 1
		.amdhsa_next_free_sgpr 1
		.amdhsa_reserve_vcc 0
		.amdhsa_reserve_flat_scratch 0
		.amdhsa_float_round_mode_32 0
		.amdhsa_float_round_mode_16_64 0
		.amdhsa_float_denorm_mode_32 3
		.amdhsa_float_denorm_mode_16_64 3
		.amdhsa_dx10_clamp 1
		.amdhsa_ieee_mode 1
		.amdhsa_fp16_overflow 0
		.amdhsa_workgroup_processor_mode 1
		.amdhsa_memory_ordered 1
		.amdhsa_forward_progress 1
		.amdhsa_shared_vgpr_count 0
		.amdhsa_exception_fp_ieee_invalid_op 0
		.amdhsa_exception_fp_denorm_src 0
		.amdhsa_exception_fp_ieee_div_zero 0
		.amdhsa_exception_fp_ieee_overflow 0
		.amdhsa_exception_fp_ieee_underflow 0
		.amdhsa_exception_fp_ieee_inexact 0
		.amdhsa_exception_int_div_zero 0
	.end_amdhsa_kernel
	.section	.text._ZN7rocprim17ROCPRIM_400000_NS6detail17trampoline_kernelINS0_14default_configENS1_38merge_sort_block_merge_config_selectorIN6thrust23THRUST_200600_302600_NS4pairIiiEENS0_10empty_typeEEEZZNS1_27merge_sort_block_merge_implIS3_NS6_6detail15normal_iteratorINS6_10device_ptrIS8_EEEEPS9_mNS6_4lessIS8_EEEE10hipError_tT0_T1_T2_jT3_P12ihipStream_tbPNSt15iterator_traitsISL_E10value_typeEPNSR_ISM_E10value_typeEPSN_NS1_7vsmem_tEENKUlT_SL_SM_SN_E_clIPS8_SG_SH_SH_EESK_S10_SL_SM_SN_EUlS10_E_NS1_11comp_targetILNS1_3genE0ELNS1_11target_archE4294967295ELNS1_3gpuE0ELNS1_3repE0EEENS1_48merge_mergepath_partition_config_static_selectorELNS0_4arch9wavefront6targetE0EEEvSM_,"axG",@progbits,_ZN7rocprim17ROCPRIM_400000_NS6detail17trampoline_kernelINS0_14default_configENS1_38merge_sort_block_merge_config_selectorIN6thrust23THRUST_200600_302600_NS4pairIiiEENS0_10empty_typeEEEZZNS1_27merge_sort_block_merge_implIS3_NS6_6detail15normal_iteratorINS6_10device_ptrIS8_EEEEPS9_mNS6_4lessIS8_EEEE10hipError_tT0_T1_T2_jT3_P12ihipStream_tbPNSt15iterator_traitsISL_E10value_typeEPNSR_ISM_E10value_typeEPSN_NS1_7vsmem_tEENKUlT_SL_SM_SN_E_clIPS8_SG_SH_SH_EESK_S10_SL_SM_SN_EUlS10_E_NS1_11comp_targetILNS1_3genE0ELNS1_11target_archE4294967295ELNS1_3gpuE0ELNS1_3repE0EEENS1_48merge_mergepath_partition_config_static_selectorELNS0_4arch9wavefront6targetE0EEEvSM_,comdat
.Lfunc_end633:
	.size	_ZN7rocprim17ROCPRIM_400000_NS6detail17trampoline_kernelINS0_14default_configENS1_38merge_sort_block_merge_config_selectorIN6thrust23THRUST_200600_302600_NS4pairIiiEENS0_10empty_typeEEEZZNS1_27merge_sort_block_merge_implIS3_NS6_6detail15normal_iteratorINS6_10device_ptrIS8_EEEEPS9_mNS6_4lessIS8_EEEE10hipError_tT0_T1_T2_jT3_P12ihipStream_tbPNSt15iterator_traitsISL_E10value_typeEPNSR_ISM_E10value_typeEPSN_NS1_7vsmem_tEENKUlT_SL_SM_SN_E_clIPS8_SG_SH_SH_EESK_S10_SL_SM_SN_EUlS10_E_NS1_11comp_targetILNS1_3genE0ELNS1_11target_archE4294967295ELNS1_3gpuE0ELNS1_3repE0EEENS1_48merge_mergepath_partition_config_static_selectorELNS0_4arch9wavefront6targetE0EEEvSM_, .Lfunc_end633-_ZN7rocprim17ROCPRIM_400000_NS6detail17trampoline_kernelINS0_14default_configENS1_38merge_sort_block_merge_config_selectorIN6thrust23THRUST_200600_302600_NS4pairIiiEENS0_10empty_typeEEEZZNS1_27merge_sort_block_merge_implIS3_NS6_6detail15normal_iteratorINS6_10device_ptrIS8_EEEEPS9_mNS6_4lessIS8_EEEE10hipError_tT0_T1_T2_jT3_P12ihipStream_tbPNSt15iterator_traitsISL_E10value_typeEPNSR_ISM_E10value_typeEPSN_NS1_7vsmem_tEENKUlT_SL_SM_SN_E_clIPS8_SG_SH_SH_EESK_S10_SL_SM_SN_EUlS10_E_NS1_11comp_targetILNS1_3genE0ELNS1_11target_archE4294967295ELNS1_3gpuE0ELNS1_3repE0EEENS1_48merge_mergepath_partition_config_static_selectorELNS0_4arch9wavefront6targetE0EEEvSM_
                                        ; -- End function
	.set _ZN7rocprim17ROCPRIM_400000_NS6detail17trampoline_kernelINS0_14default_configENS1_38merge_sort_block_merge_config_selectorIN6thrust23THRUST_200600_302600_NS4pairIiiEENS0_10empty_typeEEEZZNS1_27merge_sort_block_merge_implIS3_NS6_6detail15normal_iteratorINS6_10device_ptrIS8_EEEEPS9_mNS6_4lessIS8_EEEE10hipError_tT0_T1_T2_jT3_P12ihipStream_tbPNSt15iterator_traitsISL_E10value_typeEPNSR_ISM_E10value_typeEPSN_NS1_7vsmem_tEENKUlT_SL_SM_SN_E_clIPS8_SG_SH_SH_EESK_S10_SL_SM_SN_EUlS10_E_NS1_11comp_targetILNS1_3genE0ELNS1_11target_archE4294967295ELNS1_3gpuE0ELNS1_3repE0EEENS1_48merge_mergepath_partition_config_static_selectorELNS0_4arch9wavefront6targetE0EEEvSM_.num_vgpr, 0
	.set _ZN7rocprim17ROCPRIM_400000_NS6detail17trampoline_kernelINS0_14default_configENS1_38merge_sort_block_merge_config_selectorIN6thrust23THRUST_200600_302600_NS4pairIiiEENS0_10empty_typeEEEZZNS1_27merge_sort_block_merge_implIS3_NS6_6detail15normal_iteratorINS6_10device_ptrIS8_EEEEPS9_mNS6_4lessIS8_EEEE10hipError_tT0_T1_T2_jT3_P12ihipStream_tbPNSt15iterator_traitsISL_E10value_typeEPNSR_ISM_E10value_typeEPSN_NS1_7vsmem_tEENKUlT_SL_SM_SN_E_clIPS8_SG_SH_SH_EESK_S10_SL_SM_SN_EUlS10_E_NS1_11comp_targetILNS1_3genE0ELNS1_11target_archE4294967295ELNS1_3gpuE0ELNS1_3repE0EEENS1_48merge_mergepath_partition_config_static_selectorELNS0_4arch9wavefront6targetE0EEEvSM_.num_agpr, 0
	.set _ZN7rocprim17ROCPRIM_400000_NS6detail17trampoline_kernelINS0_14default_configENS1_38merge_sort_block_merge_config_selectorIN6thrust23THRUST_200600_302600_NS4pairIiiEENS0_10empty_typeEEEZZNS1_27merge_sort_block_merge_implIS3_NS6_6detail15normal_iteratorINS6_10device_ptrIS8_EEEEPS9_mNS6_4lessIS8_EEEE10hipError_tT0_T1_T2_jT3_P12ihipStream_tbPNSt15iterator_traitsISL_E10value_typeEPNSR_ISM_E10value_typeEPSN_NS1_7vsmem_tEENKUlT_SL_SM_SN_E_clIPS8_SG_SH_SH_EESK_S10_SL_SM_SN_EUlS10_E_NS1_11comp_targetILNS1_3genE0ELNS1_11target_archE4294967295ELNS1_3gpuE0ELNS1_3repE0EEENS1_48merge_mergepath_partition_config_static_selectorELNS0_4arch9wavefront6targetE0EEEvSM_.numbered_sgpr, 0
	.set _ZN7rocprim17ROCPRIM_400000_NS6detail17trampoline_kernelINS0_14default_configENS1_38merge_sort_block_merge_config_selectorIN6thrust23THRUST_200600_302600_NS4pairIiiEENS0_10empty_typeEEEZZNS1_27merge_sort_block_merge_implIS3_NS6_6detail15normal_iteratorINS6_10device_ptrIS8_EEEEPS9_mNS6_4lessIS8_EEEE10hipError_tT0_T1_T2_jT3_P12ihipStream_tbPNSt15iterator_traitsISL_E10value_typeEPNSR_ISM_E10value_typeEPSN_NS1_7vsmem_tEENKUlT_SL_SM_SN_E_clIPS8_SG_SH_SH_EESK_S10_SL_SM_SN_EUlS10_E_NS1_11comp_targetILNS1_3genE0ELNS1_11target_archE4294967295ELNS1_3gpuE0ELNS1_3repE0EEENS1_48merge_mergepath_partition_config_static_selectorELNS0_4arch9wavefront6targetE0EEEvSM_.num_named_barrier, 0
	.set _ZN7rocprim17ROCPRIM_400000_NS6detail17trampoline_kernelINS0_14default_configENS1_38merge_sort_block_merge_config_selectorIN6thrust23THRUST_200600_302600_NS4pairIiiEENS0_10empty_typeEEEZZNS1_27merge_sort_block_merge_implIS3_NS6_6detail15normal_iteratorINS6_10device_ptrIS8_EEEEPS9_mNS6_4lessIS8_EEEE10hipError_tT0_T1_T2_jT3_P12ihipStream_tbPNSt15iterator_traitsISL_E10value_typeEPNSR_ISM_E10value_typeEPSN_NS1_7vsmem_tEENKUlT_SL_SM_SN_E_clIPS8_SG_SH_SH_EESK_S10_SL_SM_SN_EUlS10_E_NS1_11comp_targetILNS1_3genE0ELNS1_11target_archE4294967295ELNS1_3gpuE0ELNS1_3repE0EEENS1_48merge_mergepath_partition_config_static_selectorELNS0_4arch9wavefront6targetE0EEEvSM_.private_seg_size, 0
	.set _ZN7rocprim17ROCPRIM_400000_NS6detail17trampoline_kernelINS0_14default_configENS1_38merge_sort_block_merge_config_selectorIN6thrust23THRUST_200600_302600_NS4pairIiiEENS0_10empty_typeEEEZZNS1_27merge_sort_block_merge_implIS3_NS6_6detail15normal_iteratorINS6_10device_ptrIS8_EEEEPS9_mNS6_4lessIS8_EEEE10hipError_tT0_T1_T2_jT3_P12ihipStream_tbPNSt15iterator_traitsISL_E10value_typeEPNSR_ISM_E10value_typeEPSN_NS1_7vsmem_tEENKUlT_SL_SM_SN_E_clIPS8_SG_SH_SH_EESK_S10_SL_SM_SN_EUlS10_E_NS1_11comp_targetILNS1_3genE0ELNS1_11target_archE4294967295ELNS1_3gpuE0ELNS1_3repE0EEENS1_48merge_mergepath_partition_config_static_selectorELNS0_4arch9wavefront6targetE0EEEvSM_.uses_vcc, 0
	.set _ZN7rocprim17ROCPRIM_400000_NS6detail17trampoline_kernelINS0_14default_configENS1_38merge_sort_block_merge_config_selectorIN6thrust23THRUST_200600_302600_NS4pairIiiEENS0_10empty_typeEEEZZNS1_27merge_sort_block_merge_implIS3_NS6_6detail15normal_iteratorINS6_10device_ptrIS8_EEEEPS9_mNS6_4lessIS8_EEEE10hipError_tT0_T1_T2_jT3_P12ihipStream_tbPNSt15iterator_traitsISL_E10value_typeEPNSR_ISM_E10value_typeEPSN_NS1_7vsmem_tEENKUlT_SL_SM_SN_E_clIPS8_SG_SH_SH_EESK_S10_SL_SM_SN_EUlS10_E_NS1_11comp_targetILNS1_3genE0ELNS1_11target_archE4294967295ELNS1_3gpuE0ELNS1_3repE0EEENS1_48merge_mergepath_partition_config_static_selectorELNS0_4arch9wavefront6targetE0EEEvSM_.uses_flat_scratch, 0
	.set _ZN7rocprim17ROCPRIM_400000_NS6detail17trampoline_kernelINS0_14default_configENS1_38merge_sort_block_merge_config_selectorIN6thrust23THRUST_200600_302600_NS4pairIiiEENS0_10empty_typeEEEZZNS1_27merge_sort_block_merge_implIS3_NS6_6detail15normal_iteratorINS6_10device_ptrIS8_EEEEPS9_mNS6_4lessIS8_EEEE10hipError_tT0_T1_T2_jT3_P12ihipStream_tbPNSt15iterator_traitsISL_E10value_typeEPNSR_ISM_E10value_typeEPSN_NS1_7vsmem_tEENKUlT_SL_SM_SN_E_clIPS8_SG_SH_SH_EESK_S10_SL_SM_SN_EUlS10_E_NS1_11comp_targetILNS1_3genE0ELNS1_11target_archE4294967295ELNS1_3gpuE0ELNS1_3repE0EEENS1_48merge_mergepath_partition_config_static_selectorELNS0_4arch9wavefront6targetE0EEEvSM_.has_dyn_sized_stack, 0
	.set _ZN7rocprim17ROCPRIM_400000_NS6detail17trampoline_kernelINS0_14default_configENS1_38merge_sort_block_merge_config_selectorIN6thrust23THRUST_200600_302600_NS4pairIiiEENS0_10empty_typeEEEZZNS1_27merge_sort_block_merge_implIS3_NS6_6detail15normal_iteratorINS6_10device_ptrIS8_EEEEPS9_mNS6_4lessIS8_EEEE10hipError_tT0_T1_T2_jT3_P12ihipStream_tbPNSt15iterator_traitsISL_E10value_typeEPNSR_ISM_E10value_typeEPSN_NS1_7vsmem_tEENKUlT_SL_SM_SN_E_clIPS8_SG_SH_SH_EESK_S10_SL_SM_SN_EUlS10_E_NS1_11comp_targetILNS1_3genE0ELNS1_11target_archE4294967295ELNS1_3gpuE0ELNS1_3repE0EEENS1_48merge_mergepath_partition_config_static_selectorELNS0_4arch9wavefront6targetE0EEEvSM_.has_recursion, 0
	.set _ZN7rocprim17ROCPRIM_400000_NS6detail17trampoline_kernelINS0_14default_configENS1_38merge_sort_block_merge_config_selectorIN6thrust23THRUST_200600_302600_NS4pairIiiEENS0_10empty_typeEEEZZNS1_27merge_sort_block_merge_implIS3_NS6_6detail15normal_iteratorINS6_10device_ptrIS8_EEEEPS9_mNS6_4lessIS8_EEEE10hipError_tT0_T1_T2_jT3_P12ihipStream_tbPNSt15iterator_traitsISL_E10value_typeEPNSR_ISM_E10value_typeEPSN_NS1_7vsmem_tEENKUlT_SL_SM_SN_E_clIPS8_SG_SH_SH_EESK_S10_SL_SM_SN_EUlS10_E_NS1_11comp_targetILNS1_3genE0ELNS1_11target_archE4294967295ELNS1_3gpuE0ELNS1_3repE0EEENS1_48merge_mergepath_partition_config_static_selectorELNS0_4arch9wavefront6targetE0EEEvSM_.has_indirect_call, 0
	.section	.AMDGPU.csdata,"",@progbits
; Kernel info:
; codeLenInByte = 0
; TotalNumSgprs: 0
; NumVgprs: 0
; ScratchSize: 0
; MemoryBound: 0
; FloatMode: 240
; IeeeMode: 1
; LDSByteSize: 0 bytes/workgroup (compile time only)
; SGPRBlocks: 0
; VGPRBlocks: 0
; NumSGPRsForWavesPerEU: 1
; NumVGPRsForWavesPerEU: 1
; Occupancy: 16
; WaveLimiterHint : 0
; COMPUTE_PGM_RSRC2:SCRATCH_EN: 0
; COMPUTE_PGM_RSRC2:USER_SGPR: 6
; COMPUTE_PGM_RSRC2:TRAP_HANDLER: 0
; COMPUTE_PGM_RSRC2:TGID_X_EN: 1
; COMPUTE_PGM_RSRC2:TGID_Y_EN: 0
; COMPUTE_PGM_RSRC2:TGID_Z_EN: 0
; COMPUTE_PGM_RSRC2:TIDIG_COMP_CNT: 0
	.section	.text._ZN7rocprim17ROCPRIM_400000_NS6detail17trampoline_kernelINS0_14default_configENS1_38merge_sort_block_merge_config_selectorIN6thrust23THRUST_200600_302600_NS4pairIiiEENS0_10empty_typeEEEZZNS1_27merge_sort_block_merge_implIS3_NS6_6detail15normal_iteratorINS6_10device_ptrIS8_EEEEPS9_mNS6_4lessIS8_EEEE10hipError_tT0_T1_T2_jT3_P12ihipStream_tbPNSt15iterator_traitsISL_E10value_typeEPNSR_ISM_E10value_typeEPSN_NS1_7vsmem_tEENKUlT_SL_SM_SN_E_clIPS8_SG_SH_SH_EESK_S10_SL_SM_SN_EUlS10_E_NS1_11comp_targetILNS1_3genE10ELNS1_11target_archE1201ELNS1_3gpuE5ELNS1_3repE0EEENS1_48merge_mergepath_partition_config_static_selectorELNS0_4arch9wavefront6targetE0EEEvSM_,"axG",@progbits,_ZN7rocprim17ROCPRIM_400000_NS6detail17trampoline_kernelINS0_14default_configENS1_38merge_sort_block_merge_config_selectorIN6thrust23THRUST_200600_302600_NS4pairIiiEENS0_10empty_typeEEEZZNS1_27merge_sort_block_merge_implIS3_NS6_6detail15normal_iteratorINS6_10device_ptrIS8_EEEEPS9_mNS6_4lessIS8_EEEE10hipError_tT0_T1_T2_jT3_P12ihipStream_tbPNSt15iterator_traitsISL_E10value_typeEPNSR_ISM_E10value_typeEPSN_NS1_7vsmem_tEENKUlT_SL_SM_SN_E_clIPS8_SG_SH_SH_EESK_S10_SL_SM_SN_EUlS10_E_NS1_11comp_targetILNS1_3genE10ELNS1_11target_archE1201ELNS1_3gpuE5ELNS1_3repE0EEENS1_48merge_mergepath_partition_config_static_selectorELNS0_4arch9wavefront6targetE0EEEvSM_,comdat
	.protected	_ZN7rocprim17ROCPRIM_400000_NS6detail17trampoline_kernelINS0_14default_configENS1_38merge_sort_block_merge_config_selectorIN6thrust23THRUST_200600_302600_NS4pairIiiEENS0_10empty_typeEEEZZNS1_27merge_sort_block_merge_implIS3_NS6_6detail15normal_iteratorINS6_10device_ptrIS8_EEEEPS9_mNS6_4lessIS8_EEEE10hipError_tT0_T1_T2_jT3_P12ihipStream_tbPNSt15iterator_traitsISL_E10value_typeEPNSR_ISM_E10value_typeEPSN_NS1_7vsmem_tEENKUlT_SL_SM_SN_E_clIPS8_SG_SH_SH_EESK_S10_SL_SM_SN_EUlS10_E_NS1_11comp_targetILNS1_3genE10ELNS1_11target_archE1201ELNS1_3gpuE5ELNS1_3repE0EEENS1_48merge_mergepath_partition_config_static_selectorELNS0_4arch9wavefront6targetE0EEEvSM_ ; -- Begin function _ZN7rocprim17ROCPRIM_400000_NS6detail17trampoline_kernelINS0_14default_configENS1_38merge_sort_block_merge_config_selectorIN6thrust23THRUST_200600_302600_NS4pairIiiEENS0_10empty_typeEEEZZNS1_27merge_sort_block_merge_implIS3_NS6_6detail15normal_iteratorINS6_10device_ptrIS8_EEEEPS9_mNS6_4lessIS8_EEEE10hipError_tT0_T1_T2_jT3_P12ihipStream_tbPNSt15iterator_traitsISL_E10value_typeEPNSR_ISM_E10value_typeEPSN_NS1_7vsmem_tEENKUlT_SL_SM_SN_E_clIPS8_SG_SH_SH_EESK_S10_SL_SM_SN_EUlS10_E_NS1_11comp_targetILNS1_3genE10ELNS1_11target_archE1201ELNS1_3gpuE5ELNS1_3repE0EEENS1_48merge_mergepath_partition_config_static_selectorELNS0_4arch9wavefront6targetE0EEEvSM_
	.globl	_ZN7rocprim17ROCPRIM_400000_NS6detail17trampoline_kernelINS0_14default_configENS1_38merge_sort_block_merge_config_selectorIN6thrust23THRUST_200600_302600_NS4pairIiiEENS0_10empty_typeEEEZZNS1_27merge_sort_block_merge_implIS3_NS6_6detail15normal_iteratorINS6_10device_ptrIS8_EEEEPS9_mNS6_4lessIS8_EEEE10hipError_tT0_T1_T2_jT3_P12ihipStream_tbPNSt15iterator_traitsISL_E10value_typeEPNSR_ISM_E10value_typeEPSN_NS1_7vsmem_tEENKUlT_SL_SM_SN_E_clIPS8_SG_SH_SH_EESK_S10_SL_SM_SN_EUlS10_E_NS1_11comp_targetILNS1_3genE10ELNS1_11target_archE1201ELNS1_3gpuE5ELNS1_3repE0EEENS1_48merge_mergepath_partition_config_static_selectorELNS0_4arch9wavefront6targetE0EEEvSM_
	.p2align	8
	.type	_ZN7rocprim17ROCPRIM_400000_NS6detail17trampoline_kernelINS0_14default_configENS1_38merge_sort_block_merge_config_selectorIN6thrust23THRUST_200600_302600_NS4pairIiiEENS0_10empty_typeEEEZZNS1_27merge_sort_block_merge_implIS3_NS6_6detail15normal_iteratorINS6_10device_ptrIS8_EEEEPS9_mNS6_4lessIS8_EEEE10hipError_tT0_T1_T2_jT3_P12ihipStream_tbPNSt15iterator_traitsISL_E10value_typeEPNSR_ISM_E10value_typeEPSN_NS1_7vsmem_tEENKUlT_SL_SM_SN_E_clIPS8_SG_SH_SH_EESK_S10_SL_SM_SN_EUlS10_E_NS1_11comp_targetILNS1_3genE10ELNS1_11target_archE1201ELNS1_3gpuE5ELNS1_3repE0EEENS1_48merge_mergepath_partition_config_static_selectorELNS0_4arch9wavefront6targetE0EEEvSM_,@function
_ZN7rocprim17ROCPRIM_400000_NS6detail17trampoline_kernelINS0_14default_configENS1_38merge_sort_block_merge_config_selectorIN6thrust23THRUST_200600_302600_NS4pairIiiEENS0_10empty_typeEEEZZNS1_27merge_sort_block_merge_implIS3_NS6_6detail15normal_iteratorINS6_10device_ptrIS8_EEEEPS9_mNS6_4lessIS8_EEEE10hipError_tT0_T1_T2_jT3_P12ihipStream_tbPNSt15iterator_traitsISL_E10value_typeEPNSR_ISM_E10value_typeEPSN_NS1_7vsmem_tEENKUlT_SL_SM_SN_E_clIPS8_SG_SH_SH_EESK_S10_SL_SM_SN_EUlS10_E_NS1_11comp_targetILNS1_3genE10ELNS1_11target_archE1201ELNS1_3gpuE5ELNS1_3repE0EEENS1_48merge_mergepath_partition_config_static_selectorELNS0_4arch9wavefront6targetE0EEEvSM_: ; @_ZN7rocprim17ROCPRIM_400000_NS6detail17trampoline_kernelINS0_14default_configENS1_38merge_sort_block_merge_config_selectorIN6thrust23THRUST_200600_302600_NS4pairIiiEENS0_10empty_typeEEEZZNS1_27merge_sort_block_merge_implIS3_NS6_6detail15normal_iteratorINS6_10device_ptrIS8_EEEEPS9_mNS6_4lessIS8_EEEE10hipError_tT0_T1_T2_jT3_P12ihipStream_tbPNSt15iterator_traitsISL_E10value_typeEPNSR_ISM_E10value_typeEPSN_NS1_7vsmem_tEENKUlT_SL_SM_SN_E_clIPS8_SG_SH_SH_EESK_S10_SL_SM_SN_EUlS10_E_NS1_11comp_targetILNS1_3genE10ELNS1_11target_archE1201ELNS1_3gpuE5ELNS1_3repE0EEENS1_48merge_mergepath_partition_config_static_selectorELNS0_4arch9wavefront6targetE0EEEvSM_
; %bb.0:
	.section	.rodata,"a",@progbits
	.p2align	6, 0x0
	.amdhsa_kernel _ZN7rocprim17ROCPRIM_400000_NS6detail17trampoline_kernelINS0_14default_configENS1_38merge_sort_block_merge_config_selectorIN6thrust23THRUST_200600_302600_NS4pairIiiEENS0_10empty_typeEEEZZNS1_27merge_sort_block_merge_implIS3_NS6_6detail15normal_iteratorINS6_10device_ptrIS8_EEEEPS9_mNS6_4lessIS8_EEEE10hipError_tT0_T1_T2_jT3_P12ihipStream_tbPNSt15iterator_traitsISL_E10value_typeEPNSR_ISM_E10value_typeEPSN_NS1_7vsmem_tEENKUlT_SL_SM_SN_E_clIPS8_SG_SH_SH_EESK_S10_SL_SM_SN_EUlS10_E_NS1_11comp_targetILNS1_3genE10ELNS1_11target_archE1201ELNS1_3gpuE5ELNS1_3repE0EEENS1_48merge_mergepath_partition_config_static_selectorELNS0_4arch9wavefront6targetE0EEEvSM_
		.amdhsa_group_segment_fixed_size 0
		.amdhsa_private_segment_fixed_size 0
		.amdhsa_kernarg_size 48
		.amdhsa_user_sgpr_count 6
		.amdhsa_user_sgpr_private_segment_buffer 1
		.amdhsa_user_sgpr_dispatch_ptr 0
		.amdhsa_user_sgpr_queue_ptr 0
		.amdhsa_user_sgpr_kernarg_segment_ptr 1
		.amdhsa_user_sgpr_dispatch_id 0
		.amdhsa_user_sgpr_flat_scratch_init 0
		.amdhsa_user_sgpr_private_segment_size 0
		.amdhsa_wavefront_size32 1
		.amdhsa_uses_dynamic_stack 0
		.amdhsa_system_sgpr_private_segment_wavefront_offset 0
		.amdhsa_system_sgpr_workgroup_id_x 1
		.amdhsa_system_sgpr_workgroup_id_y 0
		.amdhsa_system_sgpr_workgroup_id_z 0
		.amdhsa_system_sgpr_workgroup_info 0
		.amdhsa_system_vgpr_workitem_id 0
		.amdhsa_next_free_vgpr 1
		.amdhsa_next_free_sgpr 1
		.amdhsa_reserve_vcc 0
		.amdhsa_reserve_flat_scratch 0
		.amdhsa_float_round_mode_32 0
		.amdhsa_float_round_mode_16_64 0
		.amdhsa_float_denorm_mode_32 3
		.amdhsa_float_denorm_mode_16_64 3
		.amdhsa_dx10_clamp 1
		.amdhsa_ieee_mode 1
		.amdhsa_fp16_overflow 0
		.amdhsa_workgroup_processor_mode 1
		.amdhsa_memory_ordered 1
		.amdhsa_forward_progress 1
		.amdhsa_shared_vgpr_count 0
		.amdhsa_exception_fp_ieee_invalid_op 0
		.amdhsa_exception_fp_denorm_src 0
		.amdhsa_exception_fp_ieee_div_zero 0
		.amdhsa_exception_fp_ieee_overflow 0
		.amdhsa_exception_fp_ieee_underflow 0
		.amdhsa_exception_fp_ieee_inexact 0
		.amdhsa_exception_int_div_zero 0
	.end_amdhsa_kernel
	.section	.text._ZN7rocprim17ROCPRIM_400000_NS6detail17trampoline_kernelINS0_14default_configENS1_38merge_sort_block_merge_config_selectorIN6thrust23THRUST_200600_302600_NS4pairIiiEENS0_10empty_typeEEEZZNS1_27merge_sort_block_merge_implIS3_NS6_6detail15normal_iteratorINS6_10device_ptrIS8_EEEEPS9_mNS6_4lessIS8_EEEE10hipError_tT0_T1_T2_jT3_P12ihipStream_tbPNSt15iterator_traitsISL_E10value_typeEPNSR_ISM_E10value_typeEPSN_NS1_7vsmem_tEENKUlT_SL_SM_SN_E_clIPS8_SG_SH_SH_EESK_S10_SL_SM_SN_EUlS10_E_NS1_11comp_targetILNS1_3genE10ELNS1_11target_archE1201ELNS1_3gpuE5ELNS1_3repE0EEENS1_48merge_mergepath_partition_config_static_selectorELNS0_4arch9wavefront6targetE0EEEvSM_,"axG",@progbits,_ZN7rocprim17ROCPRIM_400000_NS6detail17trampoline_kernelINS0_14default_configENS1_38merge_sort_block_merge_config_selectorIN6thrust23THRUST_200600_302600_NS4pairIiiEENS0_10empty_typeEEEZZNS1_27merge_sort_block_merge_implIS3_NS6_6detail15normal_iteratorINS6_10device_ptrIS8_EEEEPS9_mNS6_4lessIS8_EEEE10hipError_tT0_T1_T2_jT3_P12ihipStream_tbPNSt15iterator_traitsISL_E10value_typeEPNSR_ISM_E10value_typeEPSN_NS1_7vsmem_tEENKUlT_SL_SM_SN_E_clIPS8_SG_SH_SH_EESK_S10_SL_SM_SN_EUlS10_E_NS1_11comp_targetILNS1_3genE10ELNS1_11target_archE1201ELNS1_3gpuE5ELNS1_3repE0EEENS1_48merge_mergepath_partition_config_static_selectorELNS0_4arch9wavefront6targetE0EEEvSM_,comdat
.Lfunc_end634:
	.size	_ZN7rocprim17ROCPRIM_400000_NS6detail17trampoline_kernelINS0_14default_configENS1_38merge_sort_block_merge_config_selectorIN6thrust23THRUST_200600_302600_NS4pairIiiEENS0_10empty_typeEEEZZNS1_27merge_sort_block_merge_implIS3_NS6_6detail15normal_iteratorINS6_10device_ptrIS8_EEEEPS9_mNS6_4lessIS8_EEEE10hipError_tT0_T1_T2_jT3_P12ihipStream_tbPNSt15iterator_traitsISL_E10value_typeEPNSR_ISM_E10value_typeEPSN_NS1_7vsmem_tEENKUlT_SL_SM_SN_E_clIPS8_SG_SH_SH_EESK_S10_SL_SM_SN_EUlS10_E_NS1_11comp_targetILNS1_3genE10ELNS1_11target_archE1201ELNS1_3gpuE5ELNS1_3repE0EEENS1_48merge_mergepath_partition_config_static_selectorELNS0_4arch9wavefront6targetE0EEEvSM_, .Lfunc_end634-_ZN7rocprim17ROCPRIM_400000_NS6detail17trampoline_kernelINS0_14default_configENS1_38merge_sort_block_merge_config_selectorIN6thrust23THRUST_200600_302600_NS4pairIiiEENS0_10empty_typeEEEZZNS1_27merge_sort_block_merge_implIS3_NS6_6detail15normal_iteratorINS6_10device_ptrIS8_EEEEPS9_mNS6_4lessIS8_EEEE10hipError_tT0_T1_T2_jT3_P12ihipStream_tbPNSt15iterator_traitsISL_E10value_typeEPNSR_ISM_E10value_typeEPSN_NS1_7vsmem_tEENKUlT_SL_SM_SN_E_clIPS8_SG_SH_SH_EESK_S10_SL_SM_SN_EUlS10_E_NS1_11comp_targetILNS1_3genE10ELNS1_11target_archE1201ELNS1_3gpuE5ELNS1_3repE0EEENS1_48merge_mergepath_partition_config_static_selectorELNS0_4arch9wavefront6targetE0EEEvSM_
                                        ; -- End function
	.set _ZN7rocprim17ROCPRIM_400000_NS6detail17trampoline_kernelINS0_14default_configENS1_38merge_sort_block_merge_config_selectorIN6thrust23THRUST_200600_302600_NS4pairIiiEENS0_10empty_typeEEEZZNS1_27merge_sort_block_merge_implIS3_NS6_6detail15normal_iteratorINS6_10device_ptrIS8_EEEEPS9_mNS6_4lessIS8_EEEE10hipError_tT0_T1_T2_jT3_P12ihipStream_tbPNSt15iterator_traitsISL_E10value_typeEPNSR_ISM_E10value_typeEPSN_NS1_7vsmem_tEENKUlT_SL_SM_SN_E_clIPS8_SG_SH_SH_EESK_S10_SL_SM_SN_EUlS10_E_NS1_11comp_targetILNS1_3genE10ELNS1_11target_archE1201ELNS1_3gpuE5ELNS1_3repE0EEENS1_48merge_mergepath_partition_config_static_selectorELNS0_4arch9wavefront6targetE0EEEvSM_.num_vgpr, 0
	.set _ZN7rocprim17ROCPRIM_400000_NS6detail17trampoline_kernelINS0_14default_configENS1_38merge_sort_block_merge_config_selectorIN6thrust23THRUST_200600_302600_NS4pairIiiEENS0_10empty_typeEEEZZNS1_27merge_sort_block_merge_implIS3_NS6_6detail15normal_iteratorINS6_10device_ptrIS8_EEEEPS9_mNS6_4lessIS8_EEEE10hipError_tT0_T1_T2_jT3_P12ihipStream_tbPNSt15iterator_traitsISL_E10value_typeEPNSR_ISM_E10value_typeEPSN_NS1_7vsmem_tEENKUlT_SL_SM_SN_E_clIPS8_SG_SH_SH_EESK_S10_SL_SM_SN_EUlS10_E_NS1_11comp_targetILNS1_3genE10ELNS1_11target_archE1201ELNS1_3gpuE5ELNS1_3repE0EEENS1_48merge_mergepath_partition_config_static_selectorELNS0_4arch9wavefront6targetE0EEEvSM_.num_agpr, 0
	.set _ZN7rocprim17ROCPRIM_400000_NS6detail17trampoline_kernelINS0_14default_configENS1_38merge_sort_block_merge_config_selectorIN6thrust23THRUST_200600_302600_NS4pairIiiEENS0_10empty_typeEEEZZNS1_27merge_sort_block_merge_implIS3_NS6_6detail15normal_iteratorINS6_10device_ptrIS8_EEEEPS9_mNS6_4lessIS8_EEEE10hipError_tT0_T1_T2_jT3_P12ihipStream_tbPNSt15iterator_traitsISL_E10value_typeEPNSR_ISM_E10value_typeEPSN_NS1_7vsmem_tEENKUlT_SL_SM_SN_E_clIPS8_SG_SH_SH_EESK_S10_SL_SM_SN_EUlS10_E_NS1_11comp_targetILNS1_3genE10ELNS1_11target_archE1201ELNS1_3gpuE5ELNS1_3repE0EEENS1_48merge_mergepath_partition_config_static_selectorELNS0_4arch9wavefront6targetE0EEEvSM_.numbered_sgpr, 0
	.set _ZN7rocprim17ROCPRIM_400000_NS6detail17trampoline_kernelINS0_14default_configENS1_38merge_sort_block_merge_config_selectorIN6thrust23THRUST_200600_302600_NS4pairIiiEENS0_10empty_typeEEEZZNS1_27merge_sort_block_merge_implIS3_NS6_6detail15normal_iteratorINS6_10device_ptrIS8_EEEEPS9_mNS6_4lessIS8_EEEE10hipError_tT0_T1_T2_jT3_P12ihipStream_tbPNSt15iterator_traitsISL_E10value_typeEPNSR_ISM_E10value_typeEPSN_NS1_7vsmem_tEENKUlT_SL_SM_SN_E_clIPS8_SG_SH_SH_EESK_S10_SL_SM_SN_EUlS10_E_NS1_11comp_targetILNS1_3genE10ELNS1_11target_archE1201ELNS1_3gpuE5ELNS1_3repE0EEENS1_48merge_mergepath_partition_config_static_selectorELNS0_4arch9wavefront6targetE0EEEvSM_.num_named_barrier, 0
	.set _ZN7rocprim17ROCPRIM_400000_NS6detail17trampoline_kernelINS0_14default_configENS1_38merge_sort_block_merge_config_selectorIN6thrust23THRUST_200600_302600_NS4pairIiiEENS0_10empty_typeEEEZZNS1_27merge_sort_block_merge_implIS3_NS6_6detail15normal_iteratorINS6_10device_ptrIS8_EEEEPS9_mNS6_4lessIS8_EEEE10hipError_tT0_T1_T2_jT3_P12ihipStream_tbPNSt15iterator_traitsISL_E10value_typeEPNSR_ISM_E10value_typeEPSN_NS1_7vsmem_tEENKUlT_SL_SM_SN_E_clIPS8_SG_SH_SH_EESK_S10_SL_SM_SN_EUlS10_E_NS1_11comp_targetILNS1_3genE10ELNS1_11target_archE1201ELNS1_3gpuE5ELNS1_3repE0EEENS1_48merge_mergepath_partition_config_static_selectorELNS0_4arch9wavefront6targetE0EEEvSM_.private_seg_size, 0
	.set _ZN7rocprim17ROCPRIM_400000_NS6detail17trampoline_kernelINS0_14default_configENS1_38merge_sort_block_merge_config_selectorIN6thrust23THRUST_200600_302600_NS4pairIiiEENS0_10empty_typeEEEZZNS1_27merge_sort_block_merge_implIS3_NS6_6detail15normal_iteratorINS6_10device_ptrIS8_EEEEPS9_mNS6_4lessIS8_EEEE10hipError_tT0_T1_T2_jT3_P12ihipStream_tbPNSt15iterator_traitsISL_E10value_typeEPNSR_ISM_E10value_typeEPSN_NS1_7vsmem_tEENKUlT_SL_SM_SN_E_clIPS8_SG_SH_SH_EESK_S10_SL_SM_SN_EUlS10_E_NS1_11comp_targetILNS1_3genE10ELNS1_11target_archE1201ELNS1_3gpuE5ELNS1_3repE0EEENS1_48merge_mergepath_partition_config_static_selectorELNS0_4arch9wavefront6targetE0EEEvSM_.uses_vcc, 0
	.set _ZN7rocprim17ROCPRIM_400000_NS6detail17trampoline_kernelINS0_14default_configENS1_38merge_sort_block_merge_config_selectorIN6thrust23THRUST_200600_302600_NS4pairIiiEENS0_10empty_typeEEEZZNS1_27merge_sort_block_merge_implIS3_NS6_6detail15normal_iteratorINS6_10device_ptrIS8_EEEEPS9_mNS6_4lessIS8_EEEE10hipError_tT0_T1_T2_jT3_P12ihipStream_tbPNSt15iterator_traitsISL_E10value_typeEPNSR_ISM_E10value_typeEPSN_NS1_7vsmem_tEENKUlT_SL_SM_SN_E_clIPS8_SG_SH_SH_EESK_S10_SL_SM_SN_EUlS10_E_NS1_11comp_targetILNS1_3genE10ELNS1_11target_archE1201ELNS1_3gpuE5ELNS1_3repE0EEENS1_48merge_mergepath_partition_config_static_selectorELNS0_4arch9wavefront6targetE0EEEvSM_.uses_flat_scratch, 0
	.set _ZN7rocprim17ROCPRIM_400000_NS6detail17trampoline_kernelINS0_14default_configENS1_38merge_sort_block_merge_config_selectorIN6thrust23THRUST_200600_302600_NS4pairIiiEENS0_10empty_typeEEEZZNS1_27merge_sort_block_merge_implIS3_NS6_6detail15normal_iteratorINS6_10device_ptrIS8_EEEEPS9_mNS6_4lessIS8_EEEE10hipError_tT0_T1_T2_jT3_P12ihipStream_tbPNSt15iterator_traitsISL_E10value_typeEPNSR_ISM_E10value_typeEPSN_NS1_7vsmem_tEENKUlT_SL_SM_SN_E_clIPS8_SG_SH_SH_EESK_S10_SL_SM_SN_EUlS10_E_NS1_11comp_targetILNS1_3genE10ELNS1_11target_archE1201ELNS1_3gpuE5ELNS1_3repE0EEENS1_48merge_mergepath_partition_config_static_selectorELNS0_4arch9wavefront6targetE0EEEvSM_.has_dyn_sized_stack, 0
	.set _ZN7rocprim17ROCPRIM_400000_NS6detail17trampoline_kernelINS0_14default_configENS1_38merge_sort_block_merge_config_selectorIN6thrust23THRUST_200600_302600_NS4pairIiiEENS0_10empty_typeEEEZZNS1_27merge_sort_block_merge_implIS3_NS6_6detail15normal_iteratorINS6_10device_ptrIS8_EEEEPS9_mNS6_4lessIS8_EEEE10hipError_tT0_T1_T2_jT3_P12ihipStream_tbPNSt15iterator_traitsISL_E10value_typeEPNSR_ISM_E10value_typeEPSN_NS1_7vsmem_tEENKUlT_SL_SM_SN_E_clIPS8_SG_SH_SH_EESK_S10_SL_SM_SN_EUlS10_E_NS1_11comp_targetILNS1_3genE10ELNS1_11target_archE1201ELNS1_3gpuE5ELNS1_3repE0EEENS1_48merge_mergepath_partition_config_static_selectorELNS0_4arch9wavefront6targetE0EEEvSM_.has_recursion, 0
	.set _ZN7rocprim17ROCPRIM_400000_NS6detail17trampoline_kernelINS0_14default_configENS1_38merge_sort_block_merge_config_selectorIN6thrust23THRUST_200600_302600_NS4pairIiiEENS0_10empty_typeEEEZZNS1_27merge_sort_block_merge_implIS3_NS6_6detail15normal_iteratorINS6_10device_ptrIS8_EEEEPS9_mNS6_4lessIS8_EEEE10hipError_tT0_T1_T2_jT3_P12ihipStream_tbPNSt15iterator_traitsISL_E10value_typeEPNSR_ISM_E10value_typeEPSN_NS1_7vsmem_tEENKUlT_SL_SM_SN_E_clIPS8_SG_SH_SH_EESK_S10_SL_SM_SN_EUlS10_E_NS1_11comp_targetILNS1_3genE10ELNS1_11target_archE1201ELNS1_3gpuE5ELNS1_3repE0EEENS1_48merge_mergepath_partition_config_static_selectorELNS0_4arch9wavefront6targetE0EEEvSM_.has_indirect_call, 0
	.section	.AMDGPU.csdata,"",@progbits
; Kernel info:
; codeLenInByte = 0
; TotalNumSgprs: 0
; NumVgprs: 0
; ScratchSize: 0
; MemoryBound: 0
; FloatMode: 240
; IeeeMode: 1
; LDSByteSize: 0 bytes/workgroup (compile time only)
; SGPRBlocks: 0
; VGPRBlocks: 0
; NumSGPRsForWavesPerEU: 1
; NumVGPRsForWavesPerEU: 1
; Occupancy: 16
; WaveLimiterHint : 0
; COMPUTE_PGM_RSRC2:SCRATCH_EN: 0
; COMPUTE_PGM_RSRC2:USER_SGPR: 6
; COMPUTE_PGM_RSRC2:TRAP_HANDLER: 0
; COMPUTE_PGM_RSRC2:TGID_X_EN: 1
; COMPUTE_PGM_RSRC2:TGID_Y_EN: 0
; COMPUTE_PGM_RSRC2:TGID_Z_EN: 0
; COMPUTE_PGM_RSRC2:TIDIG_COMP_CNT: 0
	.section	.text._ZN7rocprim17ROCPRIM_400000_NS6detail17trampoline_kernelINS0_14default_configENS1_38merge_sort_block_merge_config_selectorIN6thrust23THRUST_200600_302600_NS4pairIiiEENS0_10empty_typeEEEZZNS1_27merge_sort_block_merge_implIS3_NS6_6detail15normal_iteratorINS6_10device_ptrIS8_EEEEPS9_mNS6_4lessIS8_EEEE10hipError_tT0_T1_T2_jT3_P12ihipStream_tbPNSt15iterator_traitsISL_E10value_typeEPNSR_ISM_E10value_typeEPSN_NS1_7vsmem_tEENKUlT_SL_SM_SN_E_clIPS8_SG_SH_SH_EESK_S10_SL_SM_SN_EUlS10_E_NS1_11comp_targetILNS1_3genE5ELNS1_11target_archE942ELNS1_3gpuE9ELNS1_3repE0EEENS1_48merge_mergepath_partition_config_static_selectorELNS0_4arch9wavefront6targetE0EEEvSM_,"axG",@progbits,_ZN7rocprim17ROCPRIM_400000_NS6detail17trampoline_kernelINS0_14default_configENS1_38merge_sort_block_merge_config_selectorIN6thrust23THRUST_200600_302600_NS4pairIiiEENS0_10empty_typeEEEZZNS1_27merge_sort_block_merge_implIS3_NS6_6detail15normal_iteratorINS6_10device_ptrIS8_EEEEPS9_mNS6_4lessIS8_EEEE10hipError_tT0_T1_T2_jT3_P12ihipStream_tbPNSt15iterator_traitsISL_E10value_typeEPNSR_ISM_E10value_typeEPSN_NS1_7vsmem_tEENKUlT_SL_SM_SN_E_clIPS8_SG_SH_SH_EESK_S10_SL_SM_SN_EUlS10_E_NS1_11comp_targetILNS1_3genE5ELNS1_11target_archE942ELNS1_3gpuE9ELNS1_3repE0EEENS1_48merge_mergepath_partition_config_static_selectorELNS0_4arch9wavefront6targetE0EEEvSM_,comdat
	.protected	_ZN7rocprim17ROCPRIM_400000_NS6detail17trampoline_kernelINS0_14default_configENS1_38merge_sort_block_merge_config_selectorIN6thrust23THRUST_200600_302600_NS4pairIiiEENS0_10empty_typeEEEZZNS1_27merge_sort_block_merge_implIS3_NS6_6detail15normal_iteratorINS6_10device_ptrIS8_EEEEPS9_mNS6_4lessIS8_EEEE10hipError_tT0_T1_T2_jT3_P12ihipStream_tbPNSt15iterator_traitsISL_E10value_typeEPNSR_ISM_E10value_typeEPSN_NS1_7vsmem_tEENKUlT_SL_SM_SN_E_clIPS8_SG_SH_SH_EESK_S10_SL_SM_SN_EUlS10_E_NS1_11comp_targetILNS1_3genE5ELNS1_11target_archE942ELNS1_3gpuE9ELNS1_3repE0EEENS1_48merge_mergepath_partition_config_static_selectorELNS0_4arch9wavefront6targetE0EEEvSM_ ; -- Begin function _ZN7rocprim17ROCPRIM_400000_NS6detail17trampoline_kernelINS0_14default_configENS1_38merge_sort_block_merge_config_selectorIN6thrust23THRUST_200600_302600_NS4pairIiiEENS0_10empty_typeEEEZZNS1_27merge_sort_block_merge_implIS3_NS6_6detail15normal_iteratorINS6_10device_ptrIS8_EEEEPS9_mNS6_4lessIS8_EEEE10hipError_tT0_T1_T2_jT3_P12ihipStream_tbPNSt15iterator_traitsISL_E10value_typeEPNSR_ISM_E10value_typeEPSN_NS1_7vsmem_tEENKUlT_SL_SM_SN_E_clIPS8_SG_SH_SH_EESK_S10_SL_SM_SN_EUlS10_E_NS1_11comp_targetILNS1_3genE5ELNS1_11target_archE942ELNS1_3gpuE9ELNS1_3repE0EEENS1_48merge_mergepath_partition_config_static_selectorELNS0_4arch9wavefront6targetE0EEEvSM_
	.globl	_ZN7rocprim17ROCPRIM_400000_NS6detail17trampoline_kernelINS0_14default_configENS1_38merge_sort_block_merge_config_selectorIN6thrust23THRUST_200600_302600_NS4pairIiiEENS0_10empty_typeEEEZZNS1_27merge_sort_block_merge_implIS3_NS6_6detail15normal_iteratorINS6_10device_ptrIS8_EEEEPS9_mNS6_4lessIS8_EEEE10hipError_tT0_T1_T2_jT3_P12ihipStream_tbPNSt15iterator_traitsISL_E10value_typeEPNSR_ISM_E10value_typeEPSN_NS1_7vsmem_tEENKUlT_SL_SM_SN_E_clIPS8_SG_SH_SH_EESK_S10_SL_SM_SN_EUlS10_E_NS1_11comp_targetILNS1_3genE5ELNS1_11target_archE942ELNS1_3gpuE9ELNS1_3repE0EEENS1_48merge_mergepath_partition_config_static_selectorELNS0_4arch9wavefront6targetE0EEEvSM_
	.p2align	8
	.type	_ZN7rocprim17ROCPRIM_400000_NS6detail17trampoline_kernelINS0_14default_configENS1_38merge_sort_block_merge_config_selectorIN6thrust23THRUST_200600_302600_NS4pairIiiEENS0_10empty_typeEEEZZNS1_27merge_sort_block_merge_implIS3_NS6_6detail15normal_iteratorINS6_10device_ptrIS8_EEEEPS9_mNS6_4lessIS8_EEEE10hipError_tT0_T1_T2_jT3_P12ihipStream_tbPNSt15iterator_traitsISL_E10value_typeEPNSR_ISM_E10value_typeEPSN_NS1_7vsmem_tEENKUlT_SL_SM_SN_E_clIPS8_SG_SH_SH_EESK_S10_SL_SM_SN_EUlS10_E_NS1_11comp_targetILNS1_3genE5ELNS1_11target_archE942ELNS1_3gpuE9ELNS1_3repE0EEENS1_48merge_mergepath_partition_config_static_selectorELNS0_4arch9wavefront6targetE0EEEvSM_,@function
_ZN7rocprim17ROCPRIM_400000_NS6detail17trampoline_kernelINS0_14default_configENS1_38merge_sort_block_merge_config_selectorIN6thrust23THRUST_200600_302600_NS4pairIiiEENS0_10empty_typeEEEZZNS1_27merge_sort_block_merge_implIS3_NS6_6detail15normal_iteratorINS6_10device_ptrIS8_EEEEPS9_mNS6_4lessIS8_EEEE10hipError_tT0_T1_T2_jT3_P12ihipStream_tbPNSt15iterator_traitsISL_E10value_typeEPNSR_ISM_E10value_typeEPSN_NS1_7vsmem_tEENKUlT_SL_SM_SN_E_clIPS8_SG_SH_SH_EESK_S10_SL_SM_SN_EUlS10_E_NS1_11comp_targetILNS1_3genE5ELNS1_11target_archE942ELNS1_3gpuE9ELNS1_3repE0EEENS1_48merge_mergepath_partition_config_static_selectorELNS0_4arch9wavefront6targetE0EEEvSM_: ; @_ZN7rocprim17ROCPRIM_400000_NS6detail17trampoline_kernelINS0_14default_configENS1_38merge_sort_block_merge_config_selectorIN6thrust23THRUST_200600_302600_NS4pairIiiEENS0_10empty_typeEEEZZNS1_27merge_sort_block_merge_implIS3_NS6_6detail15normal_iteratorINS6_10device_ptrIS8_EEEEPS9_mNS6_4lessIS8_EEEE10hipError_tT0_T1_T2_jT3_P12ihipStream_tbPNSt15iterator_traitsISL_E10value_typeEPNSR_ISM_E10value_typeEPSN_NS1_7vsmem_tEENKUlT_SL_SM_SN_E_clIPS8_SG_SH_SH_EESK_S10_SL_SM_SN_EUlS10_E_NS1_11comp_targetILNS1_3genE5ELNS1_11target_archE942ELNS1_3gpuE9ELNS1_3repE0EEENS1_48merge_mergepath_partition_config_static_selectorELNS0_4arch9wavefront6targetE0EEEvSM_
; %bb.0:
	.section	.rodata,"a",@progbits
	.p2align	6, 0x0
	.amdhsa_kernel _ZN7rocprim17ROCPRIM_400000_NS6detail17trampoline_kernelINS0_14default_configENS1_38merge_sort_block_merge_config_selectorIN6thrust23THRUST_200600_302600_NS4pairIiiEENS0_10empty_typeEEEZZNS1_27merge_sort_block_merge_implIS3_NS6_6detail15normal_iteratorINS6_10device_ptrIS8_EEEEPS9_mNS6_4lessIS8_EEEE10hipError_tT0_T1_T2_jT3_P12ihipStream_tbPNSt15iterator_traitsISL_E10value_typeEPNSR_ISM_E10value_typeEPSN_NS1_7vsmem_tEENKUlT_SL_SM_SN_E_clIPS8_SG_SH_SH_EESK_S10_SL_SM_SN_EUlS10_E_NS1_11comp_targetILNS1_3genE5ELNS1_11target_archE942ELNS1_3gpuE9ELNS1_3repE0EEENS1_48merge_mergepath_partition_config_static_selectorELNS0_4arch9wavefront6targetE0EEEvSM_
		.amdhsa_group_segment_fixed_size 0
		.amdhsa_private_segment_fixed_size 0
		.amdhsa_kernarg_size 48
		.amdhsa_user_sgpr_count 6
		.amdhsa_user_sgpr_private_segment_buffer 1
		.amdhsa_user_sgpr_dispatch_ptr 0
		.amdhsa_user_sgpr_queue_ptr 0
		.amdhsa_user_sgpr_kernarg_segment_ptr 1
		.amdhsa_user_sgpr_dispatch_id 0
		.amdhsa_user_sgpr_flat_scratch_init 0
		.amdhsa_user_sgpr_private_segment_size 0
		.amdhsa_wavefront_size32 1
		.amdhsa_uses_dynamic_stack 0
		.amdhsa_system_sgpr_private_segment_wavefront_offset 0
		.amdhsa_system_sgpr_workgroup_id_x 1
		.amdhsa_system_sgpr_workgroup_id_y 0
		.amdhsa_system_sgpr_workgroup_id_z 0
		.amdhsa_system_sgpr_workgroup_info 0
		.amdhsa_system_vgpr_workitem_id 0
		.amdhsa_next_free_vgpr 1
		.amdhsa_next_free_sgpr 1
		.amdhsa_reserve_vcc 0
		.amdhsa_reserve_flat_scratch 0
		.amdhsa_float_round_mode_32 0
		.amdhsa_float_round_mode_16_64 0
		.amdhsa_float_denorm_mode_32 3
		.amdhsa_float_denorm_mode_16_64 3
		.amdhsa_dx10_clamp 1
		.amdhsa_ieee_mode 1
		.amdhsa_fp16_overflow 0
		.amdhsa_workgroup_processor_mode 1
		.amdhsa_memory_ordered 1
		.amdhsa_forward_progress 1
		.amdhsa_shared_vgpr_count 0
		.amdhsa_exception_fp_ieee_invalid_op 0
		.amdhsa_exception_fp_denorm_src 0
		.amdhsa_exception_fp_ieee_div_zero 0
		.amdhsa_exception_fp_ieee_overflow 0
		.amdhsa_exception_fp_ieee_underflow 0
		.amdhsa_exception_fp_ieee_inexact 0
		.amdhsa_exception_int_div_zero 0
	.end_amdhsa_kernel
	.section	.text._ZN7rocprim17ROCPRIM_400000_NS6detail17trampoline_kernelINS0_14default_configENS1_38merge_sort_block_merge_config_selectorIN6thrust23THRUST_200600_302600_NS4pairIiiEENS0_10empty_typeEEEZZNS1_27merge_sort_block_merge_implIS3_NS6_6detail15normal_iteratorINS6_10device_ptrIS8_EEEEPS9_mNS6_4lessIS8_EEEE10hipError_tT0_T1_T2_jT3_P12ihipStream_tbPNSt15iterator_traitsISL_E10value_typeEPNSR_ISM_E10value_typeEPSN_NS1_7vsmem_tEENKUlT_SL_SM_SN_E_clIPS8_SG_SH_SH_EESK_S10_SL_SM_SN_EUlS10_E_NS1_11comp_targetILNS1_3genE5ELNS1_11target_archE942ELNS1_3gpuE9ELNS1_3repE0EEENS1_48merge_mergepath_partition_config_static_selectorELNS0_4arch9wavefront6targetE0EEEvSM_,"axG",@progbits,_ZN7rocprim17ROCPRIM_400000_NS6detail17trampoline_kernelINS0_14default_configENS1_38merge_sort_block_merge_config_selectorIN6thrust23THRUST_200600_302600_NS4pairIiiEENS0_10empty_typeEEEZZNS1_27merge_sort_block_merge_implIS3_NS6_6detail15normal_iteratorINS6_10device_ptrIS8_EEEEPS9_mNS6_4lessIS8_EEEE10hipError_tT0_T1_T2_jT3_P12ihipStream_tbPNSt15iterator_traitsISL_E10value_typeEPNSR_ISM_E10value_typeEPSN_NS1_7vsmem_tEENKUlT_SL_SM_SN_E_clIPS8_SG_SH_SH_EESK_S10_SL_SM_SN_EUlS10_E_NS1_11comp_targetILNS1_3genE5ELNS1_11target_archE942ELNS1_3gpuE9ELNS1_3repE0EEENS1_48merge_mergepath_partition_config_static_selectorELNS0_4arch9wavefront6targetE0EEEvSM_,comdat
.Lfunc_end635:
	.size	_ZN7rocprim17ROCPRIM_400000_NS6detail17trampoline_kernelINS0_14default_configENS1_38merge_sort_block_merge_config_selectorIN6thrust23THRUST_200600_302600_NS4pairIiiEENS0_10empty_typeEEEZZNS1_27merge_sort_block_merge_implIS3_NS6_6detail15normal_iteratorINS6_10device_ptrIS8_EEEEPS9_mNS6_4lessIS8_EEEE10hipError_tT0_T1_T2_jT3_P12ihipStream_tbPNSt15iterator_traitsISL_E10value_typeEPNSR_ISM_E10value_typeEPSN_NS1_7vsmem_tEENKUlT_SL_SM_SN_E_clIPS8_SG_SH_SH_EESK_S10_SL_SM_SN_EUlS10_E_NS1_11comp_targetILNS1_3genE5ELNS1_11target_archE942ELNS1_3gpuE9ELNS1_3repE0EEENS1_48merge_mergepath_partition_config_static_selectorELNS0_4arch9wavefront6targetE0EEEvSM_, .Lfunc_end635-_ZN7rocprim17ROCPRIM_400000_NS6detail17trampoline_kernelINS0_14default_configENS1_38merge_sort_block_merge_config_selectorIN6thrust23THRUST_200600_302600_NS4pairIiiEENS0_10empty_typeEEEZZNS1_27merge_sort_block_merge_implIS3_NS6_6detail15normal_iteratorINS6_10device_ptrIS8_EEEEPS9_mNS6_4lessIS8_EEEE10hipError_tT0_T1_T2_jT3_P12ihipStream_tbPNSt15iterator_traitsISL_E10value_typeEPNSR_ISM_E10value_typeEPSN_NS1_7vsmem_tEENKUlT_SL_SM_SN_E_clIPS8_SG_SH_SH_EESK_S10_SL_SM_SN_EUlS10_E_NS1_11comp_targetILNS1_3genE5ELNS1_11target_archE942ELNS1_3gpuE9ELNS1_3repE0EEENS1_48merge_mergepath_partition_config_static_selectorELNS0_4arch9wavefront6targetE0EEEvSM_
                                        ; -- End function
	.set _ZN7rocprim17ROCPRIM_400000_NS6detail17trampoline_kernelINS0_14default_configENS1_38merge_sort_block_merge_config_selectorIN6thrust23THRUST_200600_302600_NS4pairIiiEENS0_10empty_typeEEEZZNS1_27merge_sort_block_merge_implIS3_NS6_6detail15normal_iteratorINS6_10device_ptrIS8_EEEEPS9_mNS6_4lessIS8_EEEE10hipError_tT0_T1_T2_jT3_P12ihipStream_tbPNSt15iterator_traitsISL_E10value_typeEPNSR_ISM_E10value_typeEPSN_NS1_7vsmem_tEENKUlT_SL_SM_SN_E_clIPS8_SG_SH_SH_EESK_S10_SL_SM_SN_EUlS10_E_NS1_11comp_targetILNS1_3genE5ELNS1_11target_archE942ELNS1_3gpuE9ELNS1_3repE0EEENS1_48merge_mergepath_partition_config_static_selectorELNS0_4arch9wavefront6targetE0EEEvSM_.num_vgpr, 0
	.set _ZN7rocprim17ROCPRIM_400000_NS6detail17trampoline_kernelINS0_14default_configENS1_38merge_sort_block_merge_config_selectorIN6thrust23THRUST_200600_302600_NS4pairIiiEENS0_10empty_typeEEEZZNS1_27merge_sort_block_merge_implIS3_NS6_6detail15normal_iteratorINS6_10device_ptrIS8_EEEEPS9_mNS6_4lessIS8_EEEE10hipError_tT0_T1_T2_jT3_P12ihipStream_tbPNSt15iterator_traitsISL_E10value_typeEPNSR_ISM_E10value_typeEPSN_NS1_7vsmem_tEENKUlT_SL_SM_SN_E_clIPS8_SG_SH_SH_EESK_S10_SL_SM_SN_EUlS10_E_NS1_11comp_targetILNS1_3genE5ELNS1_11target_archE942ELNS1_3gpuE9ELNS1_3repE0EEENS1_48merge_mergepath_partition_config_static_selectorELNS0_4arch9wavefront6targetE0EEEvSM_.num_agpr, 0
	.set _ZN7rocprim17ROCPRIM_400000_NS6detail17trampoline_kernelINS0_14default_configENS1_38merge_sort_block_merge_config_selectorIN6thrust23THRUST_200600_302600_NS4pairIiiEENS0_10empty_typeEEEZZNS1_27merge_sort_block_merge_implIS3_NS6_6detail15normal_iteratorINS6_10device_ptrIS8_EEEEPS9_mNS6_4lessIS8_EEEE10hipError_tT0_T1_T2_jT3_P12ihipStream_tbPNSt15iterator_traitsISL_E10value_typeEPNSR_ISM_E10value_typeEPSN_NS1_7vsmem_tEENKUlT_SL_SM_SN_E_clIPS8_SG_SH_SH_EESK_S10_SL_SM_SN_EUlS10_E_NS1_11comp_targetILNS1_3genE5ELNS1_11target_archE942ELNS1_3gpuE9ELNS1_3repE0EEENS1_48merge_mergepath_partition_config_static_selectorELNS0_4arch9wavefront6targetE0EEEvSM_.numbered_sgpr, 0
	.set _ZN7rocprim17ROCPRIM_400000_NS6detail17trampoline_kernelINS0_14default_configENS1_38merge_sort_block_merge_config_selectorIN6thrust23THRUST_200600_302600_NS4pairIiiEENS0_10empty_typeEEEZZNS1_27merge_sort_block_merge_implIS3_NS6_6detail15normal_iteratorINS6_10device_ptrIS8_EEEEPS9_mNS6_4lessIS8_EEEE10hipError_tT0_T1_T2_jT3_P12ihipStream_tbPNSt15iterator_traitsISL_E10value_typeEPNSR_ISM_E10value_typeEPSN_NS1_7vsmem_tEENKUlT_SL_SM_SN_E_clIPS8_SG_SH_SH_EESK_S10_SL_SM_SN_EUlS10_E_NS1_11comp_targetILNS1_3genE5ELNS1_11target_archE942ELNS1_3gpuE9ELNS1_3repE0EEENS1_48merge_mergepath_partition_config_static_selectorELNS0_4arch9wavefront6targetE0EEEvSM_.num_named_barrier, 0
	.set _ZN7rocprim17ROCPRIM_400000_NS6detail17trampoline_kernelINS0_14default_configENS1_38merge_sort_block_merge_config_selectorIN6thrust23THRUST_200600_302600_NS4pairIiiEENS0_10empty_typeEEEZZNS1_27merge_sort_block_merge_implIS3_NS6_6detail15normal_iteratorINS6_10device_ptrIS8_EEEEPS9_mNS6_4lessIS8_EEEE10hipError_tT0_T1_T2_jT3_P12ihipStream_tbPNSt15iterator_traitsISL_E10value_typeEPNSR_ISM_E10value_typeEPSN_NS1_7vsmem_tEENKUlT_SL_SM_SN_E_clIPS8_SG_SH_SH_EESK_S10_SL_SM_SN_EUlS10_E_NS1_11comp_targetILNS1_3genE5ELNS1_11target_archE942ELNS1_3gpuE9ELNS1_3repE0EEENS1_48merge_mergepath_partition_config_static_selectorELNS0_4arch9wavefront6targetE0EEEvSM_.private_seg_size, 0
	.set _ZN7rocprim17ROCPRIM_400000_NS6detail17trampoline_kernelINS0_14default_configENS1_38merge_sort_block_merge_config_selectorIN6thrust23THRUST_200600_302600_NS4pairIiiEENS0_10empty_typeEEEZZNS1_27merge_sort_block_merge_implIS3_NS6_6detail15normal_iteratorINS6_10device_ptrIS8_EEEEPS9_mNS6_4lessIS8_EEEE10hipError_tT0_T1_T2_jT3_P12ihipStream_tbPNSt15iterator_traitsISL_E10value_typeEPNSR_ISM_E10value_typeEPSN_NS1_7vsmem_tEENKUlT_SL_SM_SN_E_clIPS8_SG_SH_SH_EESK_S10_SL_SM_SN_EUlS10_E_NS1_11comp_targetILNS1_3genE5ELNS1_11target_archE942ELNS1_3gpuE9ELNS1_3repE0EEENS1_48merge_mergepath_partition_config_static_selectorELNS0_4arch9wavefront6targetE0EEEvSM_.uses_vcc, 0
	.set _ZN7rocprim17ROCPRIM_400000_NS6detail17trampoline_kernelINS0_14default_configENS1_38merge_sort_block_merge_config_selectorIN6thrust23THRUST_200600_302600_NS4pairIiiEENS0_10empty_typeEEEZZNS1_27merge_sort_block_merge_implIS3_NS6_6detail15normal_iteratorINS6_10device_ptrIS8_EEEEPS9_mNS6_4lessIS8_EEEE10hipError_tT0_T1_T2_jT3_P12ihipStream_tbPNSt15iterator_traitsISL_E10value_typeEPNSR_ISM_E10value_typeEPSN_NS1_7vsmem_tEENKUlT_SL_SM_SN_E_clIPS8_SG_SH_SH_EESK_S10_SL_SM_SN_EUlS10_E_NS1_11comp_targetILNS1_3genE5ELNS1_11target_archE942ELNS1_3gpuE9ELNS1_3repE0EEENS1_48merge_mergepath_partition_config_static_selectorELNS0_4arch9wavefront6targetE0EEEvSM_.uses_flat_scratch, 0
	.set _ZN7rocprim17ROCPRIM_400000_NS6detail17trampoline_kernelINS0_14default_configENS1_38merge_sort_block_merge_config_selectorIN6thrust23THRUST_200600_302600_NS4pairIiiEENS0_10empty_typeEEEZZNS1_27merge_sort_block_merge_implIS3_NS6_6detail15normal_iteratorINS6_10device_ptrIS8_EEEEPS9_mNS6_4lessIS8_EEEE10hipError_tT0_T1_T2_jT3_P12ihipStream_tbPNSt15iterator_traitsISL_E10value_typeEPNSR_ISM_E10value_typeEPSN_NS1_7vsmem_tEENKUlT_SL_SM_SN_E_clIPS8_SG_SH_SH_EESK_S10_SL_SM_SN_EUlS10_E_NS1_11comp_targetILNS1_3genE5ELNS1_11target_archE942ELNS1_3gpuE9ELNS1_3repE0EEENS1_48merge_mergepath_partition_config_static_selectorELNS0_4arch9wavefront6targetE0EEEvSM_.has_dyn_sized_stack, 0
	.set _ZN7rocprim17ROCPRIM_400000_NS6detail17trampoline_kernelINS0_14default_configENS1_38merge_sort_block_merge_config_selectorIN6thrust23THRUST_200600_302600_NS4pairIiiEENS0_10empty_typeEEEZZNS1_27merge_sort_block_merge_implIS3_NS6_6detail15normal_iteratorINS6_10device_ptrIS8_EEEEPS9_mNS6_4lessIS8_EEEE10hipError_tT0_T1_T2_jT3_P12ihipStream_tbPNSt15iterator_traitsISL_E10value_typeEPNSR_ISM_E10value_typeEPSN_NS1_7vsmem_tEENKUlT_SL_SM_SN_E_clIPS8_SG_SH_SH_EESK_S10_SL_SM_SN_EUlS10_E_NS1_11comp_targetILNS1_3genE5ELNS1_11target_archE942ELNS1_3gpuE9ELNS1_3repE0EEENS1_48merge_mergepath_partition_config_static_selectorELNS0_4arch9wavefront6targetE0EEEvSM_.has_recursion, 0
	.set _ZN7rocprim17ROCPRIM_400000_NS6detail17trampoline_kernelINS0_14default_configENS1_38merge_sort_block_merge_config_selectorIN6thrust23THRUST_200600_302600_NS4pairIiiEENS0_10empty_typeEEEZZNS1_27merge_sort_block_merge_implIS3_NS6_6detail15normal_iteratorINS6_10device_ptrIS8_EEEEPS9_mNS6_4lessIS8_EEEE10hipError_tT0_T1_T2_jT3_P12ihipStream_tbPNSt15iterator_traitsISL_E10value_typeEPNSR_ISM_E10value_typeEPSN_NS1_7vsmem_tEENKUlT_SL_SM_SN_E_clIPS8_SG_SH_SH_EESK_S10_SL_SM_SN_EUlS10_E_NS1_11comp_targetILNS1_3genE5ELNS1_11target_archE942ELNS1_3gpuE9ELNS1_3repE0EEENS1_48merge_mergepath_partition_config_static_selectorELNS0_4arch9wavefront6targetE0EEEvSM_.has_indirect_call, 0
	.section	.AMDGPU.csdata,"",@progbits
; Kernel info:
; codeLenInByte = 0
; TotalNumSgprs: 0
; NumVgprs: 0
; ScratchSize: 0
; MemoryBound: 0
; FloatMode: 240
; IeeeMode: 1
; LDSByteSize: 0 bytes/workgroup (compile time only)
; SGPRBlocks: 0
; VGPRBlocks: 0
; NumSGPRsForWavesPerEU: 1
; NumVGPRsForWavesPerEU: 1
; Occupancy: 16
; WaveLimiterHint : 0
; COMPUTE_PGM_RSRC2:SCRATCH_EN: 0
; COMPUTE_PGM_RSRC2:USER_SGPR: 6
; COMPUTE_PGM_RSRC2:TRAP_HANDLER: 0
; COMPUTE_PGM_RSRC2:TGID_X_EN: 1
; COMPUTE_PGM_RSRC2:TGID_Y_EN: 0
; COMPUTE_PGM_RSRC2:TGID_Z_EN: 0
; COMPUTE_PGM_RSRC2:TIDIG_COMP_CNT: 0
	.section	.text._ZN7rocprim17ROCPRIM_400000_NS6detail17trampoline_kernelINS0_14default_configENS1_38merge_sort_block_merge_config_selectorIN6thrust23THRUST_200600_302600_NS4pairIiiEENS0_10empty_typeEEEZZNS1_27merge_sort_block_merge_implIS3_NS6_6detail15normal_iteratorINS6_10device_ptrIS8_EEEEPS9_mNS6_4lessIS8_EEEE10hipError_tT0_T1_T2_jT3_P12ihipStream_tbPNSt15iterator_traitsISL_E10value_typeEPNSR_ISM_E10value_typeEPSN_NS1_7vsmem_tEENKUlT_SL_SM_SN_E_clIPS8_SG_SH_SH_EESK_S10_SL_SM_SN_EUlS10_E_NS1_11comp_targetILNS1_3genE4ELNS1_11target_archE910ELNS1_3gpuE8ELNS1_3repE0EEENS1_48merge_mergepath_partition_config_static_selectorELNS0_4arch9wavefront6targetE0EEEvSM_,"axG",@progbits,_ZN7rocprim17ROCPRIM_400000_NS6detail17trampoline_kernelINS0_14default_configENS1_38merge_sort_block_merge_config_selectorIN6thrust23THRUST_200600_302600_NS4pairIiiEENS0_10empty_typeEEEZZNS1_27merge_sort_block_merge_implIS3_NS6_6detail15normal_iteratorINS6_10device_ptrIS8_EEEEPS9_mNS6_4lessIS8_EEEE10hipError_tT0_T1_T2_jT3_P12ihipStream_tbPNSt15iterator_traitsISL_E10value_typeEPNSR_ISM_E10value_typeEPSN_NS1_7vsmem_tEENKUlT_SL_SM_SN_E_clIPS8_SG_SH_SH_EESK_S10_SL_SM_SN_EUlS10_E_NS1_11comp_targetILNS1_3genE4ELNS1_11target_archE910ELNS1_3gpuE8ELNS1_3repE0EEENS1_48merge_mergepath_partition_config_static_selectorELNS0_4arch9wavefront6targetE0EEEvSM_,comdat
	.protected	_ZN7rocprim17ROCPRIM_400000_NS6detail17trampoline_kernelINS0_14default_configENS1_38merge_sort_block_merge_config_selectorIN6thrust23THRUST_200600_302600_NS4pairIiiEENS0_10empty_typeEEEZZNS1_27merge_sort_block_merge_implIS3_NS6_6detail15normal_iteratorINS6_10device_ptrIS8_EEEEPS9_mNS6_4lessIS8_EEEE10hipError_tT0_T1_T2_jT3_P12ihipStream_tbPNSt15iterator_traitsISL_E10value_typeEPNSR_ISM_E10value_typeEPSN_NS1_7vsmem_tEENKUlT_SL_SM_SN_E_clIPS8_SG_SH_SH_EESK_S10_SL_SM_SN_EUlS10_E_NS1_11comp_targetILNS1_3genE4ELNS1_11target_archE910ELNS1_3gpuE8ELNS1_3repE0EEENS1_48merge_mergepath_partition_config_static_selectorELNS0_4arch9wavefront6targetE0EEEvSM_ ; -- Begin function _ZN7rocprim17ROCPRIM_400000_NS6detail17trampoline_kernelINS0_14default_configENS1_38merge_sort_block_merge_config_selectorIN6thrust23THRUST_200600_302600_NS4pairIiiEENS0_10empty_typeEEEZZNS1_27merge_sort_block_merge_implIS3_NS6_6detail15normal_iteratorINS6_10device_ptrIS8_EEEEPS9_mNS6_4lessIS8_EEEE10hipError_tT0_T1_T2_jT3_P12ihipStream_tbPNSt15iterator_traitsISL_E10value_typeEPNSR_ISM_E10value_typeEPSN_NS1_7vsmem_tEENKUlT_SL_SM_SN_E_clIPS8_SG_SH_SH_EESK_S10_SL_SM_SN_EUlS10_E_NS1_11comp_targetILNS1_3genE4ELNS1_11target_archE910ELNS1_3gpuE8ELNS1_3repE0EEENS1_48merge_mergepath_partition_config_static_selectorELNS0_4arch9wavefront6targetE0EEEvSM_
	.globl	_ZN7rocprim17ROCPRIM_400000_NS6detail17trampoline_kernelINS0_14default_configENS1_38merge_sort_block_merge_config_selectorIN6thrust23THRUST_200600_302600_NS4pairIiiEENS0_10empty_typeEEEZZNS1_27merge_sort_block_merge_implIS3_NS6_6detail15normal_iteratorINS6_10device_ptrIS8_EEEEPS9_mNS6_4lessIS8_EEEE10hipError_tT0_T1_T2_jT3_P12ihipStream_tbPNSt15iterator_traitsISL_E10value_typeEPNSR_ISM_E10value_typeEPSN_NS1_7vsmem_tEENKUlT_SL_SM_SN_E_clIPS8_SG_SH_SH_EESK_S10_SL_SM_SN_EUlS10_E_NS1_11comp_targetILNS1_3genE4ELNS1_11target_archE910ELNS1_3gpuE8ELNS1_3repE0EEENS1_48merge_mergepath_partition_config_static_selectorELNS0_4arch9wavefront6targetE0EEEvSM_
	.p2align	8
	.type	_ZN7rocprim17ROCPRIM_400000_NS6detail17trampoline_kernelINS0_14default_configENS1_38merge_sort_block_merge_config_selectorIN6thrust23THRUST_200600_302600_NS4pairIiiEENS0_10empty_typeEEEZZNS1_27merge_sort_block_merge_implIS3_NS6_6detail15normal_iteratorINS6_10device_ptrIS8_EEEEPS9_mNS6_4lessIS8_EEEE10hipError_tT0_T1_T2_jT3_P12ihipStream_tbPNSt15iterator_traitsISL_E10value_typeEPNSR_ISM_E10value_typeEPSN_NS1_7vsmem_tEENKUlT_SL_SM_SN_E_clIPS8_SG_SH_SH_EESK_S10_SL_SM_SN_EUlS10_E_NS1_11comp_targetILNS1_3genE4ELNS1_11target_archE910ELNS1_3gpuE8ELNS1_3repE0EEENS1_48merge_mergepath_partition_config_static_selectorELNS0_4arch9wavefront6targetE0EEEvSM_,@function
_ZN7rocprim17ROCPRIM_400000_NS6detail17trampoline_kernelINS0_14default_configENS1_38merge_sort_block_merge_config_selectorIN6thrust23THRUST_200600_302600_NS4pairIiiEENS0_10empty_typeEEEZZNS1_27merge_sort_block_merge_implIS3_NS6_6detail15normal_iteratorINS6_10device_ptrIS8_EEEEPS9_mNS6_4lessIS8_EEEE10hipError_tT0_T1_T2_jT3_P12ihipStream_tbPNSt15iterator_traitsISL_E10value_typeEPNSR_ISM_E10value_typeEPSN_NS1_7vsmem_tEENKUlT_SL_SM_SN_E_clIPS8_SG_SH_SH_EESK_S10_SL_SM_SN_EUlS10_E_NS1_11comp_targetILNS1_3genE4ELNS1_11target_archE910ELNS1_3gpuE8ELNS1_3repE0EEENS1_48merge_mergepath_partition_config_static_selectorELNS0_4arch9wavefront6targetE0EEEvSM_: ; @_ZN7rocprim17ROCPRIM_400000_NS6detail17trampoline_kernelINS0_14default_configENS1_38merge_sort_block_merge_config_selectorIN6thrust23THRUST_200600_302600_NS4pairIiiEENS0_10empty_typeEEEZZNS1_27merge_sort_block_merge_implIS3_NS6_6detail15normal_iteratorINS6_10device_ptrIS8_EEEEPS9_mNS6_4lessIS8_EEEE10hipError_tT0_T1_T2_jT3_P12ihipStream_tbPNSt15iterator_traitsISL_E10value_typeEPNSR_ISM_E10value_typeEPSN_NS1_7vsmem_tEENKUlT_SL_SM_SN_E_clIPS8_SG_SH_SH_EESK_S10_SL_SM_SN_EUlS10_E_NS1_11comp_targetILNS1_3genE4ELNS1_11target_archE910ELNS1_3gpuE8ELNS1_3repE0EEENS1_48merge_mergepath_partition_config_static_selectorELNS0_4arch9wavefront6targetE0EEEvSM_
; %bb.0:
	.section	.rodata,"a",@progbits
	.p2align	6, 0x0
	.amdhsa_kernel _ZN7rocprim17ROCPRIM_400000_NS6detail17trampoline_kernelINS0_14default_configENS1_38merge_sort_block_merge_config_selectorIN6thrust23THRUST_200600_302600_NS4pairIiiEENS0_10empty_typeEEEZZNS1_27merge_sort_block_merge_implIS3_NS6_6detail15normal_iteratorINS6_10device_ptrIS8_EEEEPS9_mNS6_4lessIS8_EEEE10hipError_tT0_T1_T2_jT3_P12ihipStream_tbPNSt15iterator_traitsISL_E10value_typeEPNSR_ISM_E10value_typeEPSN_NS1_7vsmem_tEENKUlT_SL_SM_SN_E_clIPS8_SG_SH_SH_EESK_S10_SL_SM_SN_EUlS10_E_NS1_11comp_targetILNS1_3genE4ELNS1_11target_archE910ELNS1_3gpuE8ELNS1_3repE0EEENS1_48merge_mergepath_partition_config_static_selectorELNS0_4arch9wavefront6targetE0EEEvSM_
		.amdhsa_group_segment_fixed_size 0
		.amdhsa_private_segment_fixed_size 0
		.amdhsa_kernarg_size 48
		.amdhsa_user_sgpr_count 6
		.amdhsa_user_sgpr_private_segment_buffer 1
		.amdhsa_user_sgpr_dispatch_ptr 0
		.amdhsa_user_sgpr_queue_ptr 0
		.amdhsa_user_sgpr_kernarg_segment_ptr 1
		.amdhsa_user_sgpr_dispatch_id 0
		.amdhsa_user_sgpr_flat_scratch_init 0
		.amdhsa_user_sgpr_private_segment_size 0
		.amdhsa_wavefront_size32 1
		.amdhsa_uses_dynamic_stack 0
		.amdhsa_system_sgpr_private_segment_wavefront_offset 0
		.amdhsa_system_sgpr_workgroup_id_x 1
		.amdhsa_system_sgpr_workgroup_id_y 0
		.amdhsa_system_sgpr_workgroup_id_z 0
		.amdhsa_system_sgpr_workgroup_info 0
		.amdhsa_system_vgpr_workitem_id 0
		.amdhsa_next_free_vgpr 1
		.amdhsa_next_free_sgpr 1
		.amdhsa_reserve_vcc 0
		.amdhsa_reserve_flat_scratch 0
		.amdhsa_float_round_mode_32 0
		.amdhsa_float_round_mode_16_64 0
		.amdhsa_float_denorm_mode_32 3
		.amdhsa_float_denorm_mode_16_64 3
		.amdhsa_dx10_clamp 1
		.amdhsa_ieee_mode 1
		.amdhsa_fp16_overflow 0
		.amdhsa_workgroup_processor_mode 1
		.amdhsa_memory_ordered 1
		.amdhsa_forward_progress 1
		.amdhsa_shared_vgpr_count 0
		.amdhsa_exception_fp_ieee_invalid_op 0
		.amdhsa_exception_fp_denorm_src 0
		.amdhsa_exception_fp_ieee_div_zero 0
		.amdhsa_exception_fp_ieee_overflow 0
		.amdhsa_exception_fp_ieee_underflow 0
		.amdhsa_exception_fp_ieee_inexact 0
		.amdhsa_exception_int_div_zero 0
	.end_amdhsa_kernel
	.section	.text._ZN7rocprim17ROCPRIM_400000_NS6detail17trampoline_kernelINS0_14default_configENS1_38merge_sort_block_merge_config_selectorIN6thrust23THRUST_200600_302600_NS4pairIiiEENS0_10empty_typeEEEZZNS1_27merge_sort_block_merge_implIS3_NS6_6detail15normal_iteratorINS6_10device_ptrIS8_EEEEPS9_mNS6_4lessIS8_EEEE10hipError_tT0_T1_T2_jT3_P12ihipStream_tbPNSt15iterator_traitsISL_E10value_typeEPNSR_ISM_E10value_typeEPSN_NS1_7vsmem_tEENKUlT_SL_SM_SN_E_clIPS8_SG_SH_SH_EESK_S10_SL_SM_SN_EUlS10_E_NS1_11comp_targetILNS1_3genE4ELNS1_11target_archE910ELNS1_3gpuE8ELNS1_3repE0EEENS1_48merge_mergepath_partition_config_static_selectorELNS0_4arch9wavefront6targetE0EEEvSM_,"axG",@progbits,_ZN7rocprim17ROCPRIM_400000_NS6detail17trampoline_kernelINS0_14default_configENS1_38merge_sort_block_merge_config_selectorIN6thrust23THRUST_200600_302600_NS4pairIiiEENS0_10empty_typeEEEZZNS1_27merge_sort_block_merge_implIS3_NS6_6detail15normal_iteratorINS6_10device_ptrIS8_EEEEPS9_mNS6_4lessIS8_EEEE10hipError_tT0_T1_T2_jT3_P12ihipStream_tbPNSt15iterator_traitsISL_E10value_typeEPNSR_ISM_E10value_typeEPSN_NS1_7vsmem_tEENKUlT_SL_SM_SN_E_clIPS8_SG_SH_SH_EESK_S10_SL_SM_SN_EUlS10_E_NS1_11comp_targetILNS1_3genE4ELNS1_11target_archE910ELNS1_3gpuE8ELNS1_3repE0EEENS1_48merge_mergepath_partition_config_static_selectorELNS0_4arch9wavefront6targetE0EEEvSM_,comdat
.Lfunc_end636:
	.size	_ZN7rocprim17ROCPRIM_400000_NS6detail17trampoline_kernelINS0_14default_configENS1_38merge_sort_block_merge_config_selectorIN6thrust23THRUST_200600_302600_NS4pairIiiEENS0_10empty_typeEEEZZNS1_27merge_sort_block_merge_implIS3_NS6_6detail15normal_iteratorINS6_10device_ptrIS8_EEEEPS9_mNS6_4lessIS8_EEEE10hipError_tT0_T1_T2_jT3_P12ihipStream_tbPNSt15iterator_traitsISL_E10value_typeEPNSR_ISM_E10value_typeEPSN_NS1_7vsmem_tEENKUlT_SL_SM_SN_E_clIPS8_SG_SH_SH_EESK_S10_SL_SM_SN_EUlS10_E_NS1_11comp_targetILNS1_3genE4ELNS1_11target_archE910ELNS1_3gpuE8ELNS1_3repE0EEENS1_48merge_mergepath_partition_config_static_selectorELNS0_4arch9wavefront6targetE0EEEvSM_, .Lfunc_end636-_ZN7rocprim17ROCPRIM_400000_NS6detail17trampoline_kernelINS0_14default_configENS1_38merge_sort_block_merge_config_selectorIN6thrust23THRUST_200600_302600_NS4pairIiiEENS0_10empty_typeEEEZZNS1_27merge_sort_block_merge_implIS3_NS6_6detail15normal_iteratorINS6_10device_ptrIS8_EEEEPS9_mNS6_4lessIS8_EEEE10hipError_tT0_T1_T2_jT3_P12ihipStream_tbPNSt15iterator_traitsISL_E10value_typeEPNSR_ISM_E10value_typeEPSN_NS1_7vsmem_tEENKUlT_SL_SM_SN_E_clIPS8_SG_SH_SH_EESK_S10_SL_SM_SN_EUlS10_E_NS1_11comp_targetILNS1_3genE4ELNS1_11target_archE910ELNS1_3gpuE8ELNS1_3repE0EEENS1_48merge_mergepath_partition_config_static_selectorELNS0_4arch9wavefront6targetE0EEEvSM_
                                        ; -- End function
	.set _ZN7rocprim17ROCPRIM_400000_NS6detail17trampoline_kernelINS0_14default_configENS1_38merge_sort_block_merge_config_selectorIN6thrust23THRUST_200600_302600_NS4pairIiiEENS0_10empty_typeEEEZZNS1_27merge_sort_block_merge_implIS3_NS6_6detail15normal_iteratorINS6_10device_ptrIS8_EEEEPS9_mNS6_4lessIS8_EEEE10hipError_tT0_T1_T2_jT3_P12ihipStream_tbPNSt15iterator_traitsISL_E10value_typeEPNSR_ISM_E10value_typeEPSN_NS1_7vsmem_tEENKUlT_SL_SM_SN_E_clIPS8_SG_SH_SH_EESK_S10_SL_SM_SN_EUlS10_E_NS1_11comp_targetILNS1_3genE4ELNS1_11target_archE910ELNS1_3gpuE8ELNS1_3repE0EEENS1_48merge_mergepath_partition_config_static_selectorELNS0_4arch9wavefront6targetE0EEEvSM_.num_vgpr, 0
	.set _ZN7rocprim17ROCPRIM_400000_NS6detail17trampoline_kernelINS0_14default_configENS1_38merge_sort_block_merge_config_selectorIN6thrust23THRUST_200600_302600_NS4pairIiiEENS0_10empty_typeEEEZZNS1_27merge_sort_block_merge_implIS3_NS6_6detail15normal_iteratorINS6_10device_ptrIS8_EEEEPS9_mNS6_4lessIS8_EEEE10hipError_tT0_T1_T2_jT3_P12ihipStream_tbPNSt15iterator_traitsISL_E10value_typeEPNSR_ISM_E10value_typeEPSN_NS1_7vsmem_tEENKUlT_SL_SM_SN_E_clIPS8_SG_SH_SH_EESK_S10_SL_SM_SN_EUlS10_E_NS1_11comp_targetILNS1_3genE4ELNS1_11target_archE910ELNS1_3gpuE8ELNS1_3repE0EEENS1_48merge_mergepath_partition_config_static_selectorELNS0_4arch9wavefront6targetE0EEEvSM_.num_agpr, 0
	.set _ZN7rocprim17ROCPRIM_400000_NS6detail17trampoline_kernelINS0_14default_configENS1_38merge_sort_block_merge_config_selectorIN6thrust23THRUST_200600_302600_NS4pairIiiEENS0_10empty_typeEEEZZNS1_27merge_sort_block_merge_implIS3_NS6_6detail15normal_iteratorINS6_10device_ptrIS8_EEEEPS9_mNS6_4lessIS8_EEEE10hipError_tT0_T1_T2_jT3_P12ihipStream_tbPNSt15iterator_traitsISL_E10value_typeEPNSR_ISM_E10value_typeEPSN_NS1_7vsmem_tEENKUlT_SL_SM_SN_E_clIPS8_SG_SH_SH_EESK_S10_SL_SM_SN_EUlS10_E_NS1_11comp_targetILNS1_3genE4ELNS1_11target_archE910ELNS1_3gpuE8ELNS1_3repE0EEENS1_48merge_mergepath_partition_config_static_selectorELNS0_4arch9wavefront6targetE0EEEvSM_.numbered_sgpr, 0
	.set _ZN7rocprim17ROCPRIM_400000_NS6detail17trampoline_kernelINS0_14default_configENS1_38merge_sort_block_merge_config_selectorIN6thrust23THRUST_200600_302600_NS4pairIiiEENS0_10empty_typeEEEZZNS1_27merge_sort_block_merge_implIS3_NS6_6detail15normal_iteratorINS6_10device_ptrIS8_EEEEPS9_mNS6_4lessIS8_EEEE10hipError_tT0_T1_T2_jT3_P12ihipStream_tbPNSt15iterator_traitsISL_E10value_typeEPNSR_ISM_E10value_typeEPSN_NS1_7vsmem_tEENKUlT_SL_SM_SN_E_clIPS8_SG_SH_SH_EESK_S10_SL_SM_SN_EUlS10_E_NS1_11comp_targetILNS1_3genE4ELNS1_11target_archE910ELNS1_3gpuE8ELNS1_3repE0EEENS1_48merge_mergepath_partition_config_static_selectorELNS0_4arch9wavefront6targetE0EEEvSM_.num_named_barrier, 0
	.set _ZN7rocprim17ROCPRIM_400000_NS6detail17trampoline_kernelINS0_14default_configENS1_38merge_sort_block_merge_config_selectorIN6thrust23THRUST_200600_302600_NS4pairIiiEENS0_10empty_typeEEEZZNS1_27merge_sort_block_merge_implIS3_NS6_6detail15normal_iteratorINS6_10device_ptrIS8_EEEEPS9_mNS6_4lessIS8_EEEE10hipError_tT0_T1_T2_jT3_P12ihipStream_tbPNSt15iterator_traitsISL_E10value_typeEPNSR_ISM_E10value_typeEPSN_NS1_7vsmem_tEENKUlT_SL_SM_SN_E_clIPS8_SG_SH_SH_EESK_S10_SL_SM_SN_EUlS10_E_NS1_11comp_targetILNS1_3genE4ELNS1_11target_archE910ELNS1_3gpuE8ELNS1_3repE0EEENS1_48merge_mergepath_partition_config_static_selectorELNS0_4arch9wavefront6targetE0EEEvSM_.private_seg_size, 0
	.set _ZN7rocprim17ROCPRIM_400000_NS6detail17trampoline_kernelINS0_14default_configENS1_38merge_sort_block_merge_config_selectorIN6thrust23THRUST_200600_302600_NS4pairIiiEENS0_10empty_typeEEEZZNS1_27merge_sort_block_merge_implIS3_NS6_6detail15normal_iteratorINS6_10device_ptrIS8_EEEEPS9_mNS6_4lessIS8_EEEE10hipError_tT0_T1_T2_jT3_P12ihipStream_tbPNSt15iterator_traitsISL_E10value_typeEPNSR_ISM_E10value_typeEPSN_NS1_7vsmem_tEENKUlT_SL_SM_SN_E_clIPS8_SG_SH_SH_EESK_S10_SL_SM_SN_EUlS10_E_NS1_11comp_targetILNS1_3genE4ELNS1_11target_archE910ELNS1_3gpuE8ELNS1_3repE0EEENS1_48merge_mergepath_partition_config_static_selectorELNS0_4arch9wavefront6targetE0EEEvSM_.uses_vcc, 0
	.set _ZN7rocprim17ROCPRIM_400000_NS6detail17trampoline_kernelINS0_14default_configENS1_38merge_sort_block_merge_config_selectorIN6thrust23THRUST_200600_302600_NS4pairIiiEENS0_10empty_typeEEEZZNS1_27merge_sort_block_merge_implIS3_NS6_6detail15normal_iteratorINS6_10device_ptrIS8_EEEEPS9_mNS6_4lessIS8_EEEE10hipError_tT0_T1_T2_jT3_P12ihipStream_tbPNSt15iterator_traitsISL_E10value_typeEPNSR_ISM_E10value_typeEPSN_NS1_7vsmem_tEENKUlT_SL_SM_SN_E_clIPS8_SG_SH_SH_EESK_S10_SL_SM_SN_EUlS10_E_NS1_11comp_targetILNS1_3genE4ELNS1_11target_archE910ELNS1_3gpuE8ELNS1_3repE0EEENS1_48merge_mergepath_partition_config_static_selectorELNS0_4arch9wavefront6targetE0EEEvSM_.uses_flat_scratch, 0
	.set _ZN7rocprim17ROCPRIM_400000_NS6detail17trampoline_kernelINS0_14default_configENS1_38merge_sort_block_merge_config_selectorIN6thrust23THRUST_200600_302600_NS4pairIiiEENS0_10empty_typeEEEZZNS1_27merge_sort_block_merge_implIS3_NS6_6detail15normal_iteratorINS6_10device_ptrIS8_EEEEPS9_mNS6_4lessIS8_EEEE10hipError_tT0_T1_T2_jT3_P12ihipStream_tbPNSt15iterator_traitsISL_E10value_typeEPNSR_ISM_E10value_typeEPSN_NS1_7vsmem_tEENKUlT_SL_SM_SN_E_clIPS8_SG_SH_SH_EESK_S10_SL_SM_SN_EUlS10_E_NS1_11comp_targetILNS1_3genE4ELNS1_11target_archE910ELNS1_3gpuE8ELNS1_3repE0EEENS1_48merge_mergepath_partition_config_static_selectorELNS0_4arch9wavefront6targetE0EEEvSM_.has_dyn_sized_stack, 0
	.set _ZN7rocprim17ROCPRIM_400000_NS6detail17trampoline_kernelINS0_14default_configENS1_38merge_sort_block_merge_config_selectorIN6thrust23THRUST_200600_302600_NS4pairIiiEENS0_10empty_typeEEEZZNS1_27merge_sort_block_merge_implIS3_NS6_6detail15normal_iteratorINS6_10device_ptrIS8_EEEEPS9_mNS6_4lessIS8_EEEE10hipError_tT0_T1_T2_jT3_P12ihipStream_tbPNSt15iterator_traitsISL_E10value_typeEPNSR_ISM_E10value_typeEPSN_NS1_7vsmem_tEENKUlT_SL_SM_SN_E_clIPS8_SG_SH_SH_EESK_S10_SL_SM_SN_EUlS10_E_NS1_11comp_targetILNS1_3genE4ELNS1_11target_archE910ELNS1_3gpuE8ELNS1_3repE0EEENS1_48merge_mergepath_partition_config_static_selectorELNS0_4arch9wavefront6targetE0EEEvSM_.has_recursion, 0
	.set _ZN7rocprim17ROCPRIM_400000_NS6detail17trampoline_kernelINS0_14default_configENS1_38merge_sort_block_merge_config_selectorIN6thrust23THRUST_200600_302600_NS4pairIiiEENS0_10empty_typeEEEZZNS1_27merge_sort_block_merge_implIS3_NS6_6detail15normal_iteratorINS6_10device_ptrIS8_EEEEPS9_mNS6_4lessIS8_EEEE10hipError_tT0_T1_T2_jT3_P12ihipStream_tbPNSt15iterator_traitsISL_E10value_typeEPNSR_ISM_E10value_typeEPSN_NS1_7vsmem_tEENKUlT_SL_SM_SN_E_clIPS8_SG_SH_SH_EESK_S10_SL_SM_SN_EUlS10_E_NS1_11comp_targetILNS1_3genE4ELNS1_11target_archE910ELNS1_3gpuE8ELNS1_3repE0EEENS1_48merge_mergepath_partition_config_static_selectorELNS0_4arch9wavefront6targetE0EEEvSM_.has_indirect_call, 0
	.section	.AMDGPU.csdata,"",@progbits
; Kernel info:
; codeLenInByte = 0
; TotalNumSgprs: 0
; NumVgprs: 0
; ScratchSize: 0
; MemoryBound: 0
; FloatMode: 240
; IeeeMode: 1
; LDSByteSize: 0 bytes/workgroup (compile time only)
; SGPRBlocks: 0
; VGPRBlocks: 0
; NumSGPRsForWavesPerEU: 1
; NumVGPRsForWavesPerEU: 1
; Occupancy: 16
; WaveLimiterHint : 0
; COMPUTE_PGM_RSRC2:SCRATCH_EN: 0
; COMPUTE_PGM_RSRC2:USER_SGPR: 6
; COMPUTE_PGM_RSRC2:TRAP_HANDLER: 0
; COMPUTE_PGM_RSRC2:TGID_X_EN: 1
; COMPUTE_PGM_RSRC2:TGID_Y_EN: 0
; COMPUTE_PGM_RSRC2:TGID_Z_EN: 0
; COMPUTE_PGM_RSRC2:TIDIG_COMP_CNT: 0
	.section	.text._ZN7rocprim17ROCPRIM_400000_NS6detail17trampoline_kernelINS0_14default_configENS1_38merge_sort_block_merge_config_selectorIN6thrust23THRUST_200600_302600_NS4pairIiiEENS0_10empty_typeEEEZZNS1_27merge_sort_block_merge_implIS3_NS6_6detail15normal_iteratorINS6_10device_ptrIS8_EEEEPS9_mNS6_4lessIS8_EEEE10hipError_tT0_T1_T2_jT3_P12ihipStream_tbPNSt15iterator_traitsISL_E10value_typeEPNSR_ISM_E10value_typeEPSN_NS1_7vsmem_tEENKUlT_SL_SM_SN_E_clIPS8_SG_SH_SH_EESK_S10_SL_SM_SN_EUlS10_E_NS1_11comp_targetILNS1_3genE3ELNS1_11target_archE908ELNS1_3gpuE7ELNS1_3repE0EEENS1_48merge_mergepath_partition_config_static_selectorELNS0_4arch9wavefront6targetE0EEEvSM_,"axG",@progbits,_ZN7rocprim17ROCPRIM_400000_NS6detail17trampoline_kernelINS0_14default_configENS1_38merge_sort_block_merge_config_selectorIN6thrust23THRUST_200600_302600_NS4pairIiiEENS0_10empty_typeEEEZZNS1_27merge_sort_block_merge_implIS3_NS6_6detail15normal_iteratorINS6_10device_ptrIS8_EEEEPS9_mNS6_4lessIS8_EEEE10hipError_tT0_T1_T2_jT3_P12ihipStream_tbPNSt15iterator_traitsISL_E10value_typeEPNSR_ISM_E10value_typeEPSN_NS1_7vsmem_tEENKUlT_SL_SM_SN_E_clIPS8_SG_SH_SH_EESK_S10_SL_SM_SN_EUlS10_E_NS1_11comp_targetILNS1_3genE3ELNS1_11target_archE908ELNS1_3gpuE7ELNS1_3repE0EEENS1_48merge_mergepath_partition_config_static_selectorELNS0_4arch9wavefront6targetE0EEEvSM_,comdat
	.protected	_ZN7rocprim17ROCPRIM_400000_NS6detail17trampoline_kernelINS0_14default_configENS1_38merge_sort_block_merge_config_selectorIN6thrust23THRUST_200600_302600_NS4pairIiiEENS0_10empty_typeEEEZZNS1_27merge_sort_block_merge_implIS3_NS6_6detail15normal_iteratorINS6_10device_ptrIS8_EEEEPS9_mNS6_4lessIS8_EEEE10hipError_tT0_T1_T2_jT3_P12ihipStream_tbPNSt15iterator_traitsISL_E10value_typeEPNSR_ISM_E10value_typeEPSN_NS1_7vsmem_tEENKUlT_SL_SM_SN_E_clIPS8_SG_SH_SH_EESK_S10_SL_SM_SN_EUlS10_E_NS1_11comp_targetILNS1_3genE3ELNS1_11target_archE908ELNS1_3gpuE7ELNS1_3repE0EEENS1_48merge_mergepath_partition_config_static_selectorELNS0_4arch9wavefront6targetE0EEEvSM_ ; -- Begin function _ZN7rocprim17ROCPRIM_400000_NS6detail17trampoline_kernelINS0_14default_configENS1_38merge_sort_block_merge_config_selectorIN6thrust23THRUST_200600_302600_NS4pairIiiEENS0_10empty_typeEEEZZNS1_27merge_sort_block_merge_implIS3_NS6_6detail15normal_iteratorINS6_10device_ptrIS8_EEEEPS9_mNS6_4lessIS8_EEEE10hipError_tT0_T1_T2_jT3_P12ihipStream_tbPNSt15iterator_traitsISL_E10value_typeEPNSR_ISM_E10value_typeEPSN_NS1_7vsmem_tEENKUlT_SL_SM_SN_E_clIPS8_SG_SH_SH_EESK_S10_SL_SM_SN_EUlS10_E_NS1_11comp_targetILNS1_3genE3ELNS1_11target_archE908ELNS1_3gpuE7ELNS1_3repE0EEENS1_48merge_mergepath_partition_config_static_selectorELNS0_4arch9wavefront6targetE0EEEvSM_
	.globl	_ZN7rocprim17ROCPRIM_400000_NS6detail17trampoline_kernelINS0_14default_configENS1_38merge_sort_block_merge_config_selectorIN6thrust23THRUST_200600_302600_NS4pairIiiEENS0_10empty_typeEEEZZNS1_27merge_sort_block_merge_implIS3_NS6_6detail15normal_iteratorINS6_10device_ptrIS8_EEEEPS9_mNS6_4lessIS8_EEEE10hipError_tT0_T1_T2_jT3_P12ihipStream_tbPNSt15iterator_traitsISL_E10value_typeEPNSR_ISM_E10value_typeEPSN_NS1_7vsmem_tEENKUlT_SL_SM_SN_E_clIPS8_SG_SH_SH_EESK_S10_SL_SM_SN_EUlS10_E_NS1_11comp_targetILNS1_3genE3ELNS1_11target_archE908ELNS1_3gpuE7ELNS1_3repE0EEENS1_48merge_mergepath_partition_config_static_selectorELNS0_4arch9wavefront6targetE0EEEvSM_
	.p2align	8
	.type	_ZN7rocprim17ROCPRIM_400000_NS6detail17trampoline_kernelINS0_14default_configENS1_38merge_sort_block_merge_config_selectorIN6thrust23THRUST_200600_302600_NS4pairIiiEENS0_10empty_typeEEEZZNS1_27merge_sort_block_merge_implIS3_NS6_6detail15normal_iteratorINS6_10device_ptrIS8_EEEEPS9_mNS6_4lessIS8_EEEE10hipError_tT0_T1_T2_jT3_P12ihipStream_tbPNSt15iterator_traitsISL_E10value_typeEPNSR_ISM_E10value_typeEPSN_NS1_7vsmem_tEENKUlT_SL_SM_SN_E_clIPS8_SG_SH_SH_EESK_S10_SL_SM_SN_EUlS10_E_NS1_11comp_targetILNS1_3genE3ELNS1_11target_archE908ELNS1_3gpuE7ELNS1_3repE0EEENS1_48merge_mergepath_partition_config_static_selectorELNS0_4arch9wavefront6targetE0EEEvSM_,@function
_ZN7rocprim17ROCPRIM_400000_NS6detail17trampoline_kernelINS0_14default_configENS1_38merge_sort_block_merge_config_selectorIN6thrust23THRUST_200600_302600_NS4pairIiiEENS0_10empty_typeEEEZZNS1_27merge_sort_block_merge_implIS3_NS6_6detail15normal_iteratorINS6_10device_ptrIS8_EEEEPS9_mNS6_4lessIS8_EEEE10hipError_tT0_T1_T2_jT3_P12ihipStream_tbPNSt15iterator_traitsISL_E10value_typeEPNSR_ISM_E10value_typeEPSN_NS1_7vsmem_tEENKUlT_SL_SM_SN_E_clIPS8_SG_SH_SH_EESK_S10_SL_SM_SN_EUlS10_E_NS1_11comp_targetILNS1_3genE3ELNS1_11target_archE908ELNS1_3gpuE7ELNS1_3repE0EEENS1_48merge_mergepath_partition_config_static_selectorELNS0_4arch9wavefront6targetE0EEEvSM_: ; @_ZN7rocprim17ROCPRIM_400000_NS6detail17trampoline_kernelINS0_14default_configENS1_38merge_sort_block_merge_config_selectorIN6thrust23THRUST_200600_302600_NS4pairIiiEENS0_10empty_typeEEEZZNS1_27merge_sort_block_merge_implIS3_NS6_6detail15normal_iteratorINS6_10device_ptrIS8_EEEEPS9_mNS6_4lessIS8_EEEE10hipError_tT0_T1_T2_jT3_P12ihipStream_tbPNSt15iterator_traitsISL_E10value_typeEPNSR_ISM_E10value_typeEPSN_NS1_7vsmem_tEENKUlT_SL_SM_SN_E_clIPS8_SG_SH_SH_EESK_S10_SL_SM_SN_EUlS10_E_NS1_11comp_targetILNS1_3genE3ELNS1_11target_archE908ELNS1_3gpuE7ELNS1_3repE0EEENS1_48merge_mergepath_partition_config_static_selectorELNS0_4arch9wavefront6targetE0EEEvSM_
; %bb.0:
	.section	.rodata,"a",@progbits
	.p2align	6, 0x0
	.amdhsa_kernel _ZN7rocprim17ROCPRIM_400000_NS6detail17trampoline_kernelINS0_14default_configENS1_38merge_sort_block_merge_config_selectorIN6thrust23THRUST_200600_302600_NS4pairIiiEENS0_10empty_typeEEEZZNS1_27merge_sort_block_merge_implIS3_NS6_6detail15normal_iteratorINS6_10device_ptrIS8_EEEEPS9_mNS6_4lessIS8_EEEE10hipError_tT0_T1_T2_jT3_P12ihipStream_tbPNSt15iterator_traitsISL_E10value_typeEPNSR_ISM_E10value_typeEPSN_NS1_7vsmem_tEENKUlT_SL_SM_SN_E_clIPS8_SG_SH_SH_EESK_S10_SL_SM_SN_EUlS10_E_NS1_11comp_targetILNS1_3genE3ELNS1_11target_archE908ELNS1_3gpuE7ELNS1_3repE0EEENS1_48merge_mergepath_partition_config_static_selectorELNS0_4arch9wavefront6targetE0EEEvSM_
		.amdhsa_group_segment_fixed_size 0
		.amdhsa_private_segment_fixed_size 0
		.amdhsa_kernarg_size 48
		.amdhsa_user_sgpr_count 6
		.amdhsa_user_sgpr_private_segment_buffer 1
		.amdhsa_user_sgpr_dispatch_ptr 0
		.amdhsa_user_sgpr_queue_ptr 0
		.amdhsa_user_sgpr_kernarg_segment_ptr 1
		.amdhsa_user_sgpr_dispatch_id 0
		.amdhsa_user_sgpr_flat_scratch_init 0
		.amdhsa_user_sgpr_private_segment_size 0
		.amdhsa_wavefront_size32 1
		.amdhsa_uses_dynamic_stack 0
		.amdhsa_system_sgpr_private_segment_wavefront_offset 0
		.amdhsa_system_sgpr_workgroup_id_x 1
		.amdhsa_system_sgpr_workgroup_id_y 0
		.amdhsa_system_sgpr_workgroup_id_z 0
		.amdhsa_system_sgpr_workgroup_info 0
		.amdhsa_system_vgpr_workitem_id 0
		.amdhsa_next_free_vgpr 1
		.amdhsa_next_free_sgpr 1
		.amdhsa_reserve_vcc 0
		.amdhsa_reserve_flat_scratch 0
		.amdhsa_float_round_mode_32 0
		.amdhsa_float_round_mode_16_64 0
		.amdhsa_float_denorm_mode_32 3
		.amdhsa_float_denorm_mode_16_64 3
		.amdhsa_dx10_clamp 1
		.amdhsa_ieee_mode 1
		.amdhsa_fp16_overflow 0
		.amdhsa_workgroup_processor_mode 1
		.amdhsa_memory_ordered 1
		.amdhsa_forward_progress 1
		.amdhsa_shared_vgpr_count 0
		.amdhsa_exception_fp_ieee_invalid_op 0
		.amdhsa_exception_fp_denorm_src 0
		.amdhsa_exception_fp_ieee_div_zero 0
		.amdhsa_exception_fp_ieee_overflow 0
		.amdhsa_exception_fp_ieee_underflow 0
		.amdhsa_exception_fp_ieee_inexact 0
		.amdhsa_exception_int_div_zero 0
	.end_amdhsa_kernel
	.section	.text._ZN7rocprim17ROCPRIM_400000_NS6detail17trampoline_kernelINS0_14default_configENS1_38merge_sort_block_merge_config_selectorIN6thrust23THRUST_200600_302600_NS4pairIiiEENS0_10empty_typeEEEZZNS1_27merge_sort_block_merge_implIS3_NS6_6detail15normal_iteratorINS6_10device_ptrIS8_EEEEPS9_mNS6_4lessIS8_EEEE10hipError_tT0_T1_T2_jT3_P12ihipStream_tbPNSt15iterator_traitsISL_E10value_typeEPNSR_ISM_E10value_typeEPSN_NS1_7vsmem_tEENKUlT_SL_SM_SN_E_clIPS8_SG_SH_SH_EESK_S10_SL_SM_SN_EUlS10_E_NS1_11comp_targetILNS1_3genE3ELNS1_11target_archE908ELNS1_3gpuE7ELNS1_3repE0EEENS1_48merge_mergepath_partition_config_static_selectorELNS0_4arch9wavefront6targetE0EEEvSM_,"axG",@progbits,_ZN7rocprim17ROCPRIM_400000_NS6detail17trampoline_kernelINS0_14default_configENS1_38merge_sort_block_merge_config_selectorIN6thrust23THRUST_200600_302600_NS4pairIiiEENS0_10empty_typeEEEZZNS1_27merge_sort_block_merge_implIS3_NS6_6detail15normal_iteratorINS6_10device_ptrIS8_EEEEPS9_mNS6_4lessIS8_EEEE10hipError_tT0_T1_T2_jT3_P12ihipStream_tbPNSt15iterator_traitsISL_E10value_typeEPNSR_ISM_E10value_typeEPSN_NS1_7vsmem_tEENKUlT_SL_SM_SN_E_clIPS8_SG_SH_SH_EESK_S10_SL_SM_SN_EUlS10_E_NS1_11comp_targetILNS1_3genE3ELNS1_11target_archE908ELNS1_3gpuE7ELNS1_3repE0EEENS1_48merge_mergepath_partition_config_static_selectorELNS0_4arch9wavefront6targetE0EEEvSM_,comdat
.Lfunc_end637:
	.size	_ZN7rocprim17ROCPRIM_400000_NS6detail17trampoline_kernelINS0_14default_configENS1_38merge_sort_block_merge_config_selectorIN6thrust23THRUST_200600_302600_NS4pairIiiEENS0_10empty_typeEEEZZNS1_27merge_sort_block_merge_implIS3_NS6_6detail15normal_iteratorINS6_10device_ptrIS8_EEEEPS9_mNS6_4lessIS8_EEEE10hipError_tT0_T1_T2_jT3_P12ihipStream_tbPNSt15iterator_traitsISL_E10value_typeEPNSR_ISM_E10value_typeEPSN_NS1_7vsmem_tEENKUlT_SL_SM_SN_E_clIPS8_SG_SH_SH_EESK_S10_SL_SM_SN_EUlS10_E_NS1_11comp_targetILNS1_3genE3ELNS1_11target_archE908ELNS1_3gpuE7ELNS1_3repE0EEENS1_48merge_mergepath_partition_config_static_selectorELNS0_4arch9wavefront6targetE0EEEvSM_, .Lfunc_end637-_ZN7rocprim17ROCPRIM_400000_NS6detail17trampoline_kernelINS0_14default_configENS1_38merge_sort_block_merge_config_selectorIN6thrust23THRUST_200600_302600_NS4pairIiiEENS0_10empty_typeEEEZZNS1_27merge_sort_block_merge_implIS3_NS6_6detail15normal_iteratorINS6_10device_ptrIS8_EEEEPS9_mNS6_4lessIS8_EEEE10hipError_tT0_T1_T2_jT3_P12ihipStream_tbPNSt15iterator_traitsISL_E10value_typeEPNSR_ISM_E10value_typeEPSN_NS1_7vsmem_tEENKUlT_SL_SM_SN_E_clIPS8_SG_SH_SH_EESK_S10_SL_SM_SN_EUlS10_E_NS1_11comp_targetILNS1_3genE3ELNS1_11target_archE908ELNS1_3gpuE7ELNS1_3repE0EEENS1_48merge_mergepath_partition_config_static_selectorELNS0_4arch9wavefront6targetE0EEEvSM_
                                        ; -- End function
	.set _ZN7rocprim17ROCPRIM_400000_NS6detail17trampoline_kernelINS0_14default_configENS1_38merge_sort_block_merge_config_selectorIN6thrust23THRUST_200600_302600_NS4pairIiiEENS0_10empty_typeEEEZZNS1_27merge_sort_block_merge_implIS3_NS6_6detail15normal_iteratorINS6_10device_ptrIS8_EEEEPS9_mNS6_4lessIS8_EEEE10hipError_tT0_T1_T2_jT3_P12ihipStream_tbPNSt15iterator_traitsISL_E10value_typeEPNSR_ISM_E10value_typeEPSN_NS1_7vsmem_tEENKUlT_SL_SM_SN_E_clIPS8_SG_SH_SH_EESK_S10_SL_SM_SN_EUlS10_E_NS1_11comp_targetILNS1_3genE3ELNS1_11target_archE908ELNS1_3gpuE7ELNS1_3repE0EEENS1_48merge_mergepath_partition_config_static_selectorELNS0_4arch9wavefront6targetE0EEEvSM_.num_vgpr, 0
	.set _ZN7rocprim17ROCPRIM_400000_NS6detail17trampoline_kernelINS0_14default_configENS1_38merge_sort_block_merge_config_selectorIN6thrust23THRUST_200600_302600_NS4pairIiiEENS0_10empty_typeEEEZZNS1_27merge_sort_block_merge_implIS3_NS6_6detail15normal_iteratorINS6_10device_ptrIS8_EEEEPS9_mNS6_4lessIS8_EEEE10hipError_tT0_T1_T2_jT3_P12ihipStream_tbPNSt15iterator_traitsISL_E10value_typeEPNSR_ISM_E10value_typeEPSN_NS1_7vsmem_tEENKUlT_SL_SM_SN_E_clIPS8_SG_SH_SH_EESK_S10_SL_SM_SN_EUlS10_E_NS1_11comp_targetILNS1_3genE3ELNS1_11target_archE908ELNS1_3gpuE7ELNS1_3repE0EEENS1_48merge_mergepath_partition_config_static_selectorELNS0_4arch9wavefront6targetE0EEEvSM_.num_agpr, 0
	.set _ZN7rocprim17ROCPRIM_400000_NS6detail17trampoline_kernelINS0_14default_configENS1_38merge_sort_block_merge_config_selectorIN6thrust23THRUST_200600_302600_NS4pairIiiEENS0_10empty_typeEEEZZNS1_27merge_sort_block_merge_implIS3_NS6_6detail15normal_iteratorINS6_10device_ptrIS8_EEEEPS9_mNS6_4lessIS8_EEEE10hipError_tT0_T1_T2_jT3_P12ihipStream_tbPNSt15iterator_traitsISL_E10value_typeEPNSR_ISM_E10value_typeEPSN_NS1_7vsmem_tEENKUlT_SL_SM_SN_E_clIPS8_SG_SH_SH_EESK_S10_SL_SM_SN_EUlS10_E_NS1_11comp_targetILNS1_3genE3ELNS1_11target_archE908ELNS1_3gpuE7ELNS1_3repE0EEENS1_48merge_mergepath_partition_config_static_selectorELNS0_4arch9wavefront6targetE0EEEvSM_.numbered_sgpr, 0
	.set _ZN7rocprim17ROCPRIM_400000_NS6detail17trampoline_kernelINS0_14default_configENS1_38merge_sort_block_merge_config_selectorIN6thrust23THRUST_200600_302600_NS4pairIiiEENS0_10empty_typeEEEZZNS1_27merge_sort_block_merge_implIS3_NS6_6detail15normal_iteratorINS6_10device_ptrIS8_EEEEPS9_mNS6_4lessIS8_EEEE10hipError_tT0_T1_T2_jT3_P12ihipStream_tbPNSt15iterator_traitsISL_E10value_typeEPNSR_ISM_E10value_typeEPSN_NS1_7vsmem_tEENKUlT_SL_SM_SN_E_clIPS8_SG_SH_SH_EESK_S10_SL_SM_SN_EUlS10_E_NS1_11comp_targetILNS1_3genE3ELNS1_11target_archE908ELNS1_3gpuE7ELNS1_3repE0EEENS1_48merge_mergepath_partition_config_static_selectorELNS0_4arch9wavefront6targetE0EEEvSM_.num_named_barrier, 0
	.set _ZN7rocprim17ROCPRIM_400000_NS6detail17trampoline_kernelINS0_14default_configENS1_38merge_sort_block_merge_config_selectorIN6thrust23THRUST_200600_302600_NS4pairIiiEENS0_10empty_typeEEEZZNS1_27merge_sort_block_merge_implIS3_NS6_6detail15normal_iteratorINS6_10device_ptrIS8_EEEEPS9_mNS6_4lessIS8_EEEE10hipError_tT0_T1_T2_jT3_P12ihipStream_tbPNSt15iterator_traitsISL_E10value_typeEPNSR_ISM_E10value_typeEPSN_NS1_7vsmem_tEENKUlT_SL_SM_SN_E_clIPS8_SG_SH_SH_EESK_S10_SL_SM_SN_EUlS10_E_NS1_11comp_targetILNS1_3genE3ELNS1_11target_archE908ELNS1_3gpuE7ELNS1_3repE0EEENS1_48merge_mergepath_partition_config_static_selectorELNS0_4arch9wavefront6targetE0EEEvSM_.private_seg_size, 0
	.set _ZN7rocprim17ROCPRIM_400000_NS6detail17trampoline_kernelINS0_14default_configENS1_38merge_sort_block_merge_config_selectorIN6thrust23THRUST_200600_302600_NS4pairIiiEENS0_10empty_typeEEEZZNS1_27merge_sort_block_merge_implIS3_NS6_6detail15normal_iteratorINS6_10device_ptrIS8_EEEEPS9_mNS6_4lessIS8_EEEE10hipError_tT0_T1_T2_jT3_P12ihipStream_tbPNSt15iterator_traitsISL_E10value_typeEPNSR_ISM_E10value_typeEPSN_NS1_7vsmem_tEENKUlT_SL_SM_SN_E_clIPS8_SG_SH_SH_EESK_S10_SL_SM_SN_EUlS10_E_NS1_11comp_targetILNS1_3genE3ELNS1_11target_archE908ELNS1_3gpuE7ELNS1_3repE0EEENS1_48merge_mergepath_partition_config_static_selectorELNS0_4arch9wavefront6targetE0EEEvSM_.uses_vcc, 0
	.set _ZN7rocprim17ROCPRIM_400000_NS6detail17trampoline_kernelINS0_14default_configENS1_38merge_sort_block_merge_config_selectorIN6thrust23THRUST_200600_302600_NS4pairIiiEENS0_10empty_typeEEEZZNS1_27merge_sort_block_merge_implIS3_NS6_6detail15normal_iteratorINS6_10device_ptrIS8_EEEEPS9_mNS6_4lessIS8_EEEE10hipError_tT0_T1_T2_jT3_P12ihipStream_tbPNSt15iterator_traitsISL_E10value_typeEPNSR_ISM_E10value_typeEPSN_NS1_7vsmem_tEENKUlT_SL_SM_SN_E_clIPS8_SG_SH_SH_EESK_S10_SL_SM_SN_EUlS10_E_NS1_11comp_targetILNS1_3genE3ELNS1_11target_archE908ELNS1_3gpuE7ELNS1_3repE0EEENS1_48merge_mergepath_partition_config_static_selectorELNS0_4arch9wavefront6targetE0EEEvSM_.uses_flat_scratch, 0
	.set _ZN7rocprim17ROCPRIM_400000_NS6detail17trampoline_kernelINS0_14default_configENS1_38merge_sort_block_merge_config_selectorIN6thrust23THRUST_200600_302600_NS4pairIiiEENS0_10empty_typeEEEZZNS1_27merge_sort_block_merge_implIS3_NS6_6detail15normal_iteratorINS6_10device_ptrIS8_EEEEPS9_mNS6_4lessIS8_EEEE10hipError_tT0_T1_T2_jT3_P12ihipStream_tbPNSt15iterator_traitsISL_E10value_typeEPNSR_ISM_E10value_typeEPSN_NS1_7vsmem_tEENKUlT_SL_SM_SN_E_clIPS8_SG_SH_SH_EESK_S10_SL_SM_SN_EUlS10_E_NS1_11comp_targetILNS1_3genE3ELNS1_11target_archE908ELNS1_3gpuE7ELNS1_3repE0EEENS1_48merge_mergepath_partition_config_static_selectorELNS0_4arch9wavefront6targetE0EEEvSM_.has_dyn_sized_stack, 0
	.set _ZN7rocprim17ROCPRIM_400000_NS6detail17trampoline_kernelINS0_14default_configENS1_38merge_sort_block_merge_config_selectorIN6thrust23THRUST_200600_302600_NS4pairIiiEENS0_10empty_typeEEEZZNS1_27merge_sort_block_merge_implIS3_NS6_6detail15normal_iteratorINS6_10device_ptrIS8_EEEEPS9_mNS6_4lessIS8_EEEE10hipError_tT0_T1_T2_jT3_P12ihipStream_tbPNSt15iterator_traitsISL_E10value_typeEPNSR_ISM_E10value_typeEPSN_NS1_7vsmem_tEENKUlT_SL_SM_SN_E_clIPS8_SG_SH_SH_EESK_S10_SL_SM_SN_EUlS10_E_NS1_11comp_targetILNS1_3genE3ELNS1_11target_archE908ELNS1_3gpuE7ELNS1_3repE0EEENS1_48merge_mergepath_partition_config_static_selectorELNS0_4arch9wavefront6targetE0EEEvSM_.has_recursion, 0
	.set _ZN7rocprim17ROCPRIM_400000_NS6detail17trampoline_kernelINS0_14default_configENS1_38merge_sort_block_merge_config_selectorIN6thrust23THRUST_200600_302600_NS4pairIiiEENS0_10empty_typeEEEZZNS1_27merge_sort_block_merge_implIS3_NS6_6detail15normal_iteratorINS6_10device_ptrIS8_EEEEPS9_mNS6_4lessIS8_EEEE10hipError_tT0_T1_T2_jT3_P12ihipStream_tbPNSt15iterator_traitsISL_E10value_typeEPNSR_ISM_E10value_typeEPSN_NS1_7vsmem_tEENKUlT_SL_SM_SN_E_clIPS8_SG_SH_SH_EESK_S10_SL_SM_SN_EUlS10_E_NS1_11comp_targetILNS1_3genE3ELNS1_11target_archE908ELNS1_3gpuE7ELNS1_3repE0EEENS1_48merge_mergepath_partition_config_static_selectorELNS0_4arch9wavefront6targetE0EEEvSM_.has_indirect_call, 0
	.section	.AMDGPU.csdata,"",@progbits
; Kernel info:
; codeLenInByte = 0
; TotalNumSgprs: 0
; NumVgprs: 0
; ScratchSize: 0
; MemoryBound: 0
; FloatMode: 240
; IeeeMode: 1
; LDSByteSize: 0 bytes/workgroup (compile time only)
; SGPRBlocks: 0
; VGPRBlocks: 0
; NumSGPRsForWavesPerEU: 1
; NumVGPRsForWavesPerEU: 1
; Occupancy: 16
; WaveLimiterHint : 0
; COMPUTE_PGM_RSRC2:SCRATCH_EN: 0
; COMPUTE_PGM_RSRC2:USER_SGPR: 6
; COMPUTE_PGM_RSRC2:TRAP_HANDLER: 0
; COMPUTE_PGM_RSRC2:TGID_X_EN: 1
; COMPUTE_PGM_RSRC2:TGID_Y_EN: 0
; COMPUTE_PGM_RSRC2:TGID_Z_EN: 0
; COMPUTE_PGM_RSRC2:TIDIG_COMP_CNT: 0
	.section	.text._ZN7rocprim17ROCPRIM_400000_NS6detail17trampoline_kernelINS0_14default_configENS1_38merge_sort_block_merge_config_selectorIN6thrust23THRUST_200600_302600_NS4pairIiiEENS0_10empty_typeEEEZZNS1_27merge_sort_block_merge_implIS3_NS6_6detail15normal_iteratorINS6_10device_ptrIS8_EEEEPS9_mNS6_4lessIS8_EEEE10hipError_tT0_T1_T2_jT3_P12ihipStream_tbPNSt15iterator_traitsISL_E10value_typeEPNSR_ISM_E10value_typeEPSN_NS1_7vsmem_tEENKUlT_SL_SM_SN_E_clIPS8_SG_SH_SH_EESK_S10_SL_SM_SN_EUlS10_E_NS1_11comp_targetILNS1_3genE2ELNS1_11target_archE906ELNS1_3gpuE6ELNS1_3repE0EEENS1_48merge_mergepath_partition_config_static_selectorELNS0_4arch9wavefront6targetE0EEEvSM_,"axG",@progbits,_ZN7rocprim17ROCPRIM_400000_NS6detail17trampoline_kernelINS0_14default_configENS1_38merge_sort_block_merge_config_selectorIN6thrust23THRUST_200600_302600_NS4pairIiiEENS0_10empty_typeEEEZZNS1_27merge_sort_block_merge_implIS3_NS6_6detail15normal_iteratorINS6_10device_ptrIS8_EEEEPS9_mNS6_4lessIS8_EEEE10hipError_tT0_T1_T2_jT3_P12ihipStream_tbPNSt15iterator_traitsISL_E10value_typeEPNSR_ISM_E10value_typeEPSN_NS1_7vsmem_tEENKUlT_SL_SM_SN_E_clIPS8_SG_SH_SH_EESK_S10_SL_SM_SN_EUlS10_E_NS1_11comp_targetILNS1_3genE2ELNS1_11target_archE906ELNS1_3gpuE6ELNS1_3repE0EEENS1_48merge_mergepath_partition_config_static_selectorELNS0_4arch9wavefront6targetE0EEEvSM_,comdat
	.protected	_ZN7rocprim17ROCPRIM_400000_NS6detail17trampoline_kernelINS0_14default_configENS1_38merge_sort_block_merge_config_selectorIN6thrust23THRUST_200600_302600_NS4pairIiiEENS0_10empty_typeEEEZZNS1_27merge_sort_block_merge_implIS3_NS6_6detail15normal_iteratorINS6_10device_ptrIS8_EEEEPS9_mNS6_4lessIS8_EEEE10hipError_tT0_T1_T2_jT3_P12ihipStream_tbPNSt15iterator_traitsISL_E10value_typeEPNSR_ISM_E10value_typeEPSN_NS1_7vsmem_tEENKUlT_SL_SM_SN_E_clIPS8_SG_SH_SH_EESK_S10_SL_SM_SN_EUlS10_E_NS1_11comp_targetILNS1_3genE2ELNS1_11target_archE906ELNS1_3gpuE6ELNS1_3repE0EEENS1_48merge_mergepath_partition_config_static_selectorELNS0_4arch9wavefront6targetE0EEEvSM_ ; -- Begin function _ZN7rocprim17ROCPRIM_400000_NS6detail17trampoline_kernelINS0_14default_configENS1_38merge_sort_block_merge_config_selectorIN6thrust23THRUST_200600_302600_NS4pairIiiEENS0_10empty_typeEEEZZNS1_27merge_sort_block_merge_implIS3_NS6_6detail15normal_iteratorINS6_10device_ptrIS8_EEEEPS9_mNS6_4lessIS8_EEEE10hipError_tT0_T1_T2_jT3_P12ihipStream_tbPNSt15iterator_traitsISL_E10value_typeEPNSR_ISM_E10value_typeEPSN_NS1_7vsmem_tEENKUlT_SL_SM_SN_E_clIPS8_SG_SH_SH_EESK_S10_SL_SM_SN_EUlS10_E_NS1_11comp_targetILNS1_3genE2ELNS1_11target_archE906ELNS1_3gpuE6ELNS1_3repE0EEENS1_48merge_mergepath_partition_config_static_selectorELNS0_4arch9wavefront6targetE0EEEvSM_
	.globl	_ZN7rocprim17ROCPRIM_400000_NS6detail17trampoline_kernelINS0_14default_configENS1_38merge_sort_block_merge_config_selectorIN6thrust23THRUST_200600_302600_NS4pairIiiEENS0_10empty_typeEEEZZNS1_27merge_sort_block_merge_implIS3_NS6_6detail15normal_iteratorINS6_10device_ptrIS8_EEEEPS9_mNS6_4lessIS8_EEEE10hipError_tT0_T1_T2_jT3_P12ihipStream_tbPNSt15iterator_traitsISL_E10value_typeEPNSR_ISM_E10value_typeEPSN_NS1_7vsmem_tEENKUlT_SL_SM_SN_E_clIPS8_SG_SH_SH_EESK_S10_SL_SM_SN_EUlS10_E_NS1_11comp_targetILNS1_3genE2ELNS1_11target_archE906ELNS1_3gpuE6ELNS1_3repE0EEENS1_48merge_mergepath_partition_config_static_selectorELNS0_4arch9wavefront6targetE0EEEvSM_
	.p2align	8
	.type	_ZN7rocprim17ROCPRIM_400000_NS6detail17trampoline_kernelINS0_14default_configENS1_38merge_sort_block_merge_config_selectorIN6thrust23THRUST_200600_302600_NS4pairIiiEENS0_10empty_typeEEEZZNS1_27merge_sort_block_merge_implIS3_NS6_6detail15normal_iteratorINS6_10device_ptrIS8_EEEEPS9_mNS6_4lessIS8_EEEE10hipError_tT0_T1_T2_jT3_P12ihipStream_tbPNSt15iterator_traitsISL_E10value_typeEPNSR_ISM_E10value_typeEPSN_NS1_7vsmem_tEENKUlT_SL_SM_SN_E_clIPS8_SG_SH_SH_EESK_S10_SL_SM_SN_EUlS10_E_NS1_11comp_targetILNS1_3genE2ELNS1_11target_archE906ELNS1_3gpuE6ELNS1_3repE0EEENS1_48merge_mergepath_partition_config_static_selectorELNS0_4arch9wavefront6targetE0EEEvSM_,@function
_ZN7rocprim17ROCPRIM_400000_NS6detail17trampoline_kernelINS0_14default_configENS1_38merge_sort_block_merge_config_selectorIN6thrust23THRUST_200600_302600_NS4pairIiiEENS0_10empty_typeEEEZZNS1_27merge_sort_block_merge_implIS3_NS6_6detail15normal_iteratorINS6_10device_ptrIS8_EEEEPS9_mNS6_4lessIS8_EEEE10hipError_tT0_T1_T2_jT3_P12ihipStream_tbPNSt15iterator_traitsISL_E10value_typeEPNSR_ISM_E10value_typeEPSN_NS1_7vsmem_tEENKUlT_SL_SM_SN_E_clIPS8_SG_SH_SH_EESK_S10_SL_SM_SN_EUlS10_E_NS1_11comp_targetILNS1_3genE2ELNS1_11target_archE906ELNS1_3gpuE6ELNS1_3repE0EEENS1_48merge_mergepath_partition_config_static_selectorELNS0_4arch9wavefront6targetE0EEEvSM_: ; @_ZN7rocprim17ROCPRIM_400000_NS6detail17trampoline_kernelINS0_14default_configENS1_38merge_sort_block_merge_config_selectorIN6thrust23THRUST_200600_302600_NS4pairIiiEENS0_10empty_typeEEEZZNS1_27merge_sort_block_merge_implIS3_NS6_6detail15normal_iteratorINS6_10device_ptrIS8_EEEEPS9_mNS6_4lessIS8_EEEE10hipError_tT0_T1_T2_jT3_P12ihipStream_tbPNSt15iterator_traitsISL_E10value_typeEPNSR_ISM_E10value_typeEPSN_NS1_7vsmem_tEENKUlT_SL_SM_SN_E_clIPS8_SG_SH_SH_EESK_S10_SL_SM_SN_EUlS10_E_NS1_11comp_targetILNS1_3genE2ELNS1_11target_archE906ELNS1_3gpuE6ELNS1_3repE0EEENS1_48merge_mergepath_partition_config_static_selectorELNS0_4arch9wavefront6targetE0EEEvSM_
; %bb.0:
	.section	.rodata,"a",@progbits
	.p2align	6, 0x0
	.amdhsa_kernel _ZN7rocprim17ROCPRIM_400000_NS6detail17trampoline_kernelINS0_14default_configENS1_38merge_sort_block_merge_config_selectorIN6thrust23THRUST_200600_302600_NS4pairIiiEENS0_10empty_typeEEEZZNS1_27merge_sort_block_merge_implIS3_NS6_6detail15normal_iteratorINS6_10device_ptrIS8_EEEEPS9_mNS6_4lessIS8_EEEE10hipError_tT0_T1_T2_jT3_P12ihipStream_tbPNSt15iterator_traitsISL_E10value_typeEPNSR_ISM_E10value_typeEPSN_NS1_7vsmem_tEENKUlT_SL_SM_SN_E_clIPS8_SG_SH_SH_EESK_S10_SL_SM_SN_EUlS10_E_NS1_11comp_targetILNS1_3genE2ELNS1_11target_archE906ELNS1_3gpuE6ELNS1_3repE0EEENS1_48merge_mergepath_partition_config_static_selectorELNS0_4arch9wavefront6targetE0EEEvSM_
		.amdhsa_group_segment_fixed_size 0
		.amdhsa_private_segment_fixed_size 0
		.amdhsa_kernarg_size 48
		.amdhsa_user_sgpr_count 6
		.amdhsa_user_sgpr_private_segment_buffer 1
		.amdhsa_user_sgpr_dispatch_ptr 0
		.amdhsa_user_sgpr_queue_ptr 0
		.amdhsa_user_sgpr_kernarg_segment_ptr 1
		.amdhsa_user_sgpr_dispatch_id 0
		.amdhsa_user_sgpr_flat_scratch_init 0
		.amdhsa_user_sgpr_private_segment_size 0
		.amdhsa_wavefront_size32 1
		.amdhsa_uses_dynamic_stack 0
		.amdhsa_system_sgpr_private_segment_wavefront_offset 0
		.amdhsa_system_sgpr_workgroup_id_x 1
		.amdhsa_system_sgpr_workgroup_id_y 0
		.amdhsa_system_sgpr_workgroup_id_z 0
		.amdhsa_system_sgpr_workgroup_info 0
		.amdhsa_system_vgpr_workitem_id 0
		.amdhsa_next_free_vgpr 1
		.amdhsa_next_free_sgpr 1
		.amdhsa_reserve_vcc 0
		.amdhsa_reserve_flat_scratch 0
		.amdhsa_float_round_mode_32 0
		.amdhsa_float_round_mode_16_64 0
		.amdhsa_float_denorm_mode_32 3
		.amdhsa_float_denorm_mode_16_64 3
		.amdhsa_dx10_clamp 1
		.amdhsa_ieee_mode 1
		.amdhsa_fp16_overflow 0
		.amdhsa_workgroup_processor_mode 1
		.amdhsa_memory_ordered 1
		.amdhsa_forward_progress 1
		.amdhsa_shared_vgpr_count 0
		.amdhsa_exception_fp_ieee_invalid_op 0
		.amdhsa_exception_fp_denorm_src 0
		.amdhsa_exception_fp_ieee_div_zero 0
		.amdhsa_exception_fp_ieee_overflow 0
		.amdhsa_exception_fp_ieee_underflow 0
		.amdhsa_exception_fp_ieee_inexact 0
		.amdhsa_exception_int_div_zero 0
	.end_amdhsa_kernel
	.section	.text._ZN7rocprim17ROCPRIM_400000_NS6detail17trampoline_kernelINS0_14default_configENS1_38merge_sort_block_merge_config_selectorIN6thrust23THRUST_200600_302600_NS4pairIiiEENS0_10empty_typeEEEZZNS1_27merge_sort_block_merge_implIS3_NS6_6detail15normal_iteratorINS6_10device_ptrIS8_EEEEPS9_mNS6_4lessIS8_EEEE10hipError_tT0_T1_T2_jT3_P12ihipStream_tbPNSt15iterator_traitsISL_E10value_typeEPNSR_ISM_E10value_typeEPSN_NS1_7vsmem_tEENKUlT_SL_SM_SN_E_clIPS8_SG_SH_SH_EESK_S10_SL_SM_SN_EUlS10_E_NS1_11comp_targetILNS1_3genE2ELNS1_11target_archE906ELNS1_3gpuE6ELNS1_3repE0EEENS1_48merge_mergepath_partition_config_static_selectorELNS0_4arch9wavefront6targetE0EEEvSM_,"axG",@progbits,_ZN7rocprim17ROCPRIM_400000_NS6detail17trampoline_kernelINS0_14default_configENS1_38merge_sort_block_merge_config_selectorIN6thrust23THRUST_200600_302600_NS4pairIiiEENS0_10empty_typeEEEZZNS1_27merge_sort_block_merge_implIS3_NS6_6detail15normal_iteratorINS6_10device_ptrIS8_EEEEPS9_mNS6_4lessIS8_EEEE10hipError_tT0_T1_T2_jT3_P12ihipStream_tbPNSt15iterator_traitsISL_E10value_typeEPNSR_ISM_E10value_typeEPSN_NS1_7vsmem_tEENKUlT_SL_SM_SN_E_clIPS8_SG_SH_SH_EESK_S10_SL_SM_SN_EUlS10_E_NS1_11comp_targetILNS1_3genE2ELNS1_11target_archE906ELNS1_3gpuE6ELNS1_3repE0EEENS1_48merge_mergepath_partition_config_static_selectorELNS0_4arch9wavefront6targetE0EEEvSM_,comdat
.Lfunc_end638:
	.size	_ZN7rocprim17ROCPRIM_400000_NS6detail17trampoline_kernelINS0_14default_configENS1_38merge_sort_block_merge_config_selectorIN6thrust23THRUST_200600_302600_NS4pairIiiEENS0_10empty_typeEEEZZNS1_27merge_sort_block_merge_implIS3_NS6_6detail15normal_iteratorINS6_10device_ptrIS8_EEEEPS9_mNS6_4lessIS8_EEEE10hipError_tT0_T1_T2_jT3_P12ihipStream_tbPNSt15iterator_traitsISL_E10value_typeEPNSR_ISM_E10value_typeEPSN_NS1_7vsmem_tEENKUlT_SL_SM_SN_E_clIPS8_SG_SH_SH_EESK_S10_SL_SM_SN_EUlS10_E_NS1_11comp_targetILNS1_3genE2ELNS1_11target_archE906ELNS1_3gpuE6ELNS1_3repE0EEENS1_48merge_mergepath_partition_config_static_selectorELNS0_4arch9wavefront6targetE0EEEvSM_, .Lfunc_end638-_ZN7rocprim17ROCPRIM_400000_NS6detail17trampoline_kernelINS0_14default_configENS1_38merge_sort_block_merge_config_selectorIN6thrust23THRUST_200600_302600_NS4pairIiiEENS0_10empty_typeEEEZZNS1_27merge_sort_block_merge_implIS3_NS6_6detail15normal_iteratorINS6_10device_ptrIS8_EEEEPS9_mNS6_4lessIS8_EEEE10hipError_tT0_T1_T2_jT3_P12ihipStream_tbPNSt15iterator_traitsISL_E10value_typeEPNSR_ISM_E10value_typeEPSN_NS1_7vsmem_tEENKUlT_SL_SM_SN_E_clIPS8_SG_SH_SH_EESK_S10_SL_SM_SN_EUlS10_E_NS1_11comp_targetILNS1_3genE2ELNS1_11target_archE906ELNS1_3gpuE6ELNS1_3repE0EEENS1_48merge_mergepath_partition_config_static_selectorELNS0_4arch9wavefront6targetE0EEEvSM_
                                        ; -- End function
	.set _ZN7rocprim17ROCPRIM_400000_NS6detail17trampoline_kernelINS0_14default_configENS1_38merge_sort_block_merge_config_selectorIN6thrust23THRUST_200600_302600_NS4pairIiiEENS0_10empty_typeEEEZZNS1_27merge_sort_block_merge_implIS3_NS6_6detail15normal_iteratorINS6_10device_ptrIS8_EEEEPS9_mNS6_4lessIS8_EEEE10hipError_tT0_T1_T2_jT3_P12ihipStream_tbPNSt15iterator_traitsISL_E10value_typeEPNSR_ISM_E10value_typeEPSN_NS1_7vsmem_tEENKUlT_SL_SM_SN_E_clIPS8_SG_SH_SH_EESK_S10_SL_SM_SN_EUlS10_E_NS1_11comp_targetILNS1_3genE2ELNS1_11target_archE906ELNS1_3gpuE6ELNS1_3repE0EEENS1_48merge_mergepath_partition_config_static_selectorELNS0_4arch9wavefront6targetE0EEEvSM_.num_vgpr, 0
	.set _ZN7rocprim17ROCPRIM_400000_NS6detail17trampoline_kernelINS0_14default_configENS1_38merge_sort_block_merge_config_selectorIN6thrust23THRUST_200600_302600_NS4pairIiiEENS0_10empty_typeEEEZZNS1_27merge_sort_block_merge_implIS3_NS6_6detail15normal_iteratorINS6_10device_ptrIS8_EEEEPS9_mNS6_4lessIS8_EEEE10hipError_tT0_T1_T2_jT3_P12ihipStream_tbPNSt15iterator_traitsISL_E10value_typeEPNSR_ISM_E10value_typeEPSN_NS1_7vsmem_tEENKUlT_SL_SM_SN_E_clIPS8_SG_SH_SH_EESK_S10_SL_SM_SN_EUlS10_E_NS1_11comp_targetILNS1_3genE2ELNS1_11target_archE906ELNS1_3gpuE6ELNS1_3repE0EEENS1_48merge_mergepath_partition_config_static_selectorELNS0_4arch9wavefront6targetE0EEEvSM_.num_agpr, 0
	.set _ZN7rocprim17ROCPRIM_400000_NS6detail17trampoline_kernelINS0_14default_configENS1_38merge_sort_block_merge_config_selectorIN6thrust23THRUST_200600_302600_NS4pairIiiEENS0_10empty_typeEEEZZNS1_27merge_sort_block_merge_implIS3_NS6_6detail15normal_iteratorINS6_10device_ptrIS8_EEEEPS9_mNS6_4lessIS8_EEEE10hipError_tT0_T1_T2_jT3_P12ihipStream_tbPNSt15iterator_traitsISL_E10value_typeEPNSR_ISM_E10value_typeEPSN_NS1_7vsmem_tEENKUlT_SL_SM_SN_E_clIPS8_SG_SH_SH_EESK_S10_SL_SM_SN_EUlS10_E_NS1_11comp_targetILNS1_3genE2ELNS1_11target_archE906ELNS1_3gpuE6ELNS1_3repE0EEENS1_48merge_mergepath_partition_config_static_selectorELNS0_4arch9wavefront6targetE0EEEvSM_.numbered_sgpr, 0
	.set _ZN7rocprim17ROCPRIM_400000_NS6detail17trampoline_kernelINS0_14default_configENS1_38merge_sort_block_merge_config_selectorIN6thrust23THRUST_200600_302600_NS4pairIiiEENS0_10empty_typeEEEZZNS1_27merge_sort_block_merge_implIS3_NS6_6detail15normal_iteratorINS6_10device_ptrIS8_EEEEPS9_mNS6_4lessIS8_EEEE10hipError_tT0_T1_T2_jT3_P12ihipStream_tbPNSt15iterator_traitsISL_E10value_typeEPNSR_ISM_E10value_typeEPSN_NS1_7vsmem_tEENKUlT_SL_SM_SN_E_clIPS8_SG_SH_SH_EESK_S10_SL_SM_SN_EUlS10_E_NS1_11comp_targetILNS1_3genE2ELNS1_11target_archE906ELNS1_3gpuE6ELNS1_3repE0EEENS1_48merge_mergepath_partition_config_static_selectorELNS0_4arch9wavefront6targetE0EEEvSM_.num_named_barrier, 0
	.set _ZN7rocprim17ROCPRIM_400000_NS6detail17trampoline_kernelINS0_14default_configENS1_38merge_sort_block_merge_config_selectorIN6thrust23THRUST_200600_302600_NS4pairIiiEENS0_10empty_typeEEEZZNS1_27merge_sort_block_merge_implIS3_NS6_6detail15normal_iteratorINS6_10device_ptrIS8_EEEEPS9_mNS6_4lessIS8_EEEE10hipError_tT0_T1_T2_jT3_P12ihipStream_tbPNSt15iterator_traitsISL_E10value_typeEPNSR_ISM_E10value_typeEPSN_NS1_7vsmem_tEENKUlT_SL_SM_SN_E_clIPS8_SG_SH_SH_EESK_S10_SL_SM_SN_EUlS10_E_NS1_11comp_targetILNS1_3genE2ELNS1_11target_archE906ELNS1_3gpuE6ELNS1_3repE0EEENS1_48merge_mergepath_partition_config_static_selectorELNS0_4arch9wavefront6targetE0EEEvSM_.private_seg_size, 0
	.set _ZN7rocprim17ROCPRIM_400000_NS6detail17trampoline_kernelINS0_14default_configENS1_38merge_sort_block_merge_config_selectorIN6thrust23THRUST_200600_302600_NS4pairIiiEENS0_10empty_typeEEEZZNS1_27merge_sort_block_merge_implIS3_NS6_6detail15normal_iteratorINS6_10device_ptrIS8_EEEEPS9_mNS6_4lessIS8_EEEE10hipError_tT0_T1_T2_jT3_P12ihipStream_tbPNSt15iterator_traitsISL_E10value_typeEPNSR_ISM_E10value_typeEPSN_NS1_7vsmem_tEENKUlT_SL_SM_SN_E_clIPS8_SG_SH_SH_EESK_S10_SL_SM_SN_EUlS10_E_NS1_11comp_targetILNS1_3genE2ELNS1_11target_archE906ELNS1_3gpuE6ELNS1_3repE0EEENS1_48merge_mergepath_partition_config_static_selectorELNS0_4arch9wavefront6targetE0EEEvSM_.uses_vcc, 0
	.set _ZN7rocprim17ROCPRIM_400000_NS6detail17trampoline_kernelINS0_14default_configENS1_38merge_sort_block_merge_config_selectorIN6thrust23THRUST_200600_302600_NS4pairIiiEENS0_10empty_typeEEEZZNS1_27merge_sort_block_merge_implIS3_NS6_6detail15normal_iteratorINS6_10device_ptrIS8_EEEEPS9_mNS6_4lessIS8_EEEE10hipError_tT0_T1_T2_jT3_P12ihipStream_tbPNSt15iterator_traitsISL_E10value_typeEPNSR_ISM_E10value_typeEPSN_NS1_7vsmem_tEENKUlT_SL_SM_SN_E_clIPS8_SG_SH_SH_EESK_S10_SL_SM_SN_EUlS10_E_NS1_11comp_targetILNS1_3genE2ELNS1_11target_archE906ELNS1_3gpuE6ELNS1_3repE0EEENS1_48merge_mergepath_partition_config_static_selectorELNS0_4arch9wavefront6targetE0EEEvSM_.uses_flat_scratch, 0
	.set _ZN7rocprim17ROCPRIM_400000_NS6detail17trampoline_kernelINS0_14default_configENS1_38merge_sort_block_merge_config_selectorIN6thrust23THRUST_200600_302600_NS4pairIiiEENS0_10empty_typeEEEZZNS1_27merge_sort_block_merge_implIS3_NS6_6detail15normal_iteratorINS6_10device_ptrIS8_EEEEPS9_mNS6_4lessIS8_EEEE10hipError_tT0_T1_T2_jT3_P12ihipStream_tbPNSt15iterator_traitsISL_E10value_typeEPNSR_ISM_E10value_typeEPSN_NS1_7vsmem_tEENKUlT_SL_SM_SN_E_clIPS8_SG_SH_SH_EESK_S10_SL_SM_SN_EUlS10_E_NS1_11comp_targetILNS1_3genE2ELNS1_11target_archE906ELNS1_3gpuE6ELNS1_3repE0EEENS1_48merge_mergepath_partition_config_static_selectorELNS0_4arch9wavefront6targetE0EEEvSM_.has_dyn_sized_stack, 0
	.set _ZN7rocprim17ROCPRIM_400000_NS6detail17trampoline_kernelINS0_14default_configENS1_38merge_sort_block_merge_config_selectorIN6thrust23THRUST_200600_302600_NS4pairIiiEENS0_10empty_typeEEEZZNS1_27merge_sort_block_merge_implIS3_NS6_6detail15normal_iteratorINS6_10device_ptrIS8_EEEEPS9_mNS6_4lessIS8_EEEE10hipError_tT0_T1_T2_jT3_P12ihipStream_tbPNSt15iterator_traitsISL_E10value_typeEPNSR_ISM_E10value_typeEPSN_NS1_7vsmem_tEENKUlT_SL_SM_SN_E_clIPS8_SG_SH_SH_EESK_S10_SL_SM_SN_EUlS10_E_NS1_11comp_targetILNS1_3genE2ELNS1_11target_archE906ELNS1_3gpuE6ELNS1_3repE0EEENS1_48merge_mergepath_partition_config_static_selectorELNS0_4arch9wavefront6targetE0EEEvSM_.has_recursion, 0
	.set _ZN7rocprim17ROCPRIM_400000_NS6detail17trampoline_kernelINS0_14default_configENS1_38merge_sort_block_merge_config_selectorIN6thrust23THRUST_200600_302600_NS4pairIiiEENS0_10empty_typeEEEZZNS1_27merge_sort_block_merge_implIS3_NS6_6detail15normal_iteratorINS6_10device_ptrIS8_EEEEPS9_mNS6_4lessIS8_EEEE10hipError_tT0_T1_T2_jT3_P12ihipStream_tbPNSt15iterator_traitsISL_E10value_typeEPNSR_ISM_E10value_typeEPSN_NS1_7vsmem_tEENKUlT_SL_SM_SN_E_clIPS8_SG_SH_SH_EESK_S10_SL_SM_SN_EUlS10_E_NS1_11comp_targetILNS1_3genE2ELNS1_11target_archE906ELNS1_3gpuE6ELNS1_3repE0EEENS1_48merge_mergepath_partition_config_static_selectorELNS0_4arch9wavefront6targetE0EEEvSM_.has_indirect_call, 0
	.section	.AMDGPU.csdata,"",@progbits
; Kernel info:
; codeLenInByte = 0
; TotalNumSgprs: 0
; NumVgprs: 0
; ScratchSize: 0
; MemoryBound: 0
; FloatMode: 240
; IeeeMode: 1
; LDSByteSize: 0 bytes/workgroup (compile time only)
; SGPRBlocks: 0
; VGPRBlocks: 0
; NumSGPRsForWavesPerEU: 1
; NumVGPRsForWavesPerEU: 1
; Occupancy: 16
; WaveLimiterHint : 0
; COMPUTE_PGM_RSRC2:SCRATCH_EN: 0
; COMPUTE_PGM_RSRC2:USER_SGPR: 6
; COMPUTE_PGM_RSRC2:TRAP_HANDLER: 0
; COMPUTE_PGM_RSRC2:TGID_X_EN: 1
; COMPUTE_PGM_RSRC2:TGID_Y_EN: 0
; COMPUTE_PGM_RSRC2:TGID_Z_EN: 0
; COMPUTE_PGM_RSRC2:TIDIG_COMP_CNT: 0
	.section	.text._ZN7rocprim17ROCPRIM_400000_NS6detail17trampoline_kernelINS0_14default_configENS1_38merge_sort_block_merge_config_selectorIN6thrust23THRUST_200600_302600_NS4pairIiiEENS0_10empty_typeEEEZZNS1_27merge_sort_block_merge_implIS3_NS6_6detail15normal_iteratorINS6_10device_ptrIS8_EEEEPS9_mNS6_4lessIS8_EEEE10hipError_tT0_T1_T2_jT3_P12ihipStream_tbPNSt15iterator_traitsISL_E10value_typeEPNSR_ISM_E10value_typeEPSN_NS1_7vsmem_tEENKUlT_SL_SM_SN_E_clIPS8_SG_SH_SH_EESK_S10_SL_SM_SN_EUlS10_E_NS1_11comp_targetILNS1_3genE9ELNS1_11target_archE1100ELNS1_3gpuE3ELNS1_3repE0EEENS1_48merge_mergepath_partition_config_static_selectorELNS0_4arch9wavefront6targetE0EEEvSM_,"axG",@progbits,_ZN7rocprim17ROCPRIM_400000_NS6detail17trampoline_kernelINS0_14default_configENS1_38merge_sort_block_merge_config_selectorIN6thrust23THRUST_200600_302600_NS4pairIiiEENS0_10empty_typeEEEZZNS1_27merge_sort_block_merge_implIS3_NS6_6detail15normal_iteratorINS6_10device_ptrIS8_EEEEPS9_mNS6_4lessIS8_EEEE10hipError_tT0_T1_T2_jT3_P12ihipStream_tbPNSt15iterator_traitsISL_E10value_typeEPNSR_ISM_E10value_typeEPSN_NS1_7vsmem_tEENKUlT_SL_SM_SN_E_clIPS8_SG_SH_SH_EESK_S10_SL_SM_SN_EUlS10_E_NS1_11comp_targetILNS1_3genE9ELNS1_11target_archE1100ELNS1_3gpuE3ELNS1_3repE0EEENS1_48merge_mergepath_partition_config_static_selectorELNS0_4arch9wavefront6targetE0EEEvSM_,comdat
	.protected	_ZN7rocprim17ROCPRIM_400000_NS6detail17trampoline_kernelINS0_14default_configENS1_38merge_sort_block_merge_config_selectorIN6thrust23THRUST_200600_302600_NS4pairIiiEENS0_10empty_typeEEEZZNS1_27merge_sort_block_merge_implIS3_NS6_6detail15normal_iteratorINS6_10device_ptrIS8_EEEEPS9_mNS6_4lessIS8_EEEE10hipError_tT0_T1_T2_jT3_P12ihipStream_tbPNSt15iterator_traitsISL_E10value_typeEPNSR_ISM_E10value_typeEPSN_NS1_7vsmem_tEENKUlT_SL_SM_SN_E_clIPS8_SG_SH_SH_EESK_S10_SL_SM_SN_EUlS10_E_NS1_11comp_targetILNS1_3genE9ELNS1_11target_archE1100ELNS1_3gpuE3ELNS1_3repE0EEENS1_48merge_mergepath_partition_config_static_selectorELNS0_4arch9wavefront6targetE0EEEvSM_ ; -- Begin function _ZN7rocprim17ROCPRIM_400000_NS6detail17trampoline_kernelINS0_14default_configENS1_38merge_sort_block_merge_config_selectorIN6thrust23THRUST_200600_302600_NS4pairIiiEENS0_10empty_typeEEEZZNS1_27merge_sort_block_merge_implIS3_NS6_6detail15normal_iteratorINS6_10device_ptrIS8_EEEEPS9_mNS6_4lessIS8_EEEE10hipError_tT0_T1_T2_jT3_P12ihipStream_tbPNSt15iterator_traitsISL_E10value_typeEPNSR_ISM_E10value_typeEPSN_NS1_7vsmem_tEENKUlT_SL_SM_SN_E_clIPS8_SG_SH_SH_EESK_S10_SL_SM_SN_EUlS10_E_NS1_11comp_targetILNS1_3genE9ELNS1_11target_archE1100ELNS1_3gpuE3ELNS1_3repE0EEENS1_48merge_mergepath_partition_config_static_selectorELNS0_4arch9wavefront6targetE0EEEvSM_
	.globl	_ZN7rocprim17ROCPRIM_400000_NS6detail17trampoline_kernelINS0_14default_configENS1_38merge_sort_block_merge_config_selectorIN6thrust23THRUST_200600_302600_NS4pairIiiEENS0_10empty_typeEEEZZNS1_27merge_sort_block_merge_implIS3_NS6_6detail15normal_iteratorINS6_10device_ptrIS8_EEEEPS9_mNS6_4lessIS8_EEEE10hipError_tT0_T1_T2_jT3_P12ihipStream_tbPNSt15iterator_traitsISL_E10value_typeEPNSR_ISM_E10value_typeEPSN_NS1_7vsmem_tEENKUlT_SL_SM_SN_E_clIPS8_SG_SH_SH_EESK_S10_SL_SM_SN_EUlS10_E_NS1_11comp_targetILNS1_3genE9ELNS1_11target_archE1100ELNS1_3gpuE3ELNS1_3repE0EEENS1_48merge_mergepath_partition_config_static_selectorELNS0_4arch9wavefront6targetE0EEEvSM_
	.p2align	8
	.type	_ZN7rocprim17ROCPRIM_400000_NS6detail17trampoline_kernelINS0_14default_configENS1_38merge_sort_block_merge_config_selectorIN6thrust23THRUST_200600_302600_NS4pairIiiEENS0_10empty_typeEEEZZNS1_27merge_sort_block_merge_implIS3_NS6_6detail15normal_iteratorINS6_10device_ptrIS8_EEEEPS9_mNS6_4lessIS8_EEEE10hipError_tT0_T1_T2_jT3_P12ihipStream_tbPNSt15iterator_traitsISL_E10value_typeEPNSR_ISM_E10value_typeEPSN_NS1_7vsmem_tEENKUlT_SL_SM_SN_E_clIPS8_SG_SH_SH_EESK_S10_SL_SM_SN_EUlS10_E_NS1_11comp_targetILNS1_3genE9ELNS1_11target_archE1100ELNS1_3gpuE3ELNS1_3repE0EEENS1_48merge_mergepath_partition_config_static_selectorELNS0_4arch9wavefront6targetE0EEEvSM_,@function
_ZN7rocprim17ROCPRIM_400000_NS6detail17trampoline_kernelINS0_14default_configENS1_38merge_sort_block_merge_config_selectorIN6thrust23THRUST_200600_302600_NS4pairIiiEENS0_10empty_typeEEEZZNS1_27merge_sort_block_merge_implIS3_NS6_6detail15normal_iteratorINS6_10device_ptrIS8_EEEEPS9_mNS6_4lessIS8_EEEE10hipError_tT0_T1_T2_jT3_P12ihipStream_tbPNSt15iterator_traitsISL_E10value_typeEPNSR_ISM_E10value_typeEPSN_NS1_7vsmem_tEENKUlT_SL_SM_SN_E_clIPS8_SG_SH_SH_EESK_S10_SL_SM_SN_EUlS10_E_NS1_11comp_targetILNS1_3genE9ELNS1_11target_archE1100ELNS1_3gpuE3ELNS1_3repE0EEENS1_48merge_mergepath_partition_config_static_selectorELNS0_4arch9wavefront6targetE0EEEvSM_: ; @_ZN7rocprim17ROCPRIM_400000_NS6detail17trampoline_kernelINS0_14default_configENS1_38merge_sort_block_merge_config_selectorIN6thrust23THRUST_200600_302600_NS4pairIiiEENS0_10empty_typeEEEZZNS1_27merge_sort_block_merge_implIS3_NS6_6detail15normal_iteratorINS6_10device_ptrIS8_EEEEPS9_mNS6_4lessIS8_EEEE10hipError_tT0_T1_T2_jT3_P12ihipStream_tbPNSt15iterator_traitsISL_E10value_typeEPNSR_ISM_E10value_typeEPSN_NS1_7vsmem_tEENKUlT_SL_SM_SN_E_clIPS8_SG_SH_SH_EESK_S10_SL_SM_SN_EUlS10_E_NS1_11comp_targetILNS1_3genE9ELNS1_11target_archE1100ELNS1_3gpuE3ELNS1_3repE0EEENS1_48merge_mergepath_partition_config_static_selectorELNS0_4arch9wavefront6targetE0EEEvSM_
; %bb.0:
	.section	.rodata,"a",@progbits
	.p2align	6, 0x0
	.amdhsa_kernel _ZN7rocprim17ROCPRIM_400000_NS6detail17trampoline_kernelINS0_14default_configENS1_38merge_sort_block_merge_config_selectorIN6thrust23THRUST_200600_302600_NS4pairIiiEENS0_10empty_typeEEEZZNS1_27merge_sort_block_merge_implIS3_NS6_6detail15normal_iteratorINS6_10device_ptrIS8_EEEEPS9_mNS6_4lessIS8_EEEE10hipError_tT0_T1_T2_jT3_P12ihipStream_tbPNSt15iterator_traitsISL_E10value_typeEPNSR_ISM_E10value_typeEPSN_NS1_7vsmem_tEENKUlT_SL_SM_SN_E_clIPS8_SG_SH_SH_EESK_S10_SL_SM_SN_EUlS10_E_NS1_11comp_targetILNS1_3genE9ELNS1_11target_archE1100ELNS1_3gpuE3ELNS1_3repE0EEENS1_48merge_mergepath_partition_config_static_selectorELNS0_4arch9wavefront6targetE0EEEvSM_
		.amdhsa_group_segment_fixed_size 0
		.amdhsa_private_segment_fixed_size 0
		.amdhsa_kernarg_size 48
		.amdhsa_user_sgpr_count 6
		.amdhsa_user_sgpr_private_segment_buffer 1
		.amdhsa_user_sgpr_dispatch_ptr 0
		.amdhsa_user_sgpr_queue_ptr 0
		.amdhsa_user_sgpr_kernarg_segment_ptr 1
		.amdhsa_user_sgpr_dispatch_id 0
		.amdhsa_user_sgpr_flat_scratch_init 0
		.amdhsa_user_sgpr_private_segment_size 0
		.amdhsa_wavefront_size32 1
		.amdhsa_uses_dynamic_stack 0
		.amdhsa_system_sgpr_private_segment_wavefront_offset 0
		.amdhsa_system_sgpr_workgroup_id_x 1
		.amdhsa_system_sgpr_workgroup_id_y 0
		.amdhsa_system_sgpr_workgroup_id_z 0
		.amdhsa_system_sgpr_workgroup_info 0
		.amdhsa_system_vgpr_workitem_id 0
		.amdhsa_next_free_vgpr 1
		.amdhsa_next_free_sgpr 1
		.amdhsa_reserve_vcc 0
		.amdhsa_reserve_flat_scratch 0
		.amdhsa_float_round_mode_32 0
		.amdhsa_float_round_mode_16_64 0
		.amdhsa_float_denorm_mode_32 3
		.amdhsa_float_denorm_mode_16_64 3
		.amdhsa_dx10_clamp 1
		.amdhsa_ieee_mode 1
		.amdhsa_fp16_overflow 0
		.amdhsa_workgroup_processor_mode 1
		.amdhsa_memory_ordered 1
		.amdhsa_forward_progress 1
		.amdhsa_shared_vgpr_count 0
		.amdhsa_exception_fp_ieee_invalid_op 0
		.amdhsa_exception_fp_denorm_src 0
		.amdhsa_exception_fp_ieee_div_zero 0
		.amdhsa_exception_fp_ieee_overflow 0
		.amdhsa_exception_fp_ieee_underflow 0
		.amdhsa_exception_fp_ieee_inexact 0
		.amdhsa_exception_int_div_zero 0
	.end_amdhsa_kernel
	.section	.text._ZN7rocprim17ROCPRIM_400000_NS6detail17trampoline_kernelINS0_14default_configENS1_38merge_sort_block_merge_config_selectorIN6thrust23THRUST_200600_302600_NS4pairIiiEENS0_10empty_typeEEEZZNS1_27merge_sort_block_merge_implIS3_NS6_6detail15normal_iteratorINS6_10device_ptrIS8_EEEEPS9_mNS6_4lessIS8_EEEE10hipError_tT0_T1_T2_jT3_P12ihipStream_tbPNSt15iterator_traitsISL_E10value_typeEPNSR_ISM_E10value_typeEPSN_NS1_7vsmem_tEENKUlT_SL_SM_SN_E_clIPS8_SG_SH_SH_EESK_S10_SL_SM_SN_EUlS10_E_NS1_11comp_targetILNS1_3genE9ELNS1_11target_archE1100ELNS1_3gpuE3ELNS1_3repE0EEENS1_48merge_mergepath_partition_config_static_selectorELNS0_4arch9wavefront6targetE0EEEvSM_,"axG",@progbits,_ZN7rocprim17ROCPRIM_400000_NS6detail17trampoline_kernelINS0_14default_configENS1_38merge_sort_block_merge_config_selectorIN6thrust23THRUST_200600_302600_NS4pairIiiEENS0_10empty_typeEEEZZNS1_27merge_sort_block_merge_implIS3_NS6_6detail15normal_iteratorINS6_10device_ptrIS8_EEEEPS9_mNS6_4lessIS8_EEEE10hipError_tT0_T1_T2_jT3_P12ihipStream_tbPNSt15iterator_traitsISL_E10value_typeEPNSR_ISM_E10value_typeEPSN_NS1_7vsmem_tEENKUlT_SL_SM_SN_E_clIPS8_SG_SH_SH_EESK_S10_SL_SM_SN_EUlS10_E_NS1_11comp_targetILNS1_3genE9ELNS1_11target_archE1100ELNS1_3gpuE3ELNS1_3repE0EEENS1_48merge_mergepath_partition_config_static_selectorELNS0_4arch9wavefront6targetE0EEEvSM_,comdat
.Lfunc_end639:
	.size	_ZN7rocprim17ROCPRIM_400000_NS6detail17trampoline_kernelINS0_14default_configENS1_38merge_sort_block_merge_config_selectorIN6thrust23THRUST_200600_302600_NS4pairIiiEENS0_10empty_typeEEEZZNS1_27merge_sort_block_merge_implIS3_NS6_6detail15normal_iteratorINS6_10device_ptrIS8_EEEEPS9_mNS6_4lessIS8_EEEE10hipError_tT0_T1_T2_jT3_P12ihipStream_tbPNSt15iterator_traitsISL_E10value_typeEPNSR_ISM_E10value_typeEPSN_NS1_7vsmem_tEENKUlT_SL_SM_SN_E_clIPS8_SG_SH_SH_EESK_S10_SL_SM_SN_EUlS10_E_NS1_11comp_targetILNS1_3genE9ELNS1_11target_archE1100ELNS1_3gpuE3ELNS1_3repE0EEENS1_48merge_mergepath_partition_config_static_selectorELNS0_4arch9wavefront6targetE0EEEvSM_, .Lfunc_end639-_ZN7rocprim17ROCPRIM_400000_NS6detail17trampoline_kernelINS0_14default_configENS1_38merge_sort_block_merge_config_selectorIN6thrust23THRUST_200600_302600_NS4pairIiiEENS0_10empty_typeEEEZZNS1_27merge_sort_block_merge_implIS3_NS6_6detail15normal_iteratorINS6_10device_ptrIS8_EEEEPS9_mNS6_4lessIS8_EEEE10hipError_tT0_T1_T2_jT3_P12ihipStream_tbPNSt15iterator_traitsISL_E10value_typeEPNSR_ISM_E10value_typeEPSN_NS1_7vsmem_tEENKUlT_SL_SM_SN_E_clIPS8_SG_SH_SH_EESK_S10_SL_SM_SN_EUlS10_E_NS1_11comp_targetILNS1_3genE9ELNS1_11target_archE1100ELNS1_3gpuE3ELNS1_3repE0EEENS1_48merge_mergepath_partition_config_static_selectorELNS0_4arch9wavefront6targetE0EEEvSM_
                                        ; -- End function
	.set _ZN7rocprim17ROCPRIM_400000_NS6detail17trampoline_kernelINS0_14default_configENS1_38merge_sort_block_merge_config_selectorIN6thrust23THRUST_200600_302600_NS4pairIiiEENS0_10empty_typeEEEZZNS1_27merge_sort_block_merge_implIS3_NS6_6detail15normal_iteratorINS6_10device_ptrIS8_EEEEPS9_mNS6_4lessIS8_EEEE10hipError_tT0_T1_T2_jT3_P12ihipStream_tbPNSt15iterator_traitsISL_E10value_typeEPNSR_ISM_E10value_typeEPSN_NS1_7vsmem_tEENKUlT_SL_SM_SN_E_clIPS8_SG_SH_SH_EESK_S10_SL_SM_SN_EUlS10_E_NS1_11comp_targetILNS1_3genE9ELNS1_11target_archE1100ELNS1_3gpuE3ELNS1_3repE0EEENS1_48merge_mergepath_partition_config_static_selectorELNS0_4arch9wavefront6targetE0EEEvSM_.num_vgpr, 0
	.set _ZN7rocprim17ROCPRIM_400000_NS6detail17trampoline_kernelINS0_14default_configENS1_38merge_sort_block_merge_config_selectorIN6thrust23THRUST_200600_302600_NS4pairIiiEENS0_10empty_typeEEEZZNS1_27merge_sort_block_merge_implIS3_NS6_6detail15normal_iteratorINS6_10device_ptrIS8_EEEEPS9_mNS6_4lessIS8_EEEE10hipError_tT0_T1_T2_jT3_P12ihipStream_tbPNSt15iterator_traitsISL_E10value_typeEPNSR_ISM_E10value_typeEPSN_NS1_7vsmem_tEENKUlT_SL_SM_SN_E_clIPS8_SG_SH_SH_EESK_S10_SL_SM_SN_EUlS10_E_NS1_11comp_targetILNS1_3genE9ELNS1_11target_archE1100ELNS1_3gpuE3ELNS1_3repE0EEENS1_48merge_mergepath_partition_config_static_selectorELNS0_4arch9wavefront6targetE0EEEvSM_.num_agpr, 0
	.set _ZN7rocprim17ROCPRIM_400000_NS6detail17trampoline_kernelINS0_14default_configENS1_38merge_sort_block_merge_config_selectorIN6thrust23THRUST_200600_302600_NS4pairIiiEENS0_10empty_typeEEEZZNS1_27merge_sort_block_merge_implIS3_NS6_6detail15normal_iteratorINS6_10device_ptrIS8_EEEEPS9_mNS6_4lessIS8_EEEE10hipError_tT0_T1_T2_jT3_P12ihipStream_tbPNSt15iterator_traitsISL_E10value_typeEPNSR_ISM_E10value_typeEPSN_NS1_7vsmem_tEENKUlT_SL_SM_SN_E_clIPS8_SG_SH_SH_EESK_S10_SL_SM_SN_EUlS10_E_NS1_11comp_targetILNS1_3genE9ELNS1_11target_archE1100ELNS1_3gpuE3ELNS1_3repE0EEENS1_48merge_mergepath_partition_config_static_selectorELNS0_4arch9wavefront6targetE0EEEvSM_.numbered_sgpr, 0
	.set _ZN7rocprim17ROCPRIM_400000_NS6detail17trampoline_kernelINS0_14default_configENS1_38merge_sort_block_merge_config_selectorIN6thrust23THRUST_200600_302600_NS4pairIiiEENS0_10empty_typeEEEZZNS1_27merge_sort_block_merge_implIS3_NS6_6detail15normal_iteratorINS6_10device_ptrIS8_EEEEPS9_mNS6_4lessIS8_EEEE10hipError_tT0_T1_T2_jT3_P12ihipStream_tbPNSt15iterator_traitsISL_E10value_typeEPNSR_ISM_E10value_typeEPSN_NS1_7vsmem_tEENKUlT_SL_SM_SN_E_clIPS8_SG_SH_SH_EESK_S10_SL_SM_SN_EUlS10_E_NS1_11comp_targetILNS1_3genE9ELNS1_11target_archE1100ELNS1_3gpuE3ELNS1_3repE0EEENS1_48merge_mergepath_partition_config_static_selectorELNS0_4arch9wavefront6targetE0EEEvSM_.num_named_barrier, 0
	.set _ZN7rocprim17ROCPRIM_400000_NS6detail17trampoline_kernelINS0_14default_configENS1_38merge_sort_block_merge_config_selectorIN6thrust23THRUST_200600_302600_NS4pairIiiEENS0_10empty_typeEEEZZNS1_27merge_sort_block_merge_implIS3_NS6_6detail15normal_iteratorINS6_10device_ptrIS8_EEEEPS9_mNS6_4lessIS8_EEEE10hipError_tT0_T1_T2_jT3_P12ihipStream_tbPNSt15iterator_traitsISL_E10value_typeEPNSR_ISM_E10value_typeEPSN_NS1_7vsmem_tEENKUlT_SL_SM_SN_E_clIPS8_SG_SH_SH_EESK_S10_SL_SM_SN_EUlS10_E_NS1_11comp_targetILNS1_3genE9ELNS1_11target_archE1100ELNS1_3gpuE3ELNS1_3repE0EEENS1_48merge_mergepath_partition_config_static_selectorELNS0_4arch9wavefront6targetE0EEEvSM_.private_seg_size, 0
	.set _ZN7rocprim17ROCPRIM_400000_NS6detail17trampoline_kernelINS0_14default_configENS1_38merge_sort_block_merge_config_selectorIN6thrust23THRUST_200600_302600_NS4pairIiiEENS0_10empty_typeEEEZZNS1_27merge_sort_block_merge_implIS3_NS6_6detail15normal_iteratorINS6_10device_ptrIS8_EEEEPS9_mNS6_4lessIS8_EEEE10hipError_tT0_T1_T2_jT3_P12ihipStream_tbPNSt15iterator_traitsISL_E10value_typeEPNSR_ISM_E10value_typeEPSN_NS1_7vsmem_tEENKUlT_SL_SM_SN_E_clIPS8_SG_SH_SH_EESK_S10_SL_SM_SN_EUlS10_E_NS1_11comp_targetILNS1_3genE9ELNS1_11target_archE1100ELNS1_3gpuE3ELNS1_3repE0EEENS1_48merge_mergepath_partition_config_static_selectorELNS0_4arch9wavefront6targetE0EEEvSM_.uses_vcc, 0
	.set _ZN7rocprim17ROCPRIM_400000_NS6detail17trampoline_kernelINS0_14default_configENS1_38merge_sort_block_merge_config_selectorIN6thrust23THRUST_200600_302600_NS4pairIiiEENS0_10empty_typeEEEZZNS1_27merge_sort_block_merge_implIS3_NS6_6detail15normal_iteratorINS6_10device_ptrIS8_EEEEPS9_mNS6_4lessIS8_EEEE10hipError_tT0_T1_T2_jT3_P12ihipStream_tbPNSt15iterator_traitsISL_E10value_typeEPNSR_ISM_E10value_typeEPSN_NS1_7vsmem_tEENKUlT_SL_SM_SN_E_clIPS8_SG_SH_SH_EESK_S10_SL_SM_SN_EUlS10_E_NS1_11comp_targetILNS1_3genE9ELNS1_11target_archE1100ELNS1_3gpuE3ELNS1_3repE0EEENS1_48merge_mergepath_partition_config_static_selectorELNS0_4arch9wavefront6targetE0EEEvSM_.uses_flat_scratch, 0
	.set _ZN7rocprim17ROCPRIM_400000_NS6detail17trampoline_kernelINS0_14default_configENS1_38merge_sort_block_merge_config_selectorIN6thrust23THRUST_200600_302600_NS4pairIiiEENS0_10empty_typeEEEZZNS1_27merge_sort_block_merge_implIS3_NS6_6detail15normal_iteratorINS6_10device_ptrIS8_EEEEPS9_mNS6_4lessIS8_EEEE10hipError_tT0_T1_T2_jT3_P12ihipStream_tbPNSt15iterator_traitsISL_E10value_typeEPNSR_ISM_E10value_typeEPSN_NS1_7vsmem_tEENKUlT_SL_SM_SN_E_clIPS8_SG_SH_SH_EESK_S10_SL_SM_SN_EUlS10_E_NS1_11comp_targetILNS1_3genE9ELNS1_11target_archE1100ELNS1_3gpuE3ELNS1_3repE0EEENS1_48merge_mergepath_partition_config_static_selectorELNS0_4arch9wavefront6targetE0EEEvSM_.has_dyn_sized_stack, 0
	.set _ZN7rocprim17ROCPRIM_400000_NS6detail17trampoline_kernelINS0_14default_configENS1_38merge_sort_block_merge_config_selectorIN6thrust23THRUST_200600_302600_NS4pairIiiEENS0_10empty_typeEEEZZNS1_27merge_sort_block_merge_implIS3_NS6_6detail15normal_iteratorINS6_10device_ptrIS8_EEEEPS9_mNS6_4lessIS8_EEEE10hipError_tT0_T1_T2_jT3_P12ihipStream_tbPNSt15iterator_traitsISL_E10value_typeEPNSR_ISM_E10value_typeEPSN_NS1_7vsmem_tEENKUlT_SL_SM_SN_E_clIPS8_SG_SH_SH_EESK_S10_SL_SM_SN_EUlS10_E_NS1_11comp_targetILNS1_3genE9ELNS1_11target_archE1100ELNS1_3gpuE3ELNS1_3repE0EEENS1_48merge_mergepath_partition_config_static_selectorELNS0_4arch9wavefront6targetE0EEEvSM_.has_recursion, 0
	.set _ZN7rocprim17ROCPRIM_400000_NS6detail17trampoline_kernelINS0_14default_configENS1_38merge_sort_block_merge_config_selectorIN6thrust23THRUST_200600_302600_NS4pairIiiEENS0_10empty_typeEEEZZNS1_27merge_sort_block_merge_implIS3_NS6_6detail15normal_iteratorINS6_10device_ptrIS8_EEEEPS9_mNS6_4lessIS8_EEEE10hipError_tT0_T1_T2_jT3_P12ihipStream_tbPNSt15iterator_traitsISL_E10value_typeEPNSR_ISM_E10value_typeEPSN_NS1_7vsmem_tEENKUlT_SL_SM_SN_E_clIPS8_SG_SH_SH_EESK_S10_SL_SM_SN_EUlS10_E_NS1_11comp_targetILNS1_3genE9ELNS1_11target_archE1100ELNS1_3gpuE3ELNS1_3repE0EEENS1_48merge_mergepath_partition_config_static_selectorELNS0_4arch9wavefront6targetE0EEEvSM_.has_indirect_call, 0
	.section	.AMDGPU.csdata,"",@progbits
; Kernel info:
; codeLenInByte = 0
; TotalNumSgprs: 0
; NumVgprs: 0
; ScratchSize: 0
; MemoryBound: 0
; FloatMode: 240
; IeeeMode: 1
; LDSByteSize: 0 bytes/workgroup (compile time only)
; SGPRBlocks: 0
; VGPRBlocks: 0
; NumSGPRsForWavesPerEU: 1
; NumVGPRsForWavesPerEU: 1
; Occupancy: 16
; WaveLimiterHint : 0
; COMPUTE_PGM_RSRC2:SCRATCH_EN: 0
; COMPUTE_PGM_RSRC2:USER_SGPR: 6
; COMPUTE_PGM_RSRC2:TRAP_HANDLER: 0
; COMPUTE_PGM_RSRC2:TGID_X_EN: 1
; COMPUTE_PGM_RSRC2:TGID_Y_EN: 0
; COMPUTE_PGM_RSRC2:TGID_Z_EN: 0
; COMPUTE_PGM_RSRC2:TIDIG_COMP_CNT: 0
	.section	.text._ZN7rocprim17ROCPRIM_400000_NS6detail17trampoline_kernelINS0_14default_configENS1_38merge_sort_block_merge_config_selectorIN6thrust23THRUST_200600_302600_NS4pairIiiEENS0_10empty_typeEEEZZNS1_27merge_sort_block_merge_implIS3_NS6_6detail15normal_iteratorINS6_10device_ptrIS8_EEEEPS9_mNS6_4lessIS8_EEEE10hipError_tT0_T1_T2_jT3_P12ihipStream_tbPNSt15iterator_traitsISL_E10value_typeEPNSR_ISM_E10value_typeEPSN_NS1_7vsmem_tEENKUlT_SL_SM_SN_E_clIPS8_SG_SH_SH_EESK_S10_SL_SM_SN_EUlS10_E_NS1_11comp_targetILNS1_3genE8ELNS1_11target_archE1030ELNS1_3gpuE2ELNS1_3repE0EEENS1_48merge_mergepath_partition_config_static_selectorELNS0_4arch9wavefront6targetE0EEEvSM_,"axG",@progbits,_ZN7rocprim17ROCPRIM_400000_NS6detail17trampoline_kernelINS0_14default_configENS1_38merge_sort_block_merge_config_selectorIN6thrust23THRUST_200600_302600_NS4pairIiiEENS0_10empty_typeEEEZZNS1_27merge_sort_block_merge_implIS3_NS6_6detail15normal_iteratorINS6_10device_ptrIS8_EEEEPS9_mNS6_4lessIS8_EEEE10hipError_tT0_T1_T2_jT3_P12ihipStream_tbPNSt15iterator_traitsISL_E10value_typeEPNSR_ISM_E10value_typeEPSN_NS1_7vsmem_tEENKUlT_SL_SM_SN_E_clIPS8_SG_SH_SH_EESK_S10_SL_SM_SN_EUlS10_E_NS1_11comp_targetILNS1_3genE8ELNS1_11target_archE1030ELNS1_3gpuE2ELNS1_3repE0EEENS1_48merge_mergepath_partition_config_static_selectorELNS0_4arch9wavefront6targetE0EEEvSM_,comdat
	.protected	_ZN7rocprim17ROCPRIM_400000_NS6detail17trampoline_kernelINS0_14default_configENS1_38merge_sort_block_merge_config_selectorIN6thrust23THRUST_200600_302600_NS4pairIiiEENS0_10empty_typeEEEZZNS1_27merge_sort_block_merge_implIS3_NS6_6detail15normal_iteratorINS6_10device_ptrIS8_EEEEPS9_mNS6_4lessIS8_EEEE10hipError_tT0_T1_T2_jT3_P12ihipStream_tbPNSt15iterator_traitsISL_E10value_typeEPNSR_ISM_E10value_typeEPSN_NS1_7vsmem_tEENKUlT_SL_SM_SN_E_clIPS8_SG_SH_SH_EESK_S10_SL_SM_SN_EUlS10_E_NS1_11comp_targetILNS1_3genE8ELNS1_11target_archE1030ELNS1_3gpuE2ELNS1_3repE0EEENS1_48merge_mergepath_partition_config_static_selectorELNS0_4arch9wavefront6targetE0EEEvSM_ ; -- Begin function _ZN7rocprim17ROCPRIM_400000_NS6detail17trampoline_kernelINS0_14default_configENS1_38merge_sort_block_merge_config_selectorIN6thrust23THRUST_200600_302600_NS4pairIiiEENS0_10empty_typeEEEZZNS1_27merge_sort_block_merge_implIS3_NS6_6detail15normal_iteratorINS6_10device_ptrIS8_EEEEPS9_mNS6_4lessIS8_EEEE10hipError_tT0_T1_T2_jT3_P12ihipStream_tbPNSt15iterator_traitsISL_E10value_typeEPNSR_ISM_E10value_typeEPSN_NS1_7vsmem_tEENKUlT_SL_SM_SN_E_clIPS8_SG_SH_SH_EESK_S10_SL_SM_SN_EUlS10_E_NS1_11comp_targetILNS1_3genE8ELNS1_11target_archE1030ELNS1_3gpuE2ELNS1_3repE0EEENS1_48merge_mergepath_partition_config_static_selectorELNS0_4arch9wavefront6targetE0EEEvSM_
	.globl	_ZN7rocprim17ROCPRIM_400000_NS6detail17trampoline_kernelINS0_14default_configENS1_38merge_sort_block_merge_config_selectorIN6thrust23THRUST_200600_302600_NS4pairIiiEENS0_10empty_typeEEEZZNS1_27merge_sort_block_merge_implIS3_NS6_6detail15normal_iteratorINS6_10device_ptrIS8_EEEEPS9_mNS6_4lessIS8_EEEE10hipError_tT0_T1_T2_jT3_P12ihipStream_tbPNSt15iterator_traitsISL_E10value_typeEPNSR_ISM_E10value_typeEPSN_NS1_7vsmem_tEENKUlT_SL_SM_SN_E_clIPS8_SG_SH_SH_EESK_S10_SL_SM_SN_EUlS10_E_NS1_11comp_targetILNS1_3genE8ELNS1_11target_archE1030ELNS1_3gpuE2ELNS1_3repE0EEENS1_48merge_mergepath_partition_config_static_selectorELNS0_4arch9wavefront6targetE0EEEvSM_
	.p2align	8
	.type	_ZN7rocprim17ROCPRIM_400000_NS6detail17trampoline_kernelINS0_14default_configENS1_38merge_sort_block_merge_config_selectorIN6thrust23THRUST_200600_302600_NS4pairIiiEENS0_10empty_typeEEEZZNS1_27merge_sort_block_merge_implIS3_NS6_6detail15normal_iteratorINS6_10device_ptrIS8_EEEEPS9_mNS6_4lessIS8_EEEE10hipError_tT0_T1_T2_jT3_P12ihipStream_tbPNSt15iterator_traitsISL_E10value_typeEPNSR_ISM_E10value_typeEPSN_NS1_7vsmem_tEENKUlT_SL_SM_SN_E_clIPS8_SG_SH_SH_EESK_S10_SL_SM_SN_EUlS10_E_NS1_11comp_targetILNS1_3genE8ELNS1_11target_archE1030ELNS1_3gpuE2ELNS1_3repE0EEENS1_48merge_mergepath_partition_config_static_selectorELNS0_4arch9wavefront6targetE0EEEvSM_,@function
_ZN7rocprim17ROCPRIM_400000_NS6detail17trampoline_kernelINS0_14default_configENS1_38merge_sort_block_merge_config_selectorIN6thrust23THRUST_200600_302600_NS4pairIiiEENS0_10empty_typeEEEZZNS1_27merge_sort_block_merge_implIS3_NS6_6detail15normal_iteratorINS6_10device_ptrIS8_EEEEPS9_mNS6_4lessIS8_EEEE10hipError_tT0_T1_T2_jT3_P12ihipStream_tbPNSt15iterator_traitsISL_E10value_typeEPNSR_ISM_E10value_typeEPSN_NS1_7vsmem_tEENKUlT_SL_SM_SN_E_clIPS8_SG_SH_SH_EESK_S10_SL_SM_SN_EUlS10_E_NS1_11comp_targetILNS1_3genE8ELNS1_11target_archE1030ELNS1_3gpuE2ELNS1_3repE0EEENS1_48merge_mergepath_partition_config_static_selectorELNS0_4arch9wavefront6targetE0EEEvSM_: ; @_ZN7rocprim17ROCPRIM_400000_NS6detail17trampoline_kernelINS0_14default_configENS1_38merge_sort_block_merge_config_selectorIN6thrust23THRUST_200600_302600_NS4pairIiiEENS0_10empty_typeEEEZZNS1_27merge_sort_block_merge_implIS3_NS6_6detail15normal_iteratorINS6_10device_ptrIS8_EEEEPS9_mNS6_4lessIS8_EEEE10hipError_tT0_T1_T2_jT3_P12ihipStream_tbPNSt15iterator_traitsISL_E10value_typeEPNSR_ISM_E10value_typeEPSN_NS1_7vsmem_tEENKUlT_SL_SM_SN_E_clIPS8_SG_SH_SH_EESK_S10_SL_SM_SN_EUlS10_E_NS1_11comp_targetILNS1_3genE8ELNS1_11target_archE1030ELNS1_3gpuE2ELNS1_3repE0EEENS1_48merge_mergepath_partition_config_static_selectorELNS0_4arch9wavefront6targetE0EEEvSM_
; %bb.0:
	s_load_dword s0, s[4:5], 0x0
	v_lshl_or_b32 v0, s6, 7, v0
	s_waitcnt lgkmcnt(0)
	v_cmp_gt_u32_e32 vcc_lo, s0, v0
	s_and_saveexec_b32 s0, vcc_lo
	s_cbranch_execz .LBB640_6
; %bb.1:
	s_load_dwordx4 s[0:3], s[4:5], 0x8
	v_mov_b32_e32 v2, 0
	v_mov_b32_e32 v11, v2
	s_waitcnt lgkmcnt(0)
	s_lshr_b64 s[6:7], s[0:1], 9
	s_and_b32 s6, s6, -2
	s_sub_i32 s7, 0, s6
	s_add_i32 s6, s6, -1
	v_and_b32_e32 v1, s7, v0
	v_and_b32_e32 v10, s6, v0
	s_mov_b32 s7, 0
	s_mov_b32 s6, exec_lo
	v_lshlrev_b64 v[4:5], 10, v[1:2]
	v_add_co_u32 v6, vcc_lo, v4, s0
	v_add_co_ci_u32_e64 v7, null, s1, v5, vcc_lo
	v_cmp_lt_u64_e32 vcc_lo, s[2:3], v[6:7]
	v_cndmask_b32_e64 v8, v6, s2, vcc_lo
	v_cndmask_b32_e64 v9, v7, s3, vcc_lo
	v_add_co_u32 v6, vcc_lo, v8, s0
	v_add_co_ci_u32_e64 v7, null, s1, v9, vcc_lo
	v_cmp_lt_u64_e32 vcc_lo, s[2:3], v[4:5]
	v_cmp_lt_u64_e64 s0, s[2:3], v[6:7]
	v_cndmask_b32_e64 v2, v4, s2, vcc_lo
	v_cndmask_b32_e64 v3, v5, s3, vcc_lo
	v_lshlrev_b64 v[4:5], 10, v[10:11]
	v_cndmask_b32_e64 v12, v6, s2, s0
	v_cndmask_b32_e64 v1, v7, s3, s0
	s_load_dwordx2 s[2:3], s[4:5], 0x28
	v_sub_co_u32 v6, vcc_lo, v12, v2
	v_sub_co_ci_u32_e64 v7, null, v1, v3, vcc_lo
	v_cmp_lt_u64_e32 vcc_lo, v[6:7], v[4:5]
	v_cndmask_b32_e32 v11, v5, v7, vcc_lo
	v_cndmask_b32_e32 v10, v4, v6, vcc_lo
	v_sub_co_u32 v4, vcc_lo, v8, v12
	v_sub_co_ci_u32_e64 v1, null, v9, v1, vcc_lo
	v_add_co_u32 v4, vcc_lo, v10, v4
	v_add_co_ci_u32_e64 v5, null, v11, v1, vcc_lo
	v_sub_co_u32 v6, vcc_lo, v8, v2
	v_sub_co_ci_u32_e64 v7, null, v9, v3, vcc_lo
	v_cmp_gt_u64_e32 vcc_lo, v[4:5], v[10:11]
	v_cmp_lt_u64_e64 s0, v[10:11], v[6:7]
	v_cndmask_b32_e64 v5, v5, 0, vcc_lo
	v_cndmask_b32_e64 v4, v4, 0, vcc_lo
	v_cndmask_b32_e64 v7, v7, v11, s0
	v_cndmask_b32_e64 v6, v6, v10, s0
	v_cmpx_lt_u64_e64 v[4:5], v[6:7]
	s_cbranch_execz .LBB640_5
; %bb.2:
	s_load_dwordx2 s[0:1], s[4:5], 0x18
	v_lshlrev_b64 v[8:9], 3, v[8:9]
	v_lshlrev_b64 v[12:13], 3, v[2:3]
	v_lshlrev_b64 v[10:11], 3, v[10:11]
	s_waitcnt lgkmcnt(0)
	v_add_co_u32 v14, vcc_lo, s0, v8
	v_add_co_ci_u32_e64 v15, null, s1, v9, vcc_lo
	v_add_co_u32 v1, vcc_lo, s0, v12
	v_add_co_ci_u32_e64 v8, null, s1, v13, vcc_lo
	;; [unrolled: 2-line block ×3, first 2 shown]
	s_inst_prefetch 0x1
	.p2align	6
.LBB640_3:                              ; =>This Inner Loop Header: Depth=1
	v_add_co_u32 v11, vcc_lo, v6, v4
	v_add_co_ci_u32_e64 v12, null, v7, v5, vcc_lo
	v_lshrrev_b64 v[11:12], 1, v[11:12]
	v_lshlrev_b64 v[13:14], 3, v[11:12]
	v_xor_b32_e32 v15, -8, v13
	v_xor_b32_e32 v16, -1, v14
	v_add_co_u32 v13, vcc_lo, v1, v13
	v_add_co_ci_u32_e64 v14, null, v8, v14, vcc_lo
	v_add_co_u32 v15, vcc_lo, v9, v15
	v_add_co_ci_u32_e64 v16, null, v10, v16, vcc_lo
	v_add_co_u32 v17, vcc_lo, v11, 1
	s_clause 0x1
	global_load_dwordx2 v[13:14], v[13:14], off
	global_load_dwordx2 v[15:16], v[15:16], off
	v_add_co_ci_u32_e64 v18, null, 0, v12, vcc_lo
	s_waitcnt vmcnt(0)
	v_cmp_ge_i32_e32 vcc_lo, v13, v15
	v_cmp_lt_i32_e64 s0, v16, v14
	v_cmp_lt_i32_e64 s1, v15, v13
	s_and_b32 s0, vcc_lo, s0
	s_or_b32 vcc_lo, s1, s0
	v_cndmask_b32_e32 v7, v7, v12, vcc_lo
	v_cndmask_b32_e32 v6, v6, v11, vcc_lo
	;; [unrolled: 1-line block ×4, first 2 shown]
	v_cmp_ge_u64_e32 vcc_lo, v[4:5], v[6:7]
	s_or_b32 s7, vcc_lo, s7
	s_andn2_b32 exec_lo, exec_lo, s7
	s_cbranch_execnz .LBB640_3
; %bb.4:
	s_inst_prefetch 0x2
	s_or_b32 exec_lo, exec_lo, s7
.LBB640_5:
	s_or_b32 exec_lo, exec_lo, s6
	v_mov_b32_e32 v1, 0
	v_add_co_u32 v2, vcc_lo, v4, v2
	v_add_co_ci_u32_e64 v3, null, v5, v3, vcc_lo
	v_lshlrev_b64 v[0:1], 3, v[0:1]
	s_waitcnt lgkmcnt(0)
	v_add_co_u32 v0, vcc_lo, s2, v0
	v_add_co_ci_u32_e64 v1, null, s3, v1, vcc_lo
	global_store_dwordx2 v[0:1], v[2:3], off
.LBB640_6:
	s_endpgm
	.section	.rodata,"a",@progbits
	.p2align	6, 0x0
	.amdhsa_kernel _ZN7rocprim17ROCPRIM_400000_NS6detail17trampoline_kernelINS0_14default_configENS1_38merge_sort_block_merge_config_selectorIN6thrust23THRUST_200600_302600_NS4pairIiiEENS0_10empty_typeEEEZZNS1_27merge_sort_block_merge_implIS3_NS6_6detail15normal_iteratorINS6_10device_ptrIS8_EEEEPS9_mNS6_4lessIS8_EEEE10hipError_tT0_T1_T2_jT3_P12ihipStream_tbPNSt15iterator_traitsISL_E10value_typeEPNSR_ISM_E10value_typeEPSN_NS1_7vsmem_tEENKUlT_SL_SM_SN_E_clIPS8_SG_SH_SH_EESK_S10_SL_SM_SN_EUlS10_E_NS1_11comp_targetILNS1_3genE8ELNS1_11target_archE1030ELNS1_3gpuE2ELNS1_3repE0EEENS1_48merge_mergepath_partition_config_static_selectorELNS0_4arch9wavefront6targetE0EEEvSM_
		.amdhsa_group_segment_fixed_size 0
		.amdhsa_private_segment_fixed_size 0
		.amdhsa_kernarg_size 48
		.amdhsa_user_sgpr_count 6
		.amdhsa_user_sgpr_private_segment_buffer 1
		.amdhsa_user_sgpr_dispatch_ptr 0
		.amdhsa_user_sgpr_queue_ptr 0
		.amdhsa_user_sgpr_kernarg_segment_ptr 1
		.amdhsa_user_sgpr_dispatch_id 0
		.amdhsa_user_sgpr_flat_scratch_init 0
		.amdhsa_user_sgpr_private_segment_size 0
		.amdhsa_wavefront_size32 1
		.amdhsa_uses_dynamic_stack 0
		.amdhsa_system_sgpr_private_segment_wavefront_offset 0
		.amdhsa_system_sgpr_workgroup_id_x 1
		.amdhsa_system_sgpr_workgroup_id_y 0
		.amdhsa_system_sgpr_workgroup_id_z 0
		.amdhsa_system_sgpr_workgroup_info 0
		.amdhsa_system_vgpr_workitem_id 0
		.amdhsa_next_free_vgpr 19
		.amdhsa_next_free_sgpr 8
		.amdhsa_reserve_vcc 1
		.amdhsa_reserve_flat_scratch 0
		.amdhsa_float_round_mode_32 0
		.amdhsa_float_round_mode_16_64 0
		.amdhsa_float_denorm_mode_32 3
		.amdhsa_float_denorm_mode_16_64 3
		.amdhsa_dx10_clamp 1
		.amdhsa_ieee_mode 1
		.amdhsa_fp16_overflow 0
		.amdhsa_workgroup_processor_mode 1
		.amdhsa_memory_ordered 1
		.amdhsa_forward_progress 1
		.amdhsa_shared_vgpr_count 0
		.amdhsa_exception_fp_ieee_invalid_op 0
		.amdhsa_exception_fp_denorm_src 0
		.amdhsa_exception_fp_ieee_div_zero 0
		.amdhsa_exception_fp_ieee_overflow 0
		.amdhsa_exception_fp_ieee_underflow 0
		.amdhsa_exception_fp_ieee_inexact 0
		.amdhsa_exception_int_div_zero 0
	.end_amdhsa_kernel
	.section	.text._ZN7rocprim17ROCPRIM_400000_NS6detail17trampoline_kernelINS0_14default_configENS1_38merge_sort_block_merge_config_selectorIN6thrust23THRUST_200600_302600_NS4pairIiiEENS0_10empty_typeEEEZZNS1_27merge_sort_block_merge_implIS3_NS6_6detail15normal_iteratorINS6_10device_ptrIS8_EEEEPS9_mNS6_4lessIS8_EEEE10hipError_tT0_T1_T2_jT3_P12ihipStream_tbPNSt15iterator_traitsISL_E10value_typeEPNSR_ISM_E10value_typeEPSN_NS1_7vsmem_tEENKUlT_SL_SM_SN_E_clIPS8_SG_SH_SH_EESK_S10_SL_SM_SN_EUlS10_E_NS1_11comp_targetILNS1_3genE8ELNS1_11target_archE1030ELNS1_3gpuE2ELNS1_3repE0EEENS1_48merge_mergepath_partition_config_static_selectorELNS0_4arch9wavefront6targetE0EEEvSM_,"axG",@progbits,_ZN7rocprim17ROCPRIM_400000_NS6detail17trampoline_kernelINS0_14default_configENS1_38merge_sort_block_merge_config_selectorIN6thrust23THRUST_200600_302600_NS4pairIiiEENS0_10empty_typeEEEZZNS1_27merge_sort_block_merge_implIS3_NS6_6detail15normal_iteratorINS6_10device_ptrIS8_EEEEPS9_mNS6_4lessIS8_EEEE10hipError_tT0_T1_T2_jT3_P12ihipStream_tbPNSt15iterator_traitsISL_E10value_typeEPNSR_ISM_E10value_typeEPSN_NS1_7vsmem_tEENKUlT_SL_SM_SN_E_clIPS8_SG_SH_SH_EESK_S10_SL_SM_SN_EUlS10_E_NS1_11comp_targetILNS1_3genE8ELNS1_11target_archE1030ELNS1_3gpuE2ELNS1_3repE0EEENS1_48merge_mergepath_partition_config_static_selectorELNS0_4arch9wavefront6targetE0EEEvSM_,comdat
.Lfunc_end640:
	.size	_ZN7rocprim17ROCPRIM_400000_NS6detail17trampoline_kernelINS0_14default_configENS1_38merge_sort_block_merge_config_selectorIN6thrust23THRUST_200600_302600_NS4pairIiiEENS0_10empty_typeEEEZZNS1_27merge_sort_block_merge_implIS3_NS6_6detail15normal_iteratorINS6_10device_ptrIS8_EEEEPS9_mNS6_4lessIS8_EEEE10hipError_tT0_T1_T2_jT3_P12ihipStream_tbPNSt15iterator_traitsISL_E10value_typeEPNSR_ISM_E10value_typeEPSN_NS1_7vsmem_tEENKUlT_SL_SM_SN_E_clIPS8_SG_SH_SH_EESK_S10_SL_SM_SN_EUlS10_E_NS1_11comp_targetILNS1_3genE8ELNS1_11target_archE1030ELNS1_3gpuE2ELNS1_3repE0EEENS1_48merge_mergepath_partition_config_static_selectorELNS0_4arch9wavefront6targetE0EEEvSM_, .Lfunc_end640-_ZN7rocprim17ROCPRIM_400000_NS6detail17trampoline_kernelINS0_14default_configENS1_38merge_sort_block_merge_config_selectorIN6thrust23THRUST_200600_302600_NS4pairIiiEENS0_10empty_typeEEEZZNS1_27merge_sort_block_merge_implIS3_NS6_6detail15normal_iteratorINS6_10device_ptrIS8_EEEEPS9_mNS6_4lessIS8_EEEE10hipError_tT0_T1_T2_jT3_P12ihipStream_tbPNSt15iterator_traitsISL_E10value_typeEPNSR_ISM_E10value_typeEPSN_NS1_7vsmem_tEENKUlT_SL_SM_SN_E_clIPS8_SG_SH_SH_EESK_S10_SL_SM_SN_EUlS10_E_NS1_11comp_targetILNS1_3genE8ELNS1_11target_archE1030ELNS1_3gpuE2ELNS1_3repE0EEENS1_48merge_mergepath_partition_config_static_selectorELNS0_4arch9wavefront6targetE0EEEvSM_
                                        ; -- End function
	.set _ZN7rocprim17ROCPRIM_400000_NS6detail17trampoline_kernelINS0_14default_configENS1_38merge_sort_block_merge_config_selectorIN6thrust23THRUST_200600_302600_NS4pairIiiEENS0_10empty_typeEEEZZNS1_27merge_sort_block_merge_implIS3_NS6_6detail15normal_iteratorINS6_10device_ptrIS8_EEEEPS9_mNS6_4lessIS8_EEEE10hipError_tT0_T1_T2_jT3_P12ihipStream_tbPNSt15iterator_traitsISL_E10value_typeEPNSR_ISM_E10value_typeEPSN_NS1_7vsmem_tEENKUlT_SL_SM_SN_E_clIPS8_SG_SH_SH_EESK_S10_SL_SM_SN_EUlS10_E_NS1_11comp_targetILNS1_3genE8ELNS1_11target_archE1030ELNS1_3gpuE2ELNS1_3repE0EEENS1_48merge_mergepath_partition_config_static_selectorELNS0_4arch9wavefront6targetE0EEEvSM_.num_vgpr, 19
	.set _ZN7rocprim17ROCPRIM_400000_NS6detail17trampoline_kernelINS0_14default_configENS1_38merge_sort_block_merge_config_selectorIN6thrust23THRUST_200600_302600_NS4pairIiiEENS0_10empty_typeEEEZZNS1_27merge_sort_block_merge_implIS3_NS6_6detail15normal_iteratorINS6_10device_ptrIS8_EEEEPS9_mNS6_4lessIS8_EEEE10hipError_tT0_T1_T2_jT3_P12ihipStream_tbPNSt15iterator_traitsISL_E10value_typeEPNSR_ISM_E10value_typeEPSN_NS1_7vsmem_tEENKUlT_SL_SM_SN_E_clIPS8_SG_SH_SH_EESK_S10_SL_SM_SN_EUlS10_E_NS1_11comp_targetILNS1_3genE8ELNS1_11target_archE1030ELNS1_3gpuE2ELNS1_3repE0EEENS1_48merge_mergepath_partition_config_static_selectorELNS0_4arch9wavefront6targetE0EEEvSM_.num_agpr, 0
	.set _ZN7rocprim17ROCPRIM_400000_NS6detail17trampoline_kernelINS0_14default_configENS1_38merge_sort_block_merge_config_selectorIN6thrust23THRUST_200600_302600_NS4pairIiiEENS0_10empty_typeEEEZZNS1_27merge_sort_block_merge_implIS3_NS6_6detail15normal_iteratorINS6_10device_ptrIS8_EEEEPS9_mNS6_4lessIS8_EEEE10hipError_tT0_T1_T2_jT3_P12ihipStream_tbPNSt15iterator_traitsISL_E10value_typeEPNSR_ISM_E10value_typeEPSN_NS1_7vsmem_tEENKUlT_SL_SM_SN_E_clIPS8_SG_SH_SH_EESK_S10_SL_SM_SN_EUlS10_E_NS1_11comp_targetILNS1_3genE8ELNS1_11target_archE1030ELNS1_3gpuE2ELNS1_3repE0EEENS1_48merge_mergepath_partition_config_static_selectorELNS0_4arch9wavefront6targetE0EEEvSM_.numbered_sgpr, 8
	.set _ZN7rocprim17ROCPRIM_400000_NS6detail17trampoline_kernelINS0_14default_configENS1_38merge_sort_block_merge_config_selectorIN6thrust23THRUST_200600_302600_NS4pairIiiEENS0_10empty_typeEEEZZNS1_27merge_sort_block_merge_implIS3_NS6_6detail15normal_iteratorINS6_10device_ptrIS8_EEEEPS9_mNS6_4lessIS8_EEEE10hipError_tT0_T1_T2_jT3_P12ihipStream_tbPNSt15iterator_traitsISL_E10value_typeEPNSR_ISM_E10value_typeEPSN_NS1_7vsmem_tEENKUlT_SL_SM_SN_E_clIPS8_SG_SH_SH_EESK_S10_SL_SM_SN_EUlS10_E_NS1_11comp_targetILNS1_3genE8ELNS1_11target_archE1030ELNS1_3gpuE2ELNS1_3repE0EEENS1_48merge_mergepath_partition_config_static_selectorELNS0_4arch9wavefront6targetE0EEEvSM_.num_named_barrier, 0
	.set _ZN7rocprim17ROCPRIM_400000_NS6detail17trampoline_kernelINS0_14default_configENS1_38merge_sort_block_merge_config_selectorIN6thrust23THRUST_200600_302600_NS4pairIiiEENS0_10empty_typeEEEZZNS1_27merge_sort_block_merge_implIS3_NS6_6detail15normal_iteratorINS6_10device_ptrIS8_EEEEPS9_mNS6_4lessIS8_EEEE10hipError_tT0_T1_T2_jT3_P12ihipStream_tbPNSt15iterator_traitsISL_E10value_typeEPNSR_ISM_E10value_typeEPSN_NS1_7vsmem_tEENKUlT_SL_SM_SN_E_clIPS8_SG_SH_SH_EESK_S10_SL_SM_SN_EUlS10_E_NS1_11comp_targetILNS1_3genE8ELNS1_11target_archE1030ELNS1_3gpuE2ELNS1_3repE0EEENS1_48merge_mergepath_partition_config_static_selectorELNS0_4arch9wavefront6targetE0EEEvSM_.private_seg_size, 0
	.set _ZN7rocprim17ROCPRIM_400000_NS6detail17trampoline_kernelINS0_14default_configENS1_38merge_sort_block_merge_config_selectorIN6thrust23THRUST_200600_302600_NS4pairIiiEENS0_10empty_typeEEEZZNS1_27merge_sort_block_merge_implIS3_NS6_6detail15normal_iteratorINS6_10device_ptrIS8_EEEEPS9_mNS6_4lessIS8_EEEE10hipError_tT0_T1_T2_jT3_P12ihipStream_tbPNSt15iterator_traitsISL_E10value_typeEPNSR_ISM_E10value_typeEPSN_NS1_7vsmem_tEENKUlT_SL_SM_SN_E_clIPS8_SG_SH_SH_EESK_S10_SL_SM_SN_EUlS10_E_NS1_11comp_targetILNS1_3genE8ELNS1_11target_archE1030ELNS1_3gpuE2ELNS1_3repE0EEENS1_48merge_mergepath_partition_config_static_selectorELNS0_4arch9wavefront6targetE0EEEvSM_.uses_vcc, 1
	.set _ZN7rocprim17ROCPRIM_400000_NS6detail17trampoline_kernelINS0_14default_configENS1_38merge_sort_block_merge_config_selectorIN6thrust23THRUST_200600_302600_NS4pairIiiEENS0_10empty_typeEEEZZNS1_27merge_sort_block_merge_implIS3_NS6_6detail15normal_iteratorINS6_10device_ptrIS8_EEEEPS9_mNS6_4lessIS8_EEEE10hipError_tT0_T1_T2_jT3_P12ihipStream_tbPNSt15iterator_traitsISL_E10value_typeEPNSR_ISM_E10value_typeEPSN_NS1_7vsmem_tEENKUlT_SL_SM_SN_E_clIPS8_SG_SH_SH_EESK_S10_SL_SM_SN_EUlS10_E_NS1_11comp_targetILNS1_3genE8ELNS1_11target_archE1030ELNS1_3gpuE2ELNS1_3repE0EEENS1_48merge_mergepath_partition_config_static_selectorELNS0_4arch9wavefront6targetE0EEEvSM_.uses_flat_scratch, 0
	.set _ZN7rocprim17ROCPRIM_400000_NS6detail17trampoline_kernelINS0_14default_configENS1_38merge_sort_block_merge_config_selectorIN6thrust23THRUST_200600_302600_NS4pairIiiEENS0_10empty_typeEEEZZNS1_27merge_sort_block_merge_implIS3_NS6_6detail15normal_iteratorINS6_10device_ptrIS8_EEEEPS9_mNS6_4lessIS8_EEEE10hipError_tT0_T1_T2_jT3_P12ihipStream_tbPNSt15iterator_traitsISL_E10value_typeEPNSR_ISM_E10value_typeEPSN_NS1_7vsmem_tEENKUlT_SL_SM_SN_E_clIPS8_SG_SH_SH_EESK_S10_SL_SM_SN_EUlS10_E_NS1_11comp_targetILNS1_3genE8ELNS1_11target_archE1030ELNS1_3gpuE2ELNS1_3repE0EEENS1_48merge_mergepath_partition_config_static_selectorELNS0_4arch9wavefront6targetE0EEEvSM_.has_dyn_sized_stack, 0
	.set _ZN7rocprim17ROCPRIM_400000_NS6detail17trampoline_kernelINS0_14default_configENS1_38merge_sort_block_merge_config_selectorIN6thrust23THRUST_200600_302600_NS4pairIiiEENS0_10empty_typeEEEZZNS1_27merge_sort_block_merge_implIS3_NS6_6detail15normal_iteratorINS6_10device_ptrIS8_EEEEPS9_mNS6_4lessIS8_EEEE10hipError_tT0_T1_T2_jT3_P12ihipStream_tbPNSt15iterator_traitsISL_E10value_typeEPNSR_ISM_E10value_typeEPSN_NS1_7vsmem_tEENKUlT_SL_SM_SN_E_clIPS8_SG_SH_SH_EESK_S10_SL_SM_SN_EUlS10_E_NS1_11comp_targetILNS1_3genE8ELNS1_11target_archE1030ELNS1_3gpuE2ELNS1_3repE0EEENS1_48merge_mergepath_partition_config_static_selectorELNS0_4arch9wavefront6targetE0EEEvSM_.has_recursion, 0
	.set _ZN7rocprim17ROCPRIM_400000_NS6detail17trampoline_kernelINS0_14default_configENS1_38merge_sort_block_merge_config_selectorIN6thrust23THRUST_200600_302600_NS4pairIiiEENS0_10empty_typeEEEZZNS1_27merge_sort_block_merge_implIS3_NS6_6detail15normal_iteratorINS6_10device_ptrIS8_EEEEPS9_mNS6_4lessIS8_EEEE10hipError_tT0_T1_T2_jT3_P12ihipStream_tbPNSt15iterator_traitsISL_E10value_typeEPNSR_ISM_E10value_typeEPSN_NS1_7vsmem_tEENKUlT_SL_SM_SN_E_clIPS8_SG_SH_SH_EESK_S10_SL_SM_SN_EUlS10_E_NS1_11comp_targetILNS1_3genE8ELNS1_11target_archE1030ELNS1_3gpuE2ELNS1_3repE0EEENS1_48merge_mergepath_partition_config_static_selectorELNS0_4arch9wavefront6targetE0EEEvSM_.has_indirect_call, 0
	.section	.AMDGPU.csdata,"",@progbits
; Kernel info:
; codeLenInByte = 692
; TotalNumSgprs: 10
; NumVgprs: 19
; ScratchSize: 0
; MemoryBound: 0
; FloatMode: 240
; IeeeMode: 1
; LDSByteSize: 0 bytes/workgroup (compile time only)
; SGPRBlocks: 0
; VGPRBlocks: 2
; NumSGPRsForWavesPerEU: 10
; NumVGPRsForWavesPerEU: 19
; Occupancy: 16
; WaveLimiterHint : 0
; COMPUTE_PGM_RSRC2:SCRATCH_EN: 0
; COMPUTE_PGM_RSRC2:USER_SGPR: 6
; COMPUTE_PGM_RSRC2:TRAP_HANDLER: 0
; COMPUTE_PGM_RSRC2:TGID_X_EN: 1
; COMPUTE_PGM_RSRC2:TGID_Y_EN: 0
; COMPUTE_PGM_RSRC2:TGID_Z_EN: 0
; COMPUTE_PGM_RSRC2:TIDIG_COMP_CNT: 0
	.section	.text._ZN7rocprim17ROCPRIM_400000_NS6detail17trampoline_kernelINS0_14default_configENS1_38merge_sort_block_merge_config_selectorIN6thrust23THRUST_200600_302600_NS4pairIiiEENS0_10empty_typeEEEZZNS1_27merge_sort_block_merge_implIS3_NS6_6detail15normal_iteratorINS6_10device_ptrIS8_EEEEPS9_mNS6_4lessIS8_EEEE10hipError_tT0_T1_T2_jT3_P12ihipStream_tbPNSt15iterator_traitsISL_E10value_typeEPNSR_ISM_E10value_typeEPSN_NS1_7vsmem_tEENKUlT_SL_SM_SN_E_clIPS8_SG_SH_SH_EESK_S10_SL_SM_SN_EUlS10_E0_NS1_11comp_targetILNS1_3genE0ELNS1_11target_archE4294967295ELNS1_3gpuE0ELNS1_3repE0EEENS1_38merge_mergepath_config_static_selectorELNS0_4arch9wavefront6targetE0EEEvSM_,"axG",@progbits,_ZN7rocprim17ROCPRIM_400000_NS6detail17trampoline_kernelINS0_14default_configENS1_38merge_sort_block_merge_config_selectorIN6thrust23THRUST_200600_302600_NS4pairIiiEENS0_10empty_typeEEEZZNS1_27merge_sort_block_merge_implIS3_NS6_6detail15normal_iteratorINS6_10device_ptrIS8_EEEEPS9_mNS6_4lessIS8_EEEE10hipError_tT0_T1_T2_jT3_P12ihipStream_tbPNSt15iterator_traitsISL_E10value_typeEPNSR_ISM_E10value_typeEPSN_NS1_7vsmem_tEENKUlT_SL_SM_SN_E_clIPS8_SG_SH_SH_EESK_S10_SL_SM_SN_EUlS10_E0_NS1_11comp_targetILNS1_3genE0ELNS1_11target_archE4294967295ELNS1_3gpuE0ELNS1_3repE0EEENS1_38merge_mergepath_config_static_selectorELNS0_4arch9wavefront6targetE0EEEvSM_,comdat
	.protected	_ZN7rocprim17ROCPRIM_400000_NS6detail17trampoline_kernelINS0_14default_configENS1_38merge_sort_block_merge_config_selectorIN6thrust23THRUST_200600_302600_NS4pairIiiEENS0_10empty_typeEEEZZNS1_27merge_sort_block_merge_implIS3_NS6_6detail15normal_iteratorINS6_10device_ptrIS8_EEEEPS9_mNS6_4lessIS8_EEEE10hipError_tT0_T1_T2_jT3_P12ihipStream_tbPNSt15iterator_traitsISL_E10value_typeEPNSR_ISM_E10value_typeEPSN_NS1_7vsmem_tEENKUlT_SL_SM_SN_E_clIPS8_SG_SH_SH_EESK_S10_SL_SM_SN_EUlS10_E0_NS1_11comp_targetILNS1_3genE0ELNS1_11target_archE4294967295ELNS1_3gpuE0ELNS1_3repE0EEENS1_38merge_mergepath_config_static_selectorELNS0_4arch9wavefront6targetE0EEEvSM_ ; -- Begin function _ZN7rocprim17ROCPRIM_400000_NS6detail17trampoline_kernelINS0_14default_configENS1_38merge_sort_block_merge_config_selectorIN6thrust23THRUST_200600_302600_NS4pairIiiEENS0_10empty_typeEEEZZNS1_27merge_sort_block_merge_implIS3_NS6_6detail15normal_iteratorINS6_10device_ptrIS8_EEEEPS9_mNS6_4lessIS8_EEEE10hipError_tT0_T1_T2_jT3_P12ihipStream_tbPNSt15iterator_traitsISL_E10value_typeEPNSR_ISM_E10value_typeEPSN_NS1_7vsmem_tEENKUlT_SL_SM_SN_E_clIPS8_SG_SH_SH_EESK_S10_SL_SM_SN_EUlS10_E0_NS1_11comp_targetILNS1_3genE0ELNS1_11target_archE4294967295ELNS1_3gpuE0ELNS1_3repE0EEENS1_38merge_mergepath_config_static_selectorELNS0_4arch9wavefront6targetE0EEEvSM_
	.globl	_ZN7rocprim17ROCPRIM_400000_NS6detail17trampoline_kernelINS0_14default_configENS1_38merge_sort_block_merge_config_selectorIN6thrust23THRUST_200600_302600_NS4pairIiiEENS0_10empty_typeEEEZZNS1_27merge_sort_block_merge_implIS3_NS6_6detail15normal_iteratorINS6_10device_ptrIS8_EEEEPS9_mNS6_4lessIS8_EEEE10hipError_tT0_T1_T2_jT3_P12ihipStream_tbPNSt15iterator_traitsISL_E10value_typeEPNSR_ISM_E10value_typeEPSN_NS1_7vsmem_tEENKUlT_SL_SM_SN_E_clIPS8_SG_SH_SH_EESK_S10_SL_SM_SN_EUlS10_E0_NS1_11comp_targetILNS1_3genE0ELNS1_11target_archE4294967295ELNS1_3gpuE0ELNS1_3repE0EEENS1_38merge_mergepath_config_static_selectorELNS0_4arch9wavefront6targetE0EEEvSM_
	.p2align	8
	.type	_ZN7rocprim17ROCPRIM_400000_NS6detail17trampoline_kernelINS0_14default_configENS1_38merge_sort_block_merge_config_selectorIN6thrust23THRUST_200600_302600_NS4pairIiiEENS0_10empty_typeEEEZZNS1_27merge_sort_block_merge_implIS3_NS6_6detail15normal_iteratorINS6_10device_ptrIS8_EEEEPS9_mNS6_4lessIS8_EEEE10hipError_tT0_T1_T2_jT3_P12ihipStream_tbPNSt15iterator_traitsISL_E10value_typeEPNSR_ISM_E10value_typeEPSN_NS1_7vsmem_tEENKUlT_SL_SM_SN_E_clIPS8_SG_SH_SH_EESK_S10_SL_SM_SN_EUlS10_E0_NS1_11comp_targetILNS1_3genE0ELNS1_11target_archE4294967295ELNS1_3gpuE0ELNS1_3repE0EEENS1_38merge_mergepath_config_static_selectorELNS0_4arch9wavefront6targetE0EEEvSM_,@function
_ZN7rocprim17ROCPRIM_400000_NS6detail17trampoline_kernelINS0_14default_configENS1_38merge_sort_block_merge_config_selectorIN6thrust23THRUST_200600_302600_NS4pairIiiEENS0_10empty_typeEEEZZNS1_27merge_sort_block_merge_implIS3_NS6_6detail15normal_iteratorINS6_10device_ptrIS8_EEEEPS9_mNS6_4lessIS8_EEEE10hipError_tT0_T1_T2_jT3_P12ihipStream_tbPNSt15iterator_traitsISL_E10value_typeEPNSR_ISM_E10value_typeEPSN_NS1_7vsmem_tEENKUlT_SL_SM_SN_E_clIPS8_SG_SH_SH_EESK_S10_SL_SM_SN_EUlS10_E0_NS1_11comp_targetILNS1_3genE0ELNS1_11target_archE4294967295ELNS1_3gpuE0ELNS1_3repE0EEENS1_38merge_mergepath_config_static_selectorELNS0_4arch9wavefront6targetE0EEEvSM_: ; @_ZN7rocprim17ROCPRIM_400000_NS6detail17trampoline_kernelINS0_14default_configENS1_38merge_sort_block_merge_config_selectorIN6thrust23THRUST_200600_302600_NS4pairIiiEENS0_10empty_typeEEEZZNS1_27merge_sort_block_merge_implIS3_NS6_6detail15normal_iteratorINS6_10device_ptrIS8_EEEEPS9_mNS6_4lessIS8_EEEE10hipError_tT0_T1_T2_jT3_P12ihipStream_tbPNSt15iterator_traitsISL_E10value_typeEPNSR_ISM_E10value_typeEPSN_NS1_7vsmem_tEENKUlT_SL_SM_SN_E_clIPS8_SG_SH_SH_EESK_S10_SL_SM_SN_EUlS10_E0_NS1_11comp_targetILNS1_3genE0ELNS1_11target_archE4294967295ELNS1_3gpuE0ELNS1_3repE0EEENS1_38merge_mergepath_config_static_selectorELNS0_4arch9wavefront6targetE0EEEvSM_
; %bb.0:
	.section	.rodata,"a",@progbits
	.p2align	6, 0x0
	.amdhsa_kernel _ZN7rocprim17ROCPRIM_400000_NS6detail17trampoline_kernelINS0_14default_configENS1_38merge_sort_block_merge_config_selectorIN6thrust23THRUST_200600_302600_NS4pairIiiEENS0_10empty_typeEEEZZNS1_27merge_sort_block_merge_implIS3_NS6_6detail15normal_iteratorINS6_10device_ptrIS8_EEEEPS9_mNS6_4lessIS8_EEEE10hipError_tT0_T1_T2_jT3_P12ihipStream_tbPNSt15iterator_traitsISL_E10value_typeEPNSR_ISM_E10value_typeEPSN_NS1_7vsmem_tEENKUlT_SL_SM_SN_E_clIPS8_SG_SH_SH_EESK_S10_SL_SM_SN_EUlS10_E0_NS1_11comp_targetILNS1_3genE0ELNS1_11target_archE4294967295ELNS1_3gpuE0ELNS1_3repE0EEENS1_38merge_mergepath_config_static_selectorELNS0_4arch9wavefront6targetE0EEEvSM_
		.amdhsa_group_segment_fixed_size 0
		.amdhsa_private_segment_fixed_size 0
		.amdhsa_kernarg_size 72
		.amdhsa_user_sgpr_count 6
		.amdhsa_user_sgpr_private_segment_buffer 1
		.amdhsa_user_sgpr_dispatch_ptr 0
		.amdhsa_user_sgpr_queue_ptr 0
		.amdhsa_user_sgpr_kernarg_segment_ptr 1
		.amdhsa_user_sgpr_dispatch_id 0
		.amdhsa_user_sgpr_flat_scratch_init 0
		.amdhsa_user_sgpr_private_segment_size 0
		.amdhsa_wavefront_size32 1
		.amdhsa_uses_dynamic_stack 0
		.amdhsa_system_sgpr_private_segment_wavefront_offset 0
		.amdhsa_system_sgpr_workgroup_id_x 1
		.amdhsa_system_sgpr_workgroup_id_y 0
		.amdhsa_system_sgpr_workgroup_id_z 0
		.amdhsa_system_sgpr_workgroup_info 0
		.amdhsa_system_vgpr_workitem_id 0
		.amdhsa_next_free_vgpr 1
		.amdhsa_next_free_sgpr 1
		.amdhsa_reserve_vcc 0
		.amdhsa_reserve_flat_scratch 0
		.amdhsa_float_round_mode_32 0
		.amdhsa_float_round_mode_16_64 0
		.amdhsa_float_denorm_mode_32 3
		.amdhsa_float_denorm_mode_16_64 3
		.amdhsa_dx10_clamp 1
		.amdhsa_ieee_mode 1
		.amdhsa_fp16_overflow 0
		.amdhsa_workgroup_processor_mode 1
		.amdhsa_memory_ordered 1
		.amdhsa_forward_progress 1
		.amdhsa_shared_vgpr_count 0
		.amdhsa_exception_fp_ieee_invalid_op 0
		.amdhsa_exception_fp_denorm_src 0
		.amdhsa_exception_fp_ieee_div_zero 0
		.amdhsa_exception_fp_ieee_overflow 0
		.amdhsa_exception_fp_ieee_underflow 0
		.amdhsa_exception_fp_ieee_inexact 0
		.amdhsa_exception_int_div_zero 0
	.end_amdhsa_kernel
	.section	.text._ZN7rocprim17ROCPRIM_400000_NS6detail17trampoline_kernelINS0_14default_configENS1_38merge_sort_block_merge_config_selectorIN6thrust23THRUST_200600_302600_NS4pairIiiEENS0_10empty_typeEEEZZNS1_27merge_sort_block_merge_implIS3_NS6_6detail15normal_iteratorINS6_10device_ptrIS8_EEEEPS9_mNS6_4lessIS8_EEEE10hipError_tT0_T1_T2_jT3_P12ihipStream_tbPNSt15iterator_traitsISL_E10value_typeEPNSR_ISM_E10value_typeEPSN_NS1_7vsmem_tEENKUlT_SL_SM_SN_E_clIPS8_SG_SH_SH_EESK_S10_SL_SM_SN_EUlS10_E0_NS1_11comp_targetILNS1_3genE0ELNS1_11target_archE4294967295ELNS1_3gpuE0ELNS1_3repE0EEENS1_38merge_mergepath_config_static_selectorELNS0_4arch9wavefront6targetE0EEEvSM_,"axG",@progbits,_ZN7rocprim17ROCPRIM_400000_NS6detail17trampoline_kernelINS0_14default_configENS1_38merge_sort_block_merge_config_selectorIN6thrust23THRUST_200600_302600_NS4pairIiiEENS0_10empty_typeEEEZZNS1_27merge_sort_block_merge_implIS3_NS6_6detail15normal_iteratorINS6_10device_ptrIS8_EEEEPS9_mNS6_4lessIS8_EEEE10hipError_tT0_T1_T2_jT3_P12ihipStream_tbPNSt15iterator_traitsISL_E10value_typeEPNSR_ISM_E10value_typeEPSN_NS1_7vsmem_tEENKUlT_SL_SM_SN_E_clIPS8_SG_SH_SH_EESK_S10_SL_SM_SN_EUlS10_E0_NS1_11comp_targetILNS1_3genE0ELNS1_11target_archE4294967295ELNS1_3gpuE0ELNS1_3repE0EEENS1_38merge_mergepath_config_static_selectorELNS0_4arch9wavefront6targetE0EEEvSM_,comdat
.Lfunc_end641:
	.size	_ZN7rocprim17ROCPRIM_400000_NS6detail17trampoline_kernelINS0_14default_configENS1_38merge_sort_block_merge_config_selectorIN6thrust23THRUST_200600_302600_NS4pairIiiEENS0_10empty_typeEEEZZNS1_27merge_sort_block_merge_implIS3_NS6_6detail15normal_iteratorINS6_10device_ptrIS8_EEEEPS9_mNS6_4lessIS8_EEEE10hipError_tT0_T1_T2_jT3_P12ihipStream_tbPNSt15iterator_traitsISL_E10value_typeEPNSR_ISM_E10value_typeEPSN_NS1_7vsmem_tEENKUlT_SL_SM_SN_E_clIPS8_SG_SH_SH_EESK_S10_SL_SM_SN_EUlS10_E0_NS1_11comp_targetILNS1_3genE0ELNS1_11target_archE4294967295ELNS1_3gpuE0ELNS1_3repE0EEENS1_38merge_mergepath_config_static_selectorELNS0_4arch9wavefront6targetE0EEEvSM_, .Lfunc_end641-_ZN7rocprim17ROCPRIM_400000_NS6detail17trampoline_kernelINS0_14default_configENS1_38merge_sort_block_merge_config_selectorIN6thrust23THRUST_200600_302600_NS4pairIiiEENS0_10empty_typeEEEZZNS1_27merge_sort_block_merge_implIS3_NS6_6detail15normal_iteratorINS6_10device_ptrIS8_EEEEPS9_mNS6_4lessIS8_EEEE10hipError_tT0_T1_T2_jT3_P12ihipStream_tbPNSt15iterator_traitsISL_E10value_typeEPNSR_ISM_E10value_typeEPSN_NS1_7vsmem_tEENKUlT_SL_SM_SN_E_clIPS8_SG_SH_SH_EESK_S10_SL_SM_SN_EUlS10_E0_NS1_11comp_targetILNS1_3genE0ELNS1_11target_archE4294967295ELNS1_3gpuE0ELNS1_3repE0EEENS1_38merge_mergepath_config_static_selectorELNS0_4arch9wavefront6targetE0EEEvSM_
                                        ; -- End function
	.set _ZN7rocprim17ROCPRIM_400000_NS6detail17trampoline_kernelINS0_14default_configENS1_38merge_sort_block_merge_config_selectorIN6thrust23THRUST_200600_302600_NS4pairIiiEENS0_10empty_typeEEEZZNS1_27merge_sort_block_merge_implIS3_NS6_6detail15normal_iteratorINS6_10device_ptrIS8_EEEEPS9_mNS6_4lessIS8_EEEE10hipError_tT0_T1_T2_jT3_P12ihipStream_tbPNSt15iterator_traitsISL_E10value_typeEPNSR_ISM_E10value_typeEPSN_NS1_7vsmem_tEENKUlT_SL_SM_SN_E_clIPS8_SG_SH_SH_EESK_S10_SL_SM_SN_EUlS10_E0_NS1_11comp_targetILNS1_3genE0ELNS1_11target_archE4294967295ELNS1_3gpuE0ELNS1_3repE0EEENS1_38merge_mergepath_config_static_selectorELNS0_4arch9wavefront6targetE0EEEvSM_.num_vgpr, 0
	.set _ZN7rocprim17ROCPRIM_400000_NS6detail17trampoline_kernelINS0_14default_configENS1_38merge_sort_block_merge_config_selectorIN6thrust23THRUST_200600_302600_NS4pairIiiEENS0_10empty_typeEEEZZNS1_27merge_sort_block_merge_implIS3_NS6_6detail15normal_iteratorINS6_10device_ptrIS8_EEEEPS9_mNS6_4lessIS8_EEEE10hipError_tT0_T1_T2_jT3_P12ihipStream_tbPNSt15iterator_traitsISL_E10value_typeEPNSR_ISM_E10value_typeEPSN_NS1_7vsmem_tEENKUlT_SL_SM_SN_E_clIPS8_SG_SH_SH_EESK_S10_SL_SM_SN_EUlS10_E0_NS1_11comp_targetILNS1_3genE0ELNS1_11target_archE4294967295ELNS1_3gpuE0ELNS1_3repE0EEENS1_38merge_mergepath_config_static_selectorELNS0_4arch9wavefront6targetE0EEEvSM_.num_agpr, 0
	.set _ZN7rocprim17ROCPRIM_400000_NS6detail17trampoline_kernelINS0_14default_configENS1_38merge_sort_block_merge_config_selectorIN6thrust23THRUST_200600_302600_NS4pairIiiEENS0_10empty_typeEEEZZNS1_27merge_sort_block_merge_implIS3_NS6_6detail15normal_iteratorINS6_10device_ptrIS8_EEEEPS9_mNS6_4lessIS8_EEEE10hipError_tT0_T1_T2_jT3_P12ihipStream_tbPNSt15iterator_traitsISL_E10value_typeEPNSR_ISM_E10value_typeEPSN_NS1_7vsmem_tEENKUlT_SL_SM_SN_E_clIPS8_SG_SH_SH_EESK_S10_SL_SM_SN_EUlS10_E0_NS1_11comp_targetILNS1_3genE0ELNS1_11target_archE4294967295ELNS1_3gpuE0ELNS1_3repE0EEENS1_38merge_mergepath_config_static_selectorELNS0_4arch9wavefront6targetE0EEEvSM_.numbered_sgpr, 0
	.set _ZN7rocprim17ROCPRIM_400000_NS6detail17trampoline_kernelINS0_14default_configENS1_38merge_sort_block_merge_config_selectorIN6thrust23THRUST_200600_302600_NS4pairIiiEENS0_10empty_typeEEEZZNS1_27merge_sort_block_merge_implIS3_NS6_6detail15normal_iteratorINS6_10device_ptrIS8_EEEEPS9_mNS6_4lessIS8_EEEE10hipError_tT0_T1_T2_jT3_P12ihipStream_tbPNSt15iterator_traitsISL_E10value_typeEPNSR_ISM_E10value_typeEPSN_NS1_7vsmem_tEENKUlT_SL_SM_SN_E_clIPS8_SG_SH_SH_EESK_S10_SL_SM_SN_EUlS10_E0_NS1_11comp_targetILNS1_3genE0ELNS1_11target_archE4294967295ELNS1_3gpuE0ELNS1_3repE0EEENS1_38merge_mergepath_config_static_selectorELNS0_4arch9wavefront6targetE0EEEvSM_.num_named_barrier, 0
	.set _ZN7rocprim17ROCPRIM_400000_NS6detail17trampoline_kernelINS0_14default_configENS1_38merge_sort_block_merge_config_selectorIN6thrust23THRUST_200600_302600_NS4pairIiiEENS0_10empty_typeEEEZZNS1_27merge_sort_block_merge_implIS3_NS6_6detail15normal_iteratorINS6_10device_ptrIS8_EEEEPS9_mNS6_4lessIS8_EEEE10hipError_tT0_T1_T2_jT3_P12ihipStream_tbPNSt15iterator_traitsISL_E10value_typeEPNSR_ISM_E10value_typeEPSN_NS1_7vsmem_tEENKUlT_SL_SM_SN_E_clIPS8_SG_SH_SH_EESK_S10_SL_SM_SN_EUlS10_E0_NS1_11comp_targetILNS1_3genE0ELNS1_11target_archE4294967295ELNS1_3gpuE0ELNS1_3repE0EEENS1_38merge_mergepath_config_static_selectorELNS0_4arch9wavefront6targetE0EEEvSM_.private_seg_size, 0
	.set _ZN7rocprim17ROCPRIM_400000_NS6detail17trampoline_kernelINS0_14default_configENS1_38merge_sort_block_merge_config_selectorIN6thrust23THRUST_200600_302600_NS4pairIiiEENS0_10empty_typeEEEZZNS1_27merge_sort_block_merge_implIS3_NS6_6detail15normal_iteratorINS6_10device_ptrIS8_EEEEPS9_mNS6_4lessIS8_EEEE10hipError_tT0_T1_T2_jT3_P12ihipStream_tbPNSt15iterator_traitsISL_E10value_typeEPNSR_ISM_E10value_typeEPSN_NS1_7vsmem_tEENKUlT_SL_SM_SN_E_clIPS8_SG_SH_SH_EESK_S10_SL_SM_SN_EUlS10_E0_NS1_11comp_targetILNS1_3genE0ELNS1_11target_archE4294967295ELNS1_3gpuE0ELNS1_3repE0EEENS1_38merge_mergepath_config_static_selectorELNS0_4arch9wavefront6targetE0EEEvSM_.uses_vcc, 0
	.set _ZN7rocprim17ROCPRIM_400000_NS6detail17trampoline_kernelINS0_14default_configENS1_38merge_sort_block_merge_config_selectorIN6thrust23THRUST_200600_302600_NS4pairIiiEENS0_10empty_typeEEEZZNS1_27merge_sort_block_merge_implIS3_NS6_6detail15normal_iteratorINS6_10device_ptrIS8_EEEEPS9_mNS6_4lessIS8_EEEE10hipError_tT0_T1_T2_jT3_P12ihipStream_tbPNSt15iterator_traitsISL_E10value_typeEPNSR_ISM_E10value_typeEPSN_NS1_7vsmem_tEENKUlT_SL_SM_SN_E_clIPS8_SG_SH_SH_EESK_S10_SL_SM_SN_EUlS10_E0_NS1_11comp_targetILNS1_3genE0ELNS1_11target_archE4294967295ELNS1_3gpuE0ELNS1_3repE0EEENS1_38merge_mergepath_config_static_selectorELNS0_4arch9wavefront6targetE0EEEvSM_.uses_flat_scratch, 0
	.set _ZN7rocprim17ROCPRIM_400000_NS6detail17trampoline_kernelINS0_14default_configENS1_38merge_sort_block_merge_config_selectorIN6thrust23THRUST_200600_302600_NS4pairIiiEENS0_10empty_typeEEEZZNS1_27merge_sort_block_merge_implIS3_NS6_6detail15normal_iteratorINS6_10device_ptrIS8_EEEEPS9_mNS6_4lessIS8_EEEE10hipError_tT0_T1_T2_jT3_P12ihipStream_tbPNSt15iterator_traitsISL_E10value_typeEPNSR_ISM_E10value_typeEPSN_NS1_7vsmem_tEENKUlT_SL_SM_SN_E_clIPS8_SG_SH_SH_EESK_S10_SL_SM_SN_EUlS10_E0_NS1_11comp_targetILNS1_3genE0ELNS1_11target_archE4294967295ELNS1_3gpuE0ELNS1_3repE0EEENS1_38merge_mergepath_config_static_selectorELNS0_4arch9wavefront6targetE0EEEvSM_.has_dyn_sized_stack, 0
	.set _ZN7rocprim17ROCPRIM_400000_NS6detail17trampoline_kernelINS0_14default_configENS1_38merge_sort_block_merge_config_selectorIN6thrust23THRUST_200600_302600_NS4pairIiiEENS0_10empty_typeEEEZZNS1_27merge_sort_block_merge_implIS3_NS6_6detail15normal_iteratorINS6_10device_ptrIS8_EEEEPS9_mNS6_4lessIS8_EEEE10hipError_tT0_T1_T2_jT3_P12ihipStream_tbPNSt15iterator_traitsISL_E10value_typeEPNSR_ISM_E10value_typeEPSN_NS1_7vsmem_tEENKUlT_SL_SM_SN_E_clIPS8_SG_SH_SH_EESK_S10_SL_SM_SN_EUlS10_E0_NS1_11comp_targetILNS1_3genE0ELNS1_11target_archE4294967295ELNS1_3gpuE0ELNS1_3repE0EEENS1_38merge_mergepath_config_static_selectorELNS0_4arch9wavefront6targetE0EEEvSM_.has_recursion, 0
	.set _ZN7rocprim17ROCPRIM_400000_NS6detail17trampoline_kernelINS0_14default_configENS1_38merge_sort_block_merge_config_selectorIN6thrust23THRUST_200600_302600_NS4pairIiiEENS0_10empty_typeEEEZZNS1_27merge_sort_block_merge_implIS3_NS6_6detail15normal_iteratorINS6_10device_ptrIS8_EEEEPS9_mNS6_4lessIS8_EEEE10hipError_tT0_T1_T2_jT3_P12ihipStream_tbPNSt15iterator_traitsISL_E10value_typeEPNSR_ISM_E10value_typeEPSN_NS1_7vsmem_tEENKUlT_SL_SM_SN_E_clIPS8_SG_SH_SH_EESK_S10_SL_SM_SN_EUlS10_E0_NS1_11comp_targetILNS1_3genE0ELNS1_11target_archE4294967295ELNS1_3gpuE0ELNS1_3repE0EEENS1_38merge_mergepath_config_static_selectorELNS0_4arch9wavefront6targetE0EEEvSM_.has_indirect_call, 0
	.section	.AMDGPU.csdata,"",@progbits
; Kernel info:
; codeLenInByte = 0
; TotalNumSgprs: 0
; NumVgprs: 0
; ScratchSize: 0
; MemoryBound: 0
; FloatMode: 240
; IeeeMode: 1
; LDSByteSize: 0 bytes/workgroup (compile time only)
; SGPRBlocks: 0
; VGPRBlocks: 0
; NumSGPRsForWavesPerEU: 1
; NumVGPRsForWavesPerEU: 1
; Occupancy: 16
; WaveLimiterHint : 0
; COMPUTE_PGM_RSRC2:SCRATCH_EN: 0
; COMPUTE_PGM_RSRC2:USER_SGPR: 6
; COMPUTE_PGM_RSRC2:TRAP_HANDLER: 0
; COMPUTE_PGM_RSRC2:TGID_X_EN: 1
; COMPUTE_PGM_RSRC2:TGID_Y_EN: 0
; COMPUTE_PGM_RSRC2:TGID_Z_EN: 0
; COMPUTE_PGM_RSRC2:TIDIG_COMP_CNT: 0
	.section	.text._ZN7rocprim17ROCPRIM_400000_NS6detail17trampoline_kernelINS0_14default_configENS1_38merge_sort_block_merge_config_selectorIN6thrust23THRUST_200600_302600_NS4pairIiiEENS0_10empty_typeEEEZZNS1_27merge_sort_block_merge_implIS3_NS6_6detail15normal_iteratorINS6_10device_ptrIS8_EEEEPS9_mNS6_4lessIS8_EEEE10hipError_tT0_T1_T2_jT3_P12ihipStream_tbPNSt15iterator_traitsISL_E10value_typeEPNSR_ISM_E10value_typeEPSN_NS1_7vsmem_tEENKUlT_SL_SM_SN_E_clIPS8_SG_SH_SH_EESK_S10_SL_SM_SN_EUlS10_E0_NS1_11comp_targetILNS1_3genE10ELNS1_11target_archE1201ELNS1_3gpuE5ELNS1_3repE0EEENS1_38merge_mergepath_config_static_selectorELNS0_4arch9wavefront6targetE0EEEvSM_,"axG",@progbits,_ZN7rocprim17ROCPRIM_400000_NS6detail17trampoline_kernelINS0_14default_configENS1_38merge_sort_block_merge_config_selectorIN6thrust23THRUST_200600_302600_NS4pairIiiEENS0_10empty_typeEEEZZNS1_27merge_sort_block_merge_implIS3_NS6_6detail15normal_iteratorINS6_10device_ptrIS8_EEEEPS9_mNS6_4lessIS8_EEEE10hipError_tT0_T1_T2_jT3_P12ihipStream_tbPNSt15iterator_traitsISL_E10value_typeEPNSR_ISM_E10value_typeEPSN_NS1_7vsmem_tEENKUlT_SL_SM_SN_E_clIPS8_SG_SH_SH_EESK_S10_SL_SM_SN_EUlS10_E0_NS1_11comp_targetILNS1_3genE10ELNS1_11target_archE1201ELNS1_3gpuE5ELNS1_3repE0EEENS1_38merge_mergepath_config_static_selectorELNS0_4arch9wavefront6targetE0EEEvSM_,comdat
	.protected	_ZN7rocprim17ROCPRIM_400000_NS6detail17trampoline_kernelINS0_14default_configENS1_38merge_sort_block_merge_config_selectorIN6thrust23THRUST_200600_302600_NS4pairIiiEENS0_10empty_typeEEEZZNS1_27merge_sort_block_merge_implIS3_NS6_6detail15normal_iteratorINS6_10device_ptrIS8_EEEEPS9_mNS6_4lessIS8_EEEE10hipError_tT0_T1_T2_jT3_P12ihipStream_tbPNSt15iterator_traitsISL_E10value_typeEPNSR_ISM_E10value_typeEPSN_NS1_7vsmem_tEENKUlT_SL_SM_SN_E_clIPS8_SG_SH_SH_EESK_S10_SL_SM_SN_EUlS10_E0_NS1_11comp_targetILNS1_3genE10ELNS1_11target_archE1201ELNS1_3gpuE5ELNS1_3repE0EEENS1_38merge_mergepath_config_static_selectorELNS0_4arch9wavefront6targetE0EEEvSM_ ; -- Begin function _ZN7rocprim17ROCPRIM_400000_NS6detail17trampoline_kernelINS0_14default_configENS1_38merge_sort_block_merge_config_selectorIN6thrust23THRUST_200600_302600_NS4pairIiiEENS0_10empty_typeEEEZZNS1_27merge_sort_block_merge_implIS3_NS6_6detail15normal_iteratorINS6_10device_ptrIS8_EEEEPS9_mNS6_4lessIS8_EEEE10hipError_tT0_T1_T2_jT3_P12ihipStream_tbPNSt15iterator_traitsISL_E10value_typeEPNSR_ISM_E10value_typeEPSN_NS1_7vsmem_tEENKUlT_SL_SM_SN_E_clIPS8_SG_SH_SH_EESK_S10_SL_SM_SN_EUlS10_E0_NS1_11comp_targetILNS1_3genE10ELNS1_11target_archE1201ELNS1_3gpuE5ELNS1_3repE0EEENS1_38merge_mergepath_config_static_selectorELNS0_4arch9wavefront6targetE0EEEvSM_
	.globl	_ZN7rocprim17ROCPRIM_400000_NS6detail17trampoline_kernelINS0_14default_configENS1_38merge_sort_block_merge_config_selectorIN6thrust23THRUST_200600_302600_NS4pairIiiEENS0_10empty_typeEEEZZNS1_27merge_sort_block_merge_implIS3_NS6_6detail15normal_iteratorINS6_10device_ptrIS8_EEEEPS9_mNS6_4lessIS8_EEEE10hipError_tT0_T1_T2_jT3_P12ihipStream_tbPNSt15iterator_traitsISL_E10value_typeEPNSR_ISM_E10value_typeEPSN_NS1_7vsmem_tEENKUlT_SL_SM_SN_E_clIPS8_SG_SH_SH_EESK_S10_SL_SM_SN_EUlS10_E0_NS1_11comp_targetILNS1_3genE10ELNS1_11target_archE1201ELNS1_3gpuE5ELNS1_3repE0EEENS1_38merge_mergepath_config_static_selectorELNS0_4arch9wavefront6targetE0EEEvSM_
	.p2align	8
	.type	_ZN7rocprim17ROCPRIM_400000_NS6detail17trampoline_kernelINS0_14default_configENS1_38merge_sort_block_merge_config_selectorIN6thrust23THRUST_200600_302600_NS4pairIiiEENS0_10empty_typeEEEZZNS1_27merge_sort_block_merge_implIS3_NS6_6detail15normal_iteratorINS6_10device_ptrIS8_EEEEPS9_mNS6_4lessIS8_EEEE10hipError_tT0_T1_T2_jT3_P12ihipStream_tbPNSt15iterator_traitsISL_E10value_typeEPNSR_ISM_E10value_typeEPSN_NS1_7vsmem_tEENKUlT_SL_SM_SN_E_clIPS8_SG_SH_SH_EESK_S10_SL_SM_SN_EUlS10_E0_NS1_11comp_targetILNS1_3genE10ELNS1_11target_archE1201ELNS1_3gpuE5ELNS1_3repE0EEENS1_38merge_mergepath_config_static_selectorELNS0_4arch9wavefront6targetE0EEEvSM_,@function
_ZN7rocprim17ROCPRIM_400000_NS6detail17trampoline_kernelINS0_14default_configENS1_38merge_sort_block_merge_config_selectorIN6thrust23THRUST_200600_302600_NS4pairIiiEENS0_10empty_typeEEEZZNS1_27merge_sort_block_merge_implIS3_NS6_6detail15normal_iteratorINS6_10device_ptrIS8_EEEEPS9_mNS6_4lessIS8_EEEE10hipError_tT0_T1_T2_jT3_P12ihipStream_tbPNSt15iterator_traitsISL_E10value_typeEPNSR_ISM_E10value_typeEPSN_NS1_7vsmem_tEENKUlT_SL_SM_SN_E_clIPS8_SG_SH_SH_EESK_S10_SL_SM_SN_EUlS10_E0_NS1_11comp_targetILNS1_3genE10ELNS1_11target_archE1201ELNS1_3gpuE5ELNS1_3repE0EEENS1_38merge_mergepath_config_static_selectorELNS0_4arch9wavefront6targetE0EEEvSM_: ; @_ZN7rocprim17ROCPRIM_400000_NS6detail17trampoline_kernelINS0_14default_configENS1_38merge_sort_block_merge_config_selectorIN6thrust23THRUST_200600_302600_NS4pairIiiEENS0_10empty_typeEEEZZNS1_27merge_sort_block_merge_implIS3_NS6_6detail15normal_iteratorINS6_10device_ptrIS8_EEEEPS9_mNS6_4lessIS8_EEEE10hipError_tT0_T1_T2_jT3_P12ihipStream_tbPNSt15iterator_traitsISL_E10value_typeEPNSR_ISM_E10value_typeEPSN_NS1_7vsmem_tEENKUlT_SL_SM_SN_E_clIPS8_SG_SH_SH_EESK_S10_SL_SM_SN_EUlS10_E0_NS1_11comp_targetILNS1_3genE10ELNS1_11target_archE1201ELNS1_3gpuE5ELNS1_3repE0EEENS1_38merge_mergepath_config_static_selectorELNS0_4arch9wavefront6targetE0EEEvSM_
; %bb.0:
	.section	.rodata,"a",@progbits
	.p2align	6, 0x0
	.amdhsa_kernel _ZN7rocprim17ROCPRIM_400000_NS6detail17trampoline_kernelINS0_14default_configENS1_38merge_sort_block_merge_config_selectorIN6thrust23THRUST_200600_302600_NS4pairIiiEENS0_10empty_typeEEEZZNS1_27merge_sort_block_merge_implIS3_NS6_6detail15normal_iteratorINS6_10device_ptrIS8_EEEEPS9_mNS6_4lessIS8_EEEE10hipError_tT0_T1_T2_jT3_P12ihipStream_tbPNSt15iterator_traitsISL_E10value_typeEPNSR_ISM_E10value_typeEPSN_NS1_7vsmem_tEENKUlT_SL_SM_SN_E_clIPS8_SG_SH_SH_EESK_S10_SL_SM_SN_EUlS10_E0_NS1_11comp_targetILNS1_3genE10ELNS1_11target_archE1201ELNS1_3gpuE5ELNS1_3repE0EEENS1_38merge_mergepath_config_static_selectorELNS0_4arch9wavefront6targetE0EEEvSM_
		.amdhsa_group_segment_fixed_size 0
		.amdhsa_private_segment_fixed_size 0
		.amdhsa_kernarg_size 72
		.amdhsa_user_sgpr_count 6
		.amdhsa_user_sgpr_private_segment_buffer 1
		.amdhsa_user_sgpr_dispatch_ptr 0
		.amdhsa_user_sgpr_queue_ptr 0
		.amdhsa_user_sgpr_kernarg_segment_ptr 1
		.amdhsa_user_sgpr_dispatch_id 0
		.amdhsa_user_sgpr_flat_scratch_init 0
		.amdhsa_user_sgpr_private_segment_size 0
		.amdhsa_wavefront_size32 1
		.amdhsa_uses_dynamic_stack 0
		.amdhsa_system_sgpr_private_segment_wavefront_offset 0
		.amdhsa_system_sgpr_workgroup_id_x 1
		.amdhsa_system_sgpr_workgroup_id_y 0
		.amdhsa_system_sgpr_workgroup_id_z 0
		.amdhsa_system_sgpr_workgroup_info 0
		.amdhsa_system_vgpr_workitem_id 0
		.amdhsa_next_free_vgpr 1
		.amdhsa_next_free_sgpr 1
		.amdhsa_reserve_vcc 0
		.amdhsa_reserve_flat_scratch 0
		.amdhsa_float_round_mode_32 0
		.amdhsa_float_round_mode_16_64 0
		.amdhsa_float_denorm_mode_32 3
		.amdhsa_float_denorm_mode_16_64 3
		.amdhsa_dx10_clamp 1
		.amdhsa_ieee_mode 1
		.amdhsa_fp16_overflow 0
		.amdhsa_workgroup_processor_mode 1
		.amdhsa_memory_ordered 1
		.amdhsa_forward_progress 1
		.amdhsa_shared_vgpr_count 0
		.amdhsa_exception_fp_ieee_invalid_op 0
		.amdhsa_exception_fp_denorm_src 0
		.amdhsa_exception_fp_ieee_div_zero 0
		.amdhsa_exception_fp_ieee_overflow 0
		.amdhsa_exception_fp_ieee_underflow 0
		.amdhsa_exception_fp_ieee_inexact 0
		.amdhsa_exception_int_div_zero 0
	.end_amdhsa_kernel
	.section	.text._ZN7rocprim17ROCPRIM_400000_NS6detail17trampoline_kernelINS0_14default_configENS1_38merge_sort_block_merge_config_selectorIN6thrust23THRUST_200600_302600_NS4pairIiiEENS0_10empty_typeEEEZZNS1_27merge_sort_block_merge_implIS3_NS6_6detail15normal_iteratorINS6_10device_ptrIS8_EEEEPS9_mNS6_4lessIS8_EEEE10hipError_tT0_T1_T2_jT3_P12ihipStream_tbPNSt15iterator_traitsISL_E10value_typeEPNSR_ISM_E10value_typeEPSN_NS1_7vsmem_tEENKUlT_SL_SM_SN_E_clIPS8_SG_SH_SH_EESK_S10_SL_SM_SN_EUlS10_E0_NS1_11comp_targetILNS1_3genE10ELNS1_11target_archE1201ELNS1_3gpuE5ELNS1_3repE0EEENS1_38merge_mergepath_config_static_selectorELNS0_4arch9wavefront6targetE0EEEvSM_,"axG",@progbits,_ZN7rocprim17ROCPRIM_400000_NS6detail17trampoline_kernelINS0_14default_configENS1_38merge_sort_block_merge_config_selectorIN6thrust23THRUST_200600_302600_NS4pairIiiEENS0_10empty_typeEEEZZNS1_27merge_sort_block_merge_implIS3_NS6_6detail15normal_iteratorINS6_10device_ptrIS8_EEEEPS9_mNS6_4lessIS8_EEEE10hipError_tT0_T1_T2_jT3_P12ihipStream_tbPNSt15iterator_traitsISL_E10value_typeEPNSR_ISM_E10value_typeEPSN_NS1_7vsmem_tEENKUlT_SL_SM_SN_E_clIPS8_SG_SH_SH_EESK_S10_SL_SM_SN_EUlS10_E0_NS1_11comp_targetILNS1_3genE10ELNS1_11target_archE1201ELNS1_3gpuE5ELNS1_3repE0EEENS1_38merge_mergepath_config_static_selectorELNS0_4arch9wavefront6targetE0EEEvSM_,comdat
.Lfunc_end642:
	.size	_ZN7rocprim17ROCPRIM_400000_NS6detail17trampoline_kernelINS0_14default_configENS1_38merge_sort_block_merge_config_selectorIN6thrust23THRUST_200600_302600_NS4pairIiiEENS0_10empty_typeEEEZZNS1_27merge_sort_block_merge_implIS3_NS6_6detail15normal_iteratorINS6_10device_ptrIS8_EEEEPS9_mNS6_4lessIS8_EEEE10hipError_tT0_T1_T2_jT3_P12ihipStream_tbPNSt15iterator_traitsISL_E10value_typeEPNSR_ISM_E10value_typeEPSN_NS1_7vsmem_tEENKUlT_SL_SM_SN_E_clIPS8_SG_SH_SH_EESK_S10_SL_SM_SN_EUlS10_E0_NS1_11comp_targetILNS1_3genE10ELNS1_11target_archE1201ELNS1_3gpuE5ELNS1_3repE0EEENS1_38merge_mergepath_config_static_selectorELNS0_4arch9wavefront6targetE0EEEvSM_, .Lfunc_end642-_ZN7rocprim17ROCPRIM_400000_NS6detail17trampoline_kernelINS0_14default_configENS1_38merge_sort_block_merge_config_selectorIN6thrust23THRUST_200600_302600_NS4pairIiiEENS0_10empty_typeEEEZZNS1_27merge_sort_block_merge_implIS3_NS6_6detail15normal_iteratorINS6_10device_ptrIS8_EEEEPS9_mNS6_4lessIS8_EEEE10hipError_tT0_T1_T2_jT3_P12ihipStream_tbPNSt15iterator_traitsISL_E10value_typeEPNSR_ISM_E10value_typeEPSN_NS1_7vsmem_tEENKUlT_SL_SM_SN_E_clIPS8_SG_SH_SH_EESK_S10_SL_SM_SN_EUlS10_E0_NS1_11comp_targetILNS1_3genE10ELNS1_11target_archE1201ELNS1_3gpuE5ELNS1_3repE0EEENS1_38merge_mergepath_config_static_selectorELNS0_4arch9wavefront6targetE0EEEvSM_
                                        ; -- End function
	.set _ZN7rocprim17ROCPRIM_400000_NS6detail17trampoline_kernelINS0_14default_configENS1_38merge_sort_block_merge_config_selectorIN6thrust23THRUST_200600_302600_NS4pairIiiEENS0_10empty_typeEEEZZNS1_27merge_sort_block_merge_implIS3_NS6_6detail15normal_iteratorINS6_10device_ptrIS8_EEEEPS9_mNS6_4lessIS8_EEEE10hipError_tT0_T1_T2_jT3_P12ihipStream_tbPNSt15iterator_traitsISL_E10value_typeEPNSR_ISM_E10value_typeEPSN_NS1_7vsmem_tEENKUlT_SL_SM_SN_E_clIPS8_SG_SH_SH_EESK_S10_SL_SM_SN_EUlS10_E0_NS1_11comp_targetILNS1_3genE10ELNS1_11target_archE1201ELNS1_3gpuE5ELNS1_3repE0EEENS1_38merge_mergepath_config_static_selectorELNS0_4arch9wavefront6targetE0EEEvSM_.num_vgpr, 0
	.set _ZN7rocprim17ROCPRIM_400000_NS6detail17trampoline_kernelINS0_14default_configENS1_38merge_sort_block_merge_config_selectorIN6thrust23THRUST_200600_302600_NS4pairIiiEENS0_10empty_typeEEEZZNS1_27merge_sort_block_merge_implIS3_NS6_6detail15normal_iteratorINS6_10device_ptrIS8_EEEEPS9_mNS6_4lessIS8_EEEE10hipError_tT0_T1_T2_jT3_P12ihipStream_tbPNSt15iterator_traitsISL_E10value_typeEPNSR_ISM_E10value_typeEPSN_NS1_7vsmem_tEENKUlT_SL_SM_SN_E_clIPS8_SG_SH_SH_EESK_S10_SL_SM_SN_EUlS10_E0_NS1_11comp_targetILNS1_3genE10ELNS1_11target_archE1201ELNS1_3gpuE5ELNS1_3repE0EEENS1_38merge_mergepath_config_static_selectorELNS0_4arch9wavefront6targetE0EEEvSM_.num_agpr, 0
	.set _ZN7rocprim17ROCPRIM_400000_NS6detail17trampoline_kernelINS0_14default_configENS1_38merge_sort_block_merge_config_selectorIN6thrust23THRUST_200600_302600_NS4pairIiiEENS0_10empty_typeEEEZZNS1_27merge_sort_block_merge_implIS3_NS6_6detail15normal_iteratorINS6_10device_ptrIS8_EEEEPS9_mNS6_4lessIS8_EEEE10hipError_tT0_T1_T2_jT3_P12ihipStream_tbPNSt15iterator_traitsISL_E10value_typeEPNSR_ISM_E10value_typeEPSN_NS1_7vsmem_tEENKUlT_SL_SM_SN_E_clIPS8_SG_SH_SH_EESK_S10_SL_SM_SN_EUlS10_E0_NS1_11comp_targetILNS1_3genE10ELNS1_11target_archE1201ELNS1_3gpuE5ELNS1_3repE0EEENS1_38merge_mergepath_config_static_selectorELNS0_4arch9wavefront6targetE0EEEvSM_.numbered_sgpr, 0
	.set _ZN7rocprim17ROCPRIM_400000_NS6detail17trampoline_kernelINS0_14default_configENS1_38merge_sort_block_merge_config_selectorIN6thrust23THRUST_200600_302600_NS4pairIiiEENS0_10empty_typeEEEZZNS1_27merge_sort_block_merge_implIS3_NS6_6detail15normal_iteratorINS6_10device_ptrIS8_EEEEPS9_mNS6_4lessIS8_EEEE10hipError_tT0_T1_T2_jT3_P12ihipStream_tbPNSt15iterator_traitsISL_E10value_typeEPNSR_ISM_E10value_typeEPSN_NS1_7vsmem_tEENKUlT_SL_SM_SN_E_clIPS8_SG_SH_SH_EESK_S10_SL_SM_SN_EUlS10_E0_NS1_11comp_targetILNS1_3genE10ELNS1_11target_archE1201ELNS1_3gpuE5ELNS1_3repE0EEENS1_38merge_mergepath_config_static_selectorELNS0_4arch9wavefront6targetE0EEEvSM_.num_named_barrier, 0
	.set _ZN7rocprim17ROCPRIM_400000_NS6detail17trampoline_kernelINS0_14default_configENS1_38merge_sort_block_merge_config_selectorIN6thrust23THRUST_200600_302600_NS4pairIiiEENS0_10empty_typeEEEZZNS1_27merge_sort_block_merge_implIS3_NS6_6detail15normal_iteratorINS6_10device_ptrIS8_EEEEPS9_mNS6_4lessIS8_EEEE10hipError_tT0_T1_T2_jT3_P12ihipStream_tbPNSt15iterator_traitsISL_E10value_typeEPNSR_ISM_E10value_typeEPSN_NS1_7vsmem_tEENKUlT_SL_SM_SN_E_clIPS8_SG_SH_SH_EESK_S10_SL_SM_SN_EUlS10_E0_NS1_11comp_targetILNS1_3genE10ELNS1_11target_archE1201ELNS1_3gpuE5ELNS1_3repE0EEENS1_38merge_mergepath_config_static_selectorELNS0_4arch9wavefront6targetE0EEEvSM_.private_seg_size, 0
	.set _ZN7rocprim17ROCPRIM_400000_NS6detail17trampoline_kernelINS0_14default_configENS1_38merge_sort_block_merge_config_selectorIN6thrust23THRUST_200600_302600_NS4pairIiiEENS0_10empty_typeEEEZZNS1_27merge_sort_block_merge_implIS3_NS6_6detail15normal_iteratorINS6_10device_ptrIS8_EEEEPS9_mNS6_4lessIS8_EEEE10hipError_tT0_T1_T2_jT3_P12ihipStream_tbPNSt15iterator_traitsISL_E10value_typeEPNSR_ISM_E10value_typeEPSN_NS1_7vsmem_tEENKUlT_SL_SM_SN_E_clIPS8_SG_SH_SH_EESK_S10_SL_SM_SN_EUlS10_E0_NS1_11comp_targetILNS1_3genE10ELNS1_11target_archE1201ELNS1_3gpuE5ELNS1_3repE0EEENS1_38merge_mergepath_config_static_selectorELNS0_4arch9wavefront6targetE0EEEvSM_.uses_vcc, 0
	.set _ZN7rocprim17ROCPRIM_400000_NS6detail17trampoline_kernelINS0_14default_configENS1_38merge_sort_block_merge_config_selectorIN6thrust23THRUST_200600_302600_NS4pairIiiEENS0_10empty_typeEEEZZNS1_27merge_sort_block_merge_implIS3_NS6_6detail15normal_iteratorINS6_10device_ptrIS8_EEEEPS9_mNS6_4lessIS8_EEEE10hipError_tT0_T1_T2_jT3_P12ihipStream_tbPNSt15iterator_traitsISL_E10value_typeEPNSR_ISM_E10value_typeEPSN_NS1_7vsmem_tEENKUlT_SL_SM_SN_E_clIPS8_SG_SH_SH_EESK_S10_SL_SM_SN_EUlS10_E0_NS1_11comp_targetILNS1_3genE10ELNS1_11target_archE1201ELNS1_3gpuE5ELNS1_3repE0EEENS1_38merge_mergepath_config_static_selectorELNS0_4arch9wavefront6targetE0EEEvSM_.uses_flat_scratch, 0
	.set _ZN7rocprim17ROCPRIM_400000_NS6detail17trampoline_kernelINS0_14default_configENS1_38merge_sort_block_merge_config_selectorIN6thrust23THRUST_200600_302600_NS4pairIiiEENS0_10empty_typeEEEZZNS1_27merge_sort_block_merge_implIS3_NS6_6detail15normal_iteratorINS6_10device_ptrIS8_EEEEPS9_mNS6_4lessIS8_EEEE10hipError_tT0_T1_T2_jT3_P12ihipStream_tbPNSt15iterator_traitsISL_E10value_typeEPNSR_ISM_E10value_typeEPSN_NS1_7vsmem_tEENKUlT_SL_SM_SN_E_clIPS8_SG_SH_SH_EESK_S10_SL_SM_SN_EUlS10_E0_NS1_11comp_targetILNS1_3genE10ELNS1_11target_archE1201ELNS1_3gpuE5ELNS1_3repE0EEENS1_38merge_mergepath_config_static_selectorELNS0_4arch9wavefront6targetE0EEEvSM_.has_dyn_sized_stack, 0
	.set _ZN7rocprim17ROCPRIM_400000_NS6detail17trampoline_kernelINS0_14default_configENS1_38merge_sort_block_merge_config_selectorIN6thrust23THRUST_200600_302600_NS4pairIiiEENS0_10empty_typeEEEZZNS1_27merge_sort_block_merge_implIS3_NS6_6detail15normal_iteratorINS6_10device_ptrIS8_EEEEPS9_mNS6_4lessIS8_EEEE10hipError_tT0_T1_T2_jT3_P12ihipStream_tbPNSt15iterator_traitsISL_E10value_typeEPNSR_ISM_E10value_typeEPSN_NS1_7vsmem_tEENKUlT_SL_SM_SN_E_clIPS8_SG_SH_SH_EESK_S10_SL_SM_SN_EUlS10_E0_NS1_11comp_targetILNS1_3genE10ELNS1_11target_archE1201ELNS1_3gpuE5ELNS1_3repE0EEENS1_38merge_mergepath_config_static_selectorELNS0_4arch9wavefront6targetE0EEEvSM_.has_recursion, 0
	.set _ZN7rocprim17ROCPRIM_400000_NS6detail17trampoline_kernelINS0_14default_configENS1_38merge_sort_block_merge_config_selectorIN6thrust23THRUST_200600_302600_NS4pairIiiEENS0_10empty_typeEEEZZNS1_27merge_sort_block_merge_implIS3_NS6_6detail15normal_iteratorINS6_10device_ptrIS8_EEEEPS9_mNS6_4lessIS8_EEEE10hipError_tT0_T1_T2_jT3_P12ihipStream_tbPNSt15iterator_traitsISL_E10value_typeEPNSR_ISM_E10value_typeEPSN_NS1_7vsmem_tEENKUlT_SL_SM_SN_E_clIPS8_SG_SH_SH_EESK_S10_SL_SM_SN_EUlS10_E0_NS1_11comp_targetILNS1_3genE10ELNS1_11target_archE1201ELNS1_3gpuE5ELNS1_3repE0EEENS1_38merge_mergepath_config_static_selectorELNS0_4arch9wavefront6targetE0EEEvSM_.has_indirect_call, 0
	.section	.AMDGPU.csdata,"",@progbits
; Kernel info:
; codeLenInByte = 0
; TotalNumSgprs: 0
; NumVgprs: 0
; ScratchSize: 0
; MemoryBound: 0
; FloatMode: 240
; IeeeMode: 1
; LDSByteSize: 0 bytes/workgroup (compile time only)
; SGPRBlocks: 0
; VGPRBlocks: 0
; NumSGPRsForWavesPerEU: 1
; NumVGPRsForWavesPerEU: 1
; Occupancy: 16
; WaveLimiterHint : 0
; COMPUTE_PGM_RSRC2:SCRATCH_EN: 0
; COMPUTE_PGM_RSRC2:USER_SGPR: 6
; COMPUTE_PGM_RSRC2:TRAP_HANDLER: 0
; COMPUTE_PGM_RSRC2:TGID_X_EN: 1
; COMPUTE_PGM_RSRC2:TGID_Y_EN: 0
; COMPUTE_PGM_RSRC2:TGID_Z_EN: 0
; COMPUTE_PGM_RSRC2:TIDIG_COMP_CNT: 0
	.section	.text._ZN7rocprim17ROCPRIM_400000_NS6detail17trampoline_kernelINS0_14default_configENS1_38merge_sort_block_merge_config_selectorIN6thrust23THRUST_200600_302600_NS4pairIiiEENS0_10empty_typeEEEZZNS1_27merge_sort_block_merge_implIS3_NS6_6detail15normal_iteratorINS6_10device_ptrIS8_EEEEPS9_mNS6_4lessIS8_EEEE10hipError_tT0_T1_T2_jT3_P12ihipStream_tbPNSt15iterator_traitsISL_E10value_typeEPNSR_ISM_E10value_typeEPSN_NS1_7vsmem_tEENKUlT_SL_SM_SN_E_clIPS8_SG_SH_SH_EESK_S10_SL_SM_SN_EUlS10_E0_NS1_11comp_targetILNS1_3genE5ELNS1_11target_archE942ELNS1_3gpuE9ELNS1_3repE0EEENS1_38merge_mergepath_config_static_selectorELNS0_4arch9wavefront6targetE0EEEvSM_,"axG",@progbits,_ZN7rocprim17ROCPRIM_400000_NS6detail17trampoline_kernelINS0_14default_configENS1_38merge_sort_block_merge_config_selectorIN6thrust23THRUST_200600_302600_NS4pairIiiEENS0_10empty_typeEEEZZNS1_27merge_sort_block_merge_implIS3_NS6_6detail15normal_iteratorINS6_10device_ptrIS8_EEEEPS9_mNS6_4lessIS8_EEEE10hipError_tT0_T1_T2_jT3_P12ihipStream_tbPNSt15iterator_traitsISL_E10value_typeEPNSR_ISM_E10value_typeEPSN_NS1_7vsmem_tEENKUlT_SL_SM_SN_E_clIPS8_SG_SH_SH_EESK_S10_SL_SM_SN_EUlS10_E0_NS1_11comp_targetILNS1_3genE5ELNS1_11target_archE942ELNS1_3gpuE9ELNS1_3repE0EEENS1_38merge_mergepath_config_static_selectorELNS0_4arch9wavefront6targetE0EEEvSM_,comdat
	.protected	_ZN7rocprim17ROCPRIM_400000_NS6detail17trampoline_kernelINS0_14default_configENS1_38merge_sort_block_merge_config_selectorIN6thrust23THRUST_200600_302600_NS4pairIiiEENS0_10empty_typeEEEZZNS1_27merge_sort_block_merge_implIS3_NS6_6detail15normal_iteratorINS6_10device_ptrIS8_EEEEPS9_mNS6_4lessIS8_EEEE10hipError_tT0_T1_T2_jT3_P12ihipStream_tbPNSt15iterator_traitsISL_E10value_typeEPNSR_ISM_E10value_typeEPSN_NS1_7vsmem_tEENKUlT_SL_SM_SN_E_clIPS8_SG_SH_SH_EESK_S10_SL_SM_SN_EUlS10_E0_NS1_11comp_targetILNS1_3genE5ELNS1_11target_archE942ELNS1_3gpuE9ELNS1_3repE0EEENS1_38merge_mergepath_config_static_selectorELNS0_4arch9wavefront6targetE0EEEvSM_ ; -- Begin function _ZN7rocprim17ROCPRIM_400000_NS6detail17trampoline_kernelINS0_14default_configENS1_38merge_sort_block_merge_config_selectorIN6thrust23THRUST_200600_302600_NS4pairIiiEENS0_10empty_typeEEEZZNS1_27merge_sort_block_merge_implIS3_NS6_6detail15normal_iteratorINS6_10device_ptrIS8_EEEEPS9_mNS6_4lessIS8_EEEE10hipError_tT0_T1_T2_jT3_P12ihipStream_tbPNSt15iterator_traitsISL_E10value_typeEPNSR_ISM_E10value_typeEPSN_NS1_7vsmem_tEENKUlT_SL_SM_SN_E_clIPS8_SG_SH_SH_EESK_S10_SL_SM_SN_EUlS10_E0_NS1_11comp_targetILNS1_3genE5ELNS1_11target_archE942ELNS1_3gpuE9ELNS1_3repE0EEENS1_38merge_mergepath_config_static_selectorELNS0_4arch9wavefront6targetE0EEEvSM_
	.globl	_ZN7rocprim17ROCPRIM_400000_NS6detail17trampoline_kernelINS0_14default_configENS1_38merge_sort_block_merge_config_selectorIN6thrust23THRUST_200600_302600_NS4pairIiiEENS0_10empty_typeEEEZZNS1_27merge_sort_block_merge_implIS3_NS6_6detail15normal_iteratorINS6_10device_ptrIS8_EEEEPS9_mNS6_4lessIS8_EEEE10hipError_tT0_T1_T2_jT3_P12ihipStream_tbPNSt15iterator_traitsISL_E10value_typeEPNSR_ISM_E10value_typeEPSN_NS1_7vsmem_tEENKUlT_SL_SM_SN_E_clIPS8_SG_SH_SH_EESK_S10_SL_SM_SN_EUlS10_E0_NS1_11comp_targetILNS1_3genE5ELNS1_11target_archE942ELNS1_3gpuE9ELNS1_3repE0EEENS1_38merge_mergepath_config_static_selectorELNS0_4arch9wavefront6targetE0EEEvSM_
	.p2align	8
	.type	_ZN7rocprim17ROCPRIM_400000_NS6detail17trampoline_kernelINS0_14default_configENS1_38merge_sort_block_merge_config_selectorIN6thrust23THRUST_200600_302600_NS4pairIiiEENS0_10empty_typeEEEZZNS1_27merge_sort_block_merge_implIS3_NS6_6detail15normal_iteratorINS6_10device_ptrIS8_EEEEPS9_mNS6_4lessIS8_EEEE10hipError_tT0_T1_T2_jT3_P12ihipStream_tbPNSt15iterator_traitsISL_E10value_typeEPNSR_ISM_E10value_typeEPSN_NS1_7vsmem_tEENKUlT_SL_SM_SN_E_clIPS8_SG_SH_SH_EESK_S10_SL_SM_SN_EUlS10_E0_NS1_11comp_targetILNS1_3genE5ELNS1_11target_archE942ELNS1_3gpuE9ELNS1_3repE0EEENS1_38merge_mergepath_config_static_selectorELNS0_4arch9wavefront6targetE0EEEvSM_,@function
_ZN7rocprim17ROCPRIM_400000_NS6detail17trampoline_kernelINS0_14default_configENS1_38merge_sort_block_merge_config_selectorIN6thrust23THRUST_200600_302600_NS4pairIiiEENS0_10empty_typeEEEZZNS1_27merge_sort_block_merge_implIS3_NS6_6detail15normal_iteratorINS6_10device_ptrIS8_EEEEPS9_mNS6_4lessIS8_EEEE10hipError_tT0_T1_T2_jT3_P12ihipStream_tbPNSt15iterator_traitsISL_E10value_typeEPNSR_ISM_E10value_typeEPSN_NS1_7vsmem_tEENKUlT_SL_SM_SN_E_clIPS8_SG_SH_SH_EESK_S10_SL_SM_SN_EUlS10_E0_NS1_11comp_targetILNS1_3genE5ELNS1_11target_archE942ELNS1_3gpuE9ELNS1_3repE0EEENS1_38merge_mergepath_config_static_selectorELNS0_4arch9wavefront6targetE0EEEvSM_: ; @_ZN7rocprim17ROCPRIM_400000_NS6detail17trampoline_kernelINS0_14default_configENS1_38merge_sort_block_merge_config_selectorIN6thrust23THRUST_200600_302600_NS4pairIiiEENS0_10empty_typeEEEZZNS1_27merge_sort_block_merge_implIS3_NS6_6detail15normal_iteratorINS6_10device_ptrIS8_EEEEPS9_mNS6_4lessIS8_EEEE10hipError_tT0_T1_T2_jT3_P12ihipStream_tbPNSt15iterator_traitsISL_E10value_typeEPNSR_ISM_E10value_typeEPSN_NS1_7vsmem_tEENKUlT_SL_SM_SN_E_clIPS8_SG_SH_SH_EESK_S10_SL_SM_SN_EUlS10_E0_NS1_11comp_targetILNS1_3genE5ELNS1_11target_archE942ELNS1_3gpuE9ELNS1_3repE0EEENS1_38merge_mergepath_config_static_selectorELNS0_4arch9wavefront6targetE0EEEvSM_
; %bb.0:
	.section	.rodata,"a",@progbits
	.p2align	6, 0x0
	.amdhsa_kernel _ZN7rocprim17ROCPRIM_400000_NS6detail17trampoline_kernelINS0_14default_configENS1_38merge_sort_block_merge_config_selectorIN6thrust23THRUST_200600_302600_NS4pairIiiEENS0_10empty_typeEEEZZNS1_27merge_sort_block_merge_implIS3_NS6_6detail15normal_iteratorINS6_10device_ptrIS8_EEEEPS9_mNS6_4lessIS8_EEEE10hipError_tT0_T1_T2_jT3_P12ihipStream_tbPNSt15iterator_traitsISL_E10value_typeEPNSR_ISM_E10value_typeEPSN_NS1_7vsmem_tEENKUlT_SL_SM_SN_E_clIPS8_SG_SH_SH_EESK_S10_SL_SM_SN_EUlS10_E0_NS1_11comp_targetILNS1_3genE5ELNS1_11target_archE942ELNS1_3gpuE9ELNS1_3repE0EEENS1_38merge_mergepath_config_static_selectorELNS0_4arch9wavefront6targetE0EEEvSM_
		.amdhsa_group_segment_fixed_size 0
		.amdhsa_private_segment_fixed_size 0
		.amdhsa_kernarg_size 72
		.amdhsa_user_sgpr_count 6
		.amdhsa_user_sgpr_private_segment_buffer 1
		.amdhsa_user_sgpr_dispatch_ptr 0
		.amdhsa_user_sgpr_queue_ptr 0
		.amdhsa_user_sgpr_kernarg_segment_ptr 1
		.amdhsa_user_sgpr_dispatch_id 0
		.amdhsa_user_sgpr_flat_scratch_init 0
		.amdhsa_user_sgpr_private_segment_size 0
		.amdhsa_wavefront_size32 1
		.amdhsa_uses_dynamic_stack 0
		.amdhsa_system_sgpr_private_segment_wavefront_offset 0
		.amdhsa_system_sgpr_workgroup_id_x 1
		.amdhsa_system_sgpr_workgroup_id_y 0
		.amdhsa_system_sgpr_workgroup_id_z 0
		.amdhsa_system_sgpr_workgroup_info 0
		.amdhsa_system_vgpr_workitem_id 0
		.amdhsa_next_free_vgpr 1
		.amdhsa_next_free_sgpr 1
		.amdhsa_reserve_vcc 0
		.amdhsa_reserve_flat_scratch 0
		.amdhsa_float_round_mode_32 0
		.amdhsa_float_round_mode_16_64 0
		.amdhsa_float_denorm_mode_32 3
		.amdhsa_float_denorm_mode_16_64 3
		.amdhsa_dx10_clamp 1
		.amdhsa_ieee_mode 1
		.amdhsa_fp16_overflow 0
		.amdhsa_workgroup_processor_mode 1
		.amdhsa_memory_ordered 1
		.amdhsa_forward_progress 1
		.amdhsa_shared_vgpr_count 0
		.amdhsa_exception_fp_ieee_invalid_op 0
		.amdhsa_exception_fp_denorm_src 0
		.amdhsa_exception_fp_ieee_div_zero 0
		.amdhsa_exception_fp_ieee_overflow 0
		.amdhsa_exception_fp_ieee_underflow 0
		.amdhsa_exception_fp_ieee_inexact 0
		.amdhsa_exception_int_div_zero 0
	.end_amdhsa_kernel
	.section	.text._ZN7rocprim17ROCPRIM_400000_NS6detail17trampoline_kernelINS0_14default_configENS1_38merge_sort_block_merge_config_selectorIN6thrust23THRUST_200600_302600_NS4pairIiiEENS0_10empty_typeEEEZZNS1_27merge_sort_block_merge_implIS3_NS6_6detail15normal_iteratorINS6_10device_ptrIS8_EEEEPS9_mNS6_4lessIS8_EEEE10hipError_tT0_T1_T2_jT3_P12ihipStream_tbPNSt15iterator_traitsISL_E10value_typeEPNSR_ISM_E10value_typeEPSN_NS1_7vsmem_tEENKUlT_SL_SM_SN_E_clIPS8_SG_SH_SH_EESK_S10_SL_SM_SN_EUlS10_E0_NS1_11comp_targetILNS1_3genE5ELNS1_11target_archE942ELNS1_3gpuE9ELNS1_3repE0EEENS1_38merge_mergepath_config_static_selectorELNS0_4arch9wavefront6targetE0EEEvSM_,"axG",@progbits,_ZN7rocprim17ROCPRIM_400000_NS6detail17trampoline_kernelINS0_14default_configENS1_38merge_sort_block_merge_config_selectorIN6thrust23THRUST_200600_302600_NS4pairIiiEENS0_10empty_typeEEEZZNS1_27merge_sort_block_merge_implIS3_NS6_6detail15normal_iteratorINS6_10device_ptrIS8_EEEEPS9_mNS6_4lessIS8_EEEE10hipError_tT0_T1_T2_jT3_P12ihipStream_tbPNSt15iterator_traitsISL_E10value_typeEPNSR_ISM_E10value_typeEPSN_NS1_7vsmem_tEENKUlT_SL_SM_SN_E_clIPS8_SG_SH_SH_EESK_S10_SL_SM_SN_EUlS10_E0_NS1_11comp_targetILNS1_3genE5ELNS1_11target_archE942ELNS1_3gpuE9ELNS1_3repE0EEENS1_38merge_mergepath_config_static_selectorELNS0_4arch9wavefront6targetE0EEEvSM_,comdat
.Lfunc_end643:
	.size	_ZN7rocprim17ROCPRIM_400000_NS6detail17trampoline_kernelINS0_14default_configENS1_38merge_sort_block_merge_config_selectorIN6thrust23THRUST_200600_302600_NS4pairIiiEENS0_10empty_typeEEEZZNS1_27merge_sort_block_merge_implIS3_NS6_6detail15normal_iteratorINS6_10device_ptrIS8_EEEEPS9_mNS6_4lessIS8_EEEE10hipError_tT0_T1_T2_jT3_P12ihipStream_tbPNSt15iterator_traitsISL_E10value_typeEPNSR_ISM_E10value_typeEPSN_NS1_7vsmem_tEENKUlT_SL_SM_SN_E_clIPS8_SG_SH_SH_EESK_S10_SL_SM_SN_EUlS10_E0_NS1_11comp_targetILNS1_3genE5ELNS1_11target_archE942ELNS1_3gpuE9ELNS1_3repE0EEENS1_38merge_mergepath_config_static_selectorELNS0_4arch9wavefront6targetE0EEEvSM_, .Lfunc_end643-_ZN7rocprim17ROCPRIM_400000_NS6detail17trampoline_kernelINS0_14default_configENS1_38merge_sort_block_merge_config_selectorIN6thrust23THRUST_200600_302600_NS4pairIiiEENS0_10empty_typeEEEZZNS1_27merge_sort_block_merge_implIS3_NS6_6detail15normal_iteratorINS6_10device_ptrIS8_EEEEPS9_mNS6_4lessIS8_EEEE10hipError_tT0_T1_T2_jT3_P12ihipStream_tbPNSt15iterator_traitsISL_E10value_typeEPNSR_ISM_E10value_typeEPSN_NS1_7vsmem_tEENKUlT_SL_SM_SN_E_clIPS8_SG_SH_SH_EESK_S10_SL_SM_SN_EUlS10_E0_NS1_11comp_targetILNS1_3genE5ELNS1_11target_archE942ELNS1_3gpuE9ELNS1_3repE0EEENS1_38merge_mergepath_config_static_selectorELNS0_4arch9wavefront6targetE0EEEvSM_
                                        ; -- End function
	.set _ZN7rocprim17ROCPRIM_400000_NS6detail17trampoline_kernelINS0_14default_configENS1_38merge_sort_block_merge_config_selectorIN6thrust23THRUST_200600_302600_NS4pairIiiEENS0_10empty_typeEEEZZNS1_27merge_sort_block_merge_implIS3_NS6_6detail15normal_iteratorINS6_10device_ptrIS8_EEEEPS9_mNS6_4lessIS8_EEEE10hipError_tT0_T1_T2_jT3_P12ihipStream_tbPNSt15iterator_traitsISL_E10value_typeEPNSR_ISM_E10value_typeEPSN_NS1_7vsmem_tEENKUlT_SL_SM_SN_E_clIPS8_SG_SH_SH_EESK_S10_SL_SM_SN_EUlS10_E0_NS1_11comp_targetILNS1_3genE5ELNS1_11target_archE942ELNS1_3gpuE9ELNS1_3repE0EEENS1_38merge_mergepath_config_static_selectorELNS0_4arch9wavefront6targetE0EEEvSM_.num_vgpr, 0
	.set _ZN7rocprim17ROCPRIM_400000_NS6detail17trampoline_kernelINS0_14default_configENS1_38merge_sort_block_merge_config_selectorIN6thrust23THRUST_200600_302600_NS4pairIiiEENS0_10empty_typeEEEZZNS1_27merge_sort_block_merge_implIS3_NS6_6detail15normal_iteratorINS6_10device_ptrIS8_EEEEPS9_mNS6_4lessIS8_EEEE10hipError_tT0_T1_T2_jT3_P12ihipStream_tbPNSt15iterator_traitsISL_E10value_typeEPNSR_ISM_E10value_typeEPSN_NS1_7vsmem_tEENKUlT_SL_SM_SN_E_clIPS8_SG_SH_SH_EESK_S10_SL_SM_SN_EUlS10_E0_NS1_11comp_targetILNS1_3genE5ELNS1_11target_archE942ELNS1_3gpuE9ELNS1_3repE0EEENS1_38merge_mergepath_config_static_selectorELNS0_4arch9wavefront6targetE0EEEvSM_.num_agpr, 0
	.set _ZN7rocprim17ROCPRIM_400000_NS6detail17trampoline_kernelINS0_14default_configENS1_38merge_sort_block_merge_config_selectorIN6thrust23THRUST_200600_302600_NS4pairIiiEENS0_10empty_typeEEEZZNS1_27merge_sort_block_merge_implIS3_NS6_6detail15normal_iteratorINS6_10device_ptrIS8_EEEEPS9_mNS6_4lessIS8_EEEE10hipError_tT0_T1_T2_jT3_P12ihipStream_tbPNSt15iterator_traitsISL_E10value_typeEPNSR_ISM_E10value_typeEPSN_NS1_7vsmem_tEENKUlT_SL_SM_SN_E_clIPS8_SG_SH_SH_EESK_S10_SL_SM_SN_EUlS10_E0_NS1_11comp_targetILNS1_3genE5ELNS1_11target_archE942ELNS1_3gpuE9ELNS1_3repE0EEENS1_38merge_mergepath_config_static_selectorELNS0_4arch9wavefront6targetE0EEEvSM_.numbered_sgpr, 0
	.set _ZN7rocprim17ROCPRIM_400000_NS6detail17trampoline_kernelINS0_14default_configENS1_38merge_sort_block_merge_config_selectorIN6thrust23THRUST_200600_302600_NS4pairIiiEENS0_10empty_typeEEEZZNS1_27merge_sort_block_merge_implIS3_NS6_6detail15normal_iteratorINS6_10device_ptrIS8_EEEEPS9_mNS6_4lessIS8_EEEE10hipError_tT0_T1_T2_jT3_P12ihipStream_tbPNSt15iterator_traitsISL_E10value_typeEPNSR_ISM_E10value_typeEPSN_NS1_7vsmem_tEENKUlT_SL_SM_SN_E_clIPS8_SG_SH_SH_EESK_S10_SL_SM_SN_EUlS10_E0_NS1_11comp_targetILNS1_3genE5ELNS1_11target_archE942ELNS1_3gpuE9ELNS1_3repE0EEENS1_38merge_mergepath_config_static_selectorELNS0_4arch9wavefront6targetE0EEEvSM_.num_named_barrier, 0
	.set _ZN7rocprim17ROCPRIM_400000_NS6detail17trampoline_kernelINS0_14default_configENS1_38merge_sort_block_merge_config_selectorIN6thrust23THRUST_200600_302600_NS4pairIiiEENS0_10empty_typeEEEZZNS1_27merge_sort_block_merge_implIS3_NS6_6detail15normal_iteratorINS6_10device_ptrIS8_EEEEPS9_mNS6_4lessIS8_EEEE10hipError_tT0_T1_T2_jT3_P12ihipStream_tbPNSt15iterator_traitsISL_E10value_typeEPNSR_ISM_E10value_typeEPSN_NS1_7vsmem_tEENKUlT_SL_SM_SN_E_clIPS8_SG_SH_SH_EESK_S10_SL_SM_SN_EUlS10_E0_NS1_11comp_targetILNS1_3genE5ELNS1_11target_archE942ELNS1_3gpuE9ELNS1_3repE0EEENS1_38merge_mergepath_config_static_selectorELNS0_4arch9wavefront6targetE0EEEvSM_.private_seg_size, 0
	.set _ZN7rocprim17ROCPRIM_400000_NS6detail17trampoline_kernelINS0_14default_configENS1_38merge_sort_block_merge_config_selectorIN6thrust23THRUST_200600_302600_NS4pairIiiEENS0_10empty_typeEEEZZNS1_27merge_sort_block_merge_implIS3_NS6_6detail15normal_iteratorINS6_10device_ptrIS8_EEEEPS9_mNS6_4lessIS8_EEEE10hipError_tT0_T1_T2_jT3_P12ihipStream_tbPNSt15iterator_traitsISL_E10value_typeEPNSR_ISM_E10value_typeEPSN_NS1_7vsmem_tEENKUlT_SL_SM_SN_E_clIPS8_SG_SH_SH_EESK_S10_SL_SM_SN_EUlS10_E0_NS1_11comp_targetILNS1_3genE5ELNS1_11target_archE942ELNS1_3gpuE9ELNS1_3repE0EEENS1_38merge_mergepath_config_static_selectorELNS0_4arch9wavefront6targetE0EEEvSM_.uses_vcc, 0
	.set _ZN7rocprim17ROCPRIM_400000_NS6detail17trampoline_kernelINS0_14default_configENS1_38merge_sort_block_merge_config_selectorIN6thrust23THRUST_200600_302600_NS4pairIiiEENS0_10empty_typeEEEZZNS1_27merge_sort_block_merge_implIS3_NS6_6detail15normal_iteratorINS6_10device_ptrIS8_EEEEPS9_mNS6_4lessIS8_EEEE10hipError_tT0_T1_T2_jT3_P12ihipStream_tbPNSt15iterator_traitsISL_E10value_typeEPNSR_ISM_E10value_typeEPSN_NS1_7vsmem_tEENKUlT_SL_SM_SN_E_clIPS8_SG_SH_SH_EESK_S10_SL_SM_SN_EUlS10_E0_NS1_11comp_targetILNS1_3genE5ELNS1_11target_archE942ELNS1_3gpuE9ELNS1_3repE0EEENS1_38merge_mergepath_config_static_selectorELNS0_4arch9wavefront6targetE0EEEvSM_.uses_flat_scratch, 0
	.set _ZN7rocprim17ROCPRIM_400000_NS6detail17trampoline_kernelINS0_14default_configENS1_38merge_sort_block_merge_config_selectorIN6thrust23THRUST_200600_302600_NS4pairIiiEENS0_10empty_typeEEEZZNS1_27merge_sort_block_merge_implIS3_NS6_6detail15normal_iteratorINS6_10device_ptrIS8_EEEEPS9_mNS6_4lessIS8_EEEE10hipError_tT0_T1_T2_jT3_P12ihipStream_tbPNSt15iterator_traitsISL_E10value_typeEPNSR_ISM_E10value_typeEPSN_NS1_7vsmem_tEENKUlT_SL_SM_SN_E_clIPS8_SG_SH_SH_EESK_S10_SL_SM_SN_EUlS10_E0_NS1_11comp_targetILNS1_3genE5ELNS1_11target_archE942ELNS1_3gpuE9ELNS1_3repE0EEENS1_38merge_mergepath_config_static_selectorELNS0_4arch9wavefront6targetE0EEEvSM_.has_dyn_sized_stack, 0
	.set _ZN7rocprim17ROCPRIM_400000_NS6detail17trampoline_kernelINS0_14default_configENS1_38merge_sort_block_merge_config_selectorIN6thrust23THRUST_200600_302600_NS4pairIiiEENS0_10empty_typeEEEZZNS1_27merge_sort_block_merge_implIS3_NS6_6detail15normal_iteratorINS6_10device_ptrIS8_EEEEPS9_mNS6_4lessIS8_EEEE10hipError_tT0_T1_T2_jT3_P12ihipStream_tbPNSt15iterator_traitsISL_E10value_typeEPNSR_ISM_E10value_typeEPSN_NS1_7vsmem_tEENKUlT_SL_SM_SN_E_clIPS8_SG_SH_SH_EESK_S10_SL_SM_SN_EUlS10_E0_NS1_11comp_targetILNS1_3genE5ELNS1_11target_archE942ELNS1_3gpuE9ELNS1_3repE0EEENS1_38merge_mergepath_config_static_selectorELNS0_4arch9wavefront6targetE0EEEvSM_.has_recursion, 0
	.set _ZN7rocprim17ROCPRIM_400000_NS6detail17trampoline_kernelINS0_14default_configENS1_38merge_sort_block_merge_config_selectorIN6thrust23THRUST_200600_302600_NS4pairIiiEENS0_10empty_typeEEEZZNS1_27merge_sort_block_merge_implIS3_NS6_6detail15normal_iteratorINS6_10device_ptrIS8_EEEEPS9_mNS6_4lessIS8_EEEE10hipError_tT0_T1_T2_jT3_P12ihipStream_tbPNSt15iterator_traitsISL_E10value_typeEPNSR_ISM_E10value_typeEPSN_NS1_7vsmem_tEENKUlT_SL_SM_SN_E_clIPS8_SG_SH_SH_EESK_S10_SL_SM_SN_EUlS10_E0_NS1_11comp_targetILNS1_3genE5ELNS1_11target_archE942ELNS1_3gpuE9ELNS1_3repE0EEENS1_38merge_mergepath_config_static_selectorELNS0_4arch9wavefront6targetE0EEEvSM_.has_indirect_call, 0
	.section	.AMDGPU.csdata,"",@progbits
; Kernel info:
; codeLenInByte = 0
; TotalNumSgprs: 0
; NumVgprs: 0
; ScratchSize: 0
; MemoryBound: 0
; FloatMode: 240
; IeeeMode: 1
; LDSByteSize: 0 bytes/workgroup (compile time only)
; SGPRBlocks: 0
; VGPRBlocks: 0
; NumSGPRsForWavesPerEU: 1
; NumVGPRsForWavesPerEU: 1
; Occupancy: 16
; WaveLimiterHint : 0
; COMPUTE_PGM_RSRC2:SCRATCH_EN: 0
; COMPUTE_PGM_RSRC2:USER_SGPR: 6
; COMPUTE_PGM_RSRC2:TRAP_HANDLER: 0
; COMPUTE_PGM_RSRC2:TGID_X_EN: 1
; COMPUTE_PGM_RSRC2:TGID_Y_EN: 0
; COMPUTE_PGM_RSRC2:TGID_Z_EN: 0
; COMPUTE_PGM_RSRC2:TIDIG_COMP_CNT: 0
	.section	.text._ZN7rocprim17ROCPRIM_400000_NS6detail17trampoline_kernelINS0_14default_configENS1_38merge_sort_block_merge_config_selectorIN6thrust23THRUST_200600_302600_NS4pairIiiEENS0_10empty_typeEEEZZNS1_27merge_sort_block_merge_implIS3_NS6_6detail15normal_iteratorINS6_10device_ptrIS8_EEEEPS9_mNS6_4lessIS8_EEEE10hipError_tT0_T1_T2_jT3_P12ihipStream_tbPNSt15iterator_traitsISL_E10value_typeEPNSR_ISM_E10value_typeEPSN_NS1_7vsmem_tEENKUlT_SL_SM_SN_E_clIPS8_SG_SH_SH_EESK_S10_SL_SM_SN_EUlS10_E0_NS1_11comp_targetILNS1_3genE4ELNS1_11target_archE910ELNS1_3gpuE8ELNS1_3repE0EEENS1_38merge_mergepath_config_static_selectorELNS0_4arch9wavefront6targetE0EEEvSM_,"axG",@progbits,_ZN7rocprim17ROCPRIM_400000_NS6detail17trampoline_kernelINS0_14default_configENS1_38merge_sort_block_merge_config_selectorIN6thrust23THRUST_200600_302600_NS4pairIiiEENS0_10empty_typeEEEZZNS1_27merge_sort_block_merge_implIS3_NS6_6detail15normal_iteratorINS6_10device_ptrIS8_EEEEPS9_mNS6_4lessIS8_EEEE10hipError_tT0_T1_T2_jT3_P12ihipStream_tbPNSt15iterator_traitsISL_E10value_typeEPNSR_ISM_E10value_typeEPSN_NS1_7vsmem_tEENKUlT_SL_SM_SN_E_clIPS8_SG_SH_SH_EESK_S10_SL_SM_SN_EUlS10_E0_NS1_11comp_targetILNS1_3genE4ELNS1_11target_archE910ELNS1_3gpuE8ELNS1_3repE0EEENS1_38merge_mergepath_config_static_selectorELNS0_4arch9wavefront6targetE0EEEvSM_,comdat
	.protected	_ZN7rocprim17ROCPRIM_400000_NS6detail17trampoline_kernelINS0_14default_configENS1_38merge_sort_block_merge_config_selectorIN6thrust23THRUST_200600_302600_NS4pairIiiEENS0_10empty_typeEEEZZNS1_27merge_sort_block_merge_implIS3_NS6_6detail15normal_iteratorINS6_10device_ptrIS8_EEEEPS9_mNS6_4lessIS8_EEEE10hipError_tT0_T1_T2_jT3_P12ihipStream_tbPNSt15iterator_traitsISL_E10value_typeEPNSR_ISM_E10value_typeEPSN_NS1_7vsmem_tEENKUlT_SL_SM_SN_E_clIPS8_SG_SH_SH_EESK_S10_SL_SM_SN_EUlS10_E0_NS1_11comp_targetILNS1_3genE4ELNS1_11target_archE910ELNS1_3gpuE8ELNS1_3repE0EEENS1_38merge_mergepath_config_static_selectorELNS0_4arch9wavefront6targetE0EEEvSM_ ; -- Begin function _ZN7rocprim17ROCPRIM_400000_NS6detail17trampoline_kernelINS0_14default_configENS1_38merge_sort_block_merge_config_selectorIN6thrust23THRUST_200600_302600_NS4pairIiiEENS0_10empty_typeEEEZZNS1_27merge_sort_block_merge_implIS3_NS6_6detail15normal_iteratorINS6_10device_ptrIS8_EEEEPS9_mNS6_4lessIS8_EEEE10hipError_tT0_T1_T2_jT3_P12ihipStream_tbPNSt15iterator_traitsISL_E10value_typeEPNSR_ISM_E10value_typeEPSN_NS1_7vsmem_tEENKUlT_SL_SM_SN_E_clIPS8_SG_SH_SH_EESK_S10_SL_SM_SN_EUlS10_E0_NS1_11comp_targetILNS1_3genE4ELNS1_11target_archE910ELNS1_3gpuE8ELNS1_3repE0EEENS1_38merge_mergepath_config_static_selectorELNS0_4arch9wavefront6targetE0EEEvSM_
	.globl	_ZN7rocprim17ROCPRIM_400000_NS6detail17trampoline_kernelINS0_14default_configENS1_38merge_sort_block_merge_config_selectorIN6thrust23THRUST_200600_302600_NS4pairIiiEENS0_10empty_typeEEEZZNS1_27merge_sort_block_merge_implIS3_NS6_6detail15normal_iteratorINS6_10device_ptrIS8_EEEEPS9_mNS6_4lessIS8_EEEE10hipError_tT0_T1_T2_jT3_P12ihipStream_tbPNSt15iterator_traitsISL_E10value_typeEPNSR_ISM_E10value_typeEPSN_NS1_7vsmem_tEENKUlT_SL_SM_SN_E_clIPS8_SG_SH_SH_EESK_S10_SL_SM_SN_EUlS10_E0_NS1_11comp_targetILNS1_3genE4ELNS1_11target_archE910ELNS1_3gpuE8ELNS1_3repE0EEENS1_38merge_mergepath_config_static_selectorELNS0_4arch9wavefront6targetE0EEEvSM_
	.p2align	8
	.type	_ZN7rocprim17ROCPRIM_400000_NS6detail17trampoline_kernelINS0_14default_configENS1_38merge_sort_block_merge_config_selectorIN6thrust23THRUST_200600_302600_NS4pairIiiEENS0_10empty_typeEEEZZNS1_27merge_sort_block_merge_implIS3_NS6_6detail15normal_iteratorINS6_10device_ptrIS8_EEEEPS9_mNS6_4lessIS8_EEEE10hipError_tT0_T1_T2_jT3_P12ihipStream_tbPNSt15iterator_traitsISL_E10value_typeEPNSR_ISM_E10value_typeEPSN_NS1_7vsmem_tEENKUlT_SL_SM_SN_E_clIPS8_SG_SH_SH_EESK_S10_SL_SM_SN_EUlS10_E0_NS1_11comp_targetILNS1_3genE4ELNS1_11target_archE910ELNS1_3gpuE8ELNS1_3repE0EEENS1_38merge_mergepath_config_static_selectorELNS0_4arch9wavefront6targetE0EEEvSM_,@function
_ZN7rocprim17ROCPRIM_400000_NS6detail17trampoline_kernelINS0_14default_configENS1_38merge_sort_block_merge_config_selectorIN6thrust23THRUST_200600_302600_NS4pairIiiEENS0_10empty_typeEEEZZNS1_27merge_sort_block_merge_implIS3_NS6_6detail15normal_iteratorINS6_10device_ptrIS8_EEEEPS9_mNS6_4lessIS8_EEEE10hipError_tT0_T1_T2_jT3_P12ihipStream_tbPNSt15iterator_traitsISL_E10value_typeEPNSR_ISM_E10value_typeEPSN_NS1_7vsmem_tEENKUlT_SL_SM_SN_E_clIPS8_SG_SH_SH_EESK_S10_SL_SM_SN_EUlS10_E0_NS1_11comp_targetILNS1_3genE4ELNS1_11target_archE910ELNS1_3gpuE8ELNS1_3repE0EEENS1_38merge_mergepath_config_static_selectorELNS0_4arch9wavefront6targetE0EEEvSM_: ; @_ZN7rocprim17ROCPRIM_400000_NS6detail17trampoline_kernelINS0_14default_configENS1_38merge_sort_block_merge_config_selectorIN6thrust23THRUST_200600_302600_NS4pairIiiEENS0_10empty_typeEEEZZNS1_27merge_sort_block_merge_implIS3_NS6_6detail15normal_iteratorINS6_10device_ptrIS8_EEEEPS9_mNS6_4lessIS8_EEEE10hipError_tT0_T1_T2_jT3_P12ihipStream_tbPNSt15iterator_traitsISL_E10value_typeEPNSR_ISM_E10value_typeEPSN_NS1_7vsmem_tEENKUlT_SL_SM_SN_E_clIPS8_SG_SH_SH_EESK_S10_SL_SM_SN_EUlS10_E0_NS1_11comp_targetILNS1_3genE4ELNS1_11target_archE910ELNS1_3gpuE8ELNS1_3repE0EEENS1_38merge_mergepath_config_static_selectorELNS0_4arch9wavefront6targetE0EEEvSM_
; %bb.0:
	.section	.rodata,"a",@progbits
	.p2align	6, 0x0
	.amdhsa_kernel _ZN7rocprim17ROCPRIM_400000_NS6detail17trampoline_kernelINS0_14default_configENS1_38merge_sort_block_merge_config_selectorIN6thrust23THRUST_200600_302600_NS4pairIiiEENS0_10empty_typeEEEZZNS1_27merge_sort_block_merge_implIS3_NS6_6detail15normal_iteratorINS6_10device_ptrIS8_EEEEPS9_mNS6_4lessIS8_EEEE10hipError_tT0_T1_T2_jT3_P12ihipStream_tbPNSt15iterator_traitsISL_E10value_typeEPNSR_ISM_E10value_typeEPSN_NS1_7vsmem_tEENKUlT_SL_SM_SN_E_clIPS8_SG_SH_SH_EESK_S10_SL_SM_SN_EUlS10_E0_NS1_11comp_targetILNS1_3genE4ELNS1_11target_archE910ELNS1_3gpuE8ELNS1_3repE0EEENS1_38merge_mergepath_config_static_selectorELNS0_4arch9wavefront6targetE0EEEvSM_
		.amdhsa_group_segment_fixed_size 0
		.amdhsa_private_segment_fixed_size 0
		.amdhsa_kernarg_size 72
		.amdhsa_user_sgpr_count 6
		.amdhsa_user_sgpr_private_segment_buffer 1
		.amdhsa_user_sgpr_dispatch_ptr 0
		.amdhsa_user_sgpr_queue_ptr 0
		.amdhsa_user_sgpr_kernarg_segment_ptr 1
		.amdhsa_user_sgpr_dispatch_id 0
		.amdhsa_user_sgpr_flat_scratch_init 0
		.amdhsa_user_sgpr_private_segment_size 0
		.amdhsa_wavefront_size32 1
		.amdhsa_uses_dynamic_stack 0
		.amdhsa_system_sgpr_private_segment_wavefront_offset 0
		.amdhsa_system_sgpr_workgroup_id_x 1
		.amdhsa_system_sgpr_workgroup_id_y 0
		.amdhsa_system_sgpr_workgroup_id_z 0
		.amdhsa_system_sgpr_workgroup_info 0
		.amdhsa_system_vgpr_workitem_id 0
		.amdhsa_next_free_vgpr 1
		.amdhsa_next_free_sgpr 1
		.amdhsa_reserve_vcc 0
		.amdhsa_reserve_flat_scratch 0
		.amdhsa_float_round_mode_32 0
		.amdhsa_float_round_mode_16_64 0
		.amdhsa_float_denorm_mode_32 3
		.amdhsa_float_denorm_mode_16_64 3
		.amdhsa_dx10_clamp 1
		.amdhsa_ieee_mode 1
		.amdhsa_fp16_overflow 0
		.amdhsa_workgroup_processor_mode 1
		.amdhsa_memory_ordered 1
		.amdhsa_forward_progress 1
		.amdhsa_shared_vgpr_count 0
		.amdhsa_exception_fp_ieee_invalid_op 0
		.amdhsa_exception_fp_denorm_src 0
		.amdhsa_exception_fp_ieee_div_zero 0
		.amdhsa_exception_fp_ieee_overflow 0
		.amdhsa_exception_fp_ieee_underflow 0
		.amdhsa_exception_fp_ieee_inexact 0
		.amdhsa_exception_int_div_zero 0
	.end_amdhsa_kernel
	.section	.text._ZN7rocprim17ROCPRIM_400000_NS6detail17trampoline_kernelINS0_14default_configENS1_38merge_sort_block_merge_config_selectorIN6thrust23THRUST_200600_302600_NS4pairIiiEENS0_10empty_typeEEEZZNS1_27merge_sort_block_merge_implIS3_NS6_6detail15normal_iteratorINS6_10device_ptrIS8_EEEEPS9_mNS6_4lessIS8_EEEE10hipError_tT0_T1_T2_jT3_P12ihipStream_tbPNSt15iterator_traitsISL_E10value_typeEPNSR_ISM_E10value_typeEPSN_NS1_7vsmem_tEENKUlT_SL_SM_SN_E_clIPS8_SG_SH_SH_EESK_S10_SL_SM_SN_EUlS10_E0_NS1_11comp_targetILNS1_3genE4ELNS1_11target_archE910ELNS1_3gpuE8ELNS1_3repE0EEENS1_38merge_mergepath_config_static_selectorELNS0_4arch9wavefront6targetE0EEEvSM_,"axG",@progbits,_ZN7rocprim17ROCPRIM_400000_NS6detail17trampoline_kernelINS0_14default_configENS1_38merge_sort_block_merge_config_selectorIN6thrust23THRUST_200600_302600_NS4pairIiiEENS0_10empty_typeEEEZZNS1_27merge_sort_block_merge_implIS3_NS6_6detail15normal_iteratorINS6_10device_ptrIS8_EEEEPS9_mNS6_4lessIS8_EEEE10hipError_tT0_T1_T2_jT3_P12ihipStream_tbPNSt15iterator_traitsISL_E10value_typeEPNSR_ISM_E10value_typeEPSN_NS1_7vsmem_tEENKUlT_SL_SM_SN_E_clIPS8_SG_SH_SH_EESK_S10_SL_SM_SN_EUlS10_E0_NS1_11comp_targetILNS1_3genE4ELNS1_11target_archE910ELNS1_3gpuE8ELNS1_3repE0EEENS1_38merge_mergepath_config_static_selectorELNS0_4arch9wavefront6targetE0EEEvSM_,comdat
.Lfunc_end644:
	.size	_ZN7rocprim17ROCPRIM_400000_NS6detail17trampoline_kernelINS0_14default_configENS1_38merge_sort_block_merge_config_selectorIN6thrust23THRUST_200600_302600_NS4pairIiiEENS0_10empty_typeEEEZZNS1_27merge_sort_block_merge_implIS3_NS6_6detail15normal_iteratorINS6_10device_ptrIS8_EEEEPS9_mNS6_4lessIS8_EEEE10hipError_tT0_T1_T2_jT3_P12ihipStream_tbPNSt15iterator_traitsISL_E10value_typeEPNSR_ISM_E10value_typeEPSN_NS1_7vsmem_tEENKUlT_SL_SM_SN_E_clIPS8_SG_SH_SH_EESK_S10_SL_SM_SN_EUlS10_E0_NS1_11comp_targetILNS1_3genE4ELNS1_11target_archE910ELNS1_3gpuE8ELNS1_3repE0EEENS1_38merge_mergepath_config_static_selectorELNS0_4arch9wavefront6targetE0EEEvSM_, .Lfunc_end644-_ZN7rocprim17ROCPRIM_400000_NS6detail17trampoline_kernelINS0_14default_configENS1_38merge_sort_block_merge_config_selectorIN6thrust23THRUST_200600_302600_NS4pairIiiEENS0_10empty_typeEEEZZNS1_27merge_sort_block_merge_implIS3_NS6_6detail15normal_iteratorINS6_10device_ptrIS8_EEEEPS9_mNS6_4lessIS8_EEEE10hipError_tT0_T1_T2_jT3_P12ihipStream_tbPNSt15iterator_traitsISL_E10value_typeEPNSR_ISM_E10value_typeEPSN_NS1_7vsmem_tEENKUlT_SL_SM_SN_E_clIPS8_SG_SH_SH_EESK_S10_SL_SM_SN_EUlS10_E0_NS1_11comp_targetILNS1_3genE4ELNS1_11target_archE910ELNS1_3gpuE8ELNS1_3repE0EEENS1_38merge_mergepath_config_static_selectorELNS0_4arch9wavefront6targetE0EEEvSM_
                                        ; -- End function
	.set _ZN7rocprim17ROCPRIM_400000_NS6detail17trampoline_kernelINS0_14default_configENS1_38merge_sort_block_merge_config_selectorIN6thrust23THRUST_200600_302600_NS4pairIiiEENS0_10empty_typeEEEZZNS1_27merge_sort_block_merge_implIS3_NS6_6detail15normal_iteratorINS6_10device_ptrIS8_EEEEPS9_mNS6_4lessIS8_EEEE10hipError_tT0_T1_T2_jT3_P12ihipStream_tbPNSt15iterator_traitsISL_E10value_typeEPNSR_ISM_E10value_typeEPSN_NS1_7vsmem_tEENKUlT_SL_SM_SN_E_clIPS8_SG_SH_SH_EESK_S10_SL_SM_SN_EUlS10_E0_NS1_11comp_targetILNS1_3genE4ELNS1_11target_archE910ELNS1_3gpuE8ELNS1_3repE0EEENS1_38merge_mergepath_config_static_selectorELNS0_4arch9wavefront6targetE0EEEvSM_.num_vgpr, 0
	.set _ZN7rocprim17ROCPRIM_400000_NS6detail17trampoline_kernelINS0_14default_configENS1_38merge_sort_block_merge_config_selectorIN6thrust23THRUST_200600_302600_NS4pairIiiEENS0_10empty_typeEEEZZNS1_27merge_sort_block_merge_implIS3_NS6_6detail15normal_iteratorINS6_10device_ptrIS8_EEEEPS9_mNS6_4lessIS8_EEEE10hipError_tT0_T1_T2_jT3_P12ihipStream_tbPNSt15iterator_traitsISL_E10value_typeEPNSR_ISM_E10value_typeEPSN_NS1_7vsmem_tEENKUlT_SL_SM_SN_E_clIPS8_SG_SH_SH_EESK_S10_SL_SM_SN_EUlS10_E0_NS1_11comp_targetILNS1_3genE4ELNS1_11target_archE910ELNS1_3gpuE8ELNS1_3repE0EEENS1_38merge_mergepath_config_static_selectorELNS0_4arch9wavefront6targetE0EEEvSM_.num_agpr, 0
	.set _ZN7rocprim17ROCPRIM_400000_NS6detail17trampoline_kernelINS0_14default_configENS1_38merge_sort_block_merge_config_selectorIN6thrust23THRUST_200600_302600_NS4pairIiiEENS0_10empty_typeEEEZZNS1_27merge_sort_block_merge_implIS3_NS6_6detail15normal_iteratorINS6_10device_ptrIS8_EEEEPS9_mNS6_4lessIS8_EEEE10hipError_tT0_T1_T2_jT3_P12ihipStream_tbPNSt15iterator_traitsISL_E10value_typeEPNSR_ISM_E10value_typeEPSN_NS1_7vsmem_tEENKUlT_SL_SM_SN_E_clIPS8_SG_SH_SH_EESK_S10_SL_SM_SN_EUlS10_E0_NS1_11comp_targetILNS1_3genE4ELNS1_11target_archE910ELNS1_3gpuE8ELNS1_3repE0EEENS1_38merge_mergepath_config_static_selectorELNS0_4arch9wavefront6targetE0EEEvSM_.numbered_sgpr, 0
	.set _ZN7rocprim17ROCPRIM_400000_NS6detail17trampoline_kernelINS0_14default_configENS1_38merge_sort_block_merge_config_selectorIN6thrust23THRUST_200600_302600_NS4pairIiiEENS0_10empty_typeEEEZZNS1_27merge_sort_block_merge_implIS3_NS6_6detail15normal_iteratorINS6_10device_ptrIS8_EEEEPS9_mNS6_4lessIS8_EEEE10hipError_tT0_T1_T2_jT3_P12ihipStream_tbPNSt15iterator_traitsISL_E10value_typeEPNSR_ISM_E10value_typeEPSN_NS1_7vsmem_tEENKUlT_SL_SM_SN_E_clIPS8_SG_SH_SH_EESK_S10_SL_SM_SN_EUlS10_E0_NS1_11comp_targetILNS1_3genE4ELNS1_11target_archE910ELNS1_3gpuE8ELNS1_3repE0EEENS1_38merge_mergepath_config_static_selectorELNS0_4arch9wavefront6targetE0EEEvSM_.num_named_barrier, 0
	.set _ZN7rocprim17ROCPRIM_400000_NS6detail17trampoline_kernelINS0_14default_configENS1_38merge_sort_block_merge_config_selectorIN6thrust23THRUST_200600_302600_NS4pairIiiEENS0_10empty_typeEEEZZNS1_27merge_sort_block_merge_implIS3_NS6_6detail15normal_iteratorINS6_10device_ptrIS8_EEEEPS9_mNS6_4lessIS8_EEEE10hipError_tT0_T1_T2_jT3_P12ihipStream_tbPNSt15iterator_traitsISL_E10value_typeEPNSR_ISM_E10value_typeEPSN_NS1_7vsmem_tEENKUlT_SL_SM_SN_E_clIPS8_SG_SH_SH_EESK_S10_SL_SM_SN_EUlS10_E0_NS1_11comp_targetILNS1_3genE4ELNS1_11target_archE910ELNS1_3gpuE8ELNS1_3repE0EEENS1_38merge_mergepath_config_static_selectorELNS0_4arch9wavefront6targetE0EEEvSM_.private_seg_size, 0
	.set _ZN7rocprim17ROCPRIM_400000_NS6detail17trampoline_kernelINS0_14default_configENS1_38merge_sort_block_merge_config_selectorIN6thrust23THRUST_200600_302600_NS4pairIiiEENS0_10empty_typeEEEZZNS1_27merge_sort_block_merge_implIS3_NS6_6detail15normal_iteratorINS6_10device_ptrIS8_EEEEPS9_mNS6_4lessIS8_EEEE10hipError_tT0_T1_T2_jT3_P12ihipStream_tbPNSt15iterator_traitsISL_E10value_typeEPNSR_ISM_E10value_typeEPSN_NS1_7vsmem_tEENKUlT_SL_SM_SN_E_clIPS8_SG_SH_SH_EESK_S10_SL_SM_SN_EUlS10_E0_NS1_11comp_targetILNS1_3genE4ELNS1_11target_archE910ELNS1_3gpuE8ELNS1_3repE0EEENS1_38merge_mergepath_config_static_selectorELNS0_4arch9wavefront6targetE0EEEvSM_.uses_vcc, 0
	.set _ZN7rocprim17ROCPRIM_400000_NS6detail17trampoline_kernelINS0_14default_configENS1_38merge_sort_block_merge_config_selectorIN6thrust23THRUST_200600_302600_NS4pairIiiEENS0_10empty_typeEEEZZNS1_27merge_sort_block_merge_implIS3_NS6_6detail15normal_iteratorINS6_10device_ptrIS8_EEEEPS9_mNS6_4lessIS8_EEEE10hipError_tT0_T1_T2_jT3_P12ihipStream_tbPNSt15iterator_traitsISL_E10value_typeEPNSR_ISM_E10value_typeEPSN_NS1_7vsmem_tEENKUlT_SL_SM_SN_E_clIPS8_SG_SH_SH_EESK_S10_SL_SM_SN_EUlS10_E0_NS1_11comp_targetILNS1_3genE4ELNS1_11target_archE910ELNS1_3gpuE8ELNS1_3repE0EEENS1_38merge_mergepath_config_static_selectorELNS0_4arch9wavefront6targetE0EEEvSM_.uses_flat_scratch, 0
	.set _ZN7rocprim17ROCPRIM_400000_NS6detail17trampoline_kernelINS0_14default_configENS1_38merge_sort_block_merge_config_selectorIN6thrust23THRUST_200600_302600_NS4pairIiiEENS0_10empty_typeEEEZZNS1_27merge_sort_block_merge_implIS3_NS6_6detail15normal_iteratorINS6_10device_ptrIS8_EEEEPS9_mNS6_4lessIS8_EEEE10hipError_tT0_T1_T2_jT3_P12ihipStream_tbPNSt15iterator_traitsISL_E10value_typeEPNSR_ISM_E10value_typeEPSN_NS1_7vsmem_tEENKUlT_SL_SM_SN_E_clIPS8_SG_SH_SH_EESK_S10_SL_SM_SN_EUlS10_E0_NS1_11comp_targetILNS1_3genE4ELNS1_11target_archE910ELNS1_3gpuE8ELNS1_3repE0EEENS1_38merge_mergepath_config_static_selectorELNS0_4arch9wavefront6targetE0EEEvSM_.has_dyn_sized_stack, 0
	.set _ZN7rocprim17ROCPRIM_400000_NS6detail17trampoline_kernelINS0_14default_configENS1_38merge_sort_block_merge_config_selectorIN6thrust23THRUST_200600_302600_NS4pairIiiEENS0_10empty_typeEEEZZNS1_27merge_sort_block_merge_implIS3_NS6_6detail15normal_iteratorINS6_10device_ptrIS8_EEEEPS9_mNS6_4lessIS8_EEEE10hipError_tT0_T1_T2_jT3_P12ihipStream_tbPNSt15iterator_traitsISL_E10value_typeEPNSR_ISM_E10value_typeEPSN_NS1_7vsmem_tEENKUlT_SL_SM_SN_E_clIPS8_SG_SH_SH_EESK_S10_SL_SM_SN_EUlS10_E0_NS1_11comp_targetILNS1_3genE4ELNS1_11target_archE910ELNS1_3gpuE8ELNS1_3repE0EEENS1_38merge_mergepath_config_static_selectorELNS0_4arch9wavefront6targetE0EEEvSM_.has_recursion, 0
	.set _ZN7rocprim17ROCPRIM_400000_NS6detail17trampoline_kernelINS0_14default_configENS1_38merge_sort_block_merge_config_selectorIN6thrust23THRUST_200600_302600_NS4pairIiiEENS0_10empty_typeEEEZZNS1_27merge_sort_block_merge_implIS3_NS6_6detail15normal_iteratorINS6_10device_ptrIS8_EEEEPS9_mNS6_4lessIS8_EEEE10hipError_tT0_T1_T2_jT3_P12ihipStream_tbPNSt15iterator_traitsISL_E10value_typeEPNSR_ISM_E10value_typeEPSN_NS1_7vsmem_tEENKUlT_SL_SM_SN_E_clIPS8_SG_SH_SH_EESK_S10_SL_SM_SN_EUlS10_E0_NS1_11comp_targetILNS1_3genE4ELNS1_11target_archE910ELNS1_3gpuE8ELNS1_3repE0EEENS1_38merge_mergepath_config_static_selectorELNS0_4arch9wavefront6targetE0EEEvSM_.has_indirect_call, 0
	.section	.AMDGPU.csdata,"",@progbits
; Kernel info:
; codeLenInByte = 0
; TotalNumSgprs: 0
; NumVgprs: 0
; ScratchSize: 0
; MemoryBound: 0
; FloatMode: 240
; IeeeMode: 1
; LDSByteSize: 0 bytes/workgroup (compile time only)
; SGPRBlocks: 0
; VGPRBlocks: 0
; NumSGPRsForWavesPerEU: 1
; NumVGPRsForWavesPerEU: 1
; Occupancy: 16
; WaveLimiterHint : 0
; COMPUTE_PGM_RSRC2:SCRATCH_EN: 0
; COMPUTE_PGM_RSRC2:USER_SGPR: 6
; COMPUTE_PGM_RSRC2:TRAP_HANDLER: 0
; COMPUTE_PGM_RSRC2:TGID_X_EN: 1
; COMPUTE_PGM_RSRC2:TGID_Y_EN: 0
; COMPUTE_PGM_RSRC2:TGID_Z_EN: 0
; COMPUTE_PGM_RSRC2:TIDIG_COMP_CNT: 0
	.section	.text._ZN7rocprim17ROCPRIM_400000_NS6detail17trampoline_kernelINS0_14default_configENS1_38merge_sort_block_merge_config_selectorIN6thrust23THRUST_200600_302600_NS4pairIiiEENS0_10empty_typeEEEZZNS1_27merge_sort_block_merge_implIS3_NS6_6detail15normal_iteratorINS6_10device_ptrIS8_EEEEPS9_mNS6_4lessIS8_EEEE10hipError_tT0_T1_T2_jT3_P12ihipStream_tbPNSt15iterator_traitsISL_E10value_typeEPNSR_ISM_E10value_typeEPSN_NS1_7vsmem_tEENKUlT_SL_SM_SN_E_clIPS8_SG_SH_SH_EESK_S10_SL_SM_SN_EUlS10_E0_NS1_11comp_targetILNS1_3genE3ELNS1_11target_archE908ELNS1_3gpuE7ELNS1_3repE0EEENS1_38merge_mergepath_config_static_selectorELNS0_4arch9wavefront6targetE0EEEvSM_,"axG",@progbits,_ZN7rocprim17ROCPRIM_400000_NS6detail17trampoline_kernelINS0_14default_configENS1_38merge_sort_block_merge_config_selectorIN6thrust23THRUST_200600_302600_NS4pairIiiEENS0_10empty_typeEEEZZNS1_27merge_sort_block_merge_implIS3_NS6_6detail15normal_iteratorINS6_10device_ptrIS8_EEEEPS9_mNS6_4lessIS8_EEEE10hipError_tT0_T1_T2_jT3_P12ihipStream_tbPNSt15iterator_traitsISL_E10value_typeEPNSR_ISM_E10value_typeEPSN_NS1_7vsmem_tEENKUlT_SL_SM_SN_E_clIPS8_SG_SH_SH_EESK_S10_SL_SM_SN_EUlS10_E0_NS1_11comp_targetILNS1_3genE3ELNS1_11target_archE908ELNS1_3gpuE7ELNS1_3repE0EEENS1_38merge_mergepath_config_static_selectorELNS0_4arch9wavefront6targetE0EEEvSM_,comdat
	.protected	_ZN7rocprim17ROCPRIM_400000_NS6detail17trampoline_kernelINS0_14default_configENS1_38merge_sort_block_merge_config_selectorIN6thrust23THRUST_200600_302600_NS4pairIiiEENS0_10empty_typeEEEZZNS1_27merge_sort_block_merge_implIS3_NS6_6detail15normal_iteratorINS6_10device_ptrIS8_EEEEPS9_mNS6_4lessIS8_EEEE10hipError_tT0_T1_T2_jT3_P12ihipStream_tbPNSt15iterator_traitsISL_E10value_typeEPNSR_ISM_E10value_typeEPSN_NS1_7vsmem_tEENKUlT_SL_SM_SN_E_clIPS8_SG_SH_SH_EESK_S10_SL_SM_SN_EUlS10_E0_NS1_11comp_targetILNS1_3genE3ELNS1_11target_archE908ELNS1_3gpuE7ELNS1_3repE0EEENS1_38merge_mergepath_config_static_selectorELNS0_4arch9wavefront6targetE0EEEvSM_ ; -- Begin function _ZN7rocprim17ROCPRIM_400000_NS6detail17trampoline_kernelINS0_14default_configENS1_38merge_sort_block_merge_config_selectorIN6thrust23THRUST_200600_302600_NS4pairIiiEENS0_10empty_typeEEEZZNS1_27merge_sort_block_merge_implIS3_NS6_6detail15normal_iteratorINS6_10device_ptrIS8_EEEEPS9_mNS6_4lessIS8_EEEE10hipError_tT0_T1_T2_jT3_P12ihipStream_tbPNSt15iterator_traitsISL_E10value_typeEPNSR_ISM_E10value_typeEPSN_NS1_7vsmem_tEENKUlT_SL_SM_SN_E_clIPS8_SG_SH_SH_EESK_S10_SL_SM_SN_EUlS10_E0_NS1_11comp_targetILNS1_3genE3ELNS1_11target_archE908ELNS1_3gpuE7ELNS1_3repE0EEENS1_38merge_mergepath_config_static_selectorELNS0_4arch9wavefront6targetE0EEEvSM_
	.globl	_ZN7rocprim17ROCPRIM_400000_NS6detail17trampoline_kernelINS0_14default_configENS1_38merge_sort_block_merge_config_selectorIN6thrust23THRUST_200600_302600_NS4pairIiiEENS0_10empty_typeEEEZZNS1_27merge_sort_block_merge_implIS3_NS6_6detail15normal_iteratorINS6_10device_ptrIS8_EEEEPS9_mNS6_4lessIS8_EEEE10hipError_tT0_T1_T2_jT3_P12ihipStream_tbPNSt15iterator_traitsISL_E10value_typeEPNSR_ISM_E10value_typeEPSN_NS1_7vsmem_tEENKUlT_SL_SM_SN_E_clIPS8_SG_SH_SH_EESK_S10_SL_SM_SN_EUlS10_E0_NS1_11comp_targetILNS1_3genE3ELNS1_11target_archE908ELNS1_3gpuE7ELNS1_3repE0EEENS1_38merge_mergepath_config_static_selectorELNS0_4arch9wavefront6targetE0EEEvSM_
	.p2align	8
	.type	_ZN7rocprim17ROCPRIM_400000_NS6detail17trampoline_kernelINS0_14default_configENS1_38merge_sort_block_merge_config_selectorIN6thrust23THRUST_200600_302600_NS4pairIiiEENS0_10empty_typeEEEZZNS1_27merge_sort_block_merge_implIS3_NS6_6detail15normal_iteratorINS6_10device_ptrIS8_EEEEPS9_mNS6_4lessIS8_EEEE10hipError_tT0_T1_T2_jT3_P12ihipStream_tbPNSt15iterator_traitsISL_E10value_typeEPNSR_ISM_E10value_typeEPSN_NS1_7vsmem_tEENKUlT_SL_SM_SN_E_clIPS8_SG_SH_SH_EESK_S10_SL_SM_SN_EUlS10_E0_NS1_11comp_targetILNS1_3genE3ELNS1_11target_archE908ELNS1_3gpuE7ELNS1_3repE0EEENS1_38merge_mergepath_config_static_selectorELNS0_4arch9wavefront6targetE0EEEvSM_,@function
_ZN7rocprim17ROCPRIM_400000_NS6detail17trampoline_kernelINS0_14default_configENS1_38merge_sort_block_merge_config_selectorIN6thrust23THRUST_200600_302600_NS4pairIiiEENS0_10empty_typeEEEZZNS1_27merge_sort_block_merge_implIS3_NS6_6detail15normal_iteratorINS6_10device_ptrIS8_EEEEPS9_mNS6_4lessIS8_EEEE10hipError_tT0_T1_T2_jT3_P12ihipStream_tbPNSt15iterator_traitsISL_E10value_typeEPNSR_ISM_E10value_typeEPSN_NS1_7vsmem_tEENKUlT_SL_SM_SN_E_clIPS8_SG_SH_SH_EESK_S10_SL_SM_SN_EUlS10_E0_NS1_11comp_targetILNS1_3genE3ELNS1_11target_archE908ELNS1_3gpuE7ELNS1_3repE0EEENS1_38merge_mergepath_config_static_selectorELNS0_4arch9wavefront6targetE0EEEvSM_: ; @_ZN7rocprim17ROCPRIM_400000_NS6detail17trampoline_kernelINS0_14default_configENS1_38merge_sort_block_merge_config_selectorIN6thrust23THRUST_200600_302600_NS4pairIiiEENS0_10empty_typeEEEZZNS1_27merge_sort_block_merge_implIS3_NS6_6detail15normal_iteratorINS6_10device_ptrIS8_EEEEPS9_mNS6_4lessIS8_EEEE10hipError_tT0_T1_T2_jT3_P12ihipStream_tbPNSt15iterator_traitsISL_E10value_typeEPNSR_ISM_E10value_typeEPSN_NS1_7vsmem_tEENKUlT_SL_SM_SN_E_clIPS8_SG_SH_SH_EESK_S10_SL_SM_SN_EUlS10_E0_NS1_11comp_targetILNS1_3genE3ELNS1_11target_archE908ELNS1_3gpuE7ELNS1_3repE0EEENS1_38merge_mergepath_config_static_selectorELNS0_4arch9wavefront6targetE0EEEvSM_
; %bb.0:
	.section	.rodata,"a",@progbits
	.p2align	6, 0x0
	.amdhsa_kernel _ZN7rocprim17ROCPRIM_400000_NS6detail17trampoline_kernelINS0_14default_configENS1_38merge_sort_block_merge_config_selectorIN6thrust23THRUST_200600_302600_NS4pairIiiEENS0_10empty_typeEEEZZNS1_27merge_sort_block_merge_implIS3_NS6_6detail15normal_iteratorINS6_10device_ptrIS8_EEEEPS9_mNS6_4lessIS8_EEEE10hipError_tT0_T1_T2_jT3_P12ihipStream_tbPNSt15iterator_traitsISL_E10value_typeEPNSR_ISM_E10value_typeEPSN_NS1_7vsmem_tEENKUlT_SL_SM_SN_E_clIPS8_SG_SH_SH_EESK_S10_SL_SM_SN_EUlS10_E0_NS1_11comp_targetILNS1_3genE3ELNS1_11target_archE908ELNS1_3gpuE7ELNS1_3repE0EEENS1_38merge_mergepath_config_static_selectorELNS0_4arch9wavefront6targetE0EEEvSM_
		.amdhsa_group_segment_fixed_size 0
		.amdhsa_private_segment_fixed_size 0
		.amdhsa_kernarg_size 72
		.amdhsa_user_sgpr_count 6
		.amdhsa_user_sgpr_private_segment_buffer 1
		.amdhsa_user_sgpr_dispatch_ptr 0
		.amdhsa_user_sgpr_queue_ptr 0
		.amdhsa_user_sgpr_kernarg_segment_ptr 1
		.amdhsa_user_sgpr_dispatch_id 0
		.amdhsa_user_sgpr_flat_scratch_init 0
		.amdhsa_user_sgpr_private_segment_size 0
		.amdhsa_wavefront_size32 1
		.amdhsa_uses_dynamic_stack 0
		.amdhsa_system_sgpr_private_segment_wavefront_offset 0
		.amdhsa_system_sgpr_workgroup_id_x 1
		.amdhsa_system_sgpr_workgroup_id_y 0
		.amdhsa_system_sgpr_workgroup_id_z 0
		.amdhsa_system_sgpr_workgroup_info 0
		.amdhsa_system_vgpr_workitem_id 0
		.amdhsa_next_free_vgpr 1
		.amdhsa_next_free_sgpr 1
		.amdhsa_reserve_vcc 0
		.amdhsa_reserve_flat_scratch 0
		.amdhsa_float_round_mode_32 0
		.amdhsa_float_round_mode_16_64 0
		.amdhsa_float_denorm_mode_32 3
		.amdhsa_float_denorm_mode_16_64 3
		.amdhsa_dx10_clamp 1
		.amdhsa_ieee_mode 1
		.amdhsa_fp16_overflow 0
		.amdhsa_workgroup_processor_mode 1
		.amdhsa_memory_ordered 1
		.amdhsa_forward_progress 1
		.amdhsa_shared_vgpr_count 0
		.amdhsa_exception_fp_ieee_invalid_op 0
		.amdhsa_exception_fp_denorm_src 0
		.amdhsa_exception_fp_ieee_div_zero 0
		.amdhsa_exception_fp_ieee_overflow 0
		.amdhsa_exception_fp_ieee_underflow 0
		.amdhsa_exception_fp_ieee_inexact 0
		.amdhsa_exception_int_div_zero 0
	.end_amdhsa_kernel
	.section	.text._ZN7rocprim17ROCPRIM_400000_NS6detail17trampoline_kernelINS0_14default_configENS1_38merge_sort_block_merge_config_selectorIN6thrust23THRUST_200600_302600_NS4pairIiiEENS0_10empty_typeEEEZZNS1_27merge_sort_block_merge_implIS3_NS6_6detail15normal_iteratorINS6_10device_ptrIS8_EEEEPS9_mNS6_4lessIS8_EEEE10hipError_tT0_T1_T2_jT3_P12ihipStream_tbPNSt15iterator_traitsISL_E10value_typeEPNSR_ISM_E10value_typeEPSN_NS1_7vsmem_tEENKUlT_SL_SM_SN_E_clIPS8_SG_SH_SH_EESK_S10_SL_SM_SN_EUlS10_E0_NS1_11comp_targetILNS1_3genE3ELNS1_11target_archE908ELNS1_3gpuE7ELNS1_3repE0EEENS1_38merge_mergepath_config_static_selectorELNS0_4arch9wavefront6targetE0EEEvSM_,"axG",@progbits,_ZN7rocprim17ROCPRIM_400000_NS6detail17trampoline_kernelINS0_14default_configENS1_38merge_sort_block_merge_config_selectorIN6thrust23THRUST_200600_302600_NS4pairIiiEENS0_10empty_typeEEEZZNS1_27merge_sort_block_merge_implIS3_NS6_6detail15normal_iteratorINS6_10device_ptrIS8_EEEEPS9_mNS6_4lessIS8_EEEE10hipError_tT0_T1_T2_jT3_P12ihipStream_tbPNSt15iterator_traitsISL_E10value_typeEPNSR_ISM_E10value_typeEPSN_NS1_7vsmem_tEENKUlT_SL_SM_SN_E_clIPS8_SG_SH_SH_EESK_S10_SL_SM_SN_EUlS10_E0_NS1_11comp_targetILNS1_3genE3ELNS1_11target_archE908ELNS1_3gpuE7ELNS1_3repE0EEENS1_38merge_mergepath_config_static_selectorELNS0_4arch9wavefront6targetE0EEEvSM_,comdat
.Lfunc_end645:
	.size	_ZN7rocprim17ROCPRIM_400000_NS6detail17trampoline_kernelINS0_14default_configENS1_38merge_sort_block_merge_config_selectorIN6thrust23THRUST_200600_302600_NS4pairIiiEENS0_10empty_typeEEEZZNS1_27merge_sort_block_merge_implIS3_NS6_6detail15normal_iteratorINS6_10device_ptrIS8_EEEEPS9_mNS6_4lessIS8_EEEE10hipError_tT0_T1_T2_jT3_P12ihipStream_tbPNSt15iterator_traitsISL_E10value_typeEPNSR_ISM_E10value_typeEPSN_NS1_7vsmem_tEENKUlT_SL_SM_SN_E_clIPS8_SG_SH_SH_EESK_S10_SL_SM_SN_EUlS10_E0_NS1_11comp_targetILNS1_3genE3ELNS1_11target_archE908ELNS1_3gpuE7ELNS1_3repE0EEENS1_38merge_mergepath_config_static_selectorELNS0_4arch9wavefront6targetE0EEEvSM_, .Lfunc_end645-_ZN7rocprim17ROCPRIM_400000_NS6detail17trampoline_kernelINS0_14default_configENS1_38merge_sort_block_merge_config_selectorIN6thrust23THRUST_200600_302600_NS4pairIiiEENS0_10empty_typeEEEZZNS1_27merge_sort_block_merge_implIS3_NS6_6detail15normal_iteratorINS6_10device_ptrIS8_EEEEPS9_mNS6_4lessIS8_EEEE10hipError_tT0_T1_T2_jT3_P12ihipStream_tbPNSt15iterator_traitsISL_E10value_typeEPNSR_ISM_E10value_typeEPSN_NS1_7vsmem_tEENKUlT_SL_SM_SN_E_clIPS8_SG_SH_SH_EESK_S10_SL_SM_SN_EUlS10_E0_NS1_11comp_targetILNS1_3genE3ELNS1_11target_archE908ELNS1_3gpuE7ELNS1_3repE0EEENS1_38merge_mergepath_config_static_selectorELNS0_4arch9wavefront6targetE0EEEvSM_
                                        ; -- End function
	.set _ZN7rocprim17ROCPRIM_400000_NS6detail17trampoline_kernelINS0_14default_configENS1_38merge_sort_block_merge_config_selectorIN6thrust23THRUST_200600_302600_NS4pairIiiEENS0_10empty_typeEEEZZNS1_27merge_sort_block_merge_implIS3_NS6_6detail15normal_iteratorINS6_10device_ptrIS8_EEEEPS9_mNS6_4lessIS8_EEEE10hipError_tT0_T1_T2_jT3_P12ihipStream_tbPNSt15iterator_traitsISL_E10value_typeEPNSR_ISM_E10value_typeEPSN_NS1_7vsmem_tEENKUlT_SL_SM_SN_E_clIPS8_SG_SH_SH_EESK_S10_SL_SM_SN_EUlS10_E0_NS1_11comp_targetILNS1_3genE3ELNS1_11target_archE908ELNS1_3gpuE7ELNS1_3repE0EEENS1_38merge_mergepath_config_static_selectorELNS0_4arch9wavefront6targetE0EEEvSM_.num_vgpr, 0
	.set _ZN7rocprim17ROCPRIM_400000_NS6detail17trampoline_kernelINS0_14default_configENS1_38merge_sort_block_merge_config_selectorIN6thrust23THRUST_200600_302600_NS4pairIiiEENS0_10empty_typeEEEZZNS1_27merge_sort_block_merge_implIS3_NS6_6detail15normal_iteratorINS6_10device_ptrIS8_EEEEPS9_mNS6_4lessIS8_EEEE10hipError_tT0_T1_T2_jT3_P12ihipStream_tbPNSt15iterator_traitsISL_E10value_typeEPNSR_ISM_E10value_typeEPSN_NS1_7vsmem_tEENKUlT_SL_SM_SN_E_clIPS8_SG_SH_SH_EESK_S10_SL_SM_SN_EUlS10_E0_NS1_11comp_targetILNS1_3genE3ELNS1_11target_archE908ELNS1_3gpuE7ELNS1_3repE0EEENS1_38merge_mergepath_config_static_selectorELNS0_4arch9wavefront6targetE0EEEvSM_.num_agpr, 0
	.set _ZN7rocprim17ROCPRIM_400000_NS6detail17trampoline_kernelINS0_14default_configENS1_38merge_sort_block_merge_config_selectorIN6thrust23THRUST_200600_302600_NS4pairIiiEENS0_10empty_typeEEEZZNS1_27merge_sort_block_merge_implIS3_NS6_6detail15normal_iteratorINS6_10device_ptrIS8_EEEEPS9_mNS6_4lessIS8_EEEE10hipError_tT0_T1_T2_jT3_P12ihipStream_tbPNSt15iterator_traitsISL_E10value_typeEPNSR_ISM_E10value_typeEPSN_NS1_7vsmem_tEENKUlT_SL_SM_SN_E_clIPS8_SG_SH_SH_EESK_S10_SL_SM_SN_EUlS10_E0_NS1_11comp_targetILNS1_3genE3ELNS1_11target_archE908ELNS1_3gpuE7ELNS1_3repE0EEENS1_38merge_mergepath_config_static_selectorELNS0_4arch9wavefront6targetE0EEEvSM_.numbered_sgpr, 0
	.set _ZN7rocprim17ROCPRIM_400000_NS6detail17trampoline_kernelINS0_14default_configENS1_38merge_sort_block_merge_config_selectorIN6thrust23THRUST_200600_302600_NS4pairIiiEENS0_10empty_typeEEEZZNS1_27merge_sort_block_merge_implIS3_NS6_6detail15normal_iteratorINS6_10device_ptrIS8_EEEEPS9_mNS6_4lessIS8_EEEE10hipError_tT0_T1_T2_jT3_P12ihipStream_tbPNSt15iterator_traitsISL_E10value_typeEPNSR_ISM_E10value_typeEPSN_NS1_7vsmem_tEENKUlT_SL_SM_SN_E_clIPS8_SG_SH_SH_EESK_S10_SL_SM_SN_EUlS10_E0_NS1_11comp_targetILNS1_3genE3ELNS1_11target_archE908ELNS1_3gpuE7ELNS1_3repE0EEENS1_38merge_mergepath_config_static_selectorELNS0_4arch9wavefront6targetE0EEEvSM_.num_named_barrier, 0
	.set _ZN7rocprim17ROCPRIM_400000_NS6detail17trampoline_kernelINS0_14default_configENS1_38merge_sort_block_merge_config_selectorIN6thrust23THRUST_200600_302600_NS4pairIiiEENS0_10empty_typeEEEZZNS1_27merge_sort_block_merge_implIS3_NS6_6detail15normal_iteratorINS6_10device_ptrIS8_EEEEPS9_mNS6_4lessIS8_EEEE10hipError_tT0_T1_T2_jT3_P12ihipStream_tbPNSt15iterator_traitsISL_E10value_typeEPNSR_ISM_E10value_typeEPSN_NS1_7vsmem_tEENKUlT_SL_SM_SN_E_clIPS8_SG_SH_SH_EESK_S10_SL_SM_SN_EUlS10_E0_NS1_11comp_targetILNS1_3genE3ELNS1_11target_archE908ELNS1_3gpuE7ELNS1_3repE0EEENS1_38merge_mergepath_config_static_selectorELNS0_4arch9wavefront6targetE0EEEvSM_.private_seg_size, 0
	.set _ZN7rocprim17ROCPRIM_400000_NS6detail17trampoline_kernelINS0_14default_configENS1_38merge_sort_block_merge_config_selectorIN6thrust23THRUST_200600_302600_NS4pairIiiEENS0_10empty_typeEEEZZNS1_27merge_sort_block_merge_implIS3_NS6_6detail15normal_iteratorINS6_10device_ptrIS8_EEEEPS9_mNS6_4lessIS8_EEEE10hipError_tT0_T1_T2_jT3_P12ihipStream_tbPNSt15iterator_traitsISL_E10value_typeEPNSR_ISM_E10value_typeEPSN_NS1_7vsmem_tEENKUlT_SL_SM_SN_E_clIPS8_SG_SH_SH_EESK_S10_SL_SM_SN_EUlS10_E0_NS1_11comp_targetILNS1_3genE3ELNS1_11target_archE908ELNS1_3gpuE7ELNS1_3repE0EEENS1_38merge_mergepath_config_static_selectorELNS0_4arch9wavefront6targetE0EEEvSM_.uses_vcc, 0
	.set _ZN7rocprim17ROCPRIM_400000_NS6detail17trampoline_kernelINS0_14default_configENS1_38merge_sort_block_merge_config_selectorIN6thrust23THRUST_200600_302600_NS4pairIiiEENS0_10empty_typeEEEZZNS1_27merge_sort_block_merge_implIS3_NS6_6detail15normal_iteratorINS6_10device_ptrIS8_EEEEPS9_mNS6_4lessIS8_EEEE10hipError_tT0_T1_T2_jT3_P12ihipStream_tbPNSt15iterator_traitsISL_E10value_typeEPNSR_ISM_E10value_typeEPSN_NS1_7vsmem_tEENKUlT_SL_SM_SN_E_clIPS8_SG_SH_SH_EESK_S10_SL_SM_SN_EUlS10_E0_NS1_11comp_targetILNS1_3genE3ELNS1_11target_archE908ELNS1_3gpuE7ELNS1_3repE0EEENS1_38merge_mergepath_config_static_selectorELNS0_4arch9wavefront6targetE0EEEvSM_.uses_flat_scratch, 0
	.set _ZN7rocprim17ROCPRIM_400000_NS6detail17trampoline_kernelINS0_14default_configENS1_38merge_sort_block_merge_config_selectorIN6thrust23THRUST_200600_302600_NS4pairIiiEENS0_10empty_typeEEEZZNS1_27merge_sort_block_merge_implIS3_NS6_6detail15normal_iteratorINS6_10device_ptrIS8_EEEEPS9_mNS6_4lessIS8_EEEE10hipError_tT0_T1_T2_jT3_P12ihipStream_tbPNSt15iterator_traitsISL_E10value_typeEPNSR_ISM_E10value_typeEPSN_NS1_7vsmem_tEENKUlT_SL_SM_SN_E_clIPS8_SG_SH_SH_EESK_S10_SL_SM_SN_EUlS10_E0_NS1_11comp_targetILNS1_3genE3ELNS1_11target_archE908ELNS1_3gpuE7ELNS1_3repE0EEENS1_38merge_mergepath_config_static_selectorELNS0_4arch9wavefront6targetE0EEEvSM_.has_dyn_sized_stack, 0
	.set _ZN7rocprim17ROCPRIM_400000_NS6detail17trampoline_kernelINS0_14default_configENS1_38merge_sort_block_merge_config_selectorIN6thrust23THRUST_200600_302600_NS4pairIiiEENS0_10empty_typeEEEZZNS1_27merge_sort_block_merge_implIS3_NS6_6detail15normal_iteratorINS6_10device_ptrIS8_EEEEPS9_mNS6_4lessIS8_EEEE10hipError_tT0_T1_T2_jT3_P12ihipStream_tbPNSt15iterator_traitsISL_E10value_typeEPNSR_ISM_E10value_typeEPSN_NS1_7vsmem_tEENKUlT_SL_SM_SN_E_clIPS8_SG_SH_SH_EESK_S10_SL_SM_SN_EUlS10_E0_NS1_11comp_targetILNS1_3genE3ELNS1_11target_archE908ELNS1_3gpuE7ELNS1_3repE0EEENS1_38merge_mergepath_config_static_selectorELNS0_4arch9wavefront6targetE0EEEvSM_.has_recursion, 0
	.set _ZN7rocprim17ROCPRIM_400000_NS6detail17trampoline_kernelINS0_14default_configENS1_38merge_sort_block_merge_config_selectorIN6thrust23THRUST_200600_302600_NS4pairIiiEENS0_10empty_typeEEEZZNS1_27merge_sort_block_merge_implIS3_NS6_6detail15normal_iteratorINS6_10device_ptrIS8_EEEEPS9_mNS6_4lessIS8_EEEE10hipError_tT0_T1_T2_jT3_P12ihipStream_tbPNSt15iterator_traitsISL_E10value_typeEPNSR_ISM_E10value_typeEPSN_NS1_7vsmem_tEENKUlT_SL_SM_SN_E_clIPS8_SG_SH_SH_EESK_S10_SL_SM_SN_EUlS10_E0_NS1_11comp_targetILNS1_3genE3ELNS1_11target_archE908ELNS1_3gpuE7ELNS1_3repE0EEENS1_38merge_mergepath_config_static_selectorELNS0_4arch9wavefront6targetE0EEEvSM_.has_indirect_call, 0
	.section	.AMDGPU.csdata,"",@progbits
; Kernel info:
; codeLenInByte = 0
; TotalNumSgprs: 0
; NumVgprs: 0
; ScratchSize: 0
; MemoryBound: 0
; FloatMode: 240
; IeeeMode: 1
; LDSByteSize: 0 bytes/workgroup (compile time only)
; SGPRBlocks: 0
; VGPRBlocks: 0
; NumSGPRsForWavesPerEU: 1
; NumVGPRsForWavesPerEU: 1
; Occupancy: 16
; WaveLimiterHint : 0
; COMPUTE_PGM_RSRC2:SCRATCH_EN: 0
; COMPUTE_PGM_RSRC2:USER_SGPR: 6
; COMPUTE_PGM_RSRC2:TRAP_HANDLER: 0
; COMPUTE_PGM_RSRC2:TGID_X_EN: 1
; COMPUTE_PGM_RSRC2:TGID_Y_EN: 0
; COMPUTE_PGM_RSRC2:TGID_Z_EN: 0
; COMPUTE_PGM_RSRC2:TIDIG_COMP_CNT: 0
	.section	.text._ZN7rocprim17ROCPRIM_400000_NS6detail17trampoline_kernelINS0_14default_configENS1_38merge_sort_block_merge_config_selectorIN6thrust23THRUST_200600_302600_NS4pairIiiEENS0_10empty_typeEEEZZNS1_27merge_sort_block_merge_implIS3_NS6_6detail15normal_iteratorINS6_10device_ptrIS8_EEEEPS9_mNS6_4lessIS8_EEEE10hipError_tT0_T1_T2_jT3_P12ihipStream_tbPNSt15iterator_traitsISL_E10value_typeEPNSR_ISM_E10value_typeEPSN_NS1_7vsmem_tEENKUlT_SL_SM_SN_E_clIPS8_SG_SH_SH_EESK_S10_SL_SM_SN_EUlS10_E0_NS1_11comp_targetILNS1_3genE2ELNS1_11target_archE906ELNS1_3gpuE6ELNS1_3repE0EEENS1_38merge_mergepath_config_static_selectorELNS0_4arch9wavefront6targetE0EEEvSM_,"axG",@progbits,_ZN7rocprim17ROCPRIM_400000_NS6detail17trampoline_kernelINS0_14default_configENS1_38merge_sort_block_merge_config_selectorIN6thrust23THRUST_200600_302600_NS4pairIiiEENS0_10empty_typeEEEZZNS1_27merge_sort_block_merge_implIS3_NS6_6detail15normal_iteratorINS6_10device_ptrIS8_EEEEPS9_mNS6_4lessIS8_EEEE10hipError_tT0_T1_T2_jT3_P12ihipStream_tbPNSt15iterator_traitsISL_E10value_typeEPNSR_ISM_E10value_typeEPSN_NS1_7vsmem_tEENKUlT_SL_SM_SN_E_clIPS8_SG_SH_SH_EESK_S10_SL_SM_SN_EUlS10_E0_NS1_11comp_targetILNS1_3genE2ELNS1_11target_archE906ELNS1_3gpuE6ELNS1_3repE0EEENS1_38merge_mergepath_config_static_selectorELNS0_4arch9wavefront6targetE0EEEvSM_,comdat
	.protected	_ZN7rocprim17ROCPRIM_400000_NS6detail17trampoline_kernelINS0_14default_configENS1_38merge_sort_block_merge_config_selectorIN6thrust23THRUST_200600_302600_NS4pairIiiEENS0_10empty_typeEEEZZNS1_27merge_sort_block_merge_implIS3_NS6_6detail15normal_iteratorINS6_10device_ptrIS8_EEEEPS9_mNS6_4lessIS8_EEEE10hipError_tT0_T1_T2_jT3_P12ihipStream_tbPNSt15iterator_traitsISL_E10value_typeEPNSR_ISM_E10value_typeEPSN_NS1_7vsmem_tEENKUlT_SL_SM_SN_E_clIPS8_SG_SH_SH_EESK_S10_SL_SM_SN_EUlS10_E0_NS1_11comp_targetILNS1_3genE2ELNS1_11target_archE906ELNS1_3gpuE6ELNS1_3repE0EEENS1_38merge_mergepath_config_static_selectorELNS0_4arch9wavefront6targetE0EEEvSM_ ; -- Begin function _ZN7rocprim17ROCPRIM_400000_NS6detail17trampoline_kernelINS0_14default_configENS1_38merge_sort_block_merge_config_selectorIN6thrust23THRUST_200600_302600_NS4pairIiiEENS0_10empty_typeEEEZZNS1_27merge_sort_block_merge_implIS3_NS6_6detail15normal_iteratorINS6_10device_ptrIS8_EEEEPS9_mNS6_4lessIS8_EEEE10hipError_tT0_T1_T2_jT3_P12ihipStream_tbPNSt15iterator_traitsISL_E10value_typeEPNSR_ISM_E10value_typeEPSN_NS1_7vsmem_tEENKUlT_SL_SM_SN_E_clIPS8_SG_SH_SH_EESK_S10_SL_SM_SN_EUlS10_E0_NS1_11comp_targetILNS1_3genE2ELNS1_11target_archE906ELNS1_3gpuE6ELNS1_3repE0EEENS1_38merge_mergepath_config_static_selectorELNS0_4arch9wavefront6targetE0EEEvSM_
	.globl	_ZN7rocprim17ROCPRIM_400000_NS6detail17trampoline_kernelINS0_14default_configENS1_38merge_sort_block_merge_config_selectorIN6thrust23THRUST_200600_302600_NS4pairIiiEENS0_10empty_typeEEEZZNS1_27merge_sort_block_merge_implIS3_NS6_6detail15normal_iteratorINS6_10device_ptrIS8_EEEEPS9_mNS6_4lessIS8_EEEE10hipError_tT0_T1_T2_jT3_P12ihipStream_tbPNSt15iterator_traitsISL_E10value_typeEPNSR_ISM_E10value_typeEPSN_NS1_7vsmem_tEENKUlT_SL_SM_SN_E_clIPS8_SG_SH_SH_EESK_S10_SL_SM_SN_EUlS10_E0_NS1_11comp_targetILNS1_3genE2ELNS1_11target_archE906ELNS1_3gpuE6ELNS1_3repE0EEENS1_38merge_mergepath_config_static_selectorELNS0_4arch9wavefront6targetE0EEEvSM_
	.p2align	8
	.type	_ZN7rocprim17ROCPRIM_400000_NS6detail17trampoline_kernelINS0_14default_configENS1_38merge_sort_block_merge_config_selectorIN6thrust23THRUST_200600_302600_NS4pairIiiEENS0_10empty_typeEEEZZNS1_27merge_sort_block_merge_implIS3_NS6_6detail15normal_iteratorINS6_10device_ptrIS8_EEEEPS9_mNS6_4lessIS8_EEEE10hipError_tT0_T1_T2_jT3_P12ihipStream_tbPNSt15iterator_traitsISL_E10value_typeEPNSR_ISM_E10value_typeEPSN_NS1_7vsmem_tEENKUlT_SL_SM_SN_E_clIPS8_SG_SH_SH_EESK_S10_SL_SM_SN_EUlS10_E0_NS1_11comp_targetILNS1_3genE2ELNS1_11target_archE906ELNS1_3gpuE6ELNS1_3repE0EEENS1_38merge_mergepath_config_static_selectorELNS0_4arch9wavefront6targetE0EEEvSM_,@function
_ZN7rocprim17ROCPRIM_400000_NS6detail17trampoline_kernelINS0_14default_configENS1_38merge_sort_block_merge_config_selectorIN6thrust23THRUST_200600_302600_NS4pairIiiEENS0_10empty_typeEEEZZNS1_27merge_sort_block_merge_implIS3_NS6_6detail15normal_iteratorINS6_10device_ptrIS8_EEEEPS9_mNS6_4lessIS8_EEEE10hipError_tT0_T1_T2_jT3_P12ihipStream_tbPNSt15iterator_traitsISL_E10value_typeEPNSR_ISM_E10value_typeEPSN_NS1_7vsmem_tEENKUlT_SL_SM_SN_E_clIPS8_SG_SH_SH_EESK_S10_SL_SM_SN_EUlS10_E0_NS1_11comp_targetILNS1_3genE2ELNS1_11target_archE906ELNS1_3gpuE6ELNS1_3repE0EEENS1_38merge_mergepath_config_static_selectorELNS0_4arch9wavefront6targetE0EEEvSM_: ; @_ZN7rocprim17ROCPRIM_400000_NS6detail17trampoline_kernelINS0_14default_configENS1_38merge_sort_block_merge_config_selectorIN6thrust23THRUST_200600_302600_NS4pairIiiEENS0_10empty_typeEEEZZNS1_27merge_sort_block_merge_implIS3_NS6_6detail15normal_iteratorINS6_10device_ptrIS8_EEEEPS9_mNS6_4lessIS8_EEEE10hipError_tT0_T1_T2_jT3_P12ihipStream_tbPNSt15iterator_traitsISL_E10value_typeEPNSR_ISM_E10value_typeEPSN_NS1_7vsmem_tEENKUlT_SL_SM_SN_E_clIPS8_SG_SH_SH_EESK_S10_SL_SM_SN_EUlS10_E0_NS1_11comp_targetILNS1_3genE2ELNS1_11target_archE906ELNS1_3gpuE6ELNS1_3repE0EEENS1_38merge_mergepath_config_static_selectorELNS0_4arch9wavefront6targetE0EEEvSM_
; %bb.0:
	.section	.rodata,"a",@progbits
	.p2align	6, 0x0
	.amdhsa_kernel _ZN7rocprim17ROCPRIM_400000_NS6detail17trampoline_kernelINS0_14default_configENS1_38merge_sort_block_merge_config_selectorIN6thrust23THRUST_200600_302600_NS4pairIiiEENS0_10empty_typeEEEZZNS1_27merge_sort_block_merge_implIS3_NS6_6detail15normal_iteratorINS6_10device_ptrIS8_EEEEPS9_mNS6_4lessIS8_EEEE10hipError_tT0_T1_T2_jT3_P12ihipStream_tbPNSt15iterator_traitsISL_E10value_typeEPNSR_ISM_E10value_typeEPSN_NS1_7vsmem_tEENKUlT_SL_SM_SN_E_clIPS8_SG_SH_SH_EESK_S10_SL_SM_SN_EUlS10_E0_NS1_11comp_targetILNS1_3genE2ELNS1_11target_archE906ELNS1_3gpuE6ELNS1_3repE0EEENS1_38merge_mergepath_config_static_selectorELNS0_4arch9wavefront6targetE0EEEvSM_
		.amdhsa_group_segment_fixed_size 0
		.amdhsa_private_segment_fixed_size 0
		.amdhsa_kernarg_size 72
		.amdhsa_user_sgpr_count 6
		.amdhsa_user_sgpr_private_segment_buffer 1
		.amdhsa_user_sgpr_dispatch_ptr 0
		.amdhsa_user_sgpr_queue_ptr 0
		.amdhsa_user_sgpr_kernarg_segment_ptr 1
		.amdhsa_user_sgpr_dispatch_id 0
		.amdhsa_user_sgpr_flat_scratch_init 0
		.amdhsa_user_sgpr_private_segment_size 0
		.amdhsa_wavefront_size32 1
		.amdhsa_uses_dynamic_stack 0
		.amdhsa_system_sgpr_private_segment_wavefront_offset 0
		.amdhsa_system_sgpr_workgroup_id_x 1
		.amdhsa_system_sgpr_workgroup_id_y 0
		.amdhsa_system_sgpr_workgroup_id_z 0
		.amdhsa_system_sgpr_workgroup_info 0
		.amdhsa_system_vgpr_workitem_id 0
		.amdhsa_next_free_vgpr 1
		.amdhsa_next_free_sgpr 1
		.amdhsa_reserve_vcc 0
		.amdhsa_reserve_flat_scratch 0
		.amdhsa_float_round_mode_32 0
		.amdhsa_float_round_mode_16_64 0
		.amdhsa_float_denorm_mode_32 3
		.amdhsa_float_denorm_mode_16_64 3
		.amdhsa_dx10_clamp 1
		.amdhsa_ieee_mode 1
		.amdhsa_fp16_overflow 0
		.amdhsa_workgroup_processor_mode 1
		.amdhsa_memory_ordered 1
		.amdhsa_forward_progress 1
		.amdhsa_shared_vgpr_count 0
		.amdhsa_exception_fp_ieee_invalid_op 0
		.amdhsa_exception_fp_denorm_src 0
		.amdhsa_exception_fp_ieee_div_zero 0
		.amdhsa_exception_fp_ieee_overflow 0
		.amdhsa_exception_fp_ieee_underflow 0
		.amdhsa_exception_fp_ieee_inexact 0
		.amdhsa_exception_int_div_zero 0
	.end_amdhsa_kernel
	.section	.text._ZN7rocprim17ROCPRIM_400000_NS6detail17trampoline_kernelINS0_14default_configENS1_38merge_sort_block_merge_config_selectorIN6thrust23THRUST_200600_302600_NS4pairIiiEENS0_10empty_typeEEEZZNS1_27merge_sort_block_merge_implIS3_NS6_6detail15normal_iteratorINS6_10device_ptrIS8_EEEEPS9_mNS6_4lessIS8_EEEE10hipError_tT0_T1_T2_jT3_P12ihipStream_tbPNSt15iterator_traitsISL_E10value_typeEPNSR_ISM_E10value_typeEPSN_NS1_7vsmem_tEENKUlT_SL_SM_SN_E_clIPS8_SG_SH_SH_EESK_S10_SL_SM_SN_EUlS10_E0_NS1_11comp_targetILNS1_3genE2ELNS1_11target_archE906ELNS1_3gpuE6ELNS1_3repE0EEENS1_38merge_mergepath_config_static_selectorELNS0_4arch9wavefront6targetE0EEEvSM_,"axG",@progbits,_ZN7rocprim17ROCPRIM_400000_NS6detail17trampoline_kernelINS0_14default_configENS1_38merge_sort_block_merge_config_selectorIN6thrust23THRUST_200600_302600_NS4pairIiiEENS0_10empty_typeEEEZZNS1_27merge_sort_block_merge_implIS3_NS6_6detail15normal_iteratorINS6_10device_ptrIS8_EEEEPS9_mNS6_4lessIS8_EEEE10hipError_tT0_T1_T2_jT3_P12ihipStream_tbPNSt15iterator_traitsISL_E10value_typeEPNSR_ISM_E10value_typeEPSN_NS1_7vsmem_tEENKUlT_SL_SM_SN_E_clIPS8_SG_SH_SH_EESK_S10_SL_SM_SN_EUlS10_E0_NS1_11comp_targetILNS1_3genE2ELNS1_11target_archE906ELNS1_3gpuE6ELNS1_3repE0EEENS1_38merge_mergepath_config_static_selectorELNS0_4arch9wavefront6targetE0EEEvSM_,comdat
.Lfunc_end646:
	.size	_ZN7rocprim17ROCPRIM_400000_NS6detail17trampoline_kernelINS0_14default_configENS1_38merge_sort_block_merge_config_selectorIN6thrust23THRUST_200600_302600_NS4pairIiiEENS0_10empty_typeEEEZZNS1_27merge_sort_block_merge_implIS3_NS6_6detail15normal_iteratorINS6_10device_ptrIS8_EEEEPS9_mNS6_4lessIS8_EEEE10hipError_tT0_T1_T2_jT3_P12ihipStream_tbPNSt15iterator_traitsISL_E10value_typeEPNSR_ISM_E10value_typeEPSN_NS1_7vsmem_tEENKUlT_SL_SM_SN_E_clIPS8_SG_SH_SH_EESK_S10_SL_SM_SN_EUlS10_E0_NS1_11comp_targetILNS1_3genE2ELNS1_11target_archE906ELNS1_3gpuE6ELNS1_3repE0EEENS1_38merge_mergepath_config_static_selectorELNS0_4arch9wavefront6targetE0EEEvSM_, .Lfunc_end646-_ZN7rocprim17ROCPRIM_400000_NS6detail17trampoline_kernelINS0_14default_configENS1_38merge_sort_block_merge_config_selectorIN6thrust23THRUST_200600_302600_NS4pairIiiEENS0_10empty_typeEEEZZNS1_27merge_sort_block_merge_implIS3_NS6_6detail15normal_iteratorINS6_10device_ptrIS8_EEEEPS9_mNS6_4lessIS8_EEEE10hipError_tT0_T1_T2_jT3_P12ihipStream_tbPNSt15iterator_traitsISL_E10value_typeEPNSR_ISM_E10value_typeEPSN_NS1_7vsmem_tEENKUlT_SL_SM_SN_E_clIPS8_SG_SH_SH_EESK_S10_SL_SM_SN_EUlS10_E0_NS1_11comp_targetILNS1_3genE2ELNS1_11target_archE906ELNS1_3gpuE6ELNS1_3repE0EEENS1_38merge_mergepath_config_static_selectorELNS0_4arch9wavefront6targetE0EEEvSM_
                                        ; -- End function
	.set _ZN7rocprim17ROCPRIM_400000_NS6detail17trampoline_kernelINS0_14default_configENS1_38merge_sort_block_merge_config_selectorIN6thrust23THRUST_200600_302600_NS4pairIiiEENS0_10empty_typeEEEZZNS1_27merge_sort_block_merge_implIS3_NS6_6detail15normal_iteratorINS6_10device_ptrIS8_EEEEPS9_mNS6_4lessIS8_EEEE10hipError_tT0_T1_T2_jT3_P12ihipStream_tbPNSt15iterator_traitsISL_E10value_typeEPNSR_ISM_E10value_typeEPSN_NS1_7vsmem_tEENKUlT_SL_SM_SN_E_clIPS8_SG_SH_SH_EESK_S10_SL_SM_SN_EUlS10_E0_NS1_11comp_targetILNS1_3genE2ELNS1_11target_archE906ELNS1_3gpuE6ELNS1_3repE0EEENS1_38merge_mergepath_config_static_selectorELNS0_4arch9wavefront6targetE0EEEvSM_.num_vgpr, 0
	.set _ZN7rocprim17ROCPRIM_400000_NS6detail17trampoline_kernelINS0_14default_configENS1_38merge_sort_block_merge_config_selectorIN6thrust23THRUST_200600_302600_NS4pairIiiEENS0_10empty_typeEEEZZNS1_27merge_sort_block_merge_implIS3_NS6_6detail15normal_iteratorINS6_10device_ptrIS8_EEEEPS9_mNS6_4lessIS8_EEEE10hipError_tT0_T1_T2_jT3_P12ihipStream_tbPNSt15iterator_traitsISL_E10value_typeEPNSR_ISM_E10value_typeEPSN_NS1_7vsmem_tEENKUlT_SL_SM_SN_E_clIPS8_SG_SH_SH_EESK_S10_SL_SM_SN_EUlS10_E0_NS1_11comp_targetILNS1_3genE2ELNS1_11target_archE906ELNS1_3gpuE6ELNS1_3repE0EEENS1_38merge_mergepath_config_static_selectorELNS0_4arch9wavefront6targetE0EEEvSM_.num_agpr, 0
	.set _ZN7rocprim17ROCPRIM_400000_NS6detail17trampoline_kernelINS0_14default_configENS1_38merge_sort_block_merge_config_selectorIN6thrust23THRUST_200600_302600_NS4pairIiiEENS0_10empty_typeEEEZZNS1_27merge_sort_block_merge_implIS3_NS6_6detail15normal_iteratorINS6_10device_ptrIS8_EEEEPS9_mNS6_4lessIS8_EEEE10hipError_tT0_T1_T2_jT3_P12ihipStream_tbPNSt15iterator_traitsISL_E10value_typeEPNSR_ISM_E10value_typeEPSN_NS1_7vsmem_tEENKUlT_SL_SM_SN_E_clIPS8_SG_SH_SH_EESK_S10_SL_SM_SN_EUlS10_E0_NS1_11comp_targetILNS1_3genE2ELNS1_11target_archE906ELNS1_3gpuE6ELNS1_3repE0EEENS1_38merge_mergepath_config_static_selectorELNS0_4arch9wavefront6targetE0EEEvSM_.numbered_sgpr, 0
	.set _ZN7rocprim17ROCPRIM_400000_NS6detail17trampoline_kernelINS0_14default_configENS1_38merge_sort_block_merge_config_selectorIN6thrust23THRUST_200600_302600_NS4pairIiiEENS0_10empty_typeEEEZZNS1_27merge_sort_block_merge_implIS3_NS6_6detail15normal_iteratorINS6_10device_ptrIS8_EEEEPS9_mNS6_4lessIS8_EEEE10hipError_tT0_T1_T2_jT3_P12ihipStream_tbPNSt15iterator_traitsISL_E10value_typeEPNSR_ISM_E10value_typeEPSN_NS1_7vsmem_tEENKUlT_SL_SM_SN_E_clIPS8_SG_SH_SH_EESK_S10_SL_SM_SN_EUlS10_E0_NS1_11comp_targetILNS1_3genE2ELNS1_11target_archE906ELNS1_3gpuE6ELNS1_3repE0EEENS1_38merge_mergepath_config_static_selectorELNS0_4arch9wavefront6targetE0EEEvSM_.num_named_barrier, 0
	.set _ZN7rocprim17ROCPRIM_400000_NS6detail17trampoline_kernelINS0_14default_configENS1_38merge_sort_block_merge_config_selectorIN6thrust23THRUST_200600_302600_NS4pairIiiEENS0_10empty_typeEEEZZNS1_27merge_sort_block_merge_implIS3_NS6_6detail15normal_iteratorINS6_10device_ptrIS8_EEEEPS9_mNS6_4lessIS8_EEEE10hipError_tT0_T1_T2_jT3_P12ihipStream_tbPNSt15iterator_traitsISL_E10value_typeEPNSR_ISM_E10value_typeEPSN_NS1_7vsmem_tEENKUlT_SL_SM_SN_E_clIPS8_SG_SH_SH_EESK_S10_SL_SM_SN_EUlS10_E0_NS1_11comp_targetILNS1_3genE2ELNS1_11target_archE906ELNS1_3gpuE6ELNS1_3repE0EEENS1_38merge_mergepath_config_static_selectorELNS0_4arch9wavefront6targetE0EEEvSM_.private_seg_size, 0
	.set _ZN7rocprim17ROCPRIM_400000_NS6detail17trampoline_kernelINS0_14default_configENS1_38merge_sort_block_merge_config_selectorIN6thrust23THRUST_200600_302600_NS4pairIiiEENS0_10empty_typeEEEZZNS1_27merge_sort_block_merge_implIS3_NS6_6detail15normal_iteratorINS6_10device_ptrIS8_EEEEPS9_mNS6_4lessIS8_EEEE10hipError_tT0_T1_T2_jT3_P12ihipStream_tbPNSt15iterator_traitsISL_E10value_typeEPNSR_ISM_E10value_typeEPSN_NS1_7vsmem_tEENKUlT_SL_SM_SN_E_clIPS8_SG_SH_SH_EESK_S10_SL_SM_SN_EUlS10_E0_NS1_11comp_targetILNS1_3genE2ELNS1_11target_archE906ELNS1_3gpuE6ELNS1_3repE0EEENS1_38merge_mergepath_config_static_selectorELNS0_4arch9wavefront6targetE0EEEvSM_.uses_vcc, 0
	.set _ZN7rocprim17ROCPRIM_400000_NS6detail17trampoline_kernelINS0_14default_configENS1_38merge_sort_block_merge_config_selectorIN6thrust23THRUST_200600_302600_NS4pairIiiEENS0_10empty_typeEEEZZNS1_27merge_sort_block_merge_implIS3_NS6_6detail15normal_iteratorINS6_10device_ptrIS8_EEEEPS9_mNS6_4lessIS8_EEEE10hipError_tT0_T1_T2_jT3_P12ihipStream_tbPNSt15iterator_traitsISL_E10value_typeEPNSR_ISM_E10value_typeEPSN_NS1_7vsmem_tEENKUlT_SL_SM_SN_E_clIPS8_SG_SH_SH_EESK_S10_SL_SM_SN_EUlS10_E0_NS1_11comp_targetILNS1_3genE2ELNS1_11target_archE906ELNS1_3gpuE6ELNS1_3repE0EEENS1_38merge_mergepath_config_static_selectorELNS0_4arch9wavefront6targetE0EEEvSM_.uses_flat_scratch, 0
	.set _ZN7rocprim17ROCPRIM_400000_NS6detail17trampoline_kernelINS0_14default_configENS1_38merge_sort_block_merge_config_selectorIN6thrust23THRUST_200600_302600_NS4pairIiiEENS0_10empty_typeEEEZZNS1_27merge_sort_block_merge_implIS3_NS6_6detail15normal_iteratorINS6_10device_ptrIS8_EEEEPS9_mNS6_4lessIS8_EEEE10hipError_tT0_T1_T2_jT3_P12ihipStream_tbPNSt15iterator_traitsISL_E10value_typeEPNSR_ISM_E10value_typeEPSN_NS1_7vsmem_tEENKUlT_SL_SM_SN_E_clIPS8_SG_SH_SH_EESK_S10_SL_SM_SN_EUlS10_E0_NS1_11comp_targetILNS1_3genE2ELNS1_11target_archE906ELNS1_3gpuE6ELNS1_3repE0EEENS1_38merge_mergepath_config_static_selectorELNS0_4arch9wavefront6targetE0EEEvSM_.has_dyn_sized_stack, 0
	.set _ZN7rocprim17ROCPRIM_400000_NS6detail17trampoline_kernelINS0_14default_configENS1_38merge_sort_block_merge_config_selectorIN6thrust23THRUST_200600_302600_NS4pairIiiEENS0_10empty_typeEEEZZNS1_27merge_sort_block_merge_implIS3_NS6_6detail15normal_iteratorINS6_10device_ptrIS8_EEEEPS9_mNS6_4lessIS8_EEEE10hipError_tT0_T1_T2_jT3_P12ihipStream_tbPNSt15iterator_traitsISL_E10value_typeEPNSR_ISM_E10value_typeEPSN_NS1_7vsmem_tEENKUlT_SL_SM_SN_E_clIPS8_SG_SH_SH_EESK_S10_SL_SM_SN_EUlS10_E0_NS1_11comp_targetILNS1_3genE2ELNS1_11target_archE906ELNS1_3gpuE6ELNS1_3repE0EEENS1_38merge_mergepath_config_static_selectorELNS0_4arch9wavefront6targetE0EEEvSM_.has_recursion, 0
	.set _ZN7rocprim17ROCPRIM_400000_NS6detail17trampoline_kernelINS0_14default_configENS1_38merge_sort_block_merge_config_selectorIN6thrust23THRUST_200600_302600_NS4pairIiiEENS0_10empty_typeEEEZZNS1_27merge_sort_block_merge_implIS3_NS6_6detail15normal_iteratorINS6_10device_ptrIS8_EEEEPS9_mNS6_4lessIS8_EEEE10hipError_tT0_T1_T2_jT3_P12ihipStream_tbPNSt15iterator_traitsISL_E10value_typeEPNSR_ISM_E10value_typeEPSN_NS1_7vsmem_tEENKUlT_SL_SM_SN_E_clIPS8_SG_SH_SH_EESK_S10_SL_SM_SN_EUlS10_E0_NS1_11comp_targetILNS1_3genE2ELNS1_11target_archE906ELNS1_3gpuE6ELNS1_3repE0EEENS1_38merge_mergepath_config_static_selectorELNS0_4arch9wavefront6targetE0EEEvSM_.has_indirect_call, 0
	.section	.AMDGPU.csdata,"",@progbits
; Kernel info:
; codeLenInByte = 0
; TotalNumSgprs: 0
; NumVgprs: 0
; ScratchSize: 0
; MemoryBound: 0
; FloatMode: 240
; IeeeMode: 1
; LDSByteSize: 0 bytes/workgroup (compile time only)
; SGPRBlocks: 0
; VGPRBlocks: 0
; NumSGPRsForWavesPerEU: 1
; NumVGPRsForWavesPerEU: 1
; Occupancy: 16
; WaveLimiterHint : 0
; COMPUTE_PGM_RSRC2:SCRATCH_EN: 0
; COMPUTE_PGM_RSRC2:USER_SGPR: 6
; COMPUTE_PGM_RSRC2:TRAP_HANDLER: 0
; COMPUTE_PGM_RSRC2:TGID_X_EN: 1
; COMPUTE_PGM_RSRC2:TGID_Y_EN: 0
; COMPUTE_PGM_RSRC2:TGID_Z_EN: 0
; COMPUTE_PGM_RSRC2:TIDIG_COMP_CNT: 0
	.section	.text._ZN7rocprim17ROCPRIM_400000_NS6detail17trampoline_kernelINS0_14default_configENS1_38merge_sort_block_merge_config_selectorIN6thrust23THRUST_200600_302600_NS4pairIiiEENS0_10empty_typeEEEZZNS1_27merge_sort_block_merge_implIS3_NS6_6detail15normal_iteratorINS6_10device_ptrIS8_EEEEPS9_mNS6_4lessIS8_EEEE10hipError_tT0_T1_T2_jT3_P12ihipStream_tbPNSt15iterator_traitsISL_E10value_typeEPNSR_ISM_E10value_typeEPSN_NS1_7vsmem_tEENKUlT_SL_SM_SN_E_clIPS8_SG_SH_SH_EESK_S10_SL_SM_SN_EUlS10_E0_NS1_11comp_targetILNS1_3genE9ELNS1_11target_archE1100ELNS1_3gpuE3ELNS1_3repE0EEENS1_38merge_mergepath_config_static_selectorELNS0_4arch9wavefront6targetE0EEEvSM_,"axG",@progbits,_ZN7rocprim17ROCPRIM_400000_NS6detail17trampoline_kernelINS0_14default_configENS1_38merge_sort_block_merge_config_selectorIN6thrust23THRUST_200600_302600_NS4pairIiiEENS0_10empty_typeEEEZZNS1_27merge_sort_block_merge_implIS3_NS6_6detail15normal_iteratorINS6_10device_ptrIS8_EEEEPS9_mNS6_4lessIS8_EEEE10hipError_tT0_T1_T2_jT3_P12ihipStream_tbPNSt15iterator_traitsISL_E10value_typeEPNSR_ISM_E10value_typeEPSN_NS1_7vsmem_tEENKUlT_SL_SM_SN_E_clIPS8_SG_SH_SH_EESK_S10_SL_SM_SN_EUlS10_E0_NS1_11comp_targetILNS1_3genE9ELNS1_11target_archE1100ELNS1_3gpuE3ELNS1_3repE0EEENS1_38merge_mergepath_config_static_selectorELNS0_4arch9wavefront6targetE0EEEvSM_,comdat
	.protected	_ZN7rocprim17ROCPRIM_400000_NS6detail17trampoline_kernelINS0_14default_configENS1_38merge_sort_block_merge_config_selectorIN6thrust23THRUST_200600_302600_NS4pairIiiEENS0_10empty_typeEEEZZNS1_27merge_sort_block_merge_implIS3_NS6_6detail15normal_iteratorINS6_10device_ptrIS8_EEEEPS9_mNS6_4lessIS8_EEEE10hipError_tT0_T1_T2_jT3_P12ihipStream_tbPNSt15iterator_traitsISL_E10value_typeEPNSR_ISM_E10value_typeEPSN_NS1_7vsmem_tEENKUlT_SL_SM_SN_E_clIPS8_SG_SH_SH_EESK_S10_SL_SM_SN_EUlS10_E0_NS1_11comp_targetILNS1_3genE9ELNS1_11target_archE1100ELNS1_3gpuE3ELNS1_3repE0EEENS1_38merge_mergepath_config_static_selectorELNS0_4arch9wavefront6targetE0EEEvSM_ ; -- Begin function _ZN7rocprim17ROCPRIM_400000_NS6detail17trampoline_kernelINS0_14default_configENS1_38merge_sort_block_merge_config_selectorIN6thrust23THRUST_200600_302600_NS4pairIiiEENS0_10empty_typeEEEZZNS1_27merge_sort_block_merge_implIS3_NS6_6detail15normal_iteratorINS6_10device_ptrIS8_EEEEPS9_mNS6_4lessIS8_EEEE10hipError_tT0_T1_T2_jT3_P12ihipStream_tbPNSt15iterator_traitsISL_E10value_typeEPNSR_ISM_E10value_typeEPSN_NS1_7vsmem_tEENKUlT_SL_SM_SN_E_clIPS8_SG_SH_SH_EESK_S10_SL_SM_SN_EUlS10_E0_NS1_11comp_targetILNS1_3genE9ELNS1_11target_archE1100ELNS1_3gpuE3ELNS1_3repE0EEENS1_38merge_mergepath_config_static_selectorELNS0_4arch9wavefront6targetE0EEEvSM_
	.globl	_ZN7rocprim17ROCPRIM_400000_NS6detail17trampoline_kernelINS0_14default_configENS1_38merge_sort_block_merge_config_selectorIN6thrust23THRUST_200600_302600_NS4pairIiiEENS0_10empty_typeEEEZZNS1_27merge_sort_block_merge_implIS3_NS6_6detail15normal_iteratorINS6_10device_ptrIS8_EEEEPS9_mNS6_4lessIS8_EEEE10hipError_tT0_T1_T2_jT3_P12ihipStream_tbPNSt15iterator_traitsISL_E10value_typeEPNSR_ISM_E10value_typeEPSN_NS1_7vsmem_tEENKUlT_SL_SM_SN_E_clIPS8_SG_SH_SH_EESK_S10_SL_SM_SN_EUlS10_E0_NS1_11comp_targetILNS1_3genE9ELNS1_11target_archE1100ELNS1_3gpuE3ELNS1_3repE0EEENS1_38merge_mergepath_config_static_selectorELNS0_4arch9wavefront6targetE0EEEvSM_
	.p2align	8
	.type	_ZN7rocprim17ROCPRIM_400000_NS6detail17trampoline_kernelINS0_14default_configENS1_38merge_sort_block_merge_config_selectorIN6thrust23THRUST_200600_302600_NS4pairIiiEENS0_10empty_typeEEEZZNS1_27merge_sort_block_merge_implIS3_NS6_6detail15normal_iteratorINS6_10device_ptrIS8_EEEEPS9_mNS6_4lessIS8_EEEE10hipError_tT0_T1_T2_jT3_P12ihipStream_tbPNSt15iterator_traitsISL_E10value_typeEPNSR_ISM_E10value_typeEPSN_NS1_7vsmem_tEENKUlT_SL_SM_SN_E_clIPS8_SG_SH_SH_EESK_S10_SL_SM_SN_EUlS10_E0_NS1_11comp_targetILNS1_3genE9ELNS1_11target_archE1100ELNS1_3gpuE3ELNS1_3repE0EEENS1_38merge_mergepath_config_static_selectorELNS0_4arch9wavefront6targetE0EEEvSM_,@function
_ZN7rocprim17ROCPRIM_400000_NS6detail17trampoline_kernelINS0_14default_configENS1_38merge_sort_block_merge_config_selectorIN6thrust23THRUST_200600_302600_NS4pairIiiEENS0_10empty_typeEEEZZNS1_27merge_sort_block_merge_implIS3_NS6_6detail15normal_iteratorINS6_10device_ptrIS8_EEEEPS9_mNS6_4lessIS8_EEEE10hipError_tT0_T1_T2_jT3_P12ihipStream_tbPNSt15iterator_traitsISL_E10value_typeEPNSR_ISM_E10value_typeEPSN_NS1_7vsmem_tEENKUlT_SL_SM_SN_E_clIPS8_SG_SH_SH_EESK_S10_SL_SM_SN_EUlS10_E0_NS1_11comp_targetILNS1_3genE9ELNS1_11target_archE1100ELNS1_3gpuE3ELNS1_3repE0EEENS1_38merge_mergepath_config_static_selectorELNS0_4arch9wavefront6targetE0EEEvSM_: ; @_ZN7rocprim17ROCPRIM_400000_NS6detail17trampoline_kernelINS0_14default_configENS1_38merge_sort_block_merge_config_selectorIN6thrust23THRUST_200600_302600_NS4pairIiiEENS0_10empty_typeEEEZZNS1_27merge_sort_block_merge_implIS3_NS6_6detail15normal_iteratorINS6_10device_ptrIS8_EEEEPS9_mNS6_4lessIS8_EEEE10hipError_tT0_T1_T2_jT3_P12ihipStream_tbPNSt15iterator_traitsISL_E10value_typeEPNSR_ISM_E10value_typeEPSN_NS1_7vsmem_tEENKUlT_SL_SM_SN_E_clIPS8_SG_SH_SH_EESK_S10_SL_SM_SN_EUlS10_E0_NS1_11comp_targetILNS1_3genE9ELNS1_11target_archE1100ELNS1_3gpuE3ELNS1_3repE0EEENS1_38merge_mergepath_config_static_selectorELNS0_4arch9wavefront6targetE0EEEvSM_
; %bb.0:
	.section	.rodata,"a",@progbits
	.p2align	6, 0x0
	.amdhsa_kernel _ZN7rocprim17ROCPRIM_400000_NS6detail17trampoline_kernelINS0_14default_configENS1_38merge_sort_block_merge_config_selectorIN6thrust23THRUST_200600_302600_NS4pairIiiEENS0_10empty_typeEEEZZNS1_27merge_sort_block_merge_implIS3_NS6_6detail15normal_iteratorINS6_10device_ptrIS8_EEEEPS9_mNS6_4lessIS8_EEEE10hipError_tT0_T1_T2_jT3_P12ihipStream_tbPNSt15iterator_traitsISL_E10value_typeEPNSR_ISM_E10value_typeEPSN_NS1_7vsmem_tEENKUlT_SL_SM_SN_E_clIPS8_SG_SH_SH_EESK_S10_SL_SM_SN_EUlS10_E0_NS1_11comp_targetILNS1_3genE9ELNS1_11target_archE1100ELNS1_3gpuE3ELNS1_3repE0EEENS1_38merge_mergepath_config_static_selectorELNS0_4arch9wavefront6targetE0EEEvSM_
		.amdhsa_group_segment_fixed_size 0
		.amdhsa_private_segment_fixed_size 0
		.amdhsa_kernarg_size 72
		.amdhsa_user_sgpr_count 6
		.amdhsa_user_sgpr_private_segment_buffer 1
		.amdhsa_user_sgpr_dispatch_ptr 0
		.amdhsa_user_sgpr_queue_ptr 0
		.amdhsa_user_sgpr_kernarg_segment_ptr 1
		.amdhsa_user_sgpr_dispatch_id 0
		.amdhsa_user_sgpr_flat_scratch_init 0
		.amdhsa_user_sgpr_private_segment_size 0
		.amdhsa_wavefront_size32 1
		.amdhsa_uses_dynamic_stack 0
		.amdhsa_system_sgpr_private_segment_wavefront_offset 0
		.amdhsa_system_sgpr_workgroup_id_x 1
		.amdhsa_system_sgpr_workgroup_id_y 0
		.amdhsa_system_sgpr_workgroup_id_z 0
		.amdhsa_system_sgpr_workgroup_info 0
		.amdhsa_system_vgpr_workitem_id 0
		.amdhsa_next_free_vgpr 1
		.amdhsa_next_free_sgpr 1
		.amdhsa_reserve_vcc 0
		.amdhsa_reserve_flat_scratch 0
		.amdhsa_float_round_mode_32 0
		.amdhsa_float_round_mode_16_64 0
		.amdhsa_float_denorm_mode_32 3
		.amdhsa_float_denorm_mode_16_64 3
		.amdhsa_dx10_clamp 1
		.amdhsa_ieee_mode 1
		.amdhsa_fp16_overflow 0
		.amdhsa_workgroup_processor_mode 1
		.amdhsa_memory_ordered 1
		.amdhsa_forward_progress 1
		.amdhsa_shared_vgpr_count 0
		.amdhsa_exception_fp_ieee_invalid_op 0
		.amdhsa_exception_fp_denorm_src 0
		.amdhsa_exception_fp_ieee_div_zero 0
		.amdhsa_exception_fp_ieee_overflow 0
		.amdhsa_exception_fp_ieee_underflow 0
		.amdhsa_exception_fp_ieee_inexact 0
		.amdhsa_exception_int_div_zero 0
	.end_amdhsa_kernel
	.section	.text._ZN7rocprim17ROCPRIM_400000_NS6detail17trampoline_kernelINS0_14default_configENS1_38merge_sort_block_merge_config_selectorIN6thrust23THRUST_200600_302600_NS4pairIiiEENS0_10empty_typeEEEZZNS1_27merge_sort_block_merge_implIS3_NS6_6detail15normal_iteratorINS6_10device_ptrIS8_EEEEPS9_mNS6_4lessIS8_EEEE10hipError_tT0_T1_T2_jT3_P12ihipStream_tbPNSt15iterator_traitsISL_E10value_typeEPNSR_ISM_E10value_typeEPSN_NS1_7vsmem_tEENKUlT_SL_SM_SN_E_clIPS8_SG_SH_SH_EESK_S10_SL_SM_SN_EUlS10_E0_NS1_11comp_targetILNS1_3genE9ELNS1_11target_archE1100ELNS1_3gpuE3ELNS1_3repE0EEENS1_38merge_mergepath_config_static_selectorELNS0_4arch9wavefront6targetE0EEEvSM_,"axG",@progbits,_ZN7rocprim17ROCPRIM_400000_NS6detail17trampoline_kernelINS0_14default_configENS1_38merge_sort_block_merge_config_selectorIN6thrust23THRUST_200600_302600_NS4pairIiiEENS0_10empty_typeEEEZZNS1_27merge_sort_block_merge_implIS3_NS6_6detail15normal_iteratorINS6_10device_ptrIS8_EEEEPS9_mNS6_4lessIS8_EEEE10hipError_tT0_T1_T2_jT3_P12ihipStream_tbPNSt15iterator_traitsISL_E10value_typeEPNSR_ISM_E10value_typeEPSN_NS1_7vsmem_tEENKUlT_SL_SM_SN_E_clIPS8_SG_SH_SH_EESK_S10_SL_SM_SN_EUlS10_E0_NS1_11comp_targetILNS1_3genE9ELNS1_11target_archE1100ELNS1_3gpuE3ELNS1_3repE0EEENS1_38merge_mergepath_config_static_selectorELNS0_4arch9wavefront6targetE0EEEvSM_,comdat
.Lfunc_end647:
	.size	_ZN7rocprim17ROCPRIM_400000_NS6detail17trampoline_kernelINS0_14default_configENS1_38merge_sort_block_merge_config_selectorIN6thrust23THRUST_200600_302600_NS4pairIiiEENS0_10empty_typeEEEZZNS1_27merge_sort_block_merge_implIS3_NS6_6detail15normal_iteratorINS6_10device_ptrIS8_EEEEPS9_mNS6_4lessIS8_EEEE10hipError_tT0_T1_T2_jT3_P12ihipStream_tbPNSt15iterator_traitsISL_E10value_typeEPNSR_ISM_E10value_typeEPSN_NS1_7vsmem_tEENKUlT_SL_SM_SN_E_clIPS8_SG_SH_SH_EESK_S10_SL_SM_SN_EUlS10_E0_NS1_11comp_targetILNS1_3genE9ELNS1_11target_archE1100ELNS1_3gpuE3ELNS1_3repE0EEENS1_38merge_mergepath_config_static_selectorELNS0_4arch9wavefront6targetE0EEEvSM_, .Lfunc_end647-_ZN7rocprim17ROCPRIM_400000_NS6detail17trampoline_kernelINS0_14default_configENS1_38merge_sort_block_merge_config_selectorIN6thrust23THRUST_200600_302600_NS4pairIiiEENS0_10empty_typeEEEZZNS1_27merge_sort_block_merge_implIS3_NS6_6detail15normal_iteratorINS6_10device_ptrIS8_EEEEPS9_mNS6_4lessIS8_EEEE10hipError_tT0_T1_T2_jT3_P12ihipStream_tbPNSt15iterator_traitsISL_E10value_typeEPNSR_ISM_E10value_typeEPSN_NS1_7vsmem_tEENKUlT_SL_SM_SN_E_clIPS8_SG_SH_SH_EESK_S10_SL_SM_SN_EUlS10_E0_NS1_11comp_targetILNS1_3genE9ELNS1_11target_archE1100ELNS1_3gpuE3ELNS1_3repE0EEENS1_38merge_mergepath_config_static_selectorELNS0_4arch9wavefront6targetE0EEEvSM_
                                        ; -- End function
	.set _ZN7rocprim17ROCPRIM_400000_NS6detail17trampoline_kernelINS0_14default_configENS1_38merge_sort_block_merge_config_selectorIN6thrust23THRUST_200600_302600_NS4pairIiiEENS0_10empty_typeEEEZZNS1_27merge_sort_block_merge_implIS3_NS6_6detail15normal_iteratorINS6_10device_ptrIS8_EEEEPS9_mNS6_4lessIS8_EEEE10hipError_tT0_T1_T2_jT3_P12ihipStream_tbPNSt15iterator_traitsISL_E10value_typeEPNSR_ISM_E10value_typeEPSN_NS1_7vsmem_tEENKUlT_SL_SM_SN_E_clIPS8_SG_SH_SH_EESK_S10_SL_SM_SN_EUlS10_E0_NS1_11comp_targetILNS1_3genE9ELNS1_11target_archE1100ELNS1_3gpuE3ELNS1_3repE0EEENS1_38merge_mergepath_config_static_selectorELNS0_4arch9wavefront6targetE0EEEvSM_.num_vgpr, 0
	.set _ZN7rocprim17ROCPRIM_400000_NS6detail17trampoline_kernelINS0_14default_configENS1_38merge_sort_block_merge_config_selectorIN6thrust23THRUST_200600_302600_NS4pairIiiEENS0_10empty_typeEEEZZNS1_27merge_sort_block_merge_implIS3_NS6_6detail15normal_iteratorINS6_10device_ptrIS8_EEEEPS9_mNS6_4lessIS8_EEEE10hipError_tT0_T1_T2_jT3_P12ihipStream_tbPNSt15iterator_traitsISL_E10value_typeEPNSR_ISM_E10value_typeEPSN_NS1_7vsmem_tEENKUlT_SL_SM_SN_E_clIPS8_SG_SH_SH_EESK_S10_SL_SM_SN_EUlS10_E0_NS1_11comp_targetILNS1_3genE9ELNS1_11target_archE1100ELNS1_3gpuE3ELNS1_3repE0EEENS1_38merge_mergepath_config_static_selectorELNS0_4arch9wavefront6targetE0EEEvSM_.num_agpr, 0
	.set _ZN7rocprim17ROCPRIM_400000_NS6detail17trampoline_kernelINS0_14default_configENS1_38merge_sort_block_merge_config_selectorIN6thrust23THRUST_200600_302600_NS4pairIiiEENS0_10empty_typeEEEZZNS1_27merge_sort_block_merge_implIS3_NS6_6detail15normal_iteratorINS6_10device_ptrIS8_EEEEPS9_mNS6_4lessIS8_EEEE10hipError_tT0_T1_T2_jT3_P12ihipStream_tbPNSt15iterator_traitsISL_E10value_typeEPNSR_ISM_E10value_typeEPSN_NS1_7vsmem_tEENKUlT_SL_SM_SN_E_clIPS8_SG_SH_SH_EESK_S10_SL_SM_SN_EUlS10_E0_NS1_11comp_targetILNS1_3genE9ELNS1_11target_archE1100ELNS1_3gpuE3ELNS1_3repE0EEENS1_38merge_mergepath_config_static_selectorELNS0_4arch9wavefront6targetE0EEEvSM_.numbered_sgpr, 0
	.set _ZN7rocprim17ROCPRIM_400000_NS6detail17trampoline_kernelINS0_14default_configENS1_38merge_sort_block_merge_config_selectorIN6thrust23THRUST_200600_302600_NS4pairIiiEENS0_10empty_typeEEEZZNS1_27merge_sort_block_merge_implIS3_NS6_6detail15normal_iteratorINS6_10device_ptrIS8_EEEEPS9_mNS6_4lessIS8_EEEE10hipError_tT0_T1_T2_jT3_P12ihipStream_tbPNSt15iterator_traitsISL_E10value_typeEPNSR_ISM_E10value_typeEPSN_NS1_7vsmem_tEENKUlT_SL_SM_SN_E_clIPS8_SG_SH_SH_EESK_S10_SL_SM_SN_EUlS10_E0_NS1_11comp_targetILNS1_3genE9ELNS1_11target_archE1100ELNS1_3gpuE3ELNS1_3repE0EEENS1_38merge_mergepath_config_static_selectorELNS0_4arch9wavefront6targetE0EEEvSM_.num_named_barrier, 0
	.set _ZN7rocprim17ROCPRIM_400000_NS6detail17trampoline_kernelINS0_14default_configENS1_38merge_sort_block_merge_config_selectorIN6thrust23THRUST_200600_302600_NS4pairIiiEENS0_10empty_typeEEEZZNS1_27merge_sort_block_merge_implIS3_NS6_6detail15normal_iteratorINS6_10device_ptrIS8_EEEEPS9_mNS6_4lessIS8_EEEE10hipError_tT0_T1_T2_jT3_P12ihipStream_tbPNSt15iterator_traitsISL_E10value_typeEPNSR_ISM_E10value_typeEPSN_NS1_7vsmem_tEENKUlT_SL_SM_SN_E_clIPS8_SG_SH_SH_EESK_S10_SL_SM_SN_EUlS10_E0_NS1_11comp_targetILNS1_3genE9ELNS1_11target_archE1100ELNS1_3gpuE3ELNS1_3repE0EEENS1_38merge_mergepath_config_static_selectorELNS0_4arch9wavefront6targetE0EEEvSM_.private_seg_size, 0
	.set _ZN7rocprim17ROCPRIM_400000_NS6detail17trampoline_kernelINS0_14default_configENS1_38merge_sort_block_merge_config_selectorIN6thrust23THRUST_200600_302600_NS4pairIiiEENS0_10empty_typeEEEZZNS1_27merge_sort_block_merge_implIS3_NS6_6detail15normal_iteratorINS6_10device_ptrIS8_EEEEPS9_mNS6_4lessIS8_EEEE10hipError_tT0_T1_T2_jT3_P12ihipStream_tbPNSt15iterator_traitsISL_E10value_typeEPNSR_ISM_E10value_typeEPSN_NS1_7vsmem_tEENKUlT_SL_SM_SN_E_clIPS8_SG_SH_SH_EESK_S10_SL_SM_SN_EUlS10_E0_NS1_11comp_targetILNS1_3genE9ELNS1_11target_archE1100ELNS1_3gpuE3ELNS1_3repE0EEENS1_38merge_mergepath_config_static_selectorELNS0_4arch9wavefront6targetE0EEEvSM_.uses_vcc, 0
	.set _ZN7rocprim17ROCPRIM_400000_NS6detail17trampoline_kernelINS0_14default_configENS1_38merge_sort_block_merge_config_selectorIN6thrust23THRUST_200600_302600_NS4pairIiiEENS0_10empty_typeEEEZZNS1_27merge_sort_block_merge_implIS3_NS6_6detail15normal_iteratorINS6_10device_ptrIS8_EEEEPS9_mNS6_4lessIS8_EEEE10hipError_tT0_T1_T2_jT3_P12ihipStream_tbPNSt15iterator_traitsISL_E10value_typeEPNSR_ISM_E10value_typeEPSN_NS1_7vsmem_tEENKUlT_SL_SM_SN_E_clIPS8_SG_SH_SH_EESK_S10_SL_SM_SN_EUlS10_E0_NS1_11comp_targetILNS1_3genE9ELNS1_11target_archE1100ELNS1_3gpuE3ELNS1_3repE0EEENS1_38merge_mergepath_config_static_selectorELNS0_4arch9wavefront6targetE0EEEvSM_.uses_flat_scratch, 0
	.set _ZN7rocprim17ROCPRIM_400000_NS6detail17trampoline_kernelINS0_14default_configENS1_38merge_sort_block_merge_config_selectorIN6thrust23THRUST_200600_302600_NS4pairIiiEENS0_10empty_typeEEEZZNS1_27merge_sort_block_merge_implIS3_NS6_6detail15normal_iteratorINS6_10device_ptrIS8_EEEEPS9_mNS6_4lessIS8_EEEE10hipError_tT0_T1_T2_jT3_P12ihipStream_tbPNSt15iterator_traitsISL_E10value_typeEPNSR_ISM_E10value_typeEPSN_NS1_7vsmem_tEENKUlT_SL_SM_SN_E_clIPS8_SG_SH_SH_EESK_S10_SL_SM_SN_EUlS10_E0_NS1_11comp_targetILNS1_3genE9ELNS1_11target_archE1100ELNS1_3gpuE3ELNS1_3repE0EEENS1_38merge_mergepath_config_static_selectorELNS0_4arch9wavefront6targetE0EEEvSM_.has_dyn_sized_stack, 0
	.set _ZN7rocprim17ROCPRIM_400000_NS6detail17trampoline_kernelINS0_14default_configENS1_38merge_sort_block_merge_config_selectorIN6thrust23THRUST_200600_302600_NS4pairIiiEENS0_10empty_typeEEEZZNS1_27merge_sort_block_merge_implIS3_NS6_6detail15normal_iteratorINS6_10device_ptrIS8_EEEEPS9_mNS6_4lessIS8_EEEE10hipError_tT0_T1_T2_jT3_P12ihipStream_tbPNSt15iterator_traitsISL_E10value_typeEPNSR_ISM_E10value_typeEPSN_NS1_7vsmem_tEENKUlT_SL_SM_SN_E_clIPS8_SG_SH_SH_EESK_S10_SL_SM_SN_EUlS10_E0_NS1_11comp_targetILNS1_3genE9ELNS1_11target_archE1100ELNS1_3gpuE3ELNS1_3repE0EEENS1_38merge_mergepath_config_static_selectorELNS0_4arch9wavefront6targetE0EEEvSM_.has_recursion, 0
	.set _ZN7rocprim17ROCPRIM_400000_NS6detail17trampoline_kernelINS0_14default_configENS1_38merge_sort_block_merge_config_selectorIN6thrust23THRUST_200600_302600_NS4pairIiiEENS0_10empty_typeEEEZZNS1_27merge_sort_block_merge_implIS3_NS6_6detail15normal_iteratorINS6_10device_ptrIS8_EEEEPS9_mNS6_4lessIS8_EEEE10hipError_tT0_T1_T2_jT3_P12ihipStream_tbPNSt15iterator_traitsISL_E10value_typeEPNSR_ISM_E10value_typeEPSN_NS1_7vsmem_tEENKUlT_SL_SM_SN_E_clIPS8_SG_SH_SH_EESK_S10_SL_SM_SN_EUlS10_E0_NS1_11comp_targetILNS1_3genE9ELNS1_11target_archE1100ELNS1_3gpuE3ELNS1_3repE0EEENS1_38merge_mergepath_config_static_selectorELNS0_4arch9wavefront6targetE0EEEvSM_.has_indirect_call, 0
	.section	.AMDGPU.csdata,"",@progbits
; Kernel info:
; codeLenInByte = 0
; TotalNumSgprs: 0
; NumVgprs: 0
; ScratchSize: 0
; MemoryBound: 0
; FloatMode: 240
; IeeeMode: 1
; LDSByteSize: 0 bytes/workgroup (compile time only)
; SGPRBlocks: 0
; VGPRBlocks: 0
; NumSGPRsForWavesPerEU: 1
; NumVGPRsForWavesPerEU: 1
; Occupancy: 16
; WaveLimiterHint : 0
; COMPUTE_PGM_RSRC2:SCRATCH_EN: 0
; COMPUTE_PGM_RSRC2:USER_SGPR: 6
; COMPUTE_PGM_RSRC2:TRAP_HANDLER: 0
; COMPUTE_PGM_RSRC2:TGID_X_EN: 1
; COMPUTE_PGM_RSRC2:TGID_Y_EN: 0
; COMPUTE_PGM_RSRC2:TGID_Z_EN: 0
; COMPUTE_PGM_RSRC2:TIDIG_COMP_CNT: 0
	.section	.text._ZN7rocprim17ROCPRIM_400000_NS6detail17trampoline_kernelINS0_14default_configENS1_38merge_sort_block_merge_config_selectorIN6thrust23THRUST_200600_302600_NS4pairIiiEENS0_10empty_typeEEEZZNS1_27merge_sort_block_merge_implIS3_NS6_6detail15normal_iteratorINS6_10device_ptrIS8_EEEEPS9_mNS6_4lessIS8_EEEE10hipError_tT0_T1_T2_jT3_P12ihipStream_tbPNSt15iterator_traitsISL_E10value_typeEPNSR_ISM_E10value_typeEPSN_NS1_7vsmem_tEENKUlT_SL_SM_SN_E_clIPS8_SG_SH_SH_EESK_S10_SL_SM_SN_EUlS10_E0_NS1_11comp_targetILNS1_3genE8ELNS1_11target_archE1030ELNS1_3gpuE2ELNS1_3repE0EEENS1_38merge_mergepath_config_static_selectorELNS0_4arch9wavefront6targetE0EEEvSM_,"axG",@progbits,_ZN7rocprim17ROCPRIM_400000_NS6detail17trampoline_kernelINS0_14default_configENS1_38merge_sort_block_merge_config_selectorIN6thrust23THRUST_200600_302600_NS4pairIiiEENS0_10empty_typeEEEZZNS1_27merge_sort_block_merge_implIS3_NS6_6detail15normal_iteratorINS6_10device_ptrIS8_EEEEPS9_mNS6_4lessIS8_EEEE10hipError_tT0_T1_T2_jT3_P12ihipStream_tbPNSt15iterator_traitsISL_E10value_typeEPNSR_ISM_E10value_typeEPSN_NS1_7vsmem_tEENKUlT_SL_SM_SN_E_clIPS8_SG_SH_SH_EESK_S10_SL_SM_SN_EUlS10_E0_NS1_11comp_targetILNS1_3genE8ELNS1_11target_archE1030ELNS1_3gpuE2ELNS1_3repE0EEENS1_38merge_mergepath_config_static_selectorELNS0_4arch9wavefront6targetE0EEEvSM_,comdat
	.protected	_ZN7rocprim17ROCPRIM_400000_NS6detail17trampoline_kernelINS0_14default_configENS1_38merge_sort_block_merge_config_selectorIN6thrust23THRUST_200600_302600_NS4pairIiiEENS0_10empty_typeEEEZZNS1_27merge_sort_block_merge_implIS3_NS6_6detail15normal_iteratorINS6_10device_ptrIS8_EEEEPS9_mNS6_4lessIS8_EEEE10hipError_tT0_T1_T2_jT3_P12ihipStream_tbPNSt15iterator_traitsISL_E10value_typeEPNSR_ISM_E10value_typeEPSN_NS1_7vsmem_tEENKUlT_SL_SM_SN_E_clIPS8_SG_SH_SH_EESK_S10_SL_SM_SN_EUlS10_E0_NS1_11comp_targetILNS1_3genE8ELNS1_11target_archE1030ELNS1_3gpuE2ELNS1_3repE0EEENS1_38merge_mergepath_config_static_selectorELNS0_4arch9wavefront6targetE0EEEvSM_ ; -- Begin function _ZN7rocprim17ROCPRIM_400000_NS6detail17trampoline_kernelINS0_14default_configENS1_38merge_sort_block_merge_config_selectorIN6thrust23THRUST_200600_302600_NS4pairIiiEENS0_10empty_typeEEEZZNS1_27merge_sort_block_merge_implIS3_NS6_6detail15normal_iteratorINS6_10device_ptrIS8_EEEEPS9_mNS6_4lessIS8_EEEE10hipError_tT0_T1_T2_jT3_P12ihipStream_tbPNSt15iterator_traitsISL_E10value_typeEPNSR_ISM_E10value_typeEPSN_NS1_7vsmem_tEENKUlT_SL_SM_SN_E_clIPS8_SG_SH_SH_EESK_S10_SL_SM_SN_EUlS10_E0_NS1_11comp_targetILNS1_3genE8ELNS1_11target_archE1030ELNS1_3gpuE2ELNS1_3repE0EEENS1_38merge_mergepath_config_static_selectorELNS0_4arch9wavefront6targetE0EEEvSM_
	.globl	_ZN7rocprim17ROCPRIM_400000_NS6detail17trampoline_kernelINS0_14default_configENS1_38merge_sort_block_merge_config_selectorIN6thrust23THRUST_200600_302600_NS4pairIiiEENS0_10empty_typeEEEZZNS1_27merge_sort_block_merge_implIS3_NS6_6detail15normal_iteratorINS6_10device_ptrIS8_EEEEPS9_mNS6_4lessIS8_EEEE10hipError_tT0_T1_T2_jT3_P12ihipStream_tbPNSt15iterator_traitsISL_E10value_typeEPNSR_ISM_E10value_typeEPSN_NS1_7vsmem_tEENKUlT_SL_SM_SN_E_clIPS8_SG_SH_SH_EESK_S10_SL_SM_SN_EUlS10_E0_NS1_11comp_targetILNS1_3genE8ELNS1_11target_archE1030ELNS1_3gpuE2ELNS1_3repE0EEENS1_38merge_mergepath_config_static_selectorELNS0_4arch9wavefront6targetE0EEEvSM_
	.p2align	8
	.type	_ZN7rocprim17ROCPRIM_400000_NS6detail17trampoline_kernelINS0_14default_configENS1_38merge_sort_block_merge_config_selectorIN6thrust23THRUST_200600_302600_NS4pairIiiEENS0_10empty_typeEEEZZNS1_27merge_sort_block_merge_implIS3_NS6_6detail15normal_iteratorINS6_10device_ptrIS8_EEEEPS9_mNS6_4lessIS8_EEEE10hipError_tT0_T1_T2_jT3_P12ihipStream_tbPNSt15iterator_traitsISL_E10value_typeEPNSR_ISM_E10value_typeEPSN_NS1_7vsmem_tEENKUlT_SL_SM_SN_E_clIPS8_SG_SH_SH_EESK_S10_SL_SM_SN_EUlS10_E0_NS1_11comp_targetILNS1_3genE8ELNS1_11target_archE1030ELNS1_3gpuE2ELNS1_3repE0EEENS1_38merge_mergepath_config_static_selectorELNS0_4arch9wavefront6targetE0EEEvSM_,@function
_ZN7rocprim17ROCPRIM_400000_NS6detail17trampoline_kernelINS0_14default_configENS1_38merge_sort_block_merge_config_selectorIN6thrust23THRUST_200600_302600_NS4pairIiiEENS0_10empty_typeEEEZZNS1_27merge_sort_block_merge_implIS3_NS6_6detail15normal_iteratorINS6_10device_ptrIS8_EEEEPS9_mNS6_4lessIS8_EEEE10hipError_tT0_T1_T2_jT3_P12ihipStream_tbPNSt15iterator_traitsISL_E10value_typeEPNSR_ISM_E10value_typeEPSN_NS1_7vsmem_tEENKUlT_SL_SM_SN_E_clIPS8_SG_SH_SH_EESK_S10_SL_SM_SN_EUlS10_E0_NS1_11comp_targetILNS1_3genE8ELNS1_11target_archE1030ELNS1_3gpuE2ELNS1_3repE0EEENS1_38merge_mergepath_config_static_selectorELNS0_4arch9wavefront6targetE0EEEvSM_: ; @_ZN7rocprim17ROCPRIM_400000_NS6detail17trampoline_kernelINS0_14default_configENS1_38merge_sort_block_merge_config_selectorIN6thrust23THRUST_200600_302600_NS4pairIiiEENS0_10empty_typeEEEZZNS1_27merge_sort_block_merge_implIS3_NS6_6detail15normal_iteratorINS6_10device_ptrIS8_EEEEPS9_mNS6_4lessIS8_EEEE10hipError_tT0_T1_T2_jT3_P12ihipStream_tbPNSt15iterator_traitsISL_E10value_typeEPNSR_ISM_E10value_typeEPSN_NS1_7vsmem_tEENKUlT_SL_SM_SN_E_clIPS8_SG_SH_SH_EESK_S10_SL_SM_SN_EUlS10_E0_NS1_11comp_targetILNS1_3genE8ELNS1_11target_archE1030ELNS1_3gpuE2ELNS1_3repE0EEENS1_38merge_mergepath_config_static_selectorELNS0_4arch9wavefront6targetE0EEEvSM_
; %bb.0:
	s_clause 0x1
	s_load_dwordx2 s[0:1], s[4:5], 0x48
	s_load_dword s2, s[4:5], 0x38
	s_waitcnt lgkmcnt(0)
	s_mul_i32 s1, s1, s8
	s_add_i32 s1, s1, s7
	s_mul_i32 s0, s1, s0
	s_add_i32 s6, s0, s6
	s_cmp_ge_u32 s6, s2
	s_cbranch_scc1 .LBB648_23
; %bb.1:
	s_clause 0x1
	s_load_dwordx2 s[0:1], s[4:5], 0x40
	s_load_dwordx4 s[8:11], s[4:5], 0x28
	s_mov_b32 s7, 0
	s_lshl_b64 s[2:3], s[6:7], 3
	s_mov_b32 s17, s7
	s_waitcnt lgkmcnt(0)
	s_add_u32 s0, s0, s2
	s_addc_u32 s1, s1, s3
	s_lshr_b64 s[12:13], s[10:11], 9
	s_load_dwordx4 s[0:3], s[0:1], 0x0
	s_and_b32 s12, s12, -2
	s_sub_i32 s21, 0, s12
	s_lshl_b64 s[12:13], s[6:7], 10
	s_and_b32 s16, s6, s21
	s_lshl_b64 s[14:15], s[16:17], 10
	s_sub_u32 s18, s12, s14
	s_subb_u32 s22, s13, s15
	s_lshl_b64 s[16:17], s[16:17], 11
	s_add_u32 s19, s16, s10
	s_addc_u32 s20, s17, s11
	s_add_u32 s16, s19, s18
	s_addc_u32 s17, s20, s22
	s_waitcnt lgkmcnt(0)
	s_sub_u32 s18, s16, s2
	s_subb_u32 s3, s17, s3
	s_add_u32 s22, s18, 0x400
	s_addc_u32 s23, s3, 0
	v_cmp_lt_u64_e64 s3, s[8:9], s[22:23]
	s_and_b32 s3, s3, exec_lo
	s_cselect_b32 s18, s8, s22
	s_or_b32 s3, s6, s21
	s_cmp_lg_u32 s3, -1
	s_cbranch_scc1 .LBB648_3
; %bb.2:
	s_sub_u32 s14, s19, s14
	s_subb_u32 s15, s20, s15
	v_cmp_lt_u64_e64 s2, s[8:9], s[14:15]
	s_and_b32 s2, s2, exec_lo
	s_cselect_b32 s2, s8, s14
	s_add_u32 s10, s14, s10
	s_addc_u32 s11, s15, s11
	v_cmp_lt_u64_e64 s3, s[8:9], s[10:11]
	s_and_b32 s3, s3, exec_lo
	s_cselect_b32 s18, s8, s10
.LBB648_3:
	s_lshr_b64 s[10:11], s[8:9], 10
	v_mov_b32_e32 v2, 0
	s_cmp_lg_u64 s[10:11], s[6:7]
	s_load_dwordx4 s[4:7], s[4:5], 0x8
	s_cselect_b32 s14, -1, 0
	s_sub_u32 s10, s16, s0
	s_subb_u32 s11, s17, s1
                                        ; implicit-def: $vgpr1
	v_cmp_lt_u64_e64 s3, s[8:9], s[10:11]
	s_and_b32 s3, s3, exec_lo
	s_cselect_b32 s10, s8, s10
	s_cselect_b32 s11, s9, s11
	s_sub_i32 s3, s2, s0
	s_sub_i32 s9, s18, s10
	s_add_i32 s2, s3, s9
	v_cmp_gt_u32_e32 vcc_lo, s2, v0
	s_or_b32 s15, s14, vcc_lo
	s_and_saveexec_b32 s16, s15
	s_xor_b32 s15, exec_lo, s16
	s_cbranch_execz .LBB648_5
; %bb.4:
	v_lshlrev_b32_e32 v1, 3, v0
	s_lshl_b64 s[0:1], s[0:1], 3
	s_waitcnt lgkmcnt(0)
	s_add_u32 s0, s4, s0
	s_addc_u32 s1, s5, s1
	v_add_co_u32 v3, s0, s0, v1
	v_sub_co_u32 v1, vcc_lo, v0, s3
	v_add_co_ci_u32_e64 v4, null, s1, 0, s0
	s_lshl_b64 s[0:1], s[10:11], 3
	v_lshlrev_b64 v[1:2], 3, v[1:2]
	s_add_u32 s0, s4, s0
	s_addc_u32 s1, s5, s1
	v_add_co_u32 v1, s0, s0, v1
	v_add_co_ci_u32_e64 v2, null, s1, v2, s0
	v_cndmask_b32_e32 v1, v1, v3, vcc_lo
	v_cndmask_b32_e32 v2, v2, v4, vcc_lo
	global_load_dwordx2 v[1:2], v[1:2], off
.LBB648_5:
	s_andn2_saveexec_b32 s0, s15
	s_cbranch_execz .LBB648_7
; %bb.6:
	s_waitcnt vmcnt(0)
	v_mov_b32_e32 v2, 0
	v_mov_b32_e32 v1, v2
.LBB648_7:
	s_or_b32 exec_lo, exec_lo, s0
	v_min_u32_e32 v3, s2, v0
	v_lshlrev_b32_e32 v5, 3, v0
	s_waitcnt lgkmcnt(0)
	s_mov_b32 s4, exec_lo
	v_sub_nc_u32_e64 v6, v3, s9 clamp
	v_min_u32_e32 v4, s3, v3
	s_waitcnt vmcnt(0)
	ds_write_b64 v5, v[1:2]
	s_waitcnt lgkmcnt(0)
	s_barrier
	buffer_gl0_inv
	v_cmpx_lt_u32_e64 v6, v4
	s_cbranch_execz .LBB648_11
; %bb.8:
	v_lshlrev_b32_e32 v7, 3, v3
	s_mov_b32 s5, 0
	v_lshl_add_u32 v7, s3, 3, v7
	.p2align	6
.LBB648_9:                              ; =>This Inner Loop Header: Depth=1
	v_add_nc_u32_e32 v8, v4, v6
	v_lshrrev_b32_e32 v12, 1, v8
	v_not_b32_e32 v8, v12
	v_lshlrev_b32_e32 v9, 3, v12
	v_lshl_add_u32 v10, v8, 3, v7
	ds_read_b64 v[8:9], v9
	ds_read_b64 v[10:11], v10
	s_waitcnt lgkmcnt(0)
	v_cmp_ge_i32_e32 vcc_lo, v8, v10
	v_cmp_lt_i32_e64 s0, v11, v9
	v_cmp_lt_i32_e64 s1, v10, v8
	v_add_nc_u32_e32 v8, 1, v12
	s_and_b32 s0, vcc_lo, s0
	s_or_b32 vcc_lo, s1, s0
	v_cndmask_b32_e32 v4, v4, v12, vcc_lo
	v_cndmask_b32_e32 v6, v8, v6, vcc_lo
	v_cmp_ge_u32_e32 vcc_lo, v6, v4
	s_or_b32 s5, vcc_lo, s5
	s_andn2_b32 exec_lo, exec_lo, s5
	s_cbranch_execnz .LBB648_9
; %bb.10:
	s_or_b32 exec_lo, exec_lo, s5
.LBB648_11:
	s_or_b32 exec_lo, exec_lo, s4
	v_sub_nc_u32_e32 v3, v3, v6
	v_cmp_ge_u32_e32 vcc_lo, s3, v6
	v_add_nc_u32_e32 v7, s3, v3
	v_cmp_ge_u32_e64 s0, s2, v7
	s_or_b32 s0, vcc_lo, s0
	s_and_saveexec_b32 s4, s0
	s_cbranch_execz .LBB648_17
; %bb.12:
	v_cmp_gt_u32_e32 vcc_lo, s3, v6
	v_mov_b32_e32 v1, 0
	v_mov_b32_e32 v3, 0
	;; [unrolled: 1-line block ×3, first 2 shown]
	s_and_saveexec_b32 s0, vcc_lo
; %bb.13:
	v_lshlrev_b32_e32 v2, 3, v6
	ds_read_b64 v[3:4], v2
; %bb.14:
	s_or_b32 exec_lo, exec_lo, s0
	v_cmp_le_u32_e64 s0, s2, v7
	v_cmp_gt_u32_e64 s1, s2, v7
	v_mov_b32_e32 v2, 0
	s_and_saveexec_b32 s2, s1
; %bb.15:
	v_lshlrev_b32_e32 v1, 3, v7
	ds_read_b64 v[1:2], v1
; %bb.16:
	s_or_b32 exec_lo, exec_lo, s2
	s_waitcnt lgkmcnt(0)
	v_cmp_lt_i32_e64 s1, v3, v1
	v_cmp_ge_i32_e64 s2, v2, v4
	v_cmp_ge_i32_e64 s3, v1, v3
	s_or_b32 s1, s1, s2
	s_and_b32 s2, vcc_lo, s3
	s_and_b32 s1, s2, s1
	s_or_b32 vcc_lo, s0, s1
	v_cndmask_b32_e32 v1, v1, v3, vcc_lo
	v_cndmask_b32_e32 v2, v2, v4, vcc_lo
.LBB648_17:
	s_or_b32 exec_lo, exec_lo, s4
	s_and_b32 vcc_lo, exec_lo, s14
	s_barrier
	buffer_gl0_inv
	s_barrier
	buffer_gl0_inv
	s_cbranch_vccz .LBB648_19
; %bb.18:
	ds_write_b64 v5, v[1:2]
	s_waitcnt lgkmcnt(0)
	s_barrier
	s_mov_b32 s0, -1
	buffer_gl0_inv
	s_cbranch_execz .LBB648_20
	s_branch .LBB648_21
.LBB648_19:
	s_mov_b32 s0, 0
.LBB648_20:
	s_sub_i32 s1, s8, s12
	s_andn2_b32 s0, s0, exec_lo
	v_cmp_gt_u32_e32 vcc_lo, s1, v0
	ds_write_b64 v5, v[1:2]
	s_waitcnt lgkmcnt(0)
	s_barrier
	buffer_gl0_inv
	s_and_b32 s1, vcc_lo, exec_lo
	s_or_b32 s0, s0, s1
.LBB648_21:
	s_and_saveexec_b32 s1, s0
	s_cbranch_execz .LBB648_23
; %bb.22:
	ds_read_b64 v[0:1], v5
	s_lshl_b64 s[0:1], s[12:13], 3
	s_add_u32 s0, s6, s0
	s_addc_u32 s1, s7, s1
	s_waitcnt lgkmcnt(0)
	global_store_dwordx2 v5, v[0:1], s[0:1]
.LBB648_23:
	s_endpgm
	.section	.rodata,"a",@progbits
	.p2align	6, 0x0
	.amdhsa_kernel _ZN7rocprim17ROCPRIM_400000_NS6detail17trampoline_kernelINS0_14default_configENS1_38merge_sort_block_merge_config_selectorIN6thrust23THRUST_200600_302600_NS4pairIiiEENS0_10empty_typeEEEZZNS1_27merge_sort_block_merge_implIS3_NS6_6detail15normal_iteratorINS6_10device_ptrIS8_EEEEPS9_mNS6_4lessIS8_EEEE10hipError_tT0_T1_T2_jT3_P12ihipStream_tbPNSt15iterator_traitsISL_E10value_typeEPNSR_ISM_E10value_typeEPSN_NS1_7vsmem_tEENKUlT_SL_SM_SN_E_clIPS8_SG_SH_SH_EESK_S10_SL_SM_SN_EUlS10_E0_NS1_11comp_targetILNS1_3genE8ELNS1_11target_archE1030ELNS1_3gpuE2ELNS1_3repE0EEENS1_38merge_mergepath_config_static_selectorELNS0_4arch9wavefront6targetE0EEEvSM_
		.amdhsa_group_segment_fixed_size 8208
		.amdhsa_private_segment_fixed_size 0
		.amdhsa_kernarg_size 328
		.amdhsa_user_sgpr_count 6
		.amdhsa_user_sgpr_private_segment_buffer 1
		.amdhsa_user_sgpr_dispatch_ptr 0
		.amdhsa_user_sgpr_queue_ptr 0
		.amdhsa_user_sgpr_kernarg_segment_ptr 1
		.amdhsa_user_sgpr_dispatch_id 0
		.amdhsa_user_sgpr_flat_scratch_init 0
		.amdhsa_user_sgpr_private_segment_size 0
		.amdhsa_wavefront_size32 1
		.amdhsa_uses_dynamic_stack 0
		.amdhsa_system_sgpr_private_segment_wavefront_offset 0
		.amdhsa_system_sgpr_workgroup_id_x 1
		.amdhsa_system_sgpr_workgroup_id_y 1
		.amdhsa_system_sgpr_workgroup_id_z 1
		.amdhsa_system_sgpr_workgroup_info 0
		.amdhsa_system_vgpr_workitem_id 0
		.amdhsa_next_free_vgpr 13
		.amdhsa_next_free_sgpr 24
		.amdhsa_reserve_vcc 1
		.amdhsa_reserve_flat_scratch 0
		.amdhsa_float_round_mode_32 0
		.amdhsa_float_round_mode_16_64 0
		.amdhsa_float_denorm_mode_32 3
		.amdhsa_float_denorm_mode_16_64 3
		.amdhsa_dx10_clamp 1
		.amdhsa_ieee_mode 1
		.amdhsa_fp16_overflow 0
		.amdhsa_workgroup_processor_mode 1
		.amdhsa_memory_ordered 1
		.amdhsa_forward_progress 1
		.amdhsa_shared_vgpr_count 0
		.amdhsa_exception_fp_ieee_invalid_op 0
		.amdhsa_exception_fp_denorm_src 0
		.amdhsa_exception_fp_ieee_div_zero 0
		.amdhsa_exception_fp_ieee_overflow 0
		.amdhsa_exception_fp_ieee_underflow 0
		.amdhsa_exception_fp_ieee_inexact 0
		.amdhsa_exception_int_div_zero 0
	.end_amdhsa_kernel
	.section	.text._ZN7rocprim17ROCPRIM_400000_NS6detail17trampoline_kernelINS0_14default_configENS1_38merge_sort_block_merge_config_selectorIN6thrust23THRUST_200600_302600_NS4pairIiiEENS0_10empty_typeEEEZZNS1_27merge_sort_block_merge_implIS3_NS6_6detail15normal_iteratorINS6_10device_ptrIS8_EEEEPS9_mNS6_4lessIS8_EEEE10hipError_tT0_T1_T2_jT3_P12ihipStream_tbPNSt15iterator_traitsISL_E10value_typeEPNSR_ISM_E10value_typeEPSN_NS1_7vsmem_tEENKUlT_SL_SM_SN_E_clIPS8_SG_SH_SH_EESK_S10_SL_SM_SN_EUlS10_E0_NS1_11comp_targetILNS1_3genE8ELNS1_11target_archE1030ELNS1_3gpuE2ELNS1_3repE0EEENS1_38merge_mergepath_config_static_selectorELNS0_4arch9wavefront6targetE0EEEvSM_,"axG",@progbits,_ZN7rocprim17ROCPRIM_400000_NS6detail17trampoline_kernelINS0_14default_configENS1_38merge_sort_block_merge_config_selectorIN6thrust23THRUST_200600_302600_NS4pairIiiEENS0_10empty_typeEEEZZNS1_27merge_sort_block_merge_implIS3_NS6_6detail15normal_iteratorINS6_10device_ptrIS8_EEEEPS9_mNS6_4lessIS8_EEEE10hipError_tT0_T1_T2_jT3_P12ihipStream_tbPNSt15iterator_traitsISL_E10value_typeEPNSR_ISM_E10value_typeEPSN_NS1_7vsmem_tEENKUlT_SL_SM_SN_E_clIPS8_SG_SH_SH_EESK_S10_SL_SM_SN_EUlS10_E0_NS1_11comp_targetILNS1_3genE8ELNS1_11target_archE1030ELNS1_3gpuE2ELNS1_3repE0EEENS1_38merge_mergepath_config_static_selectorELNS0_4arch9wavefront6targetE0EEEvSM_,comdat
.Lfunc_end648:
	.size	_ZN7rocprim17ROCPRIM_400000_NS6detail17trampoline_kernelINS0_14default_configENS1_38merge_sort_block_merge_config_selectorIN6thrust23THRUST_200600_302600_NS4pairIiiEENS0_10empty_typeEEEZZNS1_27merge_sort_block_merge_implIS3_NS6_6detail15normal_iteratorINS6_10device_ptrIS8_EEEEPS9_mNS6_4lessIS8_EEEE10hipError_tT0_T1_T2_jT3_P12ihipStream_tbPNSt15iterator_traitsISL_E10value_typeEPNSR_ISM_E10value_typeEPSN_NS1_7vsmem_tEENKUlT_SL_SM_SN_E_clIPS8_SG_SH_SH_EESK_S10_SL_SM_SN_EUlS10_E0_NS1_11comp_targetILNS1_3genE8ELNS1_11target_archE1030ELNS1_3gpuE2ELNS1_3repE0EEENS1_38merge_mergepath_config_static_selectorELNS0_4arch9wavefront6targetE0EEEvSM_, .Lfunc_end648-_ZN7rocprim17ROCPRIM_400000_NS6detail17trampoline_kernelINS0_14default_configENS1_38merge_sort_block_merge_config_selectorIN6thrust23THRUST_200600_302600_NS4pairIiiEENS0_10empty_typeEEEZZNS1_27merge_sort_block_merge_implIS3_NS6_6detail15normal_iteratorINS6_10device_ptrIS8_EEEEPS9_mNS6_4lessIS8_EEEE10hipError_tT0_T1_T2_jT3_P12ihipStream_tbPNSt15iterator_traitsISL_E10value_typeEPNSR_ISM_E10value_typeEPSN_NS1_7vsmem_tEENKUlT_SL_SM_SN_E_clIPS8_SG_SH_SH_EESK_S10_SL_SM_SN_EUlS10_E0_NS1_11comp_targetILNS1_3genE8ELNS1_11target_archE1030ELNS1_3gpuE2ELNS1_3repE0EEENS1_38merge_mergepath_config_static_selectorELNS0_4arch9wavefront6targetE0EEEvSM_
                                        ; -- End function
	.set _ZN7rocprim17ROCPRIM_400000_NS6detail17trampoline_kernelINS0_14default_configENS1_38merge_sort_block_merge_config_selectorIN6thrust23THRUST_200600_302600_NS4pairIiiEENS0_10empty_typeEEEZZNS1_27merge_sort_block_merge_implIS3_NS6_6detail15normal_iteratorINS6_10device_ptrIS8_EEEEPS9_mNS6_4lessIS8_EEEE10hipError_tT0_T1_T2_jT3_P12ihipStream_tbPNSt15iterator_traitsISL_E10value_typeEPNSR_ISM_E10value_typeEPSN_NS1_7vsmem_tEENKUlT_SL_SM_SN_E_clIPS8_SG_SH_SH_EESK_S10_SL_SM_SN_EUlS10_E0_NS1_11comp_targetILNS1_3genE8ELNS1_11target_archE1030ELNS1_3gpuE2ELNS1_3repE0EEENS1_38merge_mergepath_config_static_selectorELNS0_4arch9wavefront6targetE0EEEvSM_.num_vgpr, 13
	.set _ZN7rocprim17ROCPRIM_400000_NS6detail17trampoline_kernelINS0_14default_configENS1_38merge_sort_block_merge_config_selectorIN6thrust23THRUST_200600_302600_NS4pairIiiEENS0_10empty_typeEEEZZNS1_27merge_sort_block_merge_implIS3_NS6_6detail15normal_iteratorINS6_10device_ptrIS8_EEEEPS9_mNS6_4lessIS8_EEEE10hipError_tT0_T1_T2_jT3_P12ihipStream_tbPNSt15iterator_traitsISL_E10value_typeEPNSR_ISM_E10value_typeEPSN_NS1_7vsmem_tEENKUlT_SL_SM_SN_E_clIPS8_SG_SH_SH_EESK_S10_SL_SM_SN_EUlS10_E0_NS1_11comp_targetILNS1_3genE8ELNS1_11target_archE1030ELNS1_3gpuE2ELNS1_3repE0EEENS1_38merge_mergepath_config_static_selectorELNS0_4arch9wavefront6targetE0EEEvSM_.num_agpr, 0
	.set _ZN7rocprim17ROCPRIM_400000_NS6detail17trampoline_kernelINS0_14default_configENS1_38merge_sort_block_merge_config_selectorIN6thrust23THRUST_200600_302600_NS4pairIiiEENS0_10empty_typeEEEZZNS1_27merge_sort_block_merge_implIS3_NS6_6detail15normal_iteratorINS6_10device_ptrIS8_EEEEPS9_mNS6_4lessIS8_EEEE10hipError_tT0_T1_T2_jT3_P12ihipStream_tbPNSt15iterator_traitsISL_E10value_typeEPNSR_ISM_E10value_typeEPSN_NS1_7vsmem_tEENKUlT_SL_SM_SN_E_clIPS8_SG_SH_SH_EESK_S10_SL_SM_SN_EUlS10_E0_NS1_11comp_targetILNS1_3genE8ELNS1_11target_archE1030ELNS1_3gpuE2ELNS1_3repE0EEENS1_38merge_mergepath_config_static_selectorELNS0_4arch9wavefront6targetE0EEEvSM_.numbered_sgpr, 24
	.set _ZN7rocprim17ROCPRIM_400000_NS6detail17trampoline_kernelINS0_14default_configENS1_38merge_sort_block_merge_config_selectorIN6thrust23THRUST_200600_302600_NS4pairIiiEENS0_10empty_typeEEEZZNS1_27merge_sort_block_merge_implIS3_NS6_6detail15normal_iteratorINS6_10device_ptrIS8_EEEEPS9_mNS6_4lessIS8_EEEE10hipError_tT0_T1_T2_jT3_P12ihipStream_tbPNSt15iterator_traitsISL_E10value_typeEPNSR_ISM_E10value_typeEPSN_NS1_7vsmem_tEENKUlT_SL_SM_SN_E_clIPS8_SG_SH_SH_EESK_S10_SL_SM_SN_EUlS10_E0_NS1_11comp_targetILNS1_3genE8ELNS1_11target_archE1030ELNS1_3gpuE2ELNS1_3repE0EEENS1_38merge_mergepath_config_static_selectorELNS0_4arch9wavefront6targetE0EEEvSM_.num_named_barrier, 0
	.set _ZN7rocprim17ROCPRIM_400000_NS6detail17trampoline_kernelINS0_14default_configENS1_38merge_sort_block_merge_config_selectorIN6thrust23THRUST_200600_302600_NS4pairIiiEENS0_10empty_typeEEEZZNS1_27merge_sort_block_merge_implIS3_NS6_6detail15normal_iteratorINS6_10device_ptrIS8_EEEEPS9_mNS6_4lessIS8_EEEE10hipError_tT0_T1_T2_jT3_P12ihipStream_tbPNSt15iterator_traitsISL_E10value_typeEPNSR_ISM_E10value_typeEPSN_NS1_7vsmem_tEENKUlT_SL_SM_SN_E_clIPS8_SG_SH_SH_EESK_S10_SL_SM_SN_EUlS10_E0_NS1_11comp_targetILNS1_3genE8ELNS1_11target_archE1030ELNS1_3gpuE2ELNS1_3repE0EEENS1_38merge_mergepath_config_static_selectorELNS0_4arch9wavefront6targetE0EEEvSM_.private_seg_size, 0
	.set _ZN7rocprim17ROCPRIM_400000_NS6detail17trampoline_kernelINS0_14default_configENS1_38merge_sort_block_merge_config_selectorIN6thrust23THRUST_200600_302600_NS4pairIiiEENS0_10empty_typeEEEZZNS1_27merge_sort_block_merge_implIS3_NS6_6detail15normal_iteratorINS6_10device_ptrIS8_EEEEPS9_mNS6_4lessIS8_EEEE10hipError_tT0_T1_T2_jT3_P12ihipStream_tbPNSt15iterator_traitsISL_E10value_typeEPNSR_ISM_E10value_typeEPSN_NS1_7vsmem_tEENKUlT_SL_SM_SN_E_clIPS8_SG_SH_SH_EESK_S10_SL_SM_SN_EUlS10_E0_NS1_11comp_targetILNS1_3genE8ELNS1_11target_archE1030ELNS1_3gpuE2ELNS1_3repE0EEENS1_38merge_mergepath_config_static_selectorELNS0_4arch9wavefront6targetE0EEEvSM_.uses_vcc, 1
	.set _ZN7rocprim17ROCPRIM_400000_NS6detail17trampoline_kernelINS0_14default_configENS1_38merge_sort_block_merge_config_selectorIN6thrust23THRUST_200600_302600_NS4pairIiiEENS0_10empty_typeEEEZZNS1_27merge_sort_block_merge_implIS3_NS6_6detail15normal_iteratorINS6_10device_ptrIS8_EEEEPS9_mNS6_4lessIS8_EEEE10hipError_tT0_T1_T2_jT3_P12ihipStream_tbPNSt15iterator_traitsISL_E10value_typeEPNSR_ISM_E10value_typeEPSN_NS1_7vsmem_tEENKUlT_SL_SM_SN_E_clIPS8_SG_SH_SH_EESK_S10_SL_SM_SN_EUlS10_E0_NS1_11comp_targetILNS1_3genE8ELNS1_11target_archE1030ELNS1_3gpuE2ELNS1_3repE0EEENS1_38merge_mergepath_config_static_selectorELNS0_4arch9wavefront6targetE0EEEvSM_.uses_flat_scratch, 0
	.set _ZN7rocprim17ROCPRIM_400000_NS6detail17trampoline_kernelINS0_14default_configENS1_38merge_sort_block_merge_config_selectorIN6thrust23THRUST_200600_302600_NS4pairIiiEENS0_10empty_typeEEEZZNS1_27merge_sort_block_merge_implIS3_NS6_6detail15normal_iteratorINS6_10device_ptrIS8_EEEEPS9_mNS6_4lessIS8_EEEE10hipError_tT0_T1_T2_jT3_P12ihipStream_tbPNSt15iterator_traitsISL_E10value_typeEPNSR_ISM_E10value_typeEPSN_NS1_7vsmem_tEENKUlT_SL_SM_SN_E_clIPS8_SG_SH_SH_EESK_S10_SL_SM_SN_EUlS10_E0_NS1_11comp_targetILNS1_3genE8ELNS1_11target_archE1030ELNS1_3gpuE2ELNS1_3repE0EEENS1_38merge_mergepath_config_static_selectorELNS0_4arch9wavefront6targetE0EEEvSM_.has_dyn_sized_stack, 0
	.set _ZN7rocprim17ROCPRIM_400000_NS6detail17trampoline_kernelINS0_14default_configENS1_38merge_sort_block_merge_config_selectorIN6thrust23THRUST_200600_302600_NS4pairIiiEENS0_10empty_typeEEEZZNS1_27merge_sort_block_merge_implIS3_NS6_6detail15normal_iteratorINS6_10device_ptrIS8_EEEEPS9_mNS6_4lessIS8_EEEE10hipError_tT0_T1_T2_jT3_P12ihipStream_tbPNSt15iterator_traitsISL_E10value_typeEPNSR_ISM_E10value_typeEPSN_NS1_7vsmem_tEENKUlT_SL_SM_SN_E_clIPS8_SG_SH_SH_EESK_S10_SL_SM_SN_EUlS10_E0_NS1_11comp_targetILNS1_3genE8ELNS1_11target_archE1030ELNS1_3gpuE2ELNS1_3repE0EEENS1_38merge_mergepath_config_static_selectorELNS0_4arch9wavefront6targetE0EEEvSM_.has_recursion, 0
	.set _ZN7rocprim17ROCPRIM_400000_NS6detail17trampoline_kernelINS0_14default_configENS1_38merge_sort_block_merge_config_selectorIN6thrust23THRUST_200600_302600_NS4pairIiiEENS0_10empty_typeEEEZZNS1_27merge_sort_block_merge_implIS3_NS6_6detail15normal_iteratorINS6_10device_ptrIS8_EEEEPS9_mNS6_4lessIS8_EEEE10hipError_tT0_T1_T2_jT3_P12ihipStream_tbPNSt15iterator_traitsISL_E10value_typeEPNSR_ISM_E10value_typeEPSN_NS1_7vsmem_tEENKUlT_SL_SM_SN_E_clIPS8_SG_SH_SH_EESK_S10_SL_SM_SN_EUlS10_E0_NS1_11comp_targetILNS1_3genE8ELNS1_11target_archE1030ELNS1_3gpuE2ELNS1_3repE0EEENS1_38merge_mergepath_config_static_selectorELNS0_4arch9wavefront6targetE0EEEvSM_.has_indirect_call, 0
	.section	.AMDGPU.csdata,"",@progbits
; Kernel info:
; codeLenInByte = 1008
; TotalNumSgprs: 26
; NumVgprs: 13
; ScratchSize: 0
; MemoryBound: 0
; FloatMode: 240
; IeeeMode: 1
; LDSByteSize: 8208 bytes/workgroup (compile time only)
; SGPRBlocks: 0
; VGPRBlocks: 1
; NumSGPRsForWavesPerEU: 26
; NumVGPRsForWavesPerEU: 13
; Occupancy: 16
; WaveLimiterHint : 1
; COMPUTE_PGM_RSRC2:SCRATCH_EN: 0
; COMPUTE_PGM_RSRC2:USER_SGPR: 6
; COMPUTE_PGM_RSRC2:TRAP_HANDLER: 0
; COMPUTE_PGM_RSRC2:TGID_X_EN: 1
; COMPUTE_PGM_RSRC2:TGID_Y_EN: 1
; COMPUTE_PGM_RSRC2:TGID_Z_EN: 1
; COMPUTE_PGM_RSRC2:TIDIG_COMP_CNT: 0
	.section	.text._ZN7rocprim17ROCPRIM_400000_NS6detail17trampoline_kernelINS0_14default_configENS1_38merge_sort_block_merge_config_selectorIN6thrust23THRUST_200600_302600_NS4pairIiiEENS0_10empty_typeEEEZZNS1_27merge_sort_block_merge_implIS3_NS6_6detail15normal_iteratorINS6_10device_ptrIS8_EEEEPS9_mNS6_4lessIS8_EEEE10hipError_tT0_T1_T2_jT3_P12ihipStream_tbPNSt15iterator_traitsISL_E10value_typeEPNSR_ISM_E10value_typeEPSN_NS1_7vsmem_tEENKUlT_SL_SM_SN_E_clIPS8_SG_SH_SH_EESK_S10_SL_SM_SN_EUlS10_E1_NS1_11comp_targetILNS1_3genE0ELNS1_11target_archE4294967295ELNS1_3gpuE0ELNS1_3repE0EEENS1_36merge_oddeven_config_static_selectorELNS0_4arch9wavefront6targetE0EEEvSM_,"axG",@progbits,_ZN7rocprim17ROCPRIM_400000_NS6detail17trampoline_kernelINS0_14default_configENS1_38merge_sort_block_merge_config_selectorIN6thrust23THRUST_200600_302600_NS4pairIiiEENS0_10empty_typeEEEZZNS1_27merge_sort_block_merge_implIS3_NS6_6detail15normal_iteratorINS6_10device_ptrIS8_EEEEPS9_mNS6_4lessIS8_EEEE10hipError_tT0_T1_T2_jT3_P12ihipStream_tbPNSt15iterator_traitsISL_E10value_typeEPNSR_ISM_E10value_typeEPSN_NS1_7vsmem_tEENKUlT_SL_SM_SN_E_clIPS8_SG_SH_SH_EESK_S10_SL_SM_SN_EUlS10_E1_NS1_11comp_targetILNS1_3genE0ELNS1_11target_archE4294967295ELNS1_3gpuE0ELNS1_3repE0EEENS1_36merge_oddeven_config_static_selectorELNS0_4arch9wavefront6targetE0EEEvSM_,comdat
	.protected	_ZN7rocprim17ROCPRIM_400000_NS6detail17trampoline_kernelINS0_14default_configENS1_38merge_sort_block_merge_config_selectorIN6thrust23THRUST_200600_302600_NS4pairIiiEENS0_10empty_typeEEEZZNS1_27merge_sort_block_merge_implIS3_NS6_6detail15normal_iteratorINS6_10device_ptrIS8_EEEEPS9_mNS6_4lessIS8_EEEE10hipError_tT0_T1_T2_jT3_P12ihipStream_tbPNSt15iterator_traitsISL_E10value_typeEPNSR_ISM_E10value_typeEPSN_NS1_7vsmem_tEENKUlT_SL_SM_SN_E_clIPS8_SG_SH_SH_EESK_S10_SL_SM_SN_EUlS10_E1_NS1_11comp_targetILNS1_3genE0ELNS1_11target_archE4294967295ELNS1_3gpuE0ELNS1_3repE0EEENS1_36merge_oddeven_config_static_selectorELNS0_4arch9wavefront6targetE0EEEvSM_ ; -- Begin function _ZN7rocprim17ROCPRIM_400000_NS6detail17trampoline_kernelINS0_14default_configENS1_38merge_sort_block_merge_config_selectorIN6thrust23THRUST_200600_302600_NS4pairIiiEENS0_10empty_typeEEEZZNS1_27merge_sort_block_merge_implIS3_NS6_6detail15normal_iteratorINS6_10device_ptrIS8_EEEEPS9_mNS6_4lessIS8_EEEE10hipError_tT0_T1_T2_jT3_P12ihipStream_tbPNSt15iterator_traitsISL_E10value_typeEPNSR_ISM_E10value_typeEPSN_NS1_7vsmem_tEENKUlT_SL_SM_SN_E_clIPS8_SG_SH_SH_EESK_S10_SL_SM_SN_EUlS10_E1_NS1_11comp_targetILNS1_3genE0ELNS1_11target_archE4294967295ELNS1_3gpuE0ELNS1_3repE0EEENS1_36merge_oddeven_config_static_selectorELNS0_4arch9wavefront6targetE0EEEvSM_
	.globl	_ZN7rocprim17ROCPRIM_400000_NS6detail17trampoline_kernelINS0_14default_configENS1_38merge_sort_block_merge_config_selectorIN6thrust23THRUST_200600_302600_NS4pairIiiEENS0_10empty_typeEEEZZNS1_27merge_sort_block_merge_implIS3_NS6_6detail15normal_iteratorINS6_10device_ptrIS8_EEEEPS9_mNS6_4lessIS8_EEEE10hipError_tT0_T1_T2_jT3_P12ihipStream_tbPNSt15iterator_traitsISL_E10value_typeEPNSR_ISM_E10value_typeEPSN_NS1_7vsmem_tEENKUlT_SL_SM_SN_E_clIPS8_SG_SH_SH_EESK_S10_SL_SM_SN_EUlS10_E1_NS1_11comp_targetILNS1_3genE0ELNS1_11target_archE4294967295ELNS1_3gpuE0ELNS1_3repE0EEENS1_36merge_oddeven_config_static_selectorELNS0_4arch9wavefront6targetE0EEEvSM_
	.p2align	8
	.type	_ZN7rocprim17ROCPRIM_400000_NS6detail17trampoline_kernelINS0_14default_configENS1_38merge_sort_block_merge_config_selectorIN6thrust23THRUST_200600_302600_NS4pairIiiEENS0_10empty_typeEEEZZNS1_27merge_sort_block_merge_implIS3_NS6_6detail15normal_iteratorINS6_10device_ptrIS8_EEEEPS9_mNS6_4lessIS8_EEEE10hipError_tT0_T1_T2_jT3_P12ihipStream_tbPNSt15iterator_traitsISL_E10value_typeEPNSR_ISM_E10value_typeEPSN_NS1_7vsmem_tEENKUlT_SL_SM_SN_E_clIPS8_SG_SH_SH_EESK_S10_SL_SM_SN_EUlS10_E1_NS1_11comp_targetILNS1_3genE0ELNS1_11target_archE4294967295ELNS1_3gpuE0ELNS1_3repE0EEENS1_36merge_oddeven_config_static_selectorELNS0_4arch9wavefront6targetE0EEEvSM_,@function
_ZN7rocprim17ROCPRIM_400000_NS6detail17trampoline_kernelINS0_14default_configENS1_38merge_sort_block_merge_config_selectorIN6thrust23THRUST_200600_302600_NS4pairIiiEENS0_10empty_typeEEEZZNS1_27merge_sort_block_merge_implIS3_NS6_6detail15normal_iteratorINS6_10device_ptrIS8_EEEEPS9_mNS6_4lessIS8_EEEE10hipError_tT0_T1_T2_jT3_P12ihipStream_tbPNSt15iterator_traitsISL_E10value_typeEPNSR_ISM_E10value_typeEPSN_NS1_7vsmem_tEENKUlT_SL_SM_SN_E_clIPS8_SG_SH_SH_EESK_S10_SL_SM_SN_EUlS10_E1_NS1_11comp_targetILNS1_3genE0ELNS1_11target_archE4294967295ELNS1_3gpuE0ELNS1_3repE0EEENS1_36merge_oddeven_config_static_selectorELNS0_4arch9wavefront6targetE0EEEvSM_: ; @_ZN7rocprim17ROCPRIM_400000_NS6detail17trampoline_kernelINS0_14default_configENS1_38merge_sort_block_merge_config_selectorIN6thrust23THRUST_200600_302600_NS4pairIiiEENS0_10empty_typeEEEZZNS1_27merge_sort_block_merge_implIS3_NS6_6detail15normal_iteratorINS6_10device_ptrIS8_EEEEPS9_mNS6_4lessIS8_EEEE10hipError_tT0_T1_T2_jT3_P12ihipStream_tbPNSt15iterator_traitsISL_E10value_typeEPNSR_ISM_E10value_typeEPSN_NS1_7vsmem_tEENKUlT_SL_SM_SN_E_clIPS8_SG_SH_SH_EESK_S10_SL_SM_SN_EUlS10_E1_NS1_11comp_targetILNS1_3genE0ELNS1_11target_archE4294967295ELNS1_3gpuE0ELNS1_3repE0EEENS1_36merge_oddeven_config_static_selectorELNS0_4arch9wavefront6targetE0EEEvSM_
; %bb.0:
	.section	.rodata,"a",@progbits
	.p2align	6, 0x0
	.amdhsa_kernel _ZN7rocprim17ROCPRIM_400000_NS6detail17trampoline_kernelINS0_14default_configENS1_38merge_sort_block_merge_config_selectorIN6thrust23THRUST_200600_302600_NS4pairIiiEENS0_10empty_typeEEEZZNS1_27merge_sort_block_merge_implIS3_NS6_6detail15normal_iteratorINS6_10device_ptrIS8_EEEEPS9_mNS6_4lessIS8_EEEE10hipError_tT0_T1_T2_jT3_P12ihipStream_tbPNSt15iterator_traitsISL_E10value_typeEPNSR_ISM_E10value_typeEPSN_NS1_7vsmem_tEENKUlT_SL_SM_SN_E_clIPS8_SG_SH_SH_EESK_S10_SL_SM_SN_EUlS10_E1_NS1_11comp_targetILNS1_3genE0ELNS1_11target_archE4294967295ELNS1_3gpuE0ELNS1_3repE0EEENS1_36merge_oddeven_config_static_selectorELNS0_4arch9wavefront6targetE0EEEvSM_
		.amdhsa_group_segment_fixed_size 0
		.amdhsa_private_segment_fixed_size 0
		.amdhsa_kernarg_size 56
		.amdhsa_user_sgpr_count 6
		.amdhsa_user_sgpr_private_segment_buffer 1
		.amdhsa_user_sgpr_dispatch_ptr 0
		.amdhsa_user_sgpr_queue_ptr 0
		.amdhsa_user_sgpr_kernarg_segment_ptr 1
		.amdhsa_user_sgpr_dispatch_id 0
		.amdhsa_user_sgpr_flat_scratch_init 0
		.amdhsa_user_sgpr_private_segment_size 0
		.amdhsa_wavefront_size32 1
		.amdhsa_uses_dynamic_stack 0
		.amdhsa_system_sgpr_private_segment_wavefront_offset 0
		.amdhsa_system_sgpr_workgroup_id_x 1
		.amdhsa_system_sgpr_workgroup_id_y 0
		.amdhsa_system_sgpr_workgroup_id_z 0
		.amdhsa_system_sgpr_workgroup_info 0
		.amdhsa_system_vgpr_workitem_id 0
		.amdhsa_next_free_vgpr 1
		.amdhsa_next_free_sgpr 1
		.amdhsa_reserve_vcc 0
		.amdhsa_reserve_flat_scratch 0
		.amdhsa_float_round_mode_32 0
		.amdhsa_float_round_mode_16_64 0
		.amdhsa_float_denorm_mode_32 3
		.amdhsa_float_denorm_mode_16_64 3
		.amdhsa_dx10_clamp 1
		.amdhsa_ieee_mode 1
		.amdhsa_fp16_overflow 0
		.amdhsa_workgroup_processor_mode 1
		.amdhsa_memory_ordered 1
		.amdhsa_forward_progress 1
		.amdhsa_shared_vgpr_count 0
		.amdhsa_exception_fp_ieee_invalid_op 0
		.amdhsa_exception_fp_denorm_src 0
		.amdhsa_exception_fp_ieee_div_zero 0
		.amdhsa_exception_fp_ieee_overflow 0
		.amdhsa_exception_fp_ieee_underflow 0
		.amdhsa_exception_fp_ieee_inexact 0
		.amdhsa_exception_int_div_zero 0
	.end_amdhsa_kernel
	.section	.text._ZN7rocprim17ROCPRIM_400000_NS6detail17trampoline_kernelINS0_14default_configENS1_38merge_sort_block_merge_config_selectorIN6thrust23THRUST_200600_302600_NS4pairIiiEENS0_10empty_typeEEEZZNS1_27merge_sort_block_merge_implIS3_NS6_6detail15normal_iteratorINS6_10device_ptrIS8_EEEEPS9_mNS6_4lessIS8_EEEE10hipError_tT0_T1_T2_jT3_P12ihipStream_tbPNSt15iterator_traitsISL_E10value_typeEPNSR_ISM_E10value_typeEPSN_NS1_7vsmem_tEENKUlT_SL_SM_SN_E_clIPS8_SG_SH_SH_EESK_S10_SL_SM_SN_EUlS10_E1_NS1_11comp_targetILNS1_3genE0ELNS1_11target_archE4294967295ELNS1_3gpuE0ELNS1_3repE0EEENS1_36merge_oddeven_config_static_selectorELNS0_4arch9wavefront6targetE0EEEvSM_,"axG",@progbits,_ZN7rocprim17ROCPRIM_400000_NS6detail17trampoline_kernelINS0_14default_configENS1_38merge_sort_block_merge_config_selectorIN6thrust23THRUST_200600_302600_NS4pairIiiEENS0_10empty_typeEEEZZNS1_27merge_sort_block_merge_implIS3_NS6_6detail15normal_iteratorINS6_10device_ptrIS8_EEEEPS9_mNS6_4lessIS8_EEEE10hipError_tT0_T1_T2_jT3_P12ihipStream_tbPNSt15iterator_traitsISL_E10value_typeEPNSR_ISM_E10value_typeEPSN_NS1_7vsmem_tEENKUlT_SL_SM_SN_E_clIPS8_SG_SH_SH_EESK_S10_SL_SM_SN_EUlS10_E1_NS1_11comp_targetILNS1_3genE0ELNS1_11target_archE4294967295ELNS1_3gpuE0ELNS1_3repE0EEENS1_36merge_oddeven_config_static_selectorELNS0_4arch9wavefront6targetE0EEEvSM_,comdat
.Lfunc_end649:
	.size	_ZN7rocprim17ROCPRIM_400000_NS6detail17trampoline_kernelINS0_14default_configENS1_38merge_sort_block_merge_config_selectorIN6thrust23THRUST_200600_302600_NS4pairIiiEENS0_10empty_typeEEEZZNS1_27merge_sort_block_merge_implIS3_NS6_6detail15normal_iteratorINS6_10device_ptrIS8_EEEEPS9_mNS6_4lessIS8_EEEE10hipError_tT0_T1_T2_jT3_P12ihipStream_tbPNSt15iterator_traitsISL_E10value_typeEPNSR_ISM_E10value_typeEPSN_NS1_7vsmem_tEENKUlT_SL_SM_SN_E_clIPS8_SG_SH_SH_EESK_S10_SL_SM_SN_EUlS10_E1_NS1_11comp_targetILNS1_3genE0ELNS1_11target_archE4294967295ELNS1_3gpuE0ELNS1_3repE0EEENS1_36merge_oddeven_config_static_selectorELNS0_4arch9wavefront6targetE0EEEvSM_, .Lfunc_end649-_ZN7rocprim17ROCPRIM_400000_NS6detail17trampoline_kernelINS0_14default_configENS1_38merge_sort_block_merge_config_selectorIN6thrust23THRUST_200600_302600_NS4pairIiiEENS0_10empty_typeEEEZZNS1_27merge_sort_block_merge_implIS3_NS6_6detail15normal_iteratorINS6_10device_ptrIS8_EEEEPS9_mNS6_4lessIS8_EEEE10hipError_tT0_T1_T2_jT3_P12ihipStream_tbPNSt15iterator_traitsISL_E10value_typeEPNSR_ISM_E10value_typeEPSN_NS1_7vsmem_tEENKUlT_SL_SM_SN_E_clIPS8_SG_SH_SH_EESK_S10_SL_SM_SN_EUlS10_E1_NS1_11comp_targetILNS1_3genE0ELNS1_11target_archE4294967295ELNS1_3gpuE0ELNS1_3repE0EEENS1_36merge_oddeven_config_static_selectorELNS0_4arch9wavefront6targetE0EEEvSM_
                                        ; -- End function
	.set _ZN7rocprim17ROCPRIM_400000_NS6detail17trampoline_kernelINS0_14default_configENS1_38merge_sort_block_merge_config_selectorIN6thrust23THRUST_200600_302600_NS4pairIiiEENS0_10empty_typeEEEZZNS1_27merge_sort_block_merge_implIS3_NS6_6detail15normal_iteratorINS6_10device_ptrIS8_EEEEPS9_mNS6_4lessIS8_EEEE10hipError_tT0_T1_T2_jT3_P12ihipStream_tbPNSt15iterator_traitsISL_E10value_typeEPNSR_ISM_E10value_typeEPSN_NS1_7vsmem_tEENKUlT_SL_SM_SN_E_clIPS8_SG_SH_SH_EESK_S10_SL_SM_SN_EUlS10_E1_NS1_11comp_targetILNS1_3genE0ELNS1_11target_archE4294967295ELNS1_3gpuE0ELNS1_3repE0EEENS1_36merge_oddeven_config_static_selectorELNS0_4arch9wavefront6targetE0EEEvSM_.num_vgpr, 0
	.set _ZN7rocprim17ROCPRIM_400000_NS6detail17trampoline_kernelINS0_14default_configENS1_38merge_sort_block_merge_config_selectorIN6thrust23THRUST_200600_302600_NS4pairIiiEENS0_10empty_typeEEEZZNS1_27merge_sort_block_merge_implIS3_NS6_6detail15normal_iteratorINS6_10device_ptrIS8_EEEEPS9_mNS6_4lessIS8_EEEE10hipError_tT0_T1_T2_jT3_P12ihipStream_tbPNSt15iterator_traitsISL_E10value_typeEPNSR_ISM_E10value_typeEPSN_NS1_7vsmem_tEENKUlT_SL_SM_SN_E_clIPS8_SG_SH_SH_EESK_S10_SL_SM_SN_EUlS10_E1_NS1_11comp_targetILNS1_3genE0ELNS1_11target_archE4294967295ELNS1_3gpuE0ELNS1_3repE0EEENS1_36merge_oddeven_config_static_selectorELNS0_4arch9wavefront6targetE0EEEvSM_.num_agpr, 0
	.set _ZN7rocprim17ROCPRIM_400000_NS6detail17trampoline_kernelINS0_14default_configENS1_38merge_sort_block_merge_config_selectorIN6thrust23THRUST_200600_302600_NS4pairIiiEENS0_10empty_typeEEEZZNS1_27merge_sort_block_merge_implIS3_NS6_6detail15normal_iteratorINS6_10device_ptrIS8_EEEEPS9_mNS6_4lessIS8_EEEE10hipError_tT0_T1_T2_jT3_P12ihipStream_tbPNSt15iterator_traitsISL_E10value_typeEPNSR_ISM_E10value_typeEPSN_NS1_7vsmem_tEENKUlT_SL_SM_SN_E_clIPS8_SG_SH_SH_EESK_S10_SL_SM_SN_EUlS10_E1_NS1_11comp_targetILNS1_3genE0ELNS1_11target_archE4294967295ELNS1_3gpuE0ELNS1_3repE0EEENS1_36merge_oddeven_config_static_selectorELNS0_4arch9wavefront6targetE0EEEvSM_.numbered_sgpr, 0
	.set _ZN7rocprim17ROCPRIM_400000_NS6detail17trampoline_kernelINS0_14default_configENS1_38merge_sort_block_merge_config_selectorIN6thrust23THRUST_200600_302600_NS4pairIiiEENS0_10empty_typeEEEZZNS1_27merge_sort_block_merge_implIS3_NS6_6detail15normal_iteratorINS6_10device_ptrIS8_EEEEPS9_mNS6_4lessIS8_EEEE10hipError_tT0_T1_T2_jT3_P12ihipStream_tbPNSt15iterator_traitsISL_E10value_typeEPNSR_ISM_E10value_typeEPSN_NS1_7vsmem_tEENKUlT_SL_SM_SN_E_clIPS8_SG_SH_SH_EESK_S10_SL_SM_SN_EUlS10_E1_NS1_11comp_targetILNS1_3genE0ELNS1_11target_archE4294967295ELNS1_3gpuE0ELNS1_3repE0EEENS1_36merge_oddeven_config_static_selectorELNS0_4arch9wavefront6targetE0EEEvSM_.num_named_barrier, 0
	.set _ZN7rocprim17ROCPRIM_400000_NS6detail17trampoline_kernelINS0_14default_configENS1_38merge_sort_block_merge_config_selectorIN6thrust23THRUST_200600_302600_NS4pairIiiEENS0_10empty_typeEEEZZNS1_27merge_sort_block_merge_implIS3_NS6_6detail15normal_iteratorINS6_10device_ptrIS8_EEEEPS9_mNS6_4lessIS8_EEEE10hipError_tT0_T1_T2_jT3_P12ihipStream_tbPNSt15iterator_traitsISL_E10value_typeEPNSR_ISM_E10value_typeEPSN_NS1_7vsmem_tEENKUlT_SL_SM_SN_E_clIPS8_SG_SH_SH_EESK_S10_SL_SM_SN_EUlS10_E1_NS1_11comp_targetILNS1_3genE0ELNS1_11target_archE4294967295ELNS1_3gpuE0ELNS1_3repE0EEENS1_36merge_oddeven_config_static_selectorELNS0_4arch9wavefront6targetE0EEEvSM_.private_seg_size, 0
	.set _ZN7rocprim17ROCPRIM_400000_NS6detail17trampoline_kernelINS0_14default_configENS1_38merge_sort_block_merge_config_selectorIN6thrust23THRUST_200600_302600_NS4pairIiiEENS0_10empty_typeEEEZZNS1_27merge_sort_block_merge_implIS3_NS6_6detail15normal_iteratorINS6_10device_ptrIS8_EEEEPS9_mNS6_4lessIS8_EEEE10hipError_tT0_T1_T2_jT3_P12ihipStream_tbPNSt15iterator_traitsISL_E10value_typeEPNSR_ISM_E10value_typeEPSN_NS1_7vsmem_tEENKUlT_SL_SM_SN_E_clIPS8_SG_SH_SH_EESK_S10_SL_SM_SN_EUlS10_E1_NS1_11comp_targetILNS1_3genE0ELNS1_11target_archE4294967295ELNS1_3gpuE0ELNS1_3repE0EEENS1_36merge_oddeven_config_static_selectorELNS0_4arch9wavefront6targetE0EEEvSM_.uses_vcc, 0
	.set _ZN7rocprim17ROCPRIM_400000_NS6detail17trampoline_kernelINS0_14default_configENS1_38merge_sort_block_merge_config_selectorIN6thrust23THRUST_200600_302600_NS4pairIiiEENS0_10empty_typeEEEZZNS1_27merge_sort_block_merge_implIS3_NS6_6detail15normal_iteratorINS6_10device_ptrIS8_EEEEPS9_mNS6_4lessIS8_EEEE10hipError_tT0_T1_T2_jT3_P12ihipStream_tbPNSt15iterator_traitsISL_E10value_typeEPNSR_ISM_E10value_typeEPSN_NS1_7vsmem_tEENKUlT_SL_SM_SN_E_clIPS8_SG_SH_SH_EESK_S10_SL_SM_SN_EUlS10_E1_NS1_11comp_targetILNS1_3genE0ELNS1_11target_archE4294967295ELNS1_3gpuE0ELNS1_3repE0EEENS1_36merge_oddeven_config_static_selectorELNS0_4arch9wavefront6targetE0EEEvSM_.uses_flat_scratch, 0
	.set _ZN7rocprim17ROCPRIM_400000_NS6detail17trampoline_kernelINS0_14default_configENS1_38merge_sort_block_merge_config_selectorIN6thrust23THRUST_200600_302600_NS4pairIiiEENS0_10empty_typeEEEZZNS1_27merge_sort_block_merge_implIS3_NS6_6detail15normal_iteratorINS6_10device_ptrIS8_EEEEPS9_mNS6_4lessIS8_EEEE10hipError_tT0_T1_T2_jT3_P12ihipStream_tbPNSt15iterator_traitsISL_E10value_typeEPNSR_ISM_E10value_typeEPSN_NS1_7vsmem_tEENKUlT_SL_SM_SN_E_clIPS8_SG_SH_SH_EESK_S10_SL_SM_SN_EUlS10_E1_NS1_11comp_targetILNS1_3genE0ELNS1_11target_archE4294967295ELNS1_3gpuE0ELNS1_3repE0EEENS1_36merge_oddeven_config_static_selectorELNS0_4arch9wavefront6targetE0EEEvSM_.has_dyn_sized_stack, 0
	.set _ZN7rocprim17ROCPRIM_400000_NS6detail17trampoline_kernelINS0_14default_configENS1_38merge_sort_block_merge_config_selectorIN6thrust23THRUST_200600_302600_NS4pairIiiEENS0_10empty_typeEEEZZNS1_27merge_sort_block_merge_implIS3_NS6_6detail15normal_iteratorINS6_10device_ptrIS8_EEEEPS9_mNS6_4lessIS8_EEEE10hipError_tT0_T1_T2_jT3_P12ihipStream_tbPNSt15iterator_traitsISL_E10value_typeEPNSR_ISM_E10value_typeEPSN_NS1_7vsmem_tEENKUlT_SL_SM_SN_E_clIPS8_SG_SH_SH_EESK_S10_SL_SM_SN_EUlS10_E1_NS1_11comp_targetILNS1_3genE0ELNS1_11target_archE4294967295ELNS1_3gpuE0ELNS1_3repE0EEENS1_36merge_oddeven_config_static_selectorELNS0_4arch9wavefront6targetE0EEEvSM_.has_recursion, 0
	.set _ZN7rocprim17ROCPRIM_400000_NS6detail17trampoline_kernelINS0_14default_configENS1_38merge_sort_block_merge_config_selectorIN6thrust23THRUST_200600_302600_NS4pairIiiEENS0_10empty_typeEEEZZNS1_27merge_sort_block_merge_implIS3_NS6_6detail15normal_iteratorINS6_10device_ptrIS8_EEEEPS9_mNS6_4lessIS8_EEEE10hipError_tT0_T1_T2_jT3_P12ihipStream_tbPNSt15iterator_traitsISL_E10value_typeEPNSR_ISM_E10value_typeEPSN_NS1_7vsmem_tEENKUlT_SL_SM_SN_E_clIPS8_SG_SH_SH_EESK_S10_SL_SM_SN_EUlS10_E1_NS1_11comp_targetILNS1_3genE0ELNS1_11target_archE4294967295ELNS1_3gpuE0ELNS1_3repE0EEENS1_36merge_oddeven_config_static_selectorELNS0_4arch9wavefront6targetE0EEEvSM_.has_indirect_call, 0
	.section	.AMDGPU.csdata,"",@progbits
; Kernel info:
; codeLenInByte = 0
; TotalNumSgprs: 0
; NumVgprs: 0
; ScratchSize: 0
; MemoryBound: 0
; FloatMode: 240
; IeeeMode: 1
; LDSByteSize: 0 bytes/workgroup (compile time only)
; SGPRBlocks: 0
; VGPRBlocks: 0
; NumSGPRsForWavesPerEU: 1
; NumVGPRsForWavesPerEU: 1
; Occupancy: 16
; WaveLimiterHint : 0
; COMPUTE_PGM_RSRC2:SCRATCH_EN: 0
; COMPUTE_PGM_RSRC2:USER_SGPR: 6
; COMPUTE_PGM_RSRC2:TRAP_HANDLER: 0
; COMPUTE_PGM_RSRC2:TGID_X_EN: 1
; COMPUTE_PGM_RSRC2:TGID_Y_EN: 0
; COMPUTE_PGM_RSRC2:TGID_Z_EN: 0
; COMPUTE_PGM_RSRC2:TIDIG_COMP_CNT: 0
	.section	.text._ZN7rocprim17ROCPRIM_400000_NS6detail17trampoline_kernelINS0_14default_configENS1_38merge_sort_block_merge_config_selectorIN6thrust23THRUST_200600_302600_NS4pairIiiEENS0_10empty_typeEEEZZNS1_27merge_sort_block_merge_implIS3_NS6_6detail15normal_iteratorINS6_10device_ptrIS8_EEEEPS9_mNS6_4lessIS8_EEEE10hipError_tT0_T1_T2_jT3_P12ihipStream_tbPNSt15iterator_traitsISL_E10value_typeEPNSR_ISM_E10value_typeEPSN_NS1_7vsmem_tEENKUlT_SL_SM_SN_E_clIPS8_SG_SH_SH_EESK_S10_SL_SM_SN_EUlS10_E1_NS1_11comp_targetILNS1_3genE10ELNS1_11target_archE1201ELNS1_3gpuE5ELNS1_3repE0EEENS1_36merge_oddeven_config_static_selectorELNS0_4arch9wavefront6targetE0EEEvSM_,"axG",@progbits,_ZN7rocprim17ROCPRIM_400000_NS6detail17trampoline_kernelINS0_14default_configENS1_38merge_sort_block_merge_config_selectorIN6thrust23THRUST_200600_302600_NS4pairIiiEENS0_10empty_typeEEEZZNS1_27merge_sort_block_merge_implIS3_NS6_6detail15normal_iteratorINS6_10device_ptrIS8_EEEEPS9_mNS6_4lessIS8_EEEE10hipError_tT0_T1_T2_jT3_P12ihipStream_tbPNSt15iterator_traitsISL_E10value_typeEPNSR_ISM_E10value_typeEPSN_NS1_7vsmem_tEENKUlT_SL_SM_SN_E_clIPS8_SG_SH_SH_EESK_S10_SL_SM_SN_EUlS10_E1_NS1_11comp_targetILNS1_3genE10ELNS1_11target_archE1201ELNS1_3gpuE5ELNS1_3repE0EEENS1_36merge_oddeven_config_static_selectorELNS0_4arch9wavefront6targetE0EEEvSM_,comdat
	.protected	_ZN7rocprim17ROCPRIM_400000_NS6detail17trampoline_kernelINS0_14default_configENS1_38merge_sort_block_merge_config_selectorIN6thrust23THRUST_200600_302600_NS4pairIiiEENS0_10empty_typeEEEZZNS1_27merge_sort_block_merge_implIS3_NS6_6detail15normal_iteratorINS6_10device_ptrIS8_EEEEPS9_mNS6_4lessIS8_EEEE10hipError_tT0_T1_T2_jT3_P12ihipStream_tbPNSt15iterator_traitsISL_E10value_typeEPNSR_ISM_E10value_typeEPSN_NS1_7vsmem_tEENKUlT_SL_SM_SN_E_clIPS8_SG_SH_SH_EESK_S10_SL_SM_SN_EUlS10_E1_NS1_11comp_targetILNS1_3genE10ELNS1_11target_archE1201ELNS1_3gpuE5ELNS1_3repE0EEENS1_36merge_oddeven_config_static_selectorELNS0_4arch9wavefront6targetE0EEEvSM_ ; -- Begin function _ZN7rocprim17ROCPRIM_400000_NS6detail17trampoline_kernelINS0_14default_configENS1_38merge_sort_block_merge_config_selectorIN6thrust23THRUST_200600_302600_NS4pairIiiEENS0_10empty_typeEEEZZNS1_27merge_sort_block_merge_implIS3_NS6_6detail15normal_iteratorINS6_10device_ptrIS8_EEEEPS9_mNS6_4lessIS8_EEEE10hipError_tT0_T1_T2_jT3_P12ihipStream_tbPNSt15iterator_traitsISL_E10value_typeEPNSR_ISM_E10value_typeEPSN_NS1_7vsmem_tEENKUlT_SL_SM_SN_E_clIPS8_SG_SH_SH_EESK_S10_SL_SM_SN_EUlS10_E1_NS1_11comp_targetILNS1_3genE10ELNS1_11target_archE1201ELNS1_3gpuE5ELNS1_3repE0EEENS1_36merge_oddeven_config_static_selectorELNS0_4arch9wavefront6targetE0EEEvSM_
	.globl	_ZN7rocprim17ROCPRIM_400000_NS6detail17trampoline_kernelINS0_14default_configENS1_38merge_sort_block_merge_config_selectorIN6thrust23THRUST_200600_302600_NS4pairIiiEENS0_10empty_typeEEEZZNS1_27merge_sort_block_merge_implIS3_NS6_6detail15normal_iteratorINS6_10device_ptrIS8_EEEEPS9_mNS6_4lessIS8_EEEE10hipError_tT0_T1_T2_jT3_P12ihipStream_tbPNSt15iterator_traitsISL_E10value_typeEPNSR_ISM_E10value_typeEPSN_NS1_7vsmem_tEENKUlT_SL_SM_SN_E_clIPS8_SG_SH_SH_EESK_S10_SL_SM_SN_EUlS10_E1_NS1_11comp_targetILNS1_3genE10ELNS1_11target_archE1201ELNS1_3gpuE5ELNS1_3repE0EEENS1_36merge_oddeven_config_static_selectorELNS0_4arch9wavefront6targetE0EEEvSM_
	.p2align	8
	.type	_ZN7rocprim17ROCPRIM_400000_NS6detail17trampoline_kernelINS0_14default_configENS1_38merge_sort_block_merge_config_selectorIN6thrust23THRUST_200600_302600_NS4pairIiiEENS0_10empty_typeEEEZZNS1_27merge_sort_block_merge_implIS3_NS6_6detail15normal_iteratorINS6_10device_ptrIS8_EEEEPS9_mNS6_4lessIS8_EEEE10hipError_tT0_T1_T2_jT3_P12ihipStream_tbPNSt15iterator_traitsISL_E10value_typeEPNSR_ISM_E10value_typeEPSN_NS1_7vsmem_tEENKUlT_SL_SM_SN_E_clIPS8_SG_SH_SH_EESK_S10_SL_SM_SN_EUlS10_E1_NS1_11comp_targetILNS1_3genE10ELNS1_11target_archE1201ELNS1_3gpuE5ELNS1_3repE0EEENS1_36merge_oddeven_config_static_selectorELNS0_4arch9wavefront6targetE0EEEvSM_,@function
_ZN7rocprim17ROCPRIM_400000_NS6detail17trampoline_kernelINS0_14default_configENS1_38merge_sort_block_merge_config_selectorIN6thrust23THRUST_200600_302600_NS4pairIiiEENS0_10empty_typeEEEZZNS1_27merge_sort_block_merge_implIS3_NS6_6detail15normal_iteratorINS6_10device_ptrIS8_EEEEPS9_mNS6_4lessIS8_EEEE10hipError_tT0_T1_T2_jT3_P12ihipStream_tbPNSt15iterator_traitsISL_E10value_typeEPNSR_ISM_E10value_typeEPSN_NS1_7vsmem_tEENKUlT_SL_SM_SN_E_clIPS8_SG_SH_SH_EESK_S10_SL_SM_SN_EUlS10_E1_NS1_11comp_targetILNS1_3genE10ELNS1_11target_archE1201ELNS1_3gpuE5ELNS1_3repE0EEENS1_36merge_oddeven_config_static_selectorELNS0_4arch9wavefront6targetE0EEEvSM_: ; @_ZN7rocprim17ROCPRIM_400000_NS6detail17trampoline_kernelINS0_14default_configENS1_38merge_sort_block_merge_config_selectorIN6thrust23THRUST_200600_302600_NS4pairIiiEENS0_10empty_typeEEEZZNS1_27merge_sort_block_merge_implIS3_NS6_6detail15normal_iteratorINS6_10device_ptrIS8_EEEEPS9_mNS6_4lessIS8_EEEE10hipError_tT0_T1_T2_jT3_P12ihipStream_tbPNSt15iterator_traitsISL_E10value_typeEPNSR_ISM_E10value_typeEPSN_NS1_7vsmem_tEENKUlT_SL_SM_SN_E_clIPS8_SG_SH_SH_EESK_S10_SL_SM_SN_EUlS10_E1_NS1_11comp_targetILNS1_3genE10ELNS1_11target_archE1201ELNS1_3gpuE5ELNS1_3repE0EEENS1_36merge_oddeven_config_static_selectorELNS0_4arch9wavefront6targetE0EEEvSM_
; %bb.0:
	.section	.rodata,"a",@progbits
	.p2align	6, 0x0
	.amdhsa_kernel _ZN7rocprim17ROCPRIM_400000_NS6detail17trampoline_kernelINS0_14default_configENS1_38merge_sort_block_merge_config_selectorIN6thrust23THRUST_200600_302600_NS4pairIiiEENS0_10empty_typeEEEZZNS1_27merge_sort_block_merge_implIS3_NS6_6detail15normal_iteratorINS6_10device_ptrIS8_EEEEPS9_mNS6_4lessIS8_EEEE10hipError_tT0_T1_T2_jT3_P12ihipStream_tbPNSt15iterator_traitsISL_E10value_typeEPNSR_ISM_E10value_typeEPSN_NS1_7vsmem_tEENKUlT_SL_SM_SN_E_clIPS8_SG_SH_SH_EESK_S10_SL_SM_SN_EUlS10_E1_NS1_11comp_targetILNS1_3genE10ELNS1_11target_archE1201ELNS1_3gpuE5ELNS1_3repE0EEENS1_36merge_oddeven_config_static_selectorELNS0_4arch9wavefront6targetE0EEEvSM_
		.amdhsa_group_segment_fixed_size 0
		.amdhsa_private_segment_fixed_size 0
		.amdhsa_kernarg_size 56
		.amdhsa_user_sgpr_count 6
		.amdhsa_user_sgpr_private_segment_buffer 1
		.amdhsa_user_sgpr_dispatch_ptr 0
		.amdhsa_user_sgpr_queue_ptr 0
		.amdhsa_user_sgpr_kernarg_segment_ptr 1
		.amdhsa_user_sgpr_dispatch_id 0
		.amdhsa_user_sgpr_flat_scratch_init 0
		.amdhsa_user_sgpr_private_segment_size 0
		.amdhsa_wavefront_size32 1
		.amdhsa_uses_dynamic_stack 0
		.amdhsa_system_sgpr_private_segment_wavefront_offset 0
		.amdhsa_system_sgpr_workgroup_id_x 1
		.amdhsa_system_sgpr_workgroup_id_y 0
		.amdhsa_system_sgpr_workgroup_id_z 0
		.amdhsa_system_sgpr_workgroup_info 0
		.amdhsa_system_vgpr_workitem_id 0
		.amdhsa_next_free_vgpr 1
		.amdhsa_next_free_sgpr 1
		.amdhsa_reserve_vcc 0
		.amdhsa_reserve_flat_scratch 0
		.amdhsa_float_round_mode_32 0
		.amdhsa_float_round_mode_16_64 0
		.amdhsa_float_denorm_mode_32 3
		.amdhsa_float_denorm_mode_16_64 3
		.amdhsa_dx10_clamp 1
		.amdhsa_ieee_mode 1
		.amdhsa_fp16_overflow 0
		.amdhsa_workgroup_processor_mode 1
		.amdhsa_memory_ordered 1
		.amdhsa_forward_progress 1
		.amdhsa_shared_vgpr_count 0
		.amdhsa_exception_fp_ieee_invalid_op 0
		.amdhsa_exception_fp_denorm_src 0
		.amdhsa_exception_fp_ieee_div_zero 0
		.amdhsa_exception_fp_ieee_overflow 0
		.amdhsa_exception_fp_ieee_underflow 0
		.amdhsa_exception_fp_ieee_inexact 0
		.amdhsa_exception_int_div_zero 0
	.end_amdhsa_kernel
	.section	.text._ZN7rocprim17ROCPRIM_400000_NS6detail17trampoline_kernelINS0_14default_configENS1_38merge_sort_block_merge_config_selectorIN6thrust23THRUST_200600_302600_NS4pairIiiEENS0_10empty_typeEEEZZNS1_27merge_sort_block_merge_implIS3_NS6_6detail15normal_iteratorINS6_10device_ptrIS8_EEEEPS9_mNS6_4lessIS8_EEEE10hipError_tT0_T1_T2_jT3_P12ihipStream_tbPNSt15iterator_traitsISL_E10value_typeEPNSR_ISM_E10value_typeEPSN_NS1_7vsmem_tEENKUlT_SL_SM_SN_E_clIPS8_SG_SH_SH_EESK_S10_SL_SM_SN_EUlS10_E1_NS1_11comp_targetILNS1_3genE10ELNS1_11target_archE1201ELNS1_3gpuE5ELNS1_3repE0EEENS1_36merge_oddeven_config_static_selectorELNS0_4arch9wavefront6targetE0EEEvSM_,"axG",@progbits,_ZN7rocprim17ROCPRIM_400000_NS6detail17trampoline_kernelINS0_14default_configENS1_38merge_sort_block_merge_config_selectorIN6thrust23THRUST_200600_302600_NS4pairIiiEENS0_10empty_typeEEEZZNS1_27merge_sort_block_merge_implIS3_NS6_6detail15normal_iteratorINS6_10device_ptrIS8_EEEEPS9_mNS6_4lessIS8_EEEE10hipError_tT0_T1_T2_jT3_P12ihipStream_tbPNSt15iterator_traitsISL_E10value_typeEPNSR_ISM_E10value_typeEPSN_NS1_7vsmem_tEENKUlT_SL_SM_SN_E_clIPS8_SG_SH_SH_EESK_S10_SL_SM_SN_EUlS10_E1_NS1_11comp_targetILNS1_3genE10ELNS1_11target_archE1201ELNS1_3gpuE5ELNS1_3repE0EEENS1_36merge_oddeven_config_static_selectorELNS0_4arch9wavefront6targetE0EEEvSM_,comdat
.Lfunc_end650:
	.size	_ZN7rocprim17ROCPRIM_400000_NS6detail17trampoline_kernelINS0_14default_configENS1_38merge_sort_block_merge_config_selectorIN6thrust23THRUST_200600_302600_NS4pairIiiEENS0_10empty_typeEEEZZNS1_27merge_sort_block_merge_implIS3_NS6_6detail15normal_iteratorINS6_10device_ptrIS8_EEEEPS9_mNS6_4lessIS8_EEEE10hipError_tT0_T1_T2_jT3_P12ihipStream_tbPNSt15iterator_traitsISL_E10value_typeEPNSR_ISM_E10value_typeEPSN_NS1_7vsmem_tEENKUlT_SL_SM_SN_E_clIPS8_SG_SH_SH_EESK_S10_SL_SM_SN_EUlS10_E1_NS1_11comp_targetILNS1_3genE10ELNS1_11target_archE1201ELNS1_3gpuE5ELNS1_3repE0EEENS1_36merge_oddeven_config_static_selectorELNS0_4arch9wavefront6targetE0EEEvSM_, .Lfunc_end650-_ZN7rocprim17ROCPRIM_400000_NS6detail17trampoline_kernelINS0_14default_configENS1_38merge_sort_block_merge_config_selectorIN6thrust23THRUST_200600_302600_NS4pairIiiEENS0_10empty_typeEEEZZNS1_27merge_sort_block_merge_implIS3_NS6_6detail15normal_iteratorINS6_10device_ptrIS8_EEEEPS9_mNS6_4lessIS8_EEEE10hipError_tT0_T1_T2_jT3_P12ihipStream_tbPNSt15iterator_traitsISL_E10value_typeEPNSR_ISM_E10value_typeEPSN_NS1_7vsmem_tEENKUlT_SL_SM_SN_E_clIPS8_SG_SH_SH_EESK_S10_SL_SM_SN_EUlS10_E1_NS1_11comp_targetILNS1_3genE10ELNS1_11target_archE1201ELNS1_3gpuE5ELNS1_3repE0EEENS1_36merge_oddeven_config_static_selectorELNS0_4arch9wavefront6targetE0EEEvSM_
                                        ; -- End function
	.set _ZN7rocprim17ROCPRIM_400000_NS6detail17trampoline_kernelINS0_14default_configENS1_38merge_sort_block_merge_config_selectorIN6thrust23THRUST_200600_302600_NS4pairIiiEENS0_10empty_typeEEEZZNS1_27merge_sort_block_merge_implIS3_NS6_6detail15normal_iteratorINS6_10device_ptrIS8_EEEEPS9_mNS6_4lessIS8_EEEE10hipError_tT0_T1_T2_jT3_P12ihipStream_tbPNSt15iterator_traitsISL_E10value_typeEPNSR_ISM_E10value_typeEPSN_NS1_7vsmem_tEENKUlT_SL_SM_SN_E_clIPS8_SG_SH_SH_EESK_S10_SL_SM_SN_EUlS10_E1_NS1_11comp_targetILNS1_3genE10ELNS1_11target_archE1201ELNS1_3gpuE5ELNS1_3repE0EEENS1_36merge_oddeven_config_static_selectorELNS0_4arch9wavefront6targetE0EEEvSM_.num_vgpr, 0
	.set _ZN7rocprim17ROCPRIM_400000_NS6detail17trampoline_kernelINS0_14default_configENS1_38merge_sort_block_merge_config_selectorIN6thrust23THRUST_200600_302600_NS4pairIiiEENS0_10empty_typeEEEZZNS1_27merge_sort_block_merge_implIS3_NS6_6detail15normal_iteratorINS6_10device_ptrIS8_EEEEPS9_mNS6_4lessIS8_EEEE10hipError_tT0_T1_T2_jT3_P12ihipStream_tbPNSt15iterator_traitsISL_E10value_typeEPNSR_ISM_E10value_typeEPSN_NS1_7vsmem_tEENKUlT_SL_SM_SN_E_clIPS8_SG_SH_SH_EESK_S10_SL_SM_SN_EUlS10_E1_NS1_11comp_targetILNS1_3genE10ELNS1_11target_archE1201ELNS1_3gpuE5ELNS1_3repE0EEENS1_36merge_oddeven_config_static_selectorELNS0_4arch9wavefront6targetE0EEEvSM_.num_agpr, 0
	.set _ZN7rocprim17ROCPRIM_400000_NS6detail17trampoline_kernelINS0_14default_configENS1_38merge_sort_block_merge_config_selectorIN6thrust23THRUST_200600_302600_NS4pairIiiEENS0_10empty_typeEEEZZNS1_27merge_sort_block_merge_implIS3_NS6_6detail15normal_iteratorINS6_10device_ptrIS8_EEEEPS9_mNS6_4lessIS8_EEEE10hipError_tT0_T1_T2_jT3_P12ihipStream_tbPNSt15iterator_traitsISL_E10value_typeEPNSR_ISM_E10value_typeEPSN_NS1_7vsmem_tEENKUlT_SL_SM_SN_E_clIPS8_SG_SH_SH_EESK_S10_SL_SM_SN_EUlS10_E1_NS1_11comp_targetILNS1_3genE10ELNS1_11target_archE1201ELNS1_3gpuE5ELNS1_3repE0EEENS1_36merge_oddeven_config_static_selectorELNS0_4arch9wavefront6targetE0EEEvSM_.numbered_sgpr, 0
	.set _ZN7rocprim17ROCPRIM_400000_NS6detail17trampoline_kernelINS0_14default_configENS1_38merge_sort_block_merge_config_selectorIN6thrust23THRUST_200600_302600_NS4pairIiiEENS0_10empty_typeEEEZZNS1_27merge_sort_block_merge_implIS3_NS6_6detail15normal_iteratorINS6_10device_ptrIS8_EEEEPS9_mNS6_4lessIS8_EEEE10hipError_tT0_T1_T2_jT3_P12ihipStream_tbPNSt15iterator_traitsISL_E10value_typeEPNSR_ISM_E10value_typeEPSN_NS1_7vsmem_tEENKUlT_SL_SM_SN_E_clIPS8_SG_SH_SH_EESK_S10_SL_SM_SN_EUlS10_E1_NS1_11comp_targetILNS1_3genE10ELNS1_11target_archE1201ELNS1_3gpuE5ELNS1_3repE0EEENS1_36merge_oddeven_config_static_selectorELNS0_4arch9wavefront6targetE0EEEvSM_.num_named_barrier, 0
	.set _ZN7rocprim17ROCPRIM_400000_NS6detail17trampoline_kernelINS0_14default_configENS1_38merge_sort_block_merge_config_selectorIN6thrust23THRUST_200600_302600_NS4pairIiiEENS0_10empty_typeEEEZZNS1_27merge_sort_block_merge_implIS3_NS6_6detail15normal_iteratorINS6_10device_ptrIS8_EEEEPS9_mNS6_4lessIS8_EEEE10hipError_tT0_T1_T2_jT3_P12ihipStream_tbPNSt15iterator_traitsISL_E10value_typeEPNSR_ISM_E10value_typeEPSN_NS1_7vsmem_tEENKUlT_SL_SM_SN_E_clIPS8_SG_SH_SH_EESK_S10_SL_SM_SN_EUlS10_E1_NS1_11comp_targetILNS1_3genE10ELNS1_11target_archE1201ELNS1_3gpuE5ELNS1_3repE0EEENS1_36merge_oddeven_config_static_selectorELNS0_4arch9wavefront6targetE0EEEvSM_.private_seg_size, 0
	.set _ZN7rocprim17ROCPRIM_400000_NS6detail17trampoline_kernelINS0_14default_configENS1_38merge_sort_block_merge_config_selectorIN6thrust23THRUST_200600_302600_NS4pairIiiEENS0_10empty_typeEEEZZNS1_27merge_sort_block_merge_implIS3_NS6_6detail15normal_iteratorINS6_10device_ptrIS8_EEEEPS9_mNS6_4lessIS8_EEEE10hipError_tT0_T1_T2_jT3_P12ihipStream_tbPNSt15iterator_traitsISL_E10value_typeEPNSR_ISM_E10value_typeEPSN_NS1_7vsmem_tEENKUlT_SL_SM_SN_E_clIPS8_SG_SH_SH_EESK_S10_SL_SM_SN_EUlS10_E1_NS1_11comp_targetILNS1_3genE10ELNS1_11target_archE1201ELNS1_3gpuE5ELNS1_3repE0EEENS1_36merge_oddeven_config_static_selectorELNS0_4arch9wavefront6targetE0EEEvSM_.uses_vcc, 0
	.set _ZN7rocprim17ROCPRIM_400000_NS6detail17trampoline_kernelINS0_14default_configENS1_38merge_sort_block_merge_config_selectorIN6thrust23THRUST_200600_302600_NS4pairIiiEENS0_10empty_typeEEEZZNS1_27merge_sort_block_merge_implIS3_NS6_6detail15normal_iteratorINS6_10device_ptrIS8_EEEEPS9_mNS6_4lessIS8_EEEE10hipError_tT0_T1_T2_jT3_P12ihipStream_tbPNSt15iterator_traitsISL_E10value_typeEPNSR_ISM_E10value_typeEPSN_NS1_7vsmem_tEENKUlT_SL_SM_SN_E_clIPS8_SG_SH_SH_EESK_S10_SL_SM_SN_EUlS10_E1_NS1_11comp_targetILNS1_3genE10ELNS1_11target_archE1201ELNS1_3gpuE5ELNS1_3repE0EEENS1_36merge_oddeven_config_static_selectorELNS0_4arch9wavefront6targetE0EEEvSM_.uses_flat_scratch, 0
	.set _ZN7rocprim17ROCPRIM_400000_NS6detail17trampoline_kernelINS0_14default_configENS1_38merge_sort_block_merge_config_selectorIN6thrust23THRUST_200600_302600_NS4pairIiiEENS0_10empty_typeEEEZZNS1_27merge_sort_block_merge_implIS3_NS6_6detail15normal_iteratorINS6_10device_ptrIS8_EEEEPS9_mNS6_4lessIS8_EEEE10hipError_tT0_T1_T2_jT3_P12ihipStream_tbPNSt15iterator_traitsISL_E10value_typeEPNSR_ISM_E10value_typeEPSN_NS1_7vsmem_tEENKUlT_SL_SM_SN_E_clIPS8_SG_SH_SH_EESK_S10_SL_SM_SN_EUlS10_E1_NS1_11comp_targetILNS1_3genE10ELNS1_11target_archE1201ELNS1_3gpuE5ELNS1_3repE0EEENS1_36merge_oddeven_config_static_selectorELNS0_4arch9wavefront6targetE0EEEvSM_.has_dyn_sized_stack, 0
	.set _ZN7rocprim17ROCPRIM_400000_NS6detail17trampoline_kernelINS0_14default_configENS1_38merge_sort_block_merge_config_selectorIN6thrust23THRUST_200600_302600_NS4pairIiiEENS0_10empty_typeEEEZZNS1_27merge_sort_block_merge_implIS3_NS6_6detail15normal_iteratorINS6_10device_ptrIS8_EEEEPS9_mNS6_4lessIS8_EEEE10hipError_tT0_T1_T2_jT3_P12ihipStream_tbPNSt15iterator_traitsISL_E10value_typeEPNSR_ISM_E10value_typeEPSN_NS1_7vsmem_tEENKUlT_SL_SM_SN_E_clIPS8_SG_SH_SH_EESK_S10_SL_SM_SN_EUlS10_E1_NS1_11comp_targetILNS1_3genE10ELNS1_11target_archE1201ELNS1_3gpuE5ELNS1_3repE0EEENS1_36merge_oddeven_config_static_selectorELNS0_4arch9wavefront6targetE0EEEvSM_.has_recursion, 0
	.set _ZN7rocprim17ROCPRIM_400000_NS6detail17trampoline_kernelINS0_14default_configENS1_38merge_sort_block_merge_config_selectorIN6thrust23THRUST_200600_302600_NS4pairIiiEENS0_10empty_typeEEEZZNS1_27merge_sort_block_merge_implIS3_NS6_6detail15normal_iteratorINS6_10device_ptrIS8_EEEEPS9_mNS6_4lessIS8_EEEE10hipError_tT0_T1_T2_jT3_P12ihipStream_tbPNSt15iterator_traitsISL_E10value_typeEPNSR_ISM_E10value_typeEPSN_NS1_7vsmem_tEENKUlT_SL_SM_SN_E_clIPS8_SG_SH_SH_EESK_S10_SL_SM_SN_EUlS10_E1_NS1_11comp_targetILNS1_3genE10ELNS1_11target_archE1201ELNS1_3gpuE5ELNS1_3repE0EEENS1_36merge_oddeven_config_static_selectorELNS0_4arch9wavefront6targetE0EEEvSM_.has_indirect_call, 0
	.section	.AMDGPU.csdata,"",@progbits
; Kernel info:
; codeLenInByte = 0
; TotalNumSgprs: 0
; NumVgprs: 0
; ScratchSize: 0
; MemoryBound: 0
; FloatMode: 240
; IeeeMode: 1
; LDSByteSize: 0 bytes/workgroup (compile time only)
; SGPRBlocks: 0
; VGPRBlocks: 0
; NumSGPRsForWavesPerEU: 1
; NumVGPRsForWavesPerEU: 1
; Occupancy: 16
; WaveLimiterHint : 0
; COMPUTE_PGM_RSRC2:SCRATCH_EN: 0
; COMPUTE_PGM_RSRC2:USER_SGPR: 6
; COMPUTE_PGM_RSRC2:TRAP_HANDLER: 0
; COMPUTE_PGM_RSRC2:TGID_X_EN: 1
; COMPUTE_PGM_RSRC2:TGID_Y_EN: 0
; COMPUTE_PGM_RSRC2:TGID_Z_EN: 0
; COMPUTE_PGM_RSRC2:TIDIG_COMP_CNT: 0
	.section	.text._ZN7rocprim17ROCPRIM_400000_NS6detail17trampoline_kernelINS0_14default_configENS1_38merge_sort_block_merge_config_selectorIN6thrust23THRUST_200600_302600_NS4pairIiiEENS0_10empty_typeEEEZZNS1_27merge_sort_block_merge_implIS3_NS6_6detail15normal_iteratorINS6_10device_ptrIS8_EEEEPS9_mNS6_4lessIS8_EEEE10hipError_tT0_T1_T2_jT3_P12ihipStream_tbPNSt15iterator_traitsISL_E10value_typeEPNSR_ISM_E10value_typeEPSN_NS1_7vsmem_tEENKUlT_SL_SM_SN_E_clIPS8_SG_SH_SH_EESK_S10_SL_SM_SN_EUlS10_E1_NS1_11comp_targetILNS1_3genE5ELNS1_11target_archE942ELNS1_3gpuE9ELNS1_3repE0EEENS1_36merge_oddeven_config_static_selectorELNS0_4arch9wavefront6targetE0EEEvSM_,"axG",@progbits,_ZN7rocprim17ROCPRIM_400000_NS6detail17trampoline_kernelINS0_14default_configENS1_38merge_sort_block_merge_config_selectorIN6thrust23THRUST_200600_302600_NS4pairIiiEENS0_10empty_typeEEEZZNS1_27merge_sort_block_merge_implIS3_NS6_6detail15normal_iteratorINS6_10device_ptrIS8_EEEEPS9_mNS6_4lessIS8_EEEE10hipError_tT0_T1_T2_jT3_P12ihipStream_tbPNSt15iterator_traitsISL_E10value_typeEPNSR_ISM_E10value_typeEPSN_NS1_7vsmem_tEENKUlT_SL_SM_SN_E_clIPS8_SG_SH_SH_EESK_S10_SL_SM_SN_EUlS10_E1_NS1_11comp_targetILNS1_3genE5ELNS1_11target_archE942ELNS1_3gpuE9ELNS1_3repE0EEENS1_36merge_oddeven_config_static_selectorELNS0_4arch9wavefront6targetE0EEEvSM_,comdat
	.protected	_ZN7rocprim17ROCPRIM_400000_NS6detail17trampoline_kernelINS0_14default_configENS1_38merge_sort_block_merge_config_selectorIN6thrust23THRUST_200600_302600_NS4pairIiiEENS0_10empty_typeEEEZZNS1_27merge_sort_block_merge_implIS3_NS6_6detail15normal_iteratorINS6_10device_ptrIS8_EEEEPS9_mNS6_4lessIS8_EEEE10hipError_tT0_T1_T2_jT3_P12ihipStream_tbPNSt15iterator_traitsISL_E10value_typeEPNSR_ISM_E10value_typeEPSN_NS1_7vsmem_tEENKUlT_SL_SM_SN_E_clIPS8_SG_SH_SH_EESK_S10_SL_SM_SN_EUlS10_E1_NS1_11comp_targetILNS1_3genE5ELNS1_11target_archE942ELNS1_3gpuE9ELNS1_3repE0EEENS1_36merge_oddeven_config_static_selectorELNS0_4arch9wavefront6targetE0EEEvSM_ ; -- Begin function _ZN7rocprim17ROCPRIM_400000_NS6detail17trampoline_kernelINS0_14default_configENS1_38merge_sort_block_merge_config_selectorIN6thrust23THRUST_200600_302600_NS4pairIiiEENS0_10empty_typeEEEZZNS1_27merge_sort_block_merge_implIS3_NS6_6detail15normal_iteratorINS6_10device_ptrIS8_EEEEPS9_mNS6_4lessIS8_EEEE10hipError_tT0_T1_T2_jT3_P12ihipStream_tbPNSt15iterator_traitsISL_E10value_typeEPNSR_ISM_E10value_typeEPSN_NS1_7vsmem_tEENKUlT_SL_SM_SN_E_clIPS8_SG_SH_SH_EESK_S10_SL_SM_SN_EUlS10_E1_NS1_11comp_targetILNS1_3genE5ELNS1_11target_archE942ELNS1_3gpuE9ELNS1_3repE0EEENS1_36merge_oddeven_config_static_selectorELNS0_4arch9wavefront6targetE0EEEvSM_
	.globl	_ZN7rocprim17ROCPRIM_400000_NS6detail17trampoline_kernelINS0_14default_configENS1_38merge_sort_block_merge_config_selectorIN6thrust23THRUST_200600_302600_NS4pairIiiEENS0_10empty_typeEEEZZNS1_27merge_sort_block_merge_implIS3_NS6_6detail15normal_iteratorINS6_10device_ptrIS8_EEEEPS9_mNS6_4lessIS8_EEEE10hipError_tT0_T1_T2_jT3_P12ihipStream_tbPNSt15iterator_traitsISL_E10value_typeEPNSR_ISM_E10value_typeEPSN_NS1_7vsmem_tEENKUlT_SL_SM_SN_E_clIPS8_SG_SH_SH_EESK_S10_SL_SM_SN_EUlS10_E1_NS1_11comp_targetILNS1_3genE5ELNS1_11target_archE942ELNS1_3gpuE9ELNS1_3repE0EEENS1_36merge_oddeven_config_static_selectorELNS0_4arch9wavefront6targetE0EEEvSM_
	.p2align	8
	.type	_ZN7rocprim17ROCPRIM_400000_NS6detail17trampoline_kernelINS0_14default_configENS1_38merge_sort_block_merge_config_selectorIN6thrust23THRUST_200600_302600_NS4pairIiiEENS0_10empty_typeEEEZZNS1_27merge_sort_block_merge_implIS3_NS6_6detail15normal_iteratorINS6_10device_ptrIS8_EEEEPS9_mNS6_4lessIS8_EEEE10hipError_tT0_T1_T2_jT3_P12ihipStream_tbPNSt15iterator_traitsISL_E10value_typeEPNSR_ISM_E10value_typeEPSN_NS1_7vsmem_tEENKUlT_SL_SM_SN_E_clIPS8_SG_SH_SH_EESK_S10_SL_SM_SN_EUlS10_E1_NS1_11comp_targetILNS1_3genE5ELNS1_11target_archE942ELNS1_3gpuE9ELNS1_3repE0EEENS1_36merge_oddeven_config_static_selectorELNS0_4arch9wavefront6targetE0EEEvSM_,@function
_ZN7rocprim17ROCPRIM_400000_NS6detail17trampoline_kernelINS0_14default_configENS1_38merge_sort_block_merge_config_selectorIN6thrust23THRUST_200600_302600_NS4pairIiiEENS0_10empty_typeEEEZZNS1_27merge_sort_block_merge_implIS3_NS6_6detail15normal_iteratorINS6_10device_ptrIS8_EEEEPS9_mNS6_4lessIS8_EEEE10hipError_tT0_T1_T2_jT3_P12ihipStream_tbPNSt15iterator_traitsISL_E10value_typeEPNSR_ISM_E10value_typeEPSN_NS1_7vsmem_tEENKUlT_SL_SM_SN_E_clIPS8_SG_SH_SH_EESK_S10_SL_SM_SN_EUlS10_E1_NS1_11comp_targetILNS1_3genE5ELNS1_11target_archE942ELNS1_3gpuE9ELNS1_3repE0EEENS1_36merge_oddeven_config_static_selectorELNS0_4arch9wavefront6targetE0EEEvSM_: ; @_ZN7rocprim17ROCPRIM_400000_NS6detail17trampoline_kernelINS0_14default_configENS1_38merge_sort_block_merge_config_selectorIN6thrust23THRUST_200600_302600_NS4pairIiiEENS0_10empty_typeEEEZZNS1_27merge_sort_block_merge_implIS3_NS6_6detail15normal_iteratorINS6_10device_ptrIS8_EEEEPS9_mNS6_4lessIS8_EEEE10hipError_tT0_T1_T2_jT3_P12ihipStream_tbPNSt15iterator_traitsISL_E10value_typeEPNSR_ISM_E10value_typeEPSN_NS1_7vsmem_tEENKUlT_SL_SM_SN_E_clIPS8_SG_SH_SH_EESK_S10_SL_SM_SN_EUlS10_E1_NS1_11comp_targetILNS1_3genE5ELNS1_11target_archE942ELNS1_3gpuE9ELNS1_3repE0EEENS1_36merge_oddeven_config_static_selectorELNS0_4arch9wavefront6targetE0EEEvSM_
; %bb.0:
	.section	.rodata,"a",@progbits
	.p2align	6, 0x0
	.amdhsa_kernel _ZN7rocprim17ROCPRIM_400000_NS6detail17trampoline_kernelINS0_14default_configENS1_38merge_sort_block_merge_config_selectorIN6thrust23THRUST_200600_302600_NS4pairIiiEENS0_10empty_typeEEEZZNS1_27merge_sort_block_merge_implIS3_NS6_6detail15normal_iteratorINS6_10device_ptrIS8_EEEEPS9_mNS6_4lessIS8_EEEE10hipError_tT0_T1_T2_jT3_P12ihipStream_tbPNSt15iterator_traitsISL_E10value_typeEPNSR_ISM_E10value_typeEPSN_NS1_7vsmem_tEENKUlT_SL_SM_SN_E_clIPS8_SG_SH_SH_EESK_S10_SL_SM_SN_EUlS10_E1_NS1_11comp_targetILNS1_3genE5ELNS1_11target_archE942ELNS1_3gpuE9ELNS1_3repE0EEENS1_36merge_oddeven_config_static_selectorELNS0_4arch9wavefront6targetE0EEEvSM_
		.amdhsa_group_segment_fixed_size 0
		.amdhsa_private_segment_fixed_size 0
		.amdhsa_kernarg_size 56
		.amdhsa_user_sgpr_count 6
		.amdhsa_user_sgpr_private_segment_buffer 1
		.amdhsa_user_sgpr_dispatch_ptr 0
		.amdhsa_user_sgpr_queue_ptr 0
		.amdhsa_user_sgpr_kernarg_segment_ptr 1
		.amdhsa_user_sgpr_dispatch_id 0
		.amdhsa_user_sgpr_flat_scratch_init 0
		.amdhsa_user_sgpr_private_segment_size 0
		.amdhsa_wavefront_size32 1
		.amdhsa_uses_dynamic_stack 0
		.amdhsa_system_sgpr_private_segment_wavefront_offset 0
		.amdhsa_system_sgpr_workgroup_id_x 1
		.amdhsa_system_sgpr_workgroup_id_y 0
		.amdhsa_system_sgpr_workgroup_id_z 0
		.amdhsa_system_sgpr_workgroup_info 0
		.amdhsa_system_vgpr_workitem_id 0
		.amdhsa_next_free_vgpr 1
		.amdhsa_next_free_sgpr 1
		.amdhsa_reserve_vcc 0
		.amdhsa_reserve_flat_scratch 0
		.amdhsa_float_round_mode_32 0
		.amdhsa_float_round_mode_16_64 0
		.amdhsa_float_denorm_mode_32 3
		.amdhsa_float_denorm_mode_16_64 3
		.amdhsa_dx10_clamp 1
		.amdhsa_ieee_mode 1
		.amdhsa_fp16_overflow 0
		.amdhsa_workgroup_processor_mode 1
		.amdhsa_memory_ordered 1
		.amdhsa_forward_progress 1
		.amdhsa_shared_vgpr_count 0
		.amdhsa_exception_fp_ieee_invalid_op 0
		.amdhsa_exception_fp_denorm_src 0
		.amdhsa_exception_fp_ieee_div_zero 0
		.amdhsa_exception_fp_ieee_overflow 0
		.amdhsa_exception_fp_ieee_underflow 0
		.amdhsa_exception_fp_ieee_inexact 0
		.amdhsa_exception_int_div_zero 0
	.end_amdhsa_kernel
	.section	.text._ZN7rocprim17ROCPRIM_400000_NS6detail17trampoline_kernelINS0_14default_configENS1_38merge_sort_block_merge_config_selectorIN6thrust23THRUST_200600_302600_NS4pairIiiEENS0_10empty_typeEEEZZNS1_27merge_sort_block_merge_implIS3_NS6_6detail15normal_iteratorINS6_10device_ptrIS8_EEEEPS9_mNS6_4lessIS8_EEEE10hipError_tT0_T1_T2_jT3_P12ihipStream_tbPNSt15iterator_traitsISL_E10value_typeEPNSR_ISM_E10value_typeEPSN_NS1_7vsmem_tEENKUlT_SL_SM_SN_E_clIPS8_SG_SH_SH_EESK_S10_SL_SM_SN_EUlS10_E1_NS1_11comp_targetILNS1_3genE5ELNS1_11target_archE942ELNS1_3gpuE9ELNS1_3repE0EEENS1_36merge_oddeven_config_static_selectorELNS0_4arch9wavefront6targetE0EEEvSM_,"axG",@progbits,_ZN7rocprim17ROCPRIM_400000_NS6detail17trampoline_kernelINS0_14default_configENS1_38merge_sort_block_merge_config_selectorIN6thrust23THRUST_200600_302600_NS4pairIiiEENS0_10empty_typeEEEZZNS1_27merge_sort_block_merge_implIS3_NS6_6detail15normal_iteratorINS6_10device_ptrIS8_EEEEPS9_mNS6_4lessIS8_EEEE10hipError_tT0_T1_T2_jT3_P12ihipStream_tbPNSt15iterator_traitsISL_E10value_typeEPNSR_ISM_E10value_typeEPSN_NS1_7vsmem_tEENKUlT_SL_SM_SN_E_clIPS8_SG_SH_SH_EESK_S10_SL_SM_SN_EUlS10_E1_NS1_11comp_targetILNS1_3genE5ELNS1_11target_archE942ELNS1_3gpuE9ELNS1_3repE0EEENS1_36merge_oddeven_config_static_selectorELNS0_4arch9wavefront6targetE0EEEvSM_,comdat
.Lfunc_end651:
	.size	_ZN7rocprim17ROCPRIM_400000_NS6detail17trampoline_kernelINS0_14default_configENS1_38merge_sort_block_merge_config_selectorIN6thrust23THRUST_200600_302600_NS4pairIiiEENS0_10empty_typeEEEZZNS1_27merge_sort_block_merge_implIS3_NS6_6detail15normal_iteratorINS6_10device_ptrIS8_EEEEPS9_mNS6_4lessIS8_EEEE10hipError_tT0_T1_T2_jT3_P12ihipStream_tbPNSt15iterator_traitsISL_E10value_typeEPNSR_ISM_E10value_typeEPSN_NS1_7vsmem_tEENKUlT_SL_SM_SN_E_clIPS8_SG_SH_SH_EESK_S10_SL_SM_SN_EUlS10_E1_NS1_11comp_targetILNS1_3genE5ELNS1_11target_archE942ELNS1_3gpuE9ELNS1_3repE0EEENS1_36merge_oddeven_config_static_selectorELNS0_4arch9wavefront6targetE0EEEvSM_, .Lfunc_end651-_ZN7rocprim17ROCPRIM_400000_NS6detail17trampoline_kernelINS0_14default_configENS1_38merge_sort_block_merge_config_selectorIN6thrust23THRUST_200600_302600_NS4pairIiiEENS0_10empty_typeEEEZZNS1_27merge_sort_block_merge_implIS3_NS6_6detail15normal_iteratorINS6_10device_ptrIS8_EEEEPS9_mNS6_4lessIS8_EEEE10hipError_tT0_T1_T2_jT3_P12ihipStream_tbPNSt15iterator_traitsISL_E10value_typeEPNSR_ISM_E10value_typeEPSN_NS1_7vsmem_tEENKUlT_SL_SM_SN_E_clIPS8_SG_SH_SH_EESK_S10_SL_SM_SN_EUlS10_E1_NS1_11comp_targetILNS1_3genE5ELNS1_11target_archE942ELNS1_3gpuE9ELNS1_3repE0EEENS1_36merge_oddeven_config_static_selectorELNS0_4arch9wavefront6targetE0EEEvSM_
                                        ; -- End function
	.set _ZN7rocprim17ROCPRIM_400000_NS6detail17trampoline_kernelINS0_14default_configENS1_38merge_sort_block_merge_config_selectorIN6thrust23THRUST_200600_302600_NS4pairIiiEENS0_10empty_typeEEEZZNS1_27merge_sort_block_merge_implIS3_NS6_6detail15normal_iteratorINS6_10device_ptrIS8_EEEEPS9_mNS6_4lessIS8_EEEE10hipError_tT0_T1_T2_jT3_P12ihipStream_tbPNSt15iterator_traitsISL_E10value_typeEPNSR_ISM_E10value_typeEPSN_NS1_7vsmem_tEENKUlT_SL_SM_SN_E_clIPS8_SG_SH_SH_EESK_S10_SL_SM_SN_EUlS10_E1_NS1_11comp_targetILNS1_3genE5ELNS1_11target_archE942ELNS1_3gpuE9ELNS1_3repE0EEENS1_36merge_oddeven_config_static_selectorELNS0_4arch9wavefront6targetE0EEEvSM_.num_vgpr, 0
	.set _ZN7rocprim17ROCPRIM_400000_NS6detail17trampoline_kernelINS0_14default_configENS1_38merge_sort_block_merge_config_selectorIN6thrust23THRUST_200600_302600_NS4pairIiiEENS0_10empty_typeEEEZZNS1_27merge_sort_block_merge_implIS3_NS6_6detail15normal_iteratorINS6_10device_ptrIS8_EEEEPS9_mNS6_4lessIS8_EEEE10hipError_tT0_T1_T2_jT3_P12ihipStream_tbPNSt15iterator_traitsISL_E10value_typeEPNSR_ISM_E10value_typeEPSN_NS1_7vsmem_tEENKUlT_SL_SM_SN_E_clIPS8_SG_SH_SH_EESK_S10_SL_SM_SN_EUlS10_E1_NS1_11comp_targetILNS1_3genE5ELNS1_11target_archE942ELNS1_3gpuE9ELNS1_3repE0EEENS1_36merge_oddeven_config_static_selectorELNS0_4arch9wavefront6targetE0EEEvSM_.num_agpr, 0
	.set _ZN7rocprim17ROCPRIM_400000_NS6detail17trampoline_kernelINS0_14default_configENS1_38merge_sort_block_merge_config_selectorIN6thrust23THRUST_200600_302600_NS4pairIiiEENS0_10empty_typeEEEZZNS1_27merge_sort_block_merge_implIS3_NS6_6detail15normal_iteratorINS6_10device_ptrIS8_EEEEPS9_mNS6_4lessIS8_EEEE10hipError_tT0_T1_T2_jT3_P12ihipStream_tbPNSt15iterator_traitsISL_E10value_typeEPNSR_ISM_E10value_typeEPSN_NS1_7vsmem_tEENKUlT_SL_SM_SN_E_clIPS8_SG_SH_SH_EESK_S10_SL_SM_SN_EUlS10_E1_NS1_11comp_targetILNS1_3genE5ELNS1_11target_archE942ELNS1_3gpuE9ELNS1_3repE0EEENS1_36merge_oddeven_config_static_selectorELNS0_4arch9wavefront6targetE0EEEvSM_.numbered_sgpr, 0
	.set _ZN7rocprim17ROCPRIM_400000_NS6detail17trampoline_kernelINS0_14default_configENS1_38merge_sort_block_merge_config_selectorIN6thrust23THRUST_200600_302600_NS4pairIiiEENS0_10empty_typeEEEZZNS1_27merge_sort_block_merge_implIS3_NS6_6detail15normal_iteratorINS6_10device_ptrIS8_EEEEPS9_mNS6_4lessIS8_EEEE10hipError_tT0_T1_T2_jT3_P12ihipStream_tbPNSt15iterator_traitsISL_E10value_typeEPNSR_ISM_E10value_typeEPSN_NS1_7vsmem_tEENKUlT_SL_SM_SN_E_clIPS8_SG_SH_SH_EESK_S10_SL_SM_SN_EUlS10_E1_NS1_11comp_targetILNS1_3genE5ELNS1_11target_archE942ELNS1_3gpuE9ELNS1_3repE0EEENS1_36merge_oddeven_config_static_selectorELNS0_4arch9wavefront6targetE0EEEvSM_.num_named_barrier, 0
	.set _ZN7rocprim17ROCPRIM_400000_NS6detail17trampoline_kernelINS0_14default_configENS1_38merge_sort_block_merge_config_selectorIN6thrust23THRUST_200600_302600_NS4pairIiiEENS0_10empty_typeEEEZZNS1_27merge_sort_block_merge_implIS3_NS6_6detail15normal_iteratorINS6_10device_ptrIS8_EEEEPS9_mNS6_4lessIS8_EEEE10hipError_tT0_T1_T2_jT3_P12ihipStream_tbPNSt15iterator_traitsISL_E10value_typeEPNSR_ISM_E10value_typeEPSN_NS1_7vsmem_tEENKUlT_SL_SM_SN_E_clIPS8_SG_SH_SH_EESK_S10_SL_SM_SN_EUlS10_E1_NS1_11comp_targetILNS1_3genE5ELNS1_11target_archE942ELNS1_3gpuE9ELNS1_3repE0EEENS1_36merge_oddeven_config_static_selectorELNS0_4arch9wavefront6targetE0EEEvSM_.private_seg_size, 0
	.set _ZN7rocprim17ROCPRIM_400000_NS6detail17trampoline_kernelINS0_14default_configENS1_38merge_sort_block_merge_config_selectorIN6thrust23THRUST_200600_302600_NS4pairIiiEENS0_10empty_typeEEEZZNS1_27merge_sort_block_merge_implIS3_NS6_6detail15normal_iteratorINS6_10device_ptrIS8_EEEEPS9_mNS6_4lessIS8_EEEE10hipError_tT0_T1_T2_jT3_P12ihipStream_tbPNSt15iterator_traitsISL_E10value_typeEPNSR_ISM_E10value_typeEPSN_NS1_7vsmem_tEENKUlT_SL_SM_SN_E_clIPS8_SG_SH_SH_EESK_S10_SL_SM_SN_EUlS10_E1_NS1_11comp_targetILNS1_3genE5ELNS1_11target_archE942ELNS1_3gpuE9ELNS1_3repE0EEENS1_36merge_oddeven_config_static_selectorELNS0_4arch9wavefront6targetE0EEEvSM_.uses_vcc, 0
	.set _ZN7rocprim17ROCPRIM_400000_NS6detail17trampoline_kernelINS0_14default_configENS1_38merge_sort_block_merge_config_selectorIN6thrust23THRUST_200600_302600_NS4pairIiiEENS0_10empty_typeEEEZZNS1_27merge_sort_block_merge_implIS3_NS6_6detail15normal_iteratorINS6_10device_ptrIS8_EEEEPS9_mNS6_4lessIS8_EEEE10hipError_tT0_T1_T2_jT3_P12ihipStream_tbPNSt15iterator_traitsISL_E10value_typeEPNSR_ISM_E10value_typeEPSN_NS1_7vsmem_tEENKUlT_SL_SM_SN_E_clIPS8_SG_SH_SH_EESK_S10_SL_SM_SN_EUlS10_E1_NS1_11comp_targetILNS1_3genE5ELNS1_11target_archE942ELNS1_3gpuE9ELNS1_3repE0EEENS1_36merge_oddeven_config_static_selectorELNS0_4arch9wavefront6targetE0EEEvSM_.uses_flat_scratch, 0
	.set _ZN7rocprim17ROCPRIM_400000_NS6detail17trampoline_kernelINS0_14default_configENS1_38merge_sort_block_merge_config_selectorIN6thrust23THRUST_200600_302600_NS4pairIiiEENS0_10empty_typeEEEZZNS1_27merge_sort_block_merge_implIS3_NS6_6detail15normal_iteratorINS6_10device_ptrIS8_EEEEPS9_mNS6_4lessIS8_EEEE10hipError_tT0_T1_T2_jT3_P12ihipStream_tbPNSt15iterator_traitsISL_E10value_typeEPNSR_ISM_E10value_typeEPSN_NS1_7vsmem_tEENKUlT_SL_SM_SN_E_clIPS8_SG_SH_SH_EESK_S10_SL_SM_SN_EUlS10_E1_NS1_11comp_targetILNS1_3genE5ELNS1_11target_archE942ELNS1_3gpuE9ELNS1_3repE0EEENS1_36merge_oddeven_config_static_selectorELNS0_4arch9wavefront6targetE0EEEvSM_.has_dyn_sized_stack, 0
	.set _ZN7rocprim17ROCPRIM_400000_NS6detail17trampoline_kernelINS0_14default_configENS1_38merge_sort_block_merge_config_selectorIN6thrust23THRUST_200600_302600_NS4pairIiiEENS0_10empty_typeEEEZZNS1_27merge_sort_block_merge_implIS3_NS6_6detail15normal_iteratorINS6_10device_ptrIS8_EEEEPS9_mNS6_4lessIS8_EEEE10hipError_tT0_T1_T2_jT3_P12ihipStream_tbPNSt15iterator_traitsISL_E10value_typeEPNSR_ISM_E10value_typeEPSN_NS1_7vsmem_tEENKUlT_SL_SM_SN_E_clIPS8_SG_SH_SH_EESK_S10_SL_SM_SN_EUlS10_E1_NS1_11comp_targetILNS1_3genE5ELNS1_11target_archE942ELNS1_3gpuE9ELNS1_3repE0EEENS1_36merge_oddeven_config_static_selectorELNS0_4arch9wavefront6targetE0EEEvSM_.has_recursion, 0
	.set _ZN7rocprim17ROCPRIM_400000_NS6detail17trampoline_kernelINS0_14default_configENS1_38merge_sort_block_merge_config_selectorIN6thrust23THRUST_200600_302600_NS4pairIiiEENS0_10empty_typeEEEZZNS1_27merge_sort_block_merge_implIS3_NS6_6detail15normal_iteratorINS6_10device_ptrIS8_EEEEPS9_mNS6_4lessIS8_EEEE10hipError_tT0_T1_T2_jT3_P12ihipStream_tbPNSt15iterator_traitsISL_E10value_typeEPNSR_ISM_E10value_typeEPSN_NS1_7vsmem_tEENKUlT_SL_SM_SN_E_clIPS8_SG_SH_SH_EESK_S10_SL_SM_SN_EUlS10_E1_NS1_11comp_targetILNS1_3genE5ELNS1_11target_archE942ELNS1_3gpuE9ELNS1_3repE0EEENS1_36merge_oddeven_config_static_selectorELNS0_4arch9wavefront6targetE0EEEvSM_.has_indirect_call, 0
	.section	.AMDGPU.csdata,"",@progbits
; Kernel info:
; codeLenInByte = 0
; TotalNumSgprs: 0
; NumVgprs: 0
; ScratchSize: 0
; MemoryBound: 0
; FloatMode: 240
; IeeeMode: 1
; LDSByteSize: 0 bytes/workgroup (compile time only)
; SGPRBlocks: 0
; VGPRBlocks: 0
; NumSGPRsForWavesPerEU: 1
; NumVGPRsForWavesPerEU: 1
; Occupancy: 16
; WaveLimiterHint : 0
; COMPUTE_PGM_RSRC2:SCRATCH_EN: 0
; COMPUTE_PGM_RSRC2:USER_SGPR: 6
; COMPUTE_PGM_RSRC2:TRAP_HANDLER: 0
; COMPUTE_PGM_RSRC2:TGID_X_EN: 1
; COMPUTE_PGM_RSRC2:TGID_Y_EN: 0
; COMPUTE_PGM_RSRC2:TGID_Z_EN: 0
; COMPUTE_PGM_RSRC2:TIDIG_COMP_CNT: 0
	.section	.text._ZN7rocprim17ROCPRIM_400000_NS6detail17trampoline_kernelINS0_14default_configENS1_38merge_sort_block_merge_config_selectorIN6thrust23THRUST_200600_302600_NS4pairIiiEENS0_10empty_typeEEEZZNS1_27merge_sort_block_merge_implIS3_NS6_6detail15normal_iteratorINS6_10device_ptrIS8_EEEEPS9_mNS6_4lessIS8_EEEE10hipError_tT0_T1_T2_jT3_P12ihipStream_tbPNSt15iterator_traitsISL_E10value_typeEPNSR_ISM_E10value_typeEPSN_NS1_7vsmem_tEENKUlT_SL_SM_SN_E_clIPS8_SG_SH_SH_EESK_S10_SL_SM_SN_EUlS10_E1_NS1_11comp_targetILNS1_3genE4ELNS1_11target_archE910ELNS1_3gpuE8ELNS1_3repE0EEENS1_36merge_oddeven_config_static_selectorELNS0_4arch9wavefront6targetE0EEEvSM_,"axG",@progbits,_ZN7rocprim17ROCPRIM_400000_NS6detail17trampoline_kernelINS0_14default_configENS1_38merge_sort_block_merge_config_selectorIN6thrust23THRUST_200600_302600_NS4pairIiiEENS0_10empty_typeEEEZZNS1_27merge_sort_block_merge_implIS3_NS6_6detail15normal_iteratorINS6_10device_ptrIS8_EEEEPS9_mNS6_4lessIS8_EEEE10hipError_tT0_T1_T2_jT3_P12ihipStream_tbPNSt15iterator_traitsISL_E10value_typeEPNSR_ISM_E10value_typeEPSN_NS1_7vsmem_tEENKUlT_SL_SM_SN_E_clIPS8_SG_SH_SH_EESK_S10_SL_SM_SN_EUlS10_E1_NS1_11comp_targetILNS1_3genE4ELNS1_11target_archE910ELNS1_3gpuE8ELNS1_3repE0EEENS1_36merge_oddeven_config_static_selectorELNS0_4arch9wavefront6targetE0EEEvSM_,comdat
	.protected	_ZN7rocprim17ROCPRIM_400000_NS6detail17trampoline_kernelINS0_14default_configENS1_38merge_sort_block_merge_config_selectorIN6thrust23THRUST_200600_302600_NS4pairIiiEENS0_10empty_typeEEEZZNS1_27merge_sort_block_merge_implIS3_NS6_6detail15normal_iteratorINS6_10device_ptrIS8_EEEEPS9_mNS6_4lessIS8_EEEE10hipError_tT0_T1_T2_jT3_P12ihipStream_tbPNSt15iterator_traitsISL_E10value_typeEPNSR_ISM_E10value_typeEPSN_NS1_7vsmem_tEENKUlT_SL_SM_SN_E_clIPS8_SG_SH_SH_EESK_S10_SL_SM_SN_EUlS10_E1_NS1_11comp_targetILNS1_3genE4ELNS1_11target_archE910ELNS1_3gpuE8ELNS1_3repE0EEENS1_36merge_oddeven_config_static_selectorELNS0_4arch9wavefront6targetE0EEEvSM_ ; -- Begin function _ZN7rocprim17ROCPRIM_400000_NS6detail17trampoline_kernelINS0_14default_configENS1_38merge_sort_block_merge_config_selectorIN6thrust23THRUST_200600_302600_NS4pairIiiEENS0_10empty_typeEEEZZNS1_27merge_sort_block_merge_implIS3_NS6_6detail15normal_iteratorINS6_10device_ptrIS8_EEEEPS9_mNS6_4lessIS8_EEEE10hipError_tT0_T1_T2_jT3_P12ihipStream_tbPNSt15iterator_traitsISL_E10value_typeEPNSR_ISM_E10value_typeEPSN_NS1_7vsmem_tEENKUlT_SL_SM_SN_E_clIPS8_SG_SH_SH_EESK_S10_SL_SM_SN_EUlS10_E1_NS1_11comp_targetILNS1_3genE4ELNS1_11target_archE910ELNS1_3gpuE8ELNS1_3repE0EEENS1_36merge_oddeven_config_static_selectorELNS0_4arch9wavefront6targetE0EEEvSM_
	.globl	_ZN7rocprim17ROCPRIM_400000_NS6detail17trampoline_kernelINS0_14default_configENS1_38merge_sort_block_merge_config_selectorIN6thrust23THRUST_200600_302600_NS4pairIiiEENS0_10empty_typeEEEZZNS1_27merge_sort_block_merge_implIS3_NS6_6detail15normal_iteratorINS6_10device_ptrIS8_EEEEPS9_mNS6_4lessIS8_EEEE10hipError_tT0_T1_T2_jT3_P12ihipStream_tbPNSt15iterator_traitsISL_E10value_typeEPNSR_ISM_E10value_typeEPSN_NS1_7vsmem_tEENKUlT_SL_SM_SN_E_clIPS8_SG_SH_SH_EESK_S10_SL_SM_SN_EUlS10_E1_NS1_11comp_targetILNS1_3genE4ELNS1_11target_archE910ELNS1_3gpuE8ELNS1_3repE0EEENS1_36merge_oddeven_config_static_selectorELNS0_4arch9wavefront6targetE0EEEvSM_
	.p2align	8
	.type	_ZN7rocprim17ROCPRIM_400000_NS6detail17trampoline_kernelINS0_14default_configENS1_38merge_sort_block_merge_config_selectorIN6thrust23THRUST_200600_302600_NS4pairIiiEENS0_10empty_typeEEEZZNS1_27merge_sort_block_merge_implIS3_NS6_6detail15normal_iteratorINS6_10device_ptrIS8_EEEEPS9_mNS6_4lessIS8_EEEE10hipError_tT0_T1_T2_jT3_P12ihipStream_tbPNSt15iterator_traitsISL_E10value_typeEPNSR_ISM_E10value_typeEPSN_NS1_7vsmem_tEENKUlT_SL_SM_SN_E_clIPS8_SG_SH_SH_EESK_S10_SL_SM_SN_EUlS10_E1_NS1_11comp_targetILNS1_3genE4ELNS1_11target_archE910ELNS1_3gpuE8ELNS1_3repE0EEENS1_36merge_oddeven_config_static_selectorELNS0_4arch9wavefront6targetE0EEEvSM_,@function
_ZN7rocprim17ROCPRIM_400000_NS6detail17trampoline_kernelINS0_14default_configENS1_38merge_sort_block_merge_config_selectorIN6thrust23THRUST_200600_302600_NS4pairIiiEENS0_10empty_typeEEEZZNS1_27merge_sort_block_merge_implIS3_NS6_6detail15normal_iteratorINS6_10device_ptrIS8_EEEEPS9_mNS6_4lessIS8_EEEE10hipError_tT0_T1_T2_jT3_P12ihipStream_tbPNSt15iterator_traitsISL_E10value_typeEPNSR_ISM_E10value_typeEPSN_NS1_7vsmem_tEENKUlT_SL_SM_SN_E_clIPS8_SG_SH_SH_EESK_S10_SL_SM_SN_EUlS10_E1_NS1_11comp_targetILNS1_3genE4ELNS1_11target_archE910ELNS1_3gpuE8ELNS1_3repE0EEENS1_36merge_oddeven_config_static_selectorELNS0_4arch9wavefront6targetE0EEEvSM_: ; @_ZN7rocprim17ROCPRIM_400000_NS6detail17trampoline_kernelINS0_14default_configENS1_38merge_sort_block_merge_config_selectorIN6thrust23THRUST_200600_302600_NS4pairIiiEENS0_10empty_typeEEEZZNS1_27merge_sort_block_merge_implIS3_NS6_6detail15normal_iteratorINS6_10device_ptrIS8_EEEEPS9_mNS6_4lessIS8_EEEE10hipError_tT0_T1_T2_jT3_P12ihipStream_tbPNSt15iterator_traitsISL_E10value_typeEPNSR_ISM_E10value_typeEPSN_NS1_7vsmem_tEENKUlT_SL_SM_SN_E_clIPS8_SG_SH_SH_EESK_S10_SL_SM_SN_EUlS10_E1_NS1_11comp_targetILNS1_3genE4ELNS1_11target_archE910ELNS1_3gpuE8ELNS1_3repE0EEENS1_36merge_oddeven_config_static_selectorELNS0_4arch9wavefront6targetE0EEEvSM_
; %bb.0:
	.section	.rodata,"a",@progbits
	.p2align	6, 0x0
	.amdhsa_kernel _ZN7rocprim17ROCPRIM_400000_NS6detail17trampoline_kernelINS0_14default_configENS1_38merge_sort_block_merge_config_selectorIN6thrust23THRUST_200600_302600_NS4pairIiiEENS0_10empty_typeEEEZZNS1_27merge_sort_block_merge_implIS3_NS6_6detail15normal_iteratorINS6_10device_ptrIS8_EEEEPS9_mNS6_4lessIS8_EEEE10hipError_tT0_T1_T2_jT3_P12ihipStream_tbPNSt15iterator_traitsISL_E10value_typeEPNSR_ISM_E10value_typeEPSN_NS1_7vsmem_tEENKUlT_SL_SM_SN_E_clIPS8_SG_SH_SH_EESK_S10_SL_SM_SN_EUlS10_E1_NS1_11comp_targetILNS1_3genE4ELNS1_11target_archE910ELNS1_3gpuE8ELNS1_3repE0EEENS1_36merge_oddeven_config_static_selectorELNS0_4arch9wavefront6targetE0EEEvSM_
		.amdhsa_group_segment_fixed_size 0
		.amdhsa_private_segment_fixed_size 0
		.amdhsa_kernarg_size 56
		.amdhsa_user_sgpr_count 6
		.amdhsa_user_sgpr_private_segment_buffer 1
		.amdhsa_user_sgpr_dispatch_ptr 0
		.amdhsa_user_sgpr_queue_ptr 0
		.amdhsa_user_sgpr_kernarg_segment_ptr 1
		.amdhsa_user_sgpr_dispatch_id 0
		.amdhsa_user_sgpr_flat_scratch_init 0
		.amdhsa_user_sgpr_private_segment_size 0
		.amdhsa_wavefront_size32 1
		.amdhsa_uses_dynamic_stack 0
		.amdhsa_system_sgpr_private_segment_wavefront_offset 0
		.amdhsa_system_sgpr_workgroup_id_x 1
		.amdhsa_system_sgpr_workgroup_id_y 0
		.amdhsa_system_sgpr_workgroup_id_z 0
		.amdhsa_system_sgpr_workgroup_info 0
		.amdhsa_system_vgpr_workitem_id 0
		.amdhsa_next_free_vgpr 1
		.amdhsa_next_free_sgpr 1
		.amdhsa_reserve_vcc 0
		.amdhsa_reserve_flat_scratch 0
		.amdhsa_float_round_mode_32 0
		.amdhsa_float_round_mode_16_64 0
		.amdhsa_float_denorm_mode_32 3
		.amdhsa_float_denorm_mode_16_64 3
		.amdhsa_dx10_clamp 1
		.amdhsa_ieee_mode 1
		.amdhsa_fp16_overflow 0
		.amdhsa_workgroup_processor_mode 1
		.amdhsa_memory_ordered 1
		.amdhsa_forward_progress 1
		.amdhsa_shared_vgpr_count 0
		.amdhsa_exception_fp_ieee_invalid_op 0
		.amdhsa_exception_fp_denorm_src 0
		.amdhsa_exception_fp_ieee_div_zero 0
		.amdhsa_exception_fp_ieee_overflow 0
		.amdhsa_exception_fp_ieee_underflow 0
		.amdhsa_exception_fp_ieee_inexact 0
		.amdhsa_exception_int_div_zero 0
	.end_amdhsa_kernel
	.section	.text._ZN7rocprim17ROCPRIM_400000_NS6detail17trampoline_kernelINS0_14default_configENS1_38merge_sort_block_merge_config_selectorIN6thrust23THRUST_200600_302600_NS4pairIiiEENS0_10empty_typeEEEZZNS1_27merge_sort_block_merge_implIS3_NS6_6detail15normal_iteratorINS6_10device_ptrIS8_EEEEPS9_mNS6_4lessIS8_EEEE10hipError_tT0_T1_T2_jT3_P12ihipStream_tbPNSt15iterator_traitsISL_E10value_typeEPNSR_ISM_E10value_typeEPSN_NS1_7vsmem_tEENKUlT_SL_SM_SN_E_clIPS8_SG_SH_SH_EESK_S10_SL_SM_SN_EUlS10_E1_NS1_11comp_targetILNS1_3genE4ELNS1_11target_archE910ELNS1_3gpuE8ELNS1_3repE0EEENS1_36merge_oddeven_config_static_selectorELNS0_4arch9wavefront6targetE0EEEvSM_,"axG",@progbits,_ZN7rocprim17ROCPRIM_400000_NS6detail17trampoline_kernelINS0_14default_configENS1_38merge_sort_block_merge_config_selectorIN6thrust23THRUST_200600_302600_NS4pairIiiEENS0_10empty_typeEEEZZNS1_27merge_sort_block_merge_implIS3_NS6_6detail15normal_iteratorINS6_10device_ptrIS8_EEEEPS9_mNS6_4lessIS8_EEEE10hipError_tT0_T1_T2_jT3_P12ihipStream_tbPNSt15iterator_traitsISL_E10value_typeEPNSR_ISM_E10value_typeEPSN_NS1_7vsmem_tEENKUlT_SL_SM_SN_E_clIPS8_SG_SH_SH_EESK_S10_SL_SM_SN_EUlS10_E1_NS1_11comp_targetILNS1_3genE4ELNS1_11target_archE910ELNS1_3gpuE8ELNS1_3repE0EEENS1_36merge_oddeven_config_static_selectorELNS0_4arch9wavefront6targetE0EEEvSM_,comdat
.Lfunc_end652:
	.size	_ZN7rocprim17ROCPRIM_400000_NS6detail17trampoline_kernelINS0_14default_configENS1_38merge_sort_block_merge_config_selectorIN6thrust23THRUST_200600_302600_NS4pairIiiEENS0_10empty_typeEEEZZNS1_27merge_sort_block_merge_implIS3_NS6_6detail15normal_iteratorINS6_10device_ptrIS8_EEEEPS9_mNS6_4lessIS8_EEEE10hipError_tT0_T1_T2_jT3_P12ihipStream_tbPNSt15iterator_traitsISL_E10value_typeEPNSR_ISM_E10value_typeEPSN_NS1_7vsmem_tEENKUlT_SL_SM_SN_E_clIPS8_SG_SH_SH_EESK_S10_SL_SM_SN_EUlS10_E1_NS1_11comp_targetILNS1_3genE4ELNS1_11target_archE910ELNS1_3gpuE8ELNS1_3repE0EEENS1_36merge_oddeven_config_static_selectorELNS0_4arch9wavefront6targetE0EEEvSM_, .Lfunc_end652-_ZN7rocprim17ROCPRIM_400000_NS6detail17trampoline_kernelINS0_14default_configENS1_38merge_sort_block_merge_config_selectorIN6thrust23THRUST_200600_302600_NS4pairIiiEENS0_10empty_typeEEEZZNS1_27merge_sort_block_merge_implIS3_NS6_6detail15normal_iteratorINS6_10device_ptrIS8_EEEEPS9_mNS6_4lessIS8_EEEE10hipError_tT0_T1_T2_jT3_P12ihipStream_tbPNSt15iterator_traitsISL_E10value_typeEPNSR_ISM_E10value_typeEPSN_NS1_7vsmem_tEENKUlT_SL_SM_SN_E_clIPS8_SG_SH_SH_EESK_S10_SL_SM_SN_EUlS10_E1_NS1_11comp_targetILNS1_3genE4ELNS1_11target_archE910ELNS1_3gpuE8ELNS1_3repE0EEENS1_36merge_oddeven_config_static_selectorELNS0_4arch9wavefront6targetE0EEEvSM_
                                        ; -- End function
	.set _ZN7rocprim17ROCPRIM_400000_NS6detail17trampoline_kernelINS0_14default_configENS1_38merge_sort_block_merge_config_selectorIN6thrust23THRUST_200600_302600_NS4pairIiiEENS0_10empty_typeEEEZZNS1_27merge_sort_block_merge_implIS3_NS6_6detail15normal_iteratorINS6_10device_ptrIS8_EEEEPS9_mNS6_4lessIS8_EEEE10hipError_tT0_T1_T2_jT3_P12ihipStream_tbPNSt15iterator_traitsISL_E10value_typeEPNSR_ISM_E10value_typeEPSN_NS1_7vsmem_tEENKUlT_SL_SM_SN_E_clIPS8_SG_SH_SH_EESK_S10_SL_SM_SN_EUlS10_E1_NS1_11comp_targetILNS1_3genE4ELNS1_11target_archE910ELNS1_3gpuE8ELNS1_3repE0EEENS1_36merge_oddeven_config_static_selectorELNS0_4arch9wavefront6targetE0EEEvSM_.num_vgpr, 0
	.set _ZN7rocprim17ROCPRIM_400000_NS6detail17trampoline_kernelINS0_14default_configENS1_38merge_sort_block_merge_config_selectorIN6thrust23THRUST_200600_302600_NS4pairIiiEENS0_10empty_typeEEEZZNS1_27merge_sort_block_merge_implIS3_NS6_6detail15normal_iteratorINS6_10device_ptrIS8_EEEEPS9_mNS6_4lessIS8_EEEE10hipError_tT0_T1_T2_jT3_P12ihipStream_tbPNSt15iterator_traitsISL_E10value_typeEPNSR_ISM_E10value_typeEPSN_NS1_7vsmem_tEENKUlT_SL_SM_SN_E_clIPS8_SG_SH_SH_EESK_S10_SL_SM_SN_EUlS10_E1_NS1_11comp_targetILNS1_3genE4ELNS1_11target_archE910ELNS1_3gpuE8ELNS1_3repE0EEENS1_36merge_oddeven_config_static_selectorELNS0_4arch9wavefront6targetE0EEEvSM_.num_agpr, 0
	.set _ZN7rocprim17ROCPRIM_400000_NS6detail17trampoline_kernelINS0_14default_configENS1_38merge_sort_block_merge_config_selectorIN6thrust23THRUST_200600_302600_NS4pairIiiEENS0_10empty_typeEEEZZNS1_27merge_sort_block_merge_implIS3_NS6_6detail15normal_iteratorINS6_10device_ptrIS8_EEEEPS9_mNS6_4lessIS8_EEEE10hipError_tT0_T1_T2_jT3_P12ihipStream_tbPNSt15iterator_traitsISL_E10value_typeEPNSR_ISM_E10value_typeEPSN_NS1_7vsmem_tEENKUlT_SL_SM_SN_E_clIPS8_SG_SH_SH_EESK_S10_SL_SM_SN_EUlS10_E1_NS1_11comp_targetILNS1_3genE4ELNS1_11target_archE910ELNS1_3gpuE8ELNS1_3repE0EEENS1_36merge_oddeven_config_static_selectorELNS0_4arch9wavefront6targetE0EEEvSM_.numbered_sgpr, 0
	.set _ZN7rocprim17ROCPRIM_400000_NS6detail17trampoline_kernelINS0_14default_configENS1_38merge_sort_block_merge_config_selectorIN6thrust23THRUST_200600_302600_NS4pairIiiEENS0_10empty_typeEEEZZNS1_27merge_sort_block_merge_implIS3_NS6_6detail15normal_iteratorINS6_10device_ptrIS8_EEEEPS9_mNS6_4lessIS8_EEEE10hipError_tT0_T1_T2_jT3_P12ihipStream_tbPNSt15iterator_traitsISL_E10value_typeEPNSR_ISM_E10value_typeEPSN_NS1_7vsmem_tEENKUlT_SL_SM_SN_E_clIPS8_SG_SH_SH_EESK_S10_SL_SM_SN_EUlS10_E1_NS1_11comp_targetILNS1_3genE4ELNS1_11target_archE910ELNS1_3gpuE8ELNS1_3repE0EEENS1_36merge_oddeven_config_static_selectorELNS0_4arch9wavefront6targetE0EEEvSM_.num_named_barrier, 0
	.set _ZN7rocprim17ROCPRIM_400000_NS6detail17trampoline_kernelINS0_14default_configENS1_38merge_sort_block_merge_config_selectorIN6thrust23THRUST_200600_302600_NS4pairIiiEENS0_10empty_typeEEEZZNS1_27merge_sort_block_merge_implIS3_NS6_6detail15normal_iteratorINS6_10device_ptrIS8_EEEEPS9_mNS6_4lessIS8_EEEE10hipError_tT0_T1_T2_jT3_P12ihipStream_tbPNSt15iterator_traitsISL_E10value_typeEPNSR_ISM_E10value_typeEPSN_NS1_7vsmem_tEENKUlT_SL_SM_SN_E_clIPS8_SG_SH_SH_EESK_S10_SL_SM_SN_EUlS10_E1_NS1_11comp_targetILNS1_3genE4ELNS1_11target_archE910ELNS1_3gpuE8ELNS1_3repE0EEENS1_36merge_oddeven_config_static_selectorELNS0_4arch9wavefront6targetE0EEEvSM_.private_seg_size, 0
	.set _ZN7rocprim17ROCPRIM_400000_NS6detail17trampoline_kernelINS0_14default_configENS1_38merge_sort_block_merge_config_selectorIN6thrust23THRUST_200600_302600_NS4pairIiiEENS0_10empty_typeEEEZZNS1_27merge_sort_block_merge_implIS3_NS6_6detail15normal_iteratorINS6_10device_ptrIS8_EEEEPS9_mNS6_4lessIS8_EEEE10hipError_tT0_T1_T2_jT3_P12ihipStream_tbPNSt15iterator_traitsISL_E10value_typeEPNSR_ISM_E10value_typeEPSN_NS1_7vsmem_tEENKUlT_SL_SM_SN_E_clIPS8_SG_SH_SH_EESK_S10_SL_SM_SN_EUlS10_E1_NS1_11comp_targetILNS1_3genE4ELNS1_11target_archE910ELNS1_3gpuE8ELNS1_3repE0EEENS1_36merge_oddeven_config_static_selectorELNS0_4arch9wavefront6targetE0EEEvSM_.uses_vcc, 0
	.set _ZN7rocprim17ROCPRIM_400000_NS6detail17trampoline_kernelINS0_14default_configENS1_38merge_sort_block_merge_config_selectorIN6thrust23THRUST_200600_302600_NS4pairIiiEENS0_10empty_typeEEEZZNS1_27merge_sort_block_merge_implIS3_NS6_6detail15normal_iteratorINS6_10device_ptrIS8_EEEEPS9_mNS6_4lessIS8_EEEE10hipError_tT0_T1_T2_jT3_P12ihipStream_tbPNSt15iterator_traitsISL_E10value_typeEPNSR_ISM_E10value_typeEPSN_NS1_7vsmem_tEENKUlT_SL_SM_SN_E_clIPS8_SG_SH_SH_EESK_S10_SL_SM_SN_EUlS10_E1_NS1_11comp_targetILNS1_3genE4ELNS1_11target_archE910ELNS1_3gpuE8ELNS1_3repE0EEENS1_36merge_oddeven_config_static_selectorELNS0_4arch9wavefront6targetE0EEEvSM_.uses_flat_scratch, 0
	.set _ZN7rocprim17ROCPRIM_400000_NS6detail17trampoline_kernelINS0_14default_configENS1_38merge_sort_block_merge_config_selectorIN6thrust23THRUST_200600_302600_NS4pairIiiEENS0_10empty_typeEEEZZNS1_27merge_sort_block_merge_implIS3_NS6_6detail15normal_iteratorINS6_10device_ptrIS8_EEEEPS9_mNS6_4lessIS8_EEEE10hipError_tT0_T1_T2_jT3_P12ihipStream_tbPNSt15iterator_traitsISL_E10value_typeEPNSR_ISM_E10value_typeEPSN_NS1_7vsmem_tEENKUlT_SL_SM_SN_E_clIPS8_SG_SH_SH_EESK_S10_SL_SM_SN_EUlS10_E1_NS1_11comp_targetILNS1_3genE4ELNS1_11target_archE910ELNS1_3gpuE8ELNS1_3repE0EEENS1_36merge_oddeven_config_static_selectorELNS0_4arch9wavefront6targetE0EEEvSM_.has_dyn_sized_stack, 0
	.set _ZN7rocprim17ROCPRIM_400000_NS6detail17trampoline_kernelINS0_14default_configENS1_38merge_sort_block_merge_config_selectorIN6thrust23THRUST_200600_302600_NS4pairIiiEENS0_10empty_typeEEEZZNS1_27merge_sort_block_merge_implIS3_NS6_6detail15normal_iteratorINS6_10device_ptrIS8_EEEEPS9_mNS6_4lessIS8_EEEE10hipError_tT0_T1_T2_jT3_P12ihipStream_tbPNSt15iterator_traitsISL_E10value_typeEPNSR_ISM_E10value_typeEPSN_NS1_7vsmem_tEENKUlT_SL_SM_SN_E_clIPS8_SG_SH_SH_EESK_S10_SL_SM_SN_EUlS10_E1_NS1_11comp_targetILNS1_3genE4ELNS1_11target_archE910ELNS1_3gpuE8ELNS1_3repE0EEENS1_36merge_oddeven_config_static_selectorELNS0_4arch9wavefront6targetE0EEEvSM_.has_recursion, 0
	.set _ZN7rocprim17ROCPRIM_400000_NS6detail17trampoline_kernelINS0_14default_configENS1_38merge_sort_block_merge_config_selectorIN6thrust23THRUST_200600_302600_NS4pairIiiEENS0_10empty_typeEEEZZNS1_27merge_sort_block_merge_implIS3_NS6_6detail15normal_iteratorINS6_10device_ptrIS8_EEEEPS9_mNS6_4lessIS8_EEEE10hipError_tT0_T1_T2_jT3_P12ihipStream_tbPNSt15iterator_traitsISL_E10value_typeEPNSR_ISM_E10value_typeEPSN_NS1_7vsmem_tEENKUlT_SL_SM_SN_E_clIPS8_SG_SH_SH_EESK_S10_SL_SM_SN_EUlS10_E1_NS1_11comp_targetILNS1_3genE4ELNS1_11target_archE910ELNS1_3gpuE8ELNS1_3repE0EEENS1_36merge_oddeven_config_static_selectorELNS0_4arch9wavefront6targetE0EEEvSM_.has_indirect_call, 0
	.section	.AMDGPU.csdata,"",@progbits
; Kernel info:
; codeLenInByte = 0
; TotalNumSgprs: 0
; NumVgprs: 0
; ScratchSize: 0
; MemoryBound: 0
; FloatMode: 240
; IeeeMode: 1
; LDSByteSize: 0 bytes/workgroup (compile time only)
; SGPRBlocks: 0
; VGPRBlocks: 0
; NumSGPRsForWavesPerEU: 1
; NumVGPRsForWavesPerEU: 1
; Occupancy: 16
; WaveLimiterHint : 0
; COMPUTE_PGM_RSRC2:SCRATCH_EN: 0
; COMPUTE_PGM_RSRC2:USER_SGPR: 6
; COMPUTE_PGM_RSRC2:TRAP_HANDLER: 0
; COMPUTE_PGM_RSRC2:TGID_X_EN: 1
; COMPUTE_PGM_RSRC2:TGID_Y_EN: 0
; COMPUTE_PGM_RSRC2:TGID_Z_EN: 0
; COMPUTE_PGM_RSRC2:TIDIG_COMP_CNT: 0
	.section	.text._ZN7rocprim17ROCPRIM_400000_NS6detail17trampoline_kernelINS0_14default_configENS1_38merge_sort_block_merge_config_selectorIN6thrust23THRUST_200600_302600_NS4pairIiiEENS0_10empty_typeEEEZZNS1_27merge_sort_block_merge_implIS3_NS6_6detail15normal_iteratorINS6_10device_ptrIS8_EEEEPS9_mNS6_4lessIS8_EEEE10hipError_tT0_T1_T2_jT3_P12ihipStream_tbPNSt15iterator_traitsISL_E10value_typeEPNSR_ISM_E10value_typeEPSN_NS1_7vsmem_tEENKUlT_SL_SM_SN_E_clIPS8_SG_SH_SH_EESK_S10_SL_SM_SN_EUlS10_E1_NS1_11comp_targetILNS1_3genE3ELNS1_11target_archE908ELNS1_3gpuE7ELNS1_3repE0EEENS1_36merge_oddeven_config_static_selectorELNS0_4arch9wavefront6targetE0EEEvSM_,"axG",@progbits,_ZN7rocprim17ROCPRIM_400000_NS6detail17trampoline_kernelINS0_14default_configENS1_38merge_sort_block_merge_config_selectorIN6thrust23THRUST_200600_302600_NS4pairIiiEENS0_10empty_typeEEEZZNS1_27merge_sort_block_merge_implIS3_NS6_6detail15normal_iteratorINS6_10device_ptrIS8_EEEEPS9_mNS6_4lessIS8_EEEE10hipError_tT0_T1_T2_jT3_P12ihipStream_tbPNSt15iterator_traitsISL_E10value_typeEPNSR_ISM_E10value_typeEPSN_NS1_7vsmem_tEENKUlT_SL_SM_SN_E_clIPS8_SG_SH_SH_EESK_S10_SL_SM_SN_EUlS10_E1_NS1_11comp_targetILNS1_3genE3ELNS1_11target_archE908ELNS1_3gpuE7ELNS1_3repE0EEENS1_36merge_oddeven_config_static_selectorELNS0_4arch9wavefront6targetE0EEEvSM_,comdat
	.protected	_ZN7rocprim17ROCPRIM_400000_NS6detail17trampoline_kernelINS0_14default_configENS1_38merge_sort_block_merge_config_selectorIN6thrust23THRUST_200600_302600_NS4pairIiiEENS0_10empty_typeEEEZZNS1_27merge_sort_block_merge_implIS3_NS6_6detail15normal_iteratorINS6_10device_ptrIS8_EEEEPS9_mNS6_4lessIS8_EEEE10hipError_tT0_T1_T2_jT3_P12ihipStream_tbPNSt15iterator_traitsISL_E10value_typeEPNSR_ISM_E10value_typeEPSN_NS1_7vsmem_tEENKUlT_SL_SM_SN_E_clIPS8_SG_SH_SH_EESK_S10_SL_SM_SN_EUlS10_E1_NS1_11comp_targetILNS1_3genE3ELNS1_11target_archE908ELNS1_3gpuE7ELNS1_3repE0EEENS1_36merge_oddeven_config_static_selectorELNS0_4arch9wavefront6targetE0EEEvSM_ ; -- Begin function _ZN7rocprim17ROCPRIM_400000_NS6detail17trampoline_kernelINS0_14default_configENS1_38merge_sort_block_merge_config_selectorIN6thrust23THRUST_200600_302600_NS4pairIiiEENS0_10empty_typeEEEZZNS1_27merge_sort_block_merge_implIS3_NS6_6detail15normal_iteratorINS6_10device_ptrIS8_EEEEPS9_mNS6_4lessIS8_EEEE10hipError_tT0_T1_T2_jT3_P12ihipStream_tbPNSt15iterator_traitsISL_E10value_typeEPNSR_ISM_E10value_typeEPSN_NS1_7vsmem_tEENKUlT_SL_SM_SN_E_clIPS8_SG_SH_SH_EESK_S10_SL_SM_SN_EUlS10_E1_NS1_11comp_targetILNS1_3genE3ELNS1_11target_archE908ELNS1_3gpuE7ELNS1_3repE0EEENS1_36merge_oddeven_config_static_selectorELNS0_4arch9wavefront6targetE0EEEvSM_
	.globl	_ZN7rocprim17ROCPRIM_400000_NS6detail17trampoline_kernelINS0_14default_configENS1_38merge_sort_block_merge_config_selectorIN6thrust23THRUST_200600_302600_NS4pairIiiEENS0_10empty_typeEEEZZNS1_27merge_sort_block_merge_implIS3_NS6_6detail15normal_iteratorINS6_10device_ptrIS8_EEEEPS9_mNS6_4lessIS8_EEEE10hipError_tT0_T1_T2_jT3_P12ihipStream_tbPNSt15iterator_traitsISL_E10value_typeEPNSR_ISM_E10value_typeEPSN_NS1_7vsmem_tEENKUlT_SL_SM_SN_E_clIPS8_SG_SH_SH_EESK_S10_SL_SM_SN_EUlS10_E1_NS1_11comp_targetILNS1_3genE3ELNS1_11target_archE908ELNS1_3gpuE7ELNS1_3repE0EEENS1_36merge_oddeven_config_static_selectorELNS0_4arch9wavefront6targetE0EEEvSM_
	.p2align	8
	.type	_ZN7rocprim17ROCPRIM_400000_NS6detail17trampoline_kernelINS0_14default_configENS1_38merge_sort_block_merge_config_selectorIN6thrust23THRUST_200600_302600_NS4pairIiiEENS0_10empty_typeEEEZZNS1_27merge_sort_block_merge_implIS3_NS6_6detail15normal_iteratorINS6_10device_ptrIS8_EEEEPS9_mNS6_4lessIS8_EEEE10hipError_tT0_T1_T2_jT3_P12ihipStream_tbPNSt15iterator_traitsISL_E10value_typeEPNSR_ISM_E10value_typeEPSN_NS1_7vsmem_tEENKUlT_SL_SM_SN_E_clIPS8_SG_SH_SH_EESK_S10_SL_SM_SN_EUlS10_E1_NS1_11comp_targetILNS1_3genE3ELNS1_11target_archE908ELNS1_3gpuE7ELNS1_3repE0EEENS1_36merge_oddeven_config_static_selectorELNS0_4arch9wavefront6targetE0EEEvSM_,@function
_ZN7rocprim17ROCPRIM_400000_NS6detail17trampoline_kernelINS0_14default_configENS1_38merge_sort_block_merge_config_selectorIN6thrust23THRUST_200600_302600_NS4pairIiiEENS0_10empty_typeEEEZZNS1_27merge_sort_block_merge_implIS3_NS6_6detail15normal_iteratorINS6_10device_ptrIS8_EEEEPS9_mNS6_4lessIS8_EEEE10hipError_tT0_T1_T2_jT3_P12ihipStream_tbPNSt15iterator_traitsISL_E10value_typeEPNSR_ISM_E10value_typeEPSN_NS1_7vsmem_tEENKUlT_SL_SM_SN_E_clIPS8_SG_SH_SH_EESK_S10_SL_SM_SN_EUlS10_E1_NS1_11comp_targetILNS1_3genE3ELNS1_11target_archE908ELNS1_3gpuE7ELNS1_3repE0EEENS1_36merge_oddeven_config_static_selectorELNS0_4arch9wavefront6targetE0EEEvSM_: ; @_ZN7rocprim17ROCPRIM_400000_NS6detail17trampoline_kernelINS0_14default_configENS1_38merge_sort_block_merge_config_selectorIN6thrust23THRUST_200600_302600_NS4pairIiiEENS0_10empty_typeEEEZZNS1_27merge_sort_block_merge_implIS3_NS6_6detail15normal_iteratorINS6_10device_ptrIS8_EEEEPS9_mNS6_4lessIS8_EEEE10hipError_tT0_T1_T2_jT3_P12ihipStream_tbPNSt15iterator_traitsISL_E10value_typeEPNSR_ISM_E10value_typeEPSN_NS1_7vsmem_tEENKUlT_SL_SM_SN_E_clIPS8_SG_SH_SH_EESK_S10_SL_SM_SN_EUlS10_E1_NS1_11comp_targetILNS1_3genE3ELNS1_11target_archE908ELNS1_3gpuE7ELNS1_3repE0EEENS1_36merge_oddeven_config_static_selectorELNS0_4arch9wavefront6targetE0EEEvSM_
; %bb.0:
	.section	.rodata,"a",@progbits
	.p2align	6, 0x0
	.amdhsa_kernel _ZN7rocprim17ROCPRIM_400000_NS6detail17trampoline_kernelINS0_14default_configENS1_38merge_sort_block_merge_config_selectorIN6thrust23THRUST_200600_302600_NS4pairIiiEENS0_10empty_typeEEEZZNS1_27merge_sort_block_merge_implIS3_NS6_6detail15normal_iteratorINS6_10device_ptrIS8_EEEEPS9_mNS6_4lessIS8_EEEE10hipError_tT0_T1_T2_jT3_P12ihipStream_tbPNSt15iterator_traitsISL_E10value_typeEPNSR_ISM_E10value_typeEPSN_NS1_7vsmem_tEENKUlT_SL_SM_SN_E_clIPS8_SG_SH_SH_EESK_S10_SL_SM_SN_EUlS10_E1_NS1_11comp_targetILNS1_3genE3ELNS1_11target_archE908ELNS1_3gpuE7ELNS1_3repE0EEENS1_36merge_oddeven_config_static_selectorELNS0_4arch9wavefront6targetE0EEEvSM_
		.amdhsa_group_segment_fixed_size 0
		.amdhsa_private_segment_fixed_size 0
		.amdhsa_kernarg_size 56
		.amdhsa_user_sgpr_count 6
		.amdhsa_user_sgpr_private_segment_buffer 1
		.amdhsa_user_sgpr_dispatch_ptr 0
		.amdhsa_user_sgpr_queue_ptr 0
		.amdhsa_user_sgpr_kernarg_segment_ptr 1
		.amdhsa_user_sgpr_dispatch_id 0
		.amdhsa_user_sgpr_flat_scratch_init 0
		.amdhsa_user_sgpr_private_segment_size 0
		.amdhsa_wavefront_size32 1
		.amdhsa_uses_dynamic_stack 0
		.amdhsa_system_sgpr_private_segment_wavefront_offset 0
		.amdhsa_system_sgpr_workgroup_id_x 1
		.amdhsa_system_sgpr_workgroup_id_y 0
		.amdhsa_system_sgpr_workgroup_id_z 0
		.amdhsa_system_sgpr_workgroup_info 0
		.amdhsa_system_vgpr_workitem_id 0
		.amdhsa_next_free_vgpr 1
		.amdhsa_next_free_sgpr 1
		.amdhsa_reserve_vcc 0
		.amdhsa_reserve_flat_scratch 0
		.amdhsa_float_round_mode_32 0
		.amdhsa_float_round_mode_16_64 0
		.amdhsa_float_denorm_mode_32 3
		.amdhsa_float_denorm_mode_16_64 3
		.amdhsa_dx10_clamp 1
		.amdhsa_ieee_mode 1
		.amdhsa_fp16_overflow 0
		.amdhsa_workgroup_processor_mode 1
		.amdhsa_memory_ordered 1
		.amdhsa_forward_progress 1
		.amdhsa_shared_vgpr_count 0
		.amdhsa_exception_fp_ieee_invalid_op 0
		.amdhsa_exception_fp_denorm_src 0
		.amdhsa_exception_fp_ieee_div_zero 0
		.amdhsa_exception_fp_ieee_overflow 0
		.amdhsa_exception_fp_ieee_underflow 0
		.amdhsa_exception_fp_ieee_inexact 0
		.amdhsa_exception_int_div_zero 0
	.end_amdhsa_kernel
	.section	.text._ZN7rocprim17ROCPRIM_400000_NS6detail17trampoline_kernelINS0_14default_configENS1_38merge_sort_block_merge_config_selectorIN6thrust23THRUST_200600_302600_NS4pairIiiEENS0_10empty_typeEEEZZNS1_27merge_sort_block_merge_implIS3_NS6_6detail15normal_iteratorINS6_10device_ptrIS8_EEEEPS9_mNS6_4lessIS8_EEEE10hipError_tT0_T1_T2_jT3_P12ihipStream_tbPNSt15iterator_traitsISL_E10value_typeEPNSR_ISM_E10value_typeEPSN_NS1_7vsmem_tEENKUlT_SL_SM_SN_E_clIPS8_SG_SH_SH_EESK_S10_SL_SM_SN_EUlS10_E1_NS1_11comp_targetILNS1_3genE3ELNS1_11target_archE908ELNS1_3gpuE7ELNS1_3repE0EEENS1_36merge_oddeven_config_static_selectorELNS0_4arch9wavefront6targetE0EEEvSM_,"axG",@progbits,_ZN7rocprim17ROCPRIM_400000_NS6detail17trampoline_kernelINS0_14default_configENS1_38merge_sort_block_merge_config_selectorIN6thrust23THRUST_200600_302600_NS4pairIiiEENS0_10empty_typeEEEZZNS1_27merge_sort_block_merge_implIS3_NS6_6detail15normal_iteratorINS6_10device_ptrIS8_EEEEPS9_mNS6_4lessIS8_EEEE10hipError_tT0_T1_T2_jT3_P12ihipStream_tbPNSt15iterator_traitsISL_E10value_typeEPNSR_ISM_E10value_typeEPSN_NS1_7vsmem_tEENKUlT_SL_SM_SN_E_clIPS8_SG_SH_SH_EESK_S10_SL_SM_SN_EUlS10_E1_NS1_11comp_targetILNS1_3genE3ELNS1_11target_archE908ELNS1_3gpuE7ELNS1_3repE0EEENS1_36merge_oddeven_config_static_selectorELNS0_4arch9wavefront6targetE0EEEvSM_,comdat
.Lfunc_end653:
	.size	_ZN7rocprim17ROCPRIM_400000_NS6detail17trampoline_kernelINS0_14default_configENS1_38merge_sort_block_merge_config_selectorIN6thrust23THRUST_200600_302600_NS4pairIiiEENS0_10empty_typeEEEZZNS1_27merge_sort_block_merge_implIS3_NS6_6detail15normal_iteratorINS6_10device_ptrIS8_EEEEPS9_mNS6_4lessIS8_EEEE10hipError_tT0_T1_T2_jT3_P12ihipStream_tbPNSt15iterator_traitsISL_E10value_typeEPNSR_ISM_E10value_typeEPSN_NS1_7vsmem_tEENKUlT_SL_SM_SN_E_clIPS8_SG_SH_SH_EESK_S10_SL_SM_SN_EUlS10_E1_NS1_11comp_targetILNS1_3genE3ELNS1_11target_archE908ELNS1_3gpuE7ELNS1_3repE0EEENS1_36merge_oddeven_config_static_selectorELNS0_4arch9wavefront6targetE0EEEvSM_, .Lfunc_end653-_ZN7rocprim17ROCPRIM_400000_NS6detail17trampoline_kernelINS0_14default_configENS1_38merge_sort_block_merge_config_selectorIN6thrust23THRUST_200600_302600_NS4pairIiiEENS0_10empty_typeEEEZZNS1_27merge_sort_block_merge_implIS3_NS6_6detail15normal_iteratorINS6_10device_ptrIS8_EEEEPS9_mNS6_4lessIS8_EEEE10hipError_tT0_T1_T2_jT3_P12ihipStream_tbPNSt15iterator_traitsISL_E10value_typeEPNSR_ISM_E10value_typeEPSN_NS1_7vsmem_tEENKUlT_SL_SM_SN_E_clIPS8_SG_SH_SH_EESK_S10_SL_SM_SN_EUlS10_E1_NS1_11comp_targetILNS1_3genE3ELNS1_11target_archE908ELNS1_3gpuE7ELNS1_3repE0EEENS1_36merge_oddeven_config_static_selectorELNS0_4arch9wavefront6targetE0EEEvSM_
                                        ; -- End function
	.set _ZN7rocprim17ROCPRIM_400000_NS6detail17trampoline_kernelINS0_14default_configENS1_38merge_sort_block_merge_config_selectorIN6thrust23THRUST_200600_302600_NS4pairIiiEENS0_10empty_typeEEEZZNS1_27merge_sort_block_merge_implIS3_NS6_6detail15normal_iteratorINS6_10device_ptrIS8_EEEEPS9_mNS6_4lessIS8_EEEE10hipError_tT0_T1_T2_jT3_P12ihipStream_tbPNSt15iterator_traitsISL_E10value_typeEPNSR_ISM_E10value_typeEPSN_NS1_7vsmem_tEENKUlT_SL_SM_SN_E_clIPS8_SG_SH_SH_EESK_S10_SL_SM_SN_EUlS10_E1_NS1_11comp_targetILNS1_3genE3ELNS1_11target_archE908ELNS1_3gpuE7ELNS1_3repE0EEENS1_36merge_oddeven_config_static_selectorELNS0_4arch9wavefront6targetE0EEEvSM_.num_vgpr, 0
	.set _ZN7rocprim17ROCPRIM_400000_NS6detail17trampoline_kernelINS0_14default_configENS1_38merge_sort_block_merge_config_selectorIN6thrust23THRUST_200600_302600_NS4pairIiiEENS0_10empty_typeEEEZZNS1_27merge_sort_block_merge_implIS3_NS6_6detail15normal_iteratorINS6_10device_ptrIS8_EEEEPS9_mNS6_4lessIS8_EEEE10hipError_tT0_T1_T2_jT3_P12ihipStream_tbPNSt15iterator_traitsISL_E10value_typeEPNSR_ISM_E10value_typeEPSN_NS1_7vsmem_tEENKUlT_SL_SM_SN_E_clIPS8_SG_SH_SH_EESK_S10_SL_SM_SN_EUlS10_E1_NS1_11comp_targetILNS1_3genE3ELNS1_11target_archE908ELNS1_3gpuE7ELNS1_3repE0EEENS1_36merge_oddeven_config_static_selectorELNS0_4arch9wavefront6targetE0EEEvSM_.num_agpr, 0
	.set _ZN7rocprim17ROCPRIM_400000_NS6detail17trampoline_kernelINS0_14default_configENS1_38merge_sort_block_merge_config_selectorIN6thrust23THRUST_200600_302600_NS4pairIiiEENS0_10empty_typeEEEZZNS1_27merge_sort_block_merge_implIS3_NS6_6detail15normal_iteratorINS6_10device_ptrIS8_EEEEPS9_mNS6_4lessIS8_EEEE10hipError_tT0_T1_T2_jT3_P12ihipStream_tbPNSt15iterator_traitsISL_E10value_typeEPNSR_ISM_E10value_typeEPSN_NS1_7vsmem_tEENKUlT_SL_SM_SN_E_clIPS8_SG_SH_SH_EESK_S10_SL_SM_SN_EUlS10_E1_NS1_11comp_targetILNS1_3genE3ELNS1_11target_archE908ELNS1_3gpuE7ELNS1_3repE0EEENS1_36merge_oddeven_config_static_selectorELNS0_4arch9wavefront6targetE0EEEvSM_.numbered_sgpr, 0
	.set _ZN7rocprim17ROCPRIM_400000_NS6detail17trampoline_kernelINS0_14default_configENS1_38merge_sort_block_merge_config_selectorIN6thrust23THRUST_200600_302600_NS4pairIiiEENS0_10empty_typeEEEZZNS1_27merge_sort_block_merge_implIS3_NS6_6detail15normal_iteratorINS6_10device_ptrIS8_EEEEPS9_mNS6_4lessIS8_EEEE10hipError_tT0_T1_T2_jT3_P12ihipStream_tbPNSt15iterator_traitsISL_E10value_typeEPNSR_ISM_E10value_typeEPSN_NS1_7vsmem_tEENKUlT_SL_SM_SN_E_clIPS8_SG_SH_SH_EESK_S10_SL_SM_SN_EUlS10_E1_NS1_11comp_targetILNS1_3genE3ELNS1_11target_archE908ELNS1_3gpuE7ELNS1_3repE0EEENS1_36merge_oddeven_config_static_selectorELNS0_4arch9wavefront6targetE0EEEvSM_.num_named_barrier, 0
	.set _ZN7rocprim17ROCPRIM_400000_NS6detail17trampoline_kernelINS0_14default_configENS1_38merge_sort_block_merge_config_selectorIN6thrust23THRUST_200600_302600_NS4pairIiiEENS0_10empty_typeEEEZZNS1_27merge_sort_block_merge_implIS3_NS6_6detail15normal_iteratorINS6_10device_ptrIS8_EEEEPS9_mNS6_4lessIS8_EEEE10hipError_tT0_T1_T2_jT3_P12ihipStream_tbPNSt15iterator_traitsISL_E10value_typeEPNSR_ISM_E10value_typeEPSN_NS1_7vsmem_tEENKUlT_SL_SM_SN_E_clIPS8_SG_SH_SH_EESK_S10_SL_SM_SN_EUlS10_E1_NS1_11comp_targetILNS1_3genE3ELNS1_11target_archE908ELNS1_3gpuE7ELNS1_3repE0EEENS1_36merge_oddeven_config_static_selectorELNS0_4arch9wavefront6targetE0EEEvSM_.private_seg_size, 0
	.set _ZN7rocprim17ROCPRIM_400000_NS6detail17trampoline_kernelINS0_14default_configENS1_38merge_sort_block_merge_config_selectorIN6thrust23THRUST_200600_302600_NS4pairIiiEENS0_10empty_typeEEEZZNS1_27merge_sort_block_merge_implIS3_NS6_6detail15normal_iteratorINS6_10device_ptrIS8_EEEEPS9_mNS6_4lessIS8_EEEE10hipError_tT0_T1_T2_jT3_P12ihipStream_tbPNSt15iterator_traitsISL_E10value_typeEPNSR_ISM_E10value_typeEPSN_NS1_7vsmem_tEENKUlT_SL_SM_SN_E_clIPS8_SG_SH_SH_EESK_S10_SL_SM_SN_EUlS10_E1_NS1_11comp_targetILNS1_3genE3ELNS1_11target_archE908ELNS1_3gpuE7ELNS1_3repE0EEENS1_36merge_oddeven_config_static_selectorELNS0_4arch9wavefront6targetE0EEEvSM_.uses_vcc, 0
	.set _ZN7rocprim17ROCPRIM_400000_NS6detail17trampoline_kernelINS0_14default_configENS1_38merge_sort_block_merge_config_selectorIN6thrust23THRUST_200600_302600_NS4pairIiiEENS0_10empty_typeEEEZZNS1_27merge_sort_block_merge_implIS3_NS6_6detail15normal_iteratorINS6_10device_ptrIS8_EEEEPS9_mNS6_4lessIS8_EEEE10hipError_tT0_T1_T2_jT3_P12ihipStream_tbPNSt15iterator_traitsISL_E10value_typeEPNSR_ISM_E10value_typeEPSN_NS1_7vsmem_tEENKUlT_SL_SM_SN_E_clIPS8_SG_SH_SH_EESK_S10_SL_SM_SN_EUlS10_E1_NS1_11comp_targetILNS1_3genE3ELNS1_11target_archE908ELNS1_3gpuE7ELNS1_3repE0EEENS1_36merge_oddeven_config_static_selectorELNS0_4arch9wavefront6targetE0EEEvSM_.uses_flat_scratch, 0
	.set _ZN7rocprim17ROCPRIM_400000_NS6detail17trampoline_kernelINS0_14default_configENS1_38merge_sort_block_merge_config_selectorIN6thrust23THRUST_200600_302600_NS4pairIiiEENS0_10empty_typeEEEZZNS1_27merge_sort_block_merge_implIS3_NS6_6detail15normal_iteratorINS6_10device_ptrIS8_EEEEPS9_mNS6_4lessIS8_EEEE10hipError_tT0_T1_T2_jT3_P12ihipStream_tbPNSt15iterator_traitsISL_E10value_typeEPNSR_ISM_E10value_typeEPSN_NS1_7vsmem_tEENKUlT_SL_SM_SN_E_clIPS8_SG_SH_SH_EESK_S10_SL_SM_SN_EUlS10_E1_NS1_11comp_targetILNS1_3genE3ELNS1_11target_archE908ELNS1_3gpuE7ELNS1_3repE0EEENS1_36merge_oddeven_config_static_selectorELNS0_4arch9wavefront6targetE0EEEvSM_.has_dyn_sized_stack, 0
	.set _ZN7rocprim17ROCPRIM_400000_NS6detail17trampoline_kernelINS0_14default_configENS1_38merge_sort_block_merge_config_selectorIN6thrust23THRUST_200600_302600_NS4pairIiiEENS0_10empty_typeEEEZZNS1_27merge_sort_block_merge_implIS3_NS6_6detail15normal_iteratorINS6_10device_ptrIS8_EEEEPS9_mNS6_4lessIS8_EEEE10hipError_tT0_T1_T2_jT3_P12ihipStream_tbPNSt15iterator_traitsISL_E10value_typeEPNSR_ISM_E10value_typeEPSN_NS1_7vsmem_tEENKUlT_SL_SM_SN_E_clIPS8_SG_SH_SH_EESK_S10_SL_SM_SN_EUlS10_E1_NS1_11comp_targetILNS1_3genE3ELNS1_11target_archE908ELNS1_3gpuE7ELNS1_3repE0EEENS1_36merge_oddeven_config_static_selectorELNS0_4arch9wavefront6targetE0EEEvSM_.has_recursion, 0
	.set _ZN7rocprim17ROCPRIM_400000_NS6detail17trampoline_kernelINS0_14default_configENS1_38merge_sort_block_merge_config_selectorIN6thrust23THRUST_200600_302600_NS4pairIiiEENS0_10empty_typeEEEZZNS1_27merge_sort_block_merge_implIS3_NS6_6detail15normal_iteratorINS6_10device_ptrIS8_EEEEPS9_mNS6_4lessIS8_EEEE10hipError_tT0_T1_T2_jT3_P12ihipStream_tbPNSt15iterator_traitsISL_E10value_typeEPNSR_ISM_E10value_typeEPSN_NS1_7vsmem_tEENKUlT_SL_SM_SN_E_clIPS8_SG_SH_SH_EESK_S10_SL_SM_SN_EUlS10_E1_NS1_11comp_targetILNS1_3genE3ELNS1_11target_archE908ELNS1_3gpuE7ELNS1_3repE0EEENS1_36merge_oddeven_config_static_selectorELNS0_4arch9wavefront6targetE0EEEvSM_.has_indirect_call, 0
	.section	.AMDGPU.csdata,"",@progbits
; Kernel info:
; codeLenInByte = 0
; TotalNumSgprs: 0
; NumVgprs: 0
; ScratchSize: 0
; MemoryBound: 0
; FloatMode: 240
; IeeeMode: 1
; LDSByteSize: 0 bytes/workgroup (compile time only)
; SGPRBlocks: 0
; VGPRBlocks: 0
; NumSGPRsForWavesPerEU: 1
; NumVGPRsForWavesPerEU: 1
; Occupancy: 16
; WaveLimiterHint : 0
; COMPUTE_PGM_RSRC2:SCRATCH_EN: 0
; COMPUTE_PGM_RSRC2:USER_SGPR: 6
; COMPUTE_PGM_RSRC2:TRAP_HANDLER: 0
; COMPUTE_PGM_RSRC2:TGID_X_EN: 1
; COMPUTE_PGM_RSRC2:TGID_Y_EN: 0
; COMPUTE_PGM_RSRC2:TGID_Z_EN: 0
; COMPUTE_PGM_RSRC2:TIDIG_COMP_CNT: 0
	.section	.text._ZN7rocprim17ROCPRIM_400000_NS6detail17trampoline_kernelINS0_14default_configENS1_38merge_sort_block_merge_config_selectorIN6thrust23THRUST_200600_302600_NS4pairIiiEENS0_10empty_typeEEEZZNS1_27merge_sort_block_merge_implIS3_NS6_6detail15normal_iteratorINS6_10device_ptrIS8_EEEEPS9_mNS6_4lessIS8_EEEE10hipError_tT0_T1_T2_jT3_P12ihipStream_tbPNSt15iterator_traitsISL_E10value_typeEPNSR_ISM_E10value_typeEPSN_NS1_7vsmem_tEENKUlT_SL_SM_SN_E_clIPS8_SG_SH_SH_EESK_S10_SL_SM_SN_EUlS10_E1_NS1_11comp_targetILNS1_3genE2ELNS1_11target_archE906ELNS1_3gpuE6ELNS1_3repE0EEENS1_36merge_oddeven_config_static_selectorELNS0_4arch9wavefront6targetE0EEEvSM_,"axG",@progbits,_ZN7rocprim17ROCPRIM_400000_NS6detail17trampoline_kernelINS0_14default_configENS1_38merge_sort_block_merge_config_selectorIN6thrust23THRUST_200600_302600_NS4pairIiiEENS0_10empty_typeEEEZZNS1_27merge_sort_block_merge_implIS3_NS6_6detail15normal_iteratorINS6_10device_ptrIS8_EEEEPS9_mNS6_4lessIS8_EEEE10hipError_tT0_T1_T2_jT3_P12ihipStream_tbPNSt15iterator_traitsISL_E10value_typeEPNSR_ISM_E10value_typeEPSN_NS1_7vsmem_tEENKUlT_SL_SM_SN_E_clIPS8_SG_SH_SH_EESK_S10_SL_SM_SN_EUlS10_E1_NS1_11comp_targetILNS1_3genE2ELNS1_11target_archE906ELNS1_3gpuE6ELNS1_3repE0EEENS1_36merge_oddeven_config_static_selectorELNS0_4arch9wavefront6targetE0EEEvSM_,comdat
	.protected	_ZN7rocprim17ROCPRIM_400000_NS6detail17trampoline_kernelINS0_14default_configENS1_38merge_sort_block_merge_config_selectorIN6thrust23THRUST_200600_302600_NS4pairIiiEENS0_10empty_typeEEEZZNS1_27merge_sort_block_merge_implIS3_NS6_6detail15normal_iteratorINS6_10device_ptrIS8_EEEEPS9_mNS6_4lessIS8_EEEE10hipError_tT0_T1_T2_jT3_P12ihipStream_tbPNSt15iterator_traitsISL_E10value_typeEPNSR_ISM_E10value_typeEPSN_NS1_7vsmem_tEENKUlT_SL_SM_SN_E_clIPS8_SG_SH_SH_EESK_S10_SL_SM_SN_EUlS10_E1_NS1_11comp_targetILNS1_3genE2ELNS1_11target_archE906ELNS1_3gpuE6ELNS1_3repE0EEENS1_36merge_oddeven_config_static_selectorELNS0_4arch9wavefront6targetE0EEEvSM_ ; -- Begin function _ZN7rocprim17ROCPRIM_400000_NS6detail17trampoline_kernelINS0_14default_configENS1_38merge_sort_block_merge_config_selectorIN6thrust23THRUST_200600_302600_NS4pairIiiEENS0_10empty_typeEEEZZNS1_27merge_sort_block_merge_implIS3_NS6_6detail15normal_iteratorINS6_10device_ptrIS8_EEEEPS9_mNS6_4lessIS8_EEEE10hipError_tT0_T1_T2_jT3_P12ihipStream_tbPNSt15iterator_traitsISL_E10value_typeEPNSR_ISM_E10value_typeEPSN_NS1_7vsmem_tEENKUlT_SL_SM_SN_E_clIPS8_SG_SH_SH_EESK_S10_SL_SM_SN_EUlS10_E1_NS1_11comp_targetILNS1_3genE2ELNS1_11target_archE906ELNS1_3gpuE6ELNS1_3repE0EEENS1_36merge_oddeven_config_static_selectorELNS0_4arch9wavefront6targetE0EEEvSM_
	.globl	_ZN7rocprim17ROCPRIM_400000_NS6detail17trampoline_kernelINS0_14default_configENS1_38merge_sort_block_merge_config_selectorIN6thrust23THRUST_200600_302600_NS4pairIiiEENS0_10empty_typeEEEZZNS1_27merge_sort_block_merge_implIS3_NS6_6detail15normal_iteratorINS6_10device_ptrIS8_EEEEPS9_mNS6_4lessIS8_EEEE10hipError_tT0_T1_T2_jT3_P12ihipStream_tbPNSt15iterator_traitsISL_E10value_typeEPNSR_ISM_E10value_typeEPSN_NS1_7vsmem_tEENKUlT_SL_SM_SN_E_clIPS8_SG_SH_SH_EESK_S10_SL_SM_SN_EUlS10_E1_NS1_11comp_targetILNS1_3genE2ELNS1_11target_archE906ELNS1_3gpuE6ELNS1_3repE0EEENS1_36merge_oddeven_config_static_selectorELNS0_4arch9wavefront6targetE0EEEvSM_
	.p2align	8
	.type	_ZN7rocprim17ROCPRIM_400000_NS6detail17trampoline_kernelINS0_14default_configENS1_38merge_sort_block_merge_config_selectorIN6thrust23THRUST_200600_302600_NS4pairIiiEENS0_10empty_typeEEEZZNS1_27merge_sort_block_merge_implIS3_NS6_6detail15normal_iteratorINS6_10device_ptrIS8_EEEEPS9_mNS6_4lessIS8_EEEE10hipError_tT0_T1_T2_jT3_P12ihipStream_tbPNSt15iterator_traitsISL_E10value_typeEPNSR_ISM_E10value_typeEPSN_NS1_7vsmem_tEENKUlT_SL_SM_SN_E_clIPS8_SG_SH_SH_EESK_S10_SL_SM_SN_EUlS10_E1_NS1_11comp_targetILNS1_3genE2ELNS1_11target_archE906ELNS1_3gpuE6ELNS1_3repE0EEENS1_36merge_oddeven_config_static_selectorELNS0_4arch9wavefront6targetE0EEEvSM_,@function
_ZN7rocprim17ROCPRIM_400000_NS6detail17trampoline_kernelINS0_14default_configENS1_38merge_sort_block_merge_config_selectorIN6thrust23THRUST_200600_302600_NS4pairIiiEENS0_10empty_typeEEEZZNS1_27merge_sort_block_merge_implIS3_NS6_6detail15normal_iteratorINS6_10device_ptrIS8_EEEEPS9_mNS6_4lessIS8_EEEE10hipError_tT0_T1_T2_jT3_P12ihipStream_tbPNSt15iterator_traitsISL_E10value_typeEPNSR_ISM_E10value_typeEPSN_NS1_7vsmem_tEENKUlT_SL_SM_SN_E_clIPS8_SG_SH_SH_EESK_S10_SL_SM_SN_EUlS10_E1_NS1_11comp_targetILNS1_3genE2ELNS1_11target_archE906ELNS1_3gpuE6ELNS1_3repE0EEENS1_36merge_oddeven_config_static_selectorELNS0_4arch9wavefront6targetE0EEEvSM_: ; @_ZN7rocprim17ROCPRIM_400000_NS6detail17trampoline_kernelINS0_14default_configENS1_38merge_sort_block_merge_config_selectorIN6thrust23THRUST_200600_302600_NS4pairIiiEENS0_10empty_typeEEEZZNS1_27merge_sort_block_merge_implIS3_NS6_6detail15normal_iteratorINS6_10device_ptrIS8_EEEEPS9_mNS6_4lessIS8_EEEE10hipError_tT0_T1_T2_jT3_P12ihipStream_tbPNSt15iterator_traitsISL_E10value_typeEPNSR_ISM_E10value_typeEPSN_NS1_7vsmem_tEENKUlT_SL_SM_SN_E_clIPS8_SG_SH_SH_EESK_S10_SL_SM_SN_EUlS10_E1_NS1_11comp_targetILNS1_3genE2ELNS1_11target_archE906ELNS1_3gpuE6ELNS1_3repE0EEENS1_36merge_oddeven_config_static_selectorELNS0_4arch9wavefront6targetE0EEEvSM_
; %bb.0:
	.section	.rodata,"a",@progbits
	.p2align	6, 0x0
	.amdhsa_kernel _ZN7rocprim17ROCPRIM_400000_NS6detail17trampoline_kernelINS0_14default_configENS1_38merge_sort_block_merge_config_selectorIN6thrust23THRUST_200600_302600_NS4pairIiiEENS0_10empty_typeEEEZZNS1_27merge_sort_block_merge_implIS3_NS6_6detail15normal_iteratorINS6_10device_ptrIS8_EEEEPS9_mNS6_4lessIS8_EEEE10hipError_tT0_T1_T2_jT3_P12ihipStream_tbPNSt15iterator_traitsISL_E10value_typeEPNSR_ISM_E10value_typeEPSN_NS1_7vsmem_tEENKUlT_SL_SM_SN_E_clIPS8_SG_SH_SH_EESK_S10_SL_SM_SN_EUlS10_E1_NS1_11comp_targetILNS1_3genE2ELNS1_11target_archE906ELNS1_3gpuE6ELNS1_3repE0EEENS1_36merge_oddeven_config_static_selectorELNS0_4arch9wavefront6targetE0EEEvSM_
		.amdhsa_group_segment_fixed_size 0
		.amdhsa_private_segment_fixed_size 0
		.amdhsa_kernarg_size 56
		.amdhsa_user_sgpr_count 6
		.amdhsa_user_sgpr_private_segment_buffer 1
		.amdhsa_user_sgpr_dispatch_ptr 0
		.amdhsa_user_sgpr_queue_ptr 0
		.amdhsa_user_sgpr_kernarg_segment_ptr 1
		.amdhsa_user_sgpr_dispatch_id 0
		.amdhsa_user_sgpr_flat_scratch_init 0
		.amdhsa_user_sgpr_private_segment_size 0
		.amdhsa_wavefront_size32 1
		.amdhsa_uses_dynamic_stack 0
		.amdhsa_system_sgpr_private_segment_wavefront_offset 0
		.amdhsa_system_sgpr_workgroup_id_x 1
		.amdhsa_system_sgpr_workgroup_id_y 0
		.amdhsa_system_sgpr_workgroup_id_z 0
		.amdhsa_system_sgpr_workgroup_info 0
		.amdhsa_system_vgpr_workitem_id 0
		.amdhsa_next_free_vgpr 1
		.amdhsa_next_free_sgpr 1
		.amdhsa_reserve_vcc 0
		.amdhsa_reserve_flat_scratch 0
		.amdhsa_float_round_mode_32 0
		.amdhsa_float_round_mode_16_64 0
		.amdhsa_float_denorm_mode_32 3
		.amdhsa_float_denorm_mode_16_64 3
		.amdhsa_dx10_clamp 1
		.amdhsa_ieee_mode 1
		.amdhsa_fp16_overflow 0
		.amdhsa_workgroup_processor_mode 1
		.amdhsa_memory_ordered 1
		.amdhsa_forward_progress 1
		.amdhsa_shared_vgpr_count 0
		.amdhsa_exception_fp_ieee_invalid_op 0
		.amdhsa_exception_fp_denorm_src 0
		.amdhsa_exception_fp_ieee_div_zero 0
		.amdhsa_exception_fp_ieee_overflow 0
		.amdhsa_exception_fp_ieee_underflow 0
		.amdhsa_exception_fp_ieee_inexact 0
		.amdhsa_exception_int_div_zero 0
	.end_amdhsa_kernel
	.section	.text._ZN7rocprim17ROCPRIM_400000_NS6detail17trampoline_kernelINS0_14default_configENS1_38merge_sort_block_merge_config_selectorIN6thrust23THRUST_200600_302600_NS4pairIiiEENS0_10empty_typeEEEZZNS1_27merge_sort_block_merge_implIS3_NS6_6detail15normal_iteratorINS6_10device_ptrIS8_EEEEPS9_mNS6_4lessIS8_EEEE10hipError_tT0_T1_T2_jT3_P12ihipStream_tbPNSt15iterator_traitsISL_E10value_typeEPNSR_ISM_E10value_typeEPSN_NS1_7vsmem_tEENKUlT_SL_SM_SN_E_clIPS8_SG_SH_SH_EESK_S10_SL_SM_SN_EUlS10_E1_NS1_11comp_targetILNS1_3genE2ELNS1_11target_archE906ELNS1_3gpuE6ELNS1_3repE0EEENS1_36merge_oddeven_config_static_selectorELNS0_4arch9wavefront6targetE0EEEvSM_,"axG",@progbits,_ZN7rocprim17ROCPRIM_400000_NS6detail17trampoline_kernelINS0_14default_configENS1_38merge_sort_block_merge_config_selectorIN6thrust23THRUST_200600_302600_NS4pairIiiEENS0_10empty_typeEEEZZNS1_27merge_sort_block_merge_implIS3_NS6_6detail15normal_iteratorINS6_10device_ptrIS8_EEEEPS9_mNS6_4lessIS8_EEEE10hipError_tT0_T1_T2_jT3_P12ihipStream_tbPNSt15iterator_traitsISL_E10value_typeEPNSR_ISM_E10value_typeEPSN_NS1_7vsmem_tEENKUlT_SL_SM_SN_E_clIPS8_SG_SH_SH_EESK_S10_SL_SM_SN_EUlS10_E1_NS1_11comp_targetILNS1_3genE2ELNS1_11target_archE906ELNS1_3gpuE6ELNS1_3repE0EEENS1_36merge_oddeven_config_static_selectorELNS0_4arch9wavefront6targetE0EEEvSM_,comdat
.Lfunc_end654:
	.size	_ZN7rocprim17ROCPRIM_400000_NS6detail17trampoline_kernelINS0_14default_configENS1_38merge_sort_block_merge_config_selectorIN6thrust23THRUST_200600_302600_NS4pairIiiEENS0_10empty_typeEEEZZNS1_27merge_sort_block_merge_implIS3_NS6_6detail15normal_iteratorINS6_10device_ptrIS8_EEEEPS9_mNS6_4lessIS8_EEEE10hipError_tT0_T1_T2_jT3_P12ihipStream_tbPNSt15iterator_traitsISL_E10value_typeEPNSR_ISM_E10value_typeEPSN_NS1_7vsmem_tEENKUlT_SL_SM_SN_E_clIPS8_SG_SH_SH_EESK_S10_SL_SM_SN_EUlS10_E1_NS1_11comp_targetILNS1_3genE2ELNS1_11target_archE906ELNS1_3gpuE6ELNS1_3repE0EEENS1_36merge_oddeven_config_static_selectorELNS0_4arch9wavefront6targetE0EEEvSM_, .Lfunc_end654-_ZN7rocprim17ROCPRIM_400000_NS6detail17trampoline_kernelINS0_14default_configENS1_38merge_sort_block_merge_config_selectorIN6thrust23THRUST_200600_302600_NS4pairIiiEENS0_10empty_typeEEEZZNS1_27merge_sort_block_merge_implIS3_NS6_6detail15normal_iteratorINS6_10device_ptrIS8_EEEEPS9_mNS6_4lessIS8_EEEE10hipError_tT0_T1_T2_jT3_P12ihipStream_tbPNSt15iterator_traitsISL_E10value_typeEPNSR_ISM_E10value_typeEPSN_NS1_7vsmem_tEENKUlT_SL_SM_SN_E_clIPS8_SG_SH_SH_EESK_S10_SL_SM_SN_EUlS10_E1_NS1_11comp_targetILNS1_3genE2ELNS1_11target_archE906ELNS1_3gpuE6ELNS1_3repE0EEENS1_36merge_oddeven_config_static_selectorELNS0_4arch9wavefront6targetE0EEEvSM_
                                        ; -- End function
	.set _ZN7rocprim17ROCPRIM_400000_NS6detail17trampoline_kernelINS0_14default_configENS1_38merge_sort_block_merge_config_selectorIN6thrust23THRUST_200600_302600_NS4pairIiiEENS0_10empty_typeEEEZZNS1_27merge_sort_block_merge_implIS3_NS6_6detail15normal_iteratorINS6_10device_ptrIS8_EEEEPS9_mNS6_4lessIS8_EEEE10hipError_tT0_T1_T2_jT3_P12ihipStream_tbPNSt15iterator_traitsISL_E10value_typeEPNSR_ISM_E10value_typeEPSN_NS1_7vsmem_tEENKUlT_SL_SM_SN_E_clIPS8_SG_SH_SH_EESK_S10_SL_SM_SN_EUlS10_E1_NS1_11comp_targetILNS1_3genE2ELNS1_11target_archE906ELNS1_3gpuE6ELNS1_3repE0EEENS1_36merge_oddeven_config_static_selectorELNS0_4arch9wavefront6targetE0EEEvSM_.num_vgpr, 0
	.set _ZN7rocprim17ROCPRIM_400000_NS6detail17trampoline_kernelINS0_14default_configENS1_38merge_sort_block_merge_config_selectorIN6thrust23THRUST_200600_302600_NS4pairIiiEENS0_10empty_typeEEEZZNS1_27merge_sort_block_merge_implIS3_NS6_6detail15normal_iteratorINS6_10device_ptrIS8_EEEEPS9_mNS6_4lessIS8_EEEE10hipError_tT0_T1_T2_jT3_P12ihipStream_tbPNSt15iterator_traitsISL_E10value_typeEPNSR_ISM_E10value_typeEPSN_NS1_7vsmem_tEENKUlT_SL_SM_SN_E_clIPS8_SG_SH_SH_EESK_S10_SL_SM_SN_EUlS10_E1_NS1_11comp_targetILNS1_3genE2ELNS1_11target_archE906ELNS1_3gpuE6ELNS1_3repE0EEENS1_36merge_oddeven_config_static_selectorELNS0_4arch9wavefront6targetE0EEEvSM_.num_agpr, 0
	.set _ZN7rocprim17ROCPRIM_400000_NS6detail17trampoline_kernelINS0_14default_configENS1_38merge_sort_block_merge_config_selectorIN6thrust23THRUST_200600_302600_NS4pairIiiEENS0_10empty_typeEEEZZNS1_27merge_sort_block_merge_implIS3_NS6_6detail15normal_iteratorINS6_10device_ptrIS8_EEEEPS9_mNS6_4lessIS8_EEEE10hipError_tT0_T1_T2_jT3_P12ihipStream_tbPNSt15iterator_traitsISL_E10value_typeEPNSR_ISM_E10value_typeEPSN_NS1_7vsmem_tEENKUlT_SL_SM_SN_E_clIPS8_SG_SH_SH_EESK_S10_SL_SM_SN_EUlS10_E1_NS1_11comp_targetILNS1_3genE2ELNS1_11target_archE906ELNS1_3gpuE6ELNS1_3repE0EEENS1_36merge_oddeven_config_static_selectorELNS0_4arch9wavefront6targetE0EEEvSM_.numbered_sgpr, 0
	.set _ZN7rocprim17ROCPRIM_400000_NS6detail17trampoline_kernelINS0_14default_configENS1_38merge_sort_block_merge_config_selectorIN6thrust23THRUST_200600_302600_NS4pairIiiEENS0_10empty_typeEEEZZNS1_27merge_sort_block_merge_implIS3_NS6_6detail15normal_iteratorINS6_10device_ptrIS8_EEEEPS9_mNS6_4lessIS8_EEEE10hipError_tT0_T1_T2_jT3_P12ihipStream_tbPNSt15iterator_traitsISL_E10value_typeEPNSR_ISM_E10value_typeEPSN_NS1_7vsmem_tEENKUlT_SL_SM_SN_E_clIPS8_SG_SH_SH_EESK_S10_SL_SM_SN_EUlS10_E1_NS1_11comp_targetILNS1_3genE2ELNS1_11target_archE906ELNS1_3gpuE6ELNS1_3repE0EEENS1_36merge_oddeven_config_static_selectorELNS0_4arch9wavefront6targetE0EEEvSM_.num_named_barrier, 0
	.set _ZN7rocprim17ROCPRIM_400000_NS6detail17trampoline_kernelINS0_14default_configENS1_38merge_sort_block_merge_config_selectorIN6thrust23THRUST_200600_302600_NS4pairIiiEENS0_10empty_typeEEEZZNS1_27merge_sort_block_merge_implIS3_NS6_6detail15normal_iteratorINS6_10device_ptrIS8_EEEEPS9_mNS6_4lessIS8_EEEE10hipError_tT0_T1_T2_jT3_P12ihipStream_tbPNSt15iterator_traitsISL_E10value_typeEPNSR_ISM_E10value_typeEPSN_NS1_7vsmem_tEENKUlT_SL_SM_SN_E_clIPS8_SG_SH_SH_EESK_S10_SL_SM_SN_EUlS10_E1_NS1_11comp_targetILNS1_3genE2ELNS1_11target_archE906ELNS1_3gpuE6ELNS1_3repE0EEENS1_36merge_oddeven_config_static_selectorELNS0_4arch9wavefront6targetE0EEEvSM_.private_seg_size, 0
	.set _ZN7rocprim17ROCPRIM_400000_NS6detail17trampoline_kernelINS0_14default_configENS1_38merge_sort_block_merge_config_selectorIN6thrust23THRUST_200600_302600_NS4pairIiiEENS0_10empty_typeEEEZZNS1_27merge_sort_block_merge_implIS3_NS6_6detail15normal_iteratorINS6_10device_ptrIS8_EEEEPS9_mNS6_4lessIS8_EEEE10hipError_tT0_T1_T2_jT3_P12ihipStream_tbPNSt15iterator_traitsISL_E10value_typeEPNSR_ISM_E10value_typeEPSN_NS1_7vsmem_tEENKUlT_SL_SM_SN_E_clIPS8_SG_SH_SH_EESK_S10_SL_SM_SN_EUlS10_E1_NS1_11comp_targetILNS1_3genE2ELNS1_11target_archE906ELNS1_3gpuE6ELNS1_3repE0EEENS1_36merge_oddeven_config_static_selectorELNS0_4arch9wavefront6targetE0EEEvSM_.uses_vcc, 0
	.set _ZN7rocprim17ROCPRIM_400000_NS6detail17trampoline_kernelINS0_14default_configENS1_38merge_sort_block_merge_config_selectorIN6thrust23THRUST_200600_302600_NS4pairIiiEENS0_10empty_typeEEEZZNS1_27merge_sort_block_merge_implIS3_NS6_6detail15normal_iteratorINS6_10device_ptrIS8_EEEEPS9_mNS6_4lessIS8_EEEE10hipError_tT0_T1_T2_jT3_P12ihipStream_tbPNSt15iterator_traitsISL_E10value_typeEPNSR_ISM_E10value_typeEPSN_NS1_7vsmem_tEENKUlT_SL_SM_SN_E_clIPS8_SG_SH_SH_EESK_S10_SL_SM_SN_EUlS10_E1_NS1_11comp_targetILNS1_3genE2ELNS1_11target_archE906ELNS1_3gpuE6ELNS1_3repE0EEENS1_36merge_oddeven_config_static_selectorELNS0_4arch9wavefront6targetE0EEEvSM_.uses_flat_scratch, 0
	.set _ZN7rocprim17ROCPRIM_400000_NS6detail17trampoline_kernelINS0_14default_configENS1_38merge_sort_block_merge_config_selectorIN6thrust23THRUST_200600_302600_NS4pairIiiEENS0_10empty_typeEEEZZNS1_27merge_sort_block_merge_implIS3_NS6_6detail15normal_iteratorINS6_10device_ptrIS8_EEEEPS9_mNS6_4lessIS8_EEEE10hipError_tT0_T1_T2_jT3_P12ihipStream_tbPNSt15iterator_traitsISL_E10value_typeEPNSR_ISM_E10value_typeEPSN_NS1_7vsmem_tEENKUlT_SL_SM_SN_E_clIPS8_SG_SH_SH_EESK_S10_SL_SM_SN_EUlS10_E1_NS1_11comp_targetILNS1_3genE2ELNS1_11target_archE906ELNS1_3gpuE6ELNS1_3repE0EEENS1_36merge_oddeven_config_static_selectorELNS0_4arch9wavefront6targetE0EEEvSM_.has_dyn_sized_stack, 0
	.set _ZN7rocprim17ROCPRIM_400000_NS6detail17trampoline_kernelINS0_14default_configENS1_38merge_sort_block_merge_config_selectorIN6thrust23THRUST_200600_302600_NS4pairIiiEENS0_10empty_typeEEEZZNS1_27merge_sort_block_merge_implIS3_NS6_6detail15normal_iteratorINS6_10device_ptrIS8_EEEEPS9_mNS6_4lessIS8_EEEE10hipError_tT0_T1_T2_jT3_P12ihipStream_tbPNSt15iterator_traitsISL_E10value_typeEPNSR_ISM_E10value_typeEPSN_NS1_7vsmem_tEENKUlT_SL_SM_SN_E_clIPS8_SG_SH_SH_EESK_S10_SL_SM_SN_EUlS10_E1_NS1_11comp_targetILNS1_3genE2ELNS1_11target_archE906ELNS1_3gpuE6ELNS1_3repE0EEENS1_36merge_oddeven_config_static_selectorELNS0_4arch9wavefront6targetE0EEEvSM_.has_recursion, 0
	.set _ZN7rocprim17ROCPRIM_400000_NS6detail17trampoline_kernelINS0_14default_configENS1_38merge_sort_block_merge_config_selectorIN6thrust23THRUST_200600_302600_NS4pairIiiEENS0_10empty_typeEEEZZNS1_27merge_sort_block_merge_implIS3_NS6_6detail15normal_iteratorINS6_10device_ptrIS8_EEEEPS9_mNS6_4lessIS8_EEEE10hipError_tT0_T1_T2_jT3_P12ihipStream_tbPNSt15iterator_traitsISL_E10value_typeEPNSR_ISM_E10value_typeEPSN_NS1_7vsmem_tEENKUlT_SL_SM_SN_E_clIPS8_SG_SH_SH_EESK_S10_SL_SM_SN_EUlS10_E1_NS1_11comp_targetILNS1_3genE2ELNS1_11target_archE906ELNS1_3gpuE6ELNS1_3repE0EEENS1_36merge_oddeven_config_static_selectorELNS0_4arch9wavefront6targetE0EEEvSM_.has_indirect_call, 0
	.section	.AMDGPU.csdata,"",@progbits
; Kernel info:
; codeLenInByte = 0
; TotalNumSgprs: 0
; NumVgprs: 0
; ScratchSize: 0
; MemoryBound: 0
; FloatMode: 240
; IeeeMode: 1
; LDSByteSize: 0 bytes/workgroup (compile time only)
; SGPRBlocks: 0
; VGPRBlocks: 0
; NumSGPRsForWavesPerEU: 1
; NumVGPRsForWavesPerEU: 1
; Occupancy: 16
; WaveLimiterHint : 0
; COMPUTE_PGM_RSRC2:SCRATCH_EN: 0
; COMPUTE_PGM_RSRC2:USER_SGPR: 6
; COMPUTE_PGM_RSRC2:TRAP_HANDLER: 0
; COMPUTE_PGM_RSRC2:TGID_X_EN: 1
; COMPUTE_PGM_RSRC2:TGID_Y_EN: 0
; COMPUTE_PGM_RSRC2:TGID_Z_EN: 0
; COMPUTE_PGM_RSRC2:TIDIG_COMP_CNT: 0
	.section	.text._ZN7rocprim17ROCPRIM_400000_NS6detail17trampoline_kernelINS0_14default_configENS1_38merge_sort_block_merge_config_selectorIN6thrust23THRUST_200600_302600_NS4pairIiiEENS0_10empty_typeEEEZZNS1_27merge_sort_block_merge_implIS3_NS6_6detail15normal_iteratorINS6_10device_ptrIS8_EEEEPS9_mNS6_4lessIS8_EEEE10hipError_tT0_T1_T2_jT3_P12ihipStream_tbPNSt15iterator_traitsISL_E10value_typeEPNSR_ISM_E10value_typeEPSN_NS1_7vsmem_tEENKUlT_SL_SM_SN_E_clIPS8_SG_SH_SH_EESK_S10_SL_SM_SN_EUlS10_E1_NS1_11comp_targetILNS1_3genE9ELNS1_11target_archE1100ELNS1_3gpuE3ELNS1_3repE0EEENS1_36merge_oddeven_config_static_selectorELNS0_4arch9wavefront6targetE0EEEvSM_,"axG",@progbits,_ZN7rocprim17ROCPRIM_400000_NS6detail17trampoline_kernelINS0_14default_configENS1_38merge_sort_block_merge_config_selectorIN6thrust23THRUST_200600_302600_NS4pairIiiEENS0_10empty_typeEEEZZNS1_27merge_sort_block_merge_implIS3_NS6_6detail15normal_iteratorINS6_10device_ptrIS8_EEEEPS9_mNS6_4lessIS8_EEEE10hipError_tT0_T1_T2_jT3_P12ihipStream_tbPNSt15iterator_traitsISL_E10value_typeEPNSR_ISM_E10value_typeEPSN_NS1_7vsmem_tEENKUlT_SL_SM_SN_E_clIPS8_SG_SH_SH_EESK_S10_SL_SM_SN_EUlS10_E1_NS1_11comp_targetILNS1_3genE9ELNS1_11target_archE1100ELNS1_3gpuE3ELNS1_3repE0EEENS1_36merge_oddeven_config_static_selectorELNS0_4arch9wavefront6targetE0EEEvSM_,comdat
	.protected	_ZN7rocprim17ROCPRIM_400000_NS6detail17trampoline_kernelINS0_14default_configENS1_38merge_sort_block_merge_config_selectorIN6thrust23THRUST_200600_302600_NS4pairIiiEENS0_10empty_typeEEEZZNS1_27merge_sort_block_merge_implIS3_NS6_6detail15normal_iteratorINS6_10device_ptrIS8_EEEEPS9_mNS6_4lessIS8_EEEE10hipError_tT0_T1_T2_jT3_P12ihipStream_tbPNSt15iterator_traitsISL_E10value_typeEPNSR_ISM_E10value_typeEPSN_NS1_7vsmem_tEENKUlT_SL_SM_SN_E_clIPS8_SG_SH_SH_EESK_S10_SL_SM_SN_EUlS10_E1_NS1_11comp_targetILNS1_3genE9ELNS1_11target_archE1100ELNS1_3gpuE3ELNS1_3repE0EEENS1_36merge_oddeven_config_static_selectorELNS0_4arch9wavefront6targetE0EEEvSM_ ; -- Begin function _ZN7rocprim17ROCPRIM_400000_NS6detail17trampoline_kernelINS0_14default_configENS1_38merge_sort_block_merge_config_selectorIN6thrust23THRUST_200600_302600_NS4pairIiiEENS0_10empty_typeEEEZZNS1_27merge_sort_block_merge_implIS3_NS6_6detail15normal_iteratorINS6_10device_ptrIS8_EEEEPS9_mNS6_4lessIS8_EEEE10hipError_tT0_T1_T2_jT3_P12ihipStream_tbPNSt15iterator_traitsISL_E10value_typeEPNSR_ISM_E10value_typeEPSN_NS1_7vsmem_tEENKUlT_SL_SM_SN_E_clIPS8_SG_SH_SH_EESK_S10_SL_SM_SN_EUlS10_E1_NS1_11comp_targetILNS1_3genE9ELNS1_11target_archE1100ELNS1_3gpuE3ELNS1_3repE0EEENS1_36merge_oddeven_config_static_selectorELNS0_4arch9wavefront6targetE0EEEvSM_
	.globl	_ZN7rocprim17ROCPRIM_400000_NS6detail17trampoline_kernelINS0_14default_configENS1_38merge_sort_block_merge_config_selectorIN6thrust23THRUST_200600_302600_NS4pairIiiEENS0_10empty_typeEEEZZNS1_27merge_sort_block_merge_implIS3_NS6_6detail15normal_iteratorINS6_10device_ptrIS8_EEEEPS9_mNS6_4lessIS8_EEEE10hipError_tT0_T1_T2_jT3_P12ihipStream_tbPNSt15iterator_traitsISL_E10value_typeEPNSR_ISM_E10value_typeEPSN_NS1_7vsmem_tEENKUlT_SL_SM_SN_E_clIPS8_SG_SH_SH_EESK_S10_SL_SM_SN_EUlS10_E1_NS1_11comp_targetILNS1_3genE9ELNS1_11target_archE1100ELNS1_3gpuE3ELNS1_3repE0EEENS1_36merge_oddeven_config_static_selectorELNS0_4arch9wavefront6targetE0EEEvSM_
	.p2align	8
	.type	_ZN7rocprim17ROCPRIM_400000_NS6detail17trampoline_kernelINS0_14default_configENS1_38merge_sort_block_merge_config_selectorIN6thrust23THRUST_200600_302600_NS4pairIiiEENS0_10empty_typeEEEZZNS1_27merge_sort_block_merge_implIS3_NS6_6detail15normal_iteratorINS6_10device_ptrIS8_EEEEPS9_mNS6_4lessIS8_EEEE10hipError_tT0_T1_T2_jT3_P12ihipStream_tbPNSt15iterator_traitsISL_E10value_typeEPNSR_ISM_E10value_typeEPSN_NS1_7vsmem_tEENKUlT_SL_SM_SN_E_clIPS8_SG_SH_SH_EESK_S10_SL_SM_SN_EUlS10_E1_NS1_11comp_targetILNS1_3genE9ELNS1_11target_archE1100ELNS1_3gpuE3ELNS1_3repE0EEENS1_36merge_oddeven_config_static_selectorELNS0_4arch9wavefront6targetE0EEEvSM_,@function
_ZN7rocprim17ROCPRIM_400000_NS6detail17trampoline_kernelINS0_14default_configENS1_38merge_sort_block_merge_config_selectorIN6thrust23THRUST_200600_302600_NS4pairIiiEENS0_10empty_typeEEEZZNS1_27merge_sort_block_merge_implIS3_NS6_6detail15normal_iteratorINS6_10device_ptrIS8_EEEEPS9_mNS6_4lessIS8_EEEE10hipError_tT0_T1_T2_jT3_P12ihipStream_tbPNSt15iterator_traitsISL_E10value_typeEPNSR_ISM_E10value_typeEPSN_NS1_7vsmem_tEENKUlT_SL_SM_SN_E_clIPS8_SG_SH_SH_EESK_S10_SL_SM_SN_EUlS10_E1_NS1_11comp_targetILNS1_3genE9ELNS1_11target_archE1100ELNS1_3gpuE3ELNS1_3repE0EEENS1_36merge_oddeven_config_static_selectorELNS0_4arch9wavefront6targetE0EEEvSM_: ; @_ZN7rocprim17ROCPRIM_400000_NS6detail17trampoline_kernelINS0_14default_configENS1_38merge_sort_block_merge_config_selectorIN6thrust23THRUST_200600_302600_NS4pairIiiEENS0_10empty_typeEEEZZNS1_27merge_sort_block_merge_implIS3_NS6_6detail15normal_iteratorINS6_10device_ptrIS8_EEEEPS9_mNS6_4lessIS8_EEEE10hipError_tT0_T1_T2_jT3_P12ihipStream_tbPNSt15iterator_traitsISL_E10value_typeEPNSR_ISM_E10value_typeEPSN_NS1_7vsmem_tEENKUlT_SL_SM_SN_E_clIPS8_SG_SH_SH_EESK_S10_SL_SM_SN_EUlS10_E1_NS1_11comp_targetILNS1_3genE9ELNS1_11target_archE1100ELNS1_3gpuE3ELNS1_3repE0EEENS1_36merge_oddeven_config_static_selectorELNS0_4arch9wavefront6targetE0EEEvSM_
; %bb.0:
	.section	.rodata,"a",@progbits
	.p2align	6, 0x0
	.amdhsa_kernel _ZN7rocprim17ROCPRIM_400000_NS6detail17trampoline_kernelINS0_14default_configENS1_38merge_sort_block_merge_config_selectorIN6thrust23THRUST_200600_302600_NS4pairIiiEENS0_10empty_typeEEEZZNS1_27merge_sort_block_merge_implIS3_NS6_6detail15normal_iteratorINS6_10device_ptrIS8_EEEEPS9_mNS6_4lessIS8_EEEE10hipError_tT0_T1_T2_jT3_P12ihipStream_tbPNSt15iterator_traitsISL_E10value_typeEPNSR_ISM_E10value_typeEPSN_NS1_7vsmem_tEENKUlT_SL_SM_SN_E_clIPS8_SG_SH_SH_EESK_S10_SL_SM_SN_EUlS10_E1_NS1_11comp_targetILNS1_3genE9ELNS1_11target_archE1100ELNS1_3gpuE3ELNS1_3repE0EEENS1_36merge_oddeven_config_static_selectorELNS0_4arch9wavefront6targetE0EEEvSM_
		.amdhsa_group_segment_fixed_size 0
		.amdhsa_private_segment_fixed_size 0
		.amdhsa_kernarg_size 56
		.amdhsa_user_sgpr_count 6
		.amdhsa_user_sgpr_private_segment_buffer 1
		.amdhsa_user_sgpr_dispatch_ptr 0
		.amdhsa_user_sgpr_queue_ptr 0
		.amdhsa_user_sgpr_kernarg_segment_ptr 1
		.amdhsa_user_sgpr_dispatch_id 0
		.amdhsa_user_sgpr_flat_scratch_init 0
		.amdhsa_user_sgpr_private_segment_size 0
		.amdhsa_wavefront_size32 1
		.amdhsa_uses_dynamic_stack 0
		.amdhsa_system_sgpr_private_segment_wavefront_offset 0
		.amdhsa_system_sgpr_workgroup_id_x 1
		.amdhsa_system_sgpr_workgroup_id_y 0
		.amdhsa_system_sgpr_workgroup_id_z 0
		.amdhsa_system_sgpr_workgroup_info 0
		.amdhsa_system_vgpr_workitem_id 0
		.amdhsa_next_free_vgpr 1
		.amdhsa_next_free_sgpr 1
		.amdhsa_reserve_vcc 0
		.amdhsa_reserve_flat_scratch 0
		.amdhsa_float_round_mode_32 0
		.amdhsa_float_round_mode_16_64 0
		.amdhsa_float_denorm_mode_32 3
		.amdhsa_float_denorm_mode_16_64 3
		.amdhsa_dx10_clamp 1
		.amdhsa_ieee_mode 1
		.amdhsa_fp16_overflow 0
		.amdhsa_workgroup_processor_mode 1
		.amdhsa_memory_ordered 1
		.amdhsa_forward_progress 1
		.amdhsa_shared_vgpr_count 0
		.amdhsa_exception_fp_ieee_invalid_op 0
		.amdhsa_exception_fp_denorm_src 0
		.amdhsa_exception_fp_ieee_div_zero 0
		.amdhsa_exception_fp_ieee_overflow 0
		.amdhsa_exception_fp_ieee_underflow 0
		.amdhsa_exception_fp_ieee_inexact 0
		.amdhsa_exception_int_div_zero 0
	.end_amdhsa_kernel
	.section	.text._ZN7rocprim17ROCPRIM_400000_NS6detail17trampoline_kernelINS0_14default_configENS1_38merge_sort_block_merge_config_selectorIN6thrust23THRUST_200600_302600_NS4pairIiiEENS0_10empty_typeEEEZZNS1_27merge_sort_block_merge_implIS3_NS6_6detail15normal_iteratorINS6_10device_ptrIS8_EEEEPS9_mNS6_4lessIS8_EEEE10hipError_tT0_T1_T2_jT3_P12ihipStream_tbPNSt15iterator_traitsISL_E10value_typeEPNSR_ISM_E10value_typeEPSN_NS1_7vsmem_tEENKUlT_SL_SM_SN_E_clIPS8_SG_SH_SH_EESK_S10_SL_SM_SN_EUlS10_E1_NS1_11comp_targetILNS1_3genE9ELNS1_11target_archE1100ELNS1_3gpuE3ELNS1_3repE0EEENS1_36merge_oddeven_config_static_selectorELNS0_4arch9wavefront6targetE0EEEvSM_,"axG",@progbits,_ZN7rocprim17ROCPRIM_400000_NS6detail17trampoline_kernelINS0_14default_configENS1_38merge_sort_block_merge_config_selectorIN6thrust23THRUST_200600_302600_NS4pairIiiEENS0_10empty_typeEEEZZNS1_27merge_sort_block_merge_implIS3_NS6_6detail15normal_iteratorINS6_10device_ptrIS8_EEEEPS9_mNS6_4lessIS8_EEEE10hipError_tT0_T1_T2_jT3_P12ihipStream_tbPNSt15iterator_traitsISL_E10value_typeEPNSR_ISM_E10value_typeEPSN_NS1_7vsmem_tEENKUlT_SL_SM_SN_E_clIPS8_SG_SH_SH_EESK_S10_SL_SM_SN_EUlS10_E1_NS1_11comp_targetILNS1_3genE9ELNS1_11target_archE1100ELNS1_3gpuE3ELNS1_3repE0EEENS1_36merge_oddeven_config_static_selectorELNS0_4arch9wavefront6targetE0EEEvSM_,comdat
.Lfunc_end655:
	.size	_ZN7rocprim17ROCPRIM_400000_NS6detail17trampoline_kernelINS0_14default_configENS1_38merge_sort_block_merge_config_selectorIN6thrust23THRUST_200600_302600_NS4pairIiiEENS0_10empty_typeEEEZZNS1_27merge_sort_block_merge_implIS3_NS6_6detail15normal_iteratorINS6_10device_ptrIS8_EEEEPS9_mNS6_4lessIS8_EEEE10hipError_tT0_T1_T2_jT3_P12ihipStream_tbPNSt15iterator_traitsISL_E10value_typeEPNSR_ISM_E10value_typeEPSN_NS1_7vsmem_tEENKUlT_SL_SM_SN_E_clIPS8_SG_SH_SH_EESK_S10_SL_SM_SN_EUlS10_E1_NS1_11comp_targetILNS1_3genE9ELNS1_11target_archE1100ELNS1_3gpuE3ELNS1_3repE0EEENS1_36merge_oddeven_config_static_selectorELNS0_4arch9wavefront6targetE0EEEvSM_, .Lfunc_end655-_ZN7rocprim17ROCPRIM_400000_NS6detail17trampoline_kernelINS0_14default_configENS1_38merge_sort_block_merge_config_selectorIN6thrust23THRUST_200600_302600_NS4pairIiiEENS0_10empty_typeEEEZZNS1_27merge_sort_block_merge_implIS3_NS6_6detail15normal_iteratorINS6_10device_ptrIS8_EEEEPS9_mNS6_4lessIS8_EEEE10hipError_tT0_T1_T2_jT3_P12ihipStream_tbPNSt15iterator_traitsISL_E10value_typeEPNSR_ISM_E10value_typeEPSN_NS1_7vsmem_tEENKUlT_SL_SM_SN_E_clIPS8_SG_SH_SH_EESK_S10_SL_SM_SN_EUlS10_E1_NS1_11comp_targetILNS1_3genE9ELNS1_11target_archE1100ELNS1_3gpuE3ELNS1_3repE0EEENS1_36merge_oddeven_config_static_selectorELNS0_4arch9wavefront6targetE0EEEvSM_
                                        ; -- End function
	.set _ZN7rocprim17ROCPRIM_400000_NS6detail17trampoline_kernelINS0_14default_configENS1_38merge_sort_block_merge_config_selectorIN6thrust23THRUST_200600_302600_NS4pairIiiEENS0_10empty_typeEEEZZNS1_27merge_sort_block_merge_implIS3_NS6_6detail15normal_iteratorINS6_10device_ptrIS8_EEEEPS9_mNS6_4lessIS8_EEEE10hipError_tT0_T1_T2_jT3_P12ihipStream_tbPNSt15iterator_traitsISL_E10value_typeEPNSR_ISM_E10value_typeEPSN_NS1_7vsmem_tEENKUlT_SL_SM_SN_E_clIPS8_SG_SH_SH_EESK_S10_SL_SM_SN_EUlS10_E1_NS1_11comp_targetILNS1_3genE9ELNS1_11target_archE1100ELNS1_3gpuE3ELNS1_3repE0EEENS1_36merge_oddeven_config_static_selectorELNS0_4arch9wavefront6targetE0EEEvSM_.num_vgpr, 0
	.set _ZN7rocprim17ROCPRIM_400000_NS6detail17trampoline_kernelINS0_14default_configENS1_38merge_sort_block_merge_config_selectorIN6thrust23THRUST_200600_302600_NS4pairIiiEENS0_10empty_typeEEEZZNS1_27merge_sort_block_merge_implIS3_NS6_6detail15normal_iteratorINS6_10device_ptrIS8_EEEEPS9_mNS6_4lessIS8_EEEE10hipError_tT0_T1_T2_jT3_P12ihipStream_tbPNSt15iterator_traitsISL_E10value_typeEPNSR_ISM_E10value_typeEPSN_NS1_7vsmem_tEENKUlT_SL_SM_SN_E_clIPS8_SG_SH_SH_EESK_S10_SL_SM_SN_EUlS10_E1_NS1_11comp_targetILNS1_3genE9ELNS1_11target_archE1100ELNS1_3gpuE3ELNS1_3repE0EEENS1_36merge_oddeven_config_static_selectorELNS0_4arch9wavefront6targetE0EEEvSM_.num_agpr, 0
	.set _ZN7rocprim17ROCPRIM_400000_NS6detail17trampoline_kernelINS0_14default_configENS1_38merge_sort_block_merge_config_selectorIN6thrust23THRUST_200600_302600_NS4pairIiiEENS0_10empty_typeEEEZZNS1_27merge_sort_block_merge_implIS3_NS6_6detail15normal_iteratorINS6_10device_ptrIS8_EEEEPS9_mNS6_4lessIS8_EEEE10hipError_tT0_T1_T2_jT3_P12ihipStream_tbPNSt15iterator_traitsISL_E10value_typeEPNSR_ISM_E10value_typeEPSN_NS1_7vsmem_tEENKUlT_SL_SM_SN_E_clIPS8_SG_SH_SH_EESK_S10_SL_SM_SN_EUlS10_E1_NS1_11comp_targetILNS1_3genE9ELNS1_11target_archE1100ELNS1_3gpuE3ELNS1_3repE0EEENS1_36merge_oddeven_config_static_selectorELNS0_4arch9wavefront6targetE0EEEvSM_.numbered_sgpr, 0
	.set _ZN7rocprim17ROCPRIM_400000_NS6detail17trampoline_kernelINS0_14default_configENS1_38merge_sort_block_merge_config_selectorIN6thrust23THRUST_200600_302600_NS4pairIiiEENS0_10empty_typeEEEZZNS1_27merge_sort_block_merge_implIS3_NS6_6detail15normal_iteratorINS6_10device_ptrIS8_EEEEPS9_mNS6_4lessIS8_EEEE10hipError_tT0_T1_T2_jT3_P12ihipStream_tbPNSt15iterator_traitsISL_E10value_typeEPNSR_ISM_E10value_typeEPSN_NS1_7vsmem_tEENKUlT_SL_SM_SN_E_clIPS8_SG_SH_SH_EESK_S10_SL_SM_SN_EUlS10_E1_NS1_11comp_targetILNS1_3genE9ELNS1_11target_archE1100ELNS1_3gpuE3ELNS1_3repE0EEENS1_36merge_oddeven_config_static_selectorELNS0_4arch9wavefront6targetE0EEEvSM_.num_named_barrier, 0
	.set _ZN7rocprim17ROCPRIM_400000_NS6detail17trampoline_kernelINS0_14default_configENS1_38merge_sort_block_merge_config_selectorIN6thrust23THRUST_200600_302600_NS4pairIiiEENS0_10empty_typeEEEZZNS1_27merge_sort_block_merge_implIS3_NS6_6detail15normal_iteratorINS6_10device_ptrIS8_EEEEPS9_mNS6_4lessIS8_EEEE10hipError_tT0_T1_T2_jT3_P12ihipStream_tbPNSt15iterator_traitsISL_E10value_typeEPNSR_ISM_E10value_typeEPSN_NS1_7vsmem_tEENKUlT_SL_SM_SN_E_clIPS8_SG_SH_SH_EESK_S10_SL_SM_SN_EUlS10_E1_NS1_11comp_targetILNS1_3genE9ELNS1_11target_archE1100ELNS1_3gpuE3ELNS1_3repE0EEENS1_36merge_oddeven_config_static_selectorELNS0_4arch9wavefront6targetE0EEEvSM_.private_seg_size, 0
	.set _ZN7rocprim17ROCPRIM_400000_NS6detail17trampoline_kernelINS0_14default_configENS1_38merge_sort_block_merge_config_selectorIN6thrust23THRUST_200600_302600_NS4pairIiiEENS0_10empty_typeEEEZZNS1_27merge_sort_block_merge_implIS3_NS6_6detail15normal_iteratorINS6_10device_ptrIS8_EEEEPS9_mNS6_4lessIS8_EEEE10hipError_tT0_T1_T2_jT3_P12ihipStream_tbPNSt15iterator_traitsISL_E10value_typeEPNSR_ISM_E10value_typeEPSN_NS1_7vsmem_tEENKUlT_SL_SM_SN_E_clIPS8_SG_SH_SH_EESK_S10_SL_SM_SN_EUlS10_E1_NS1_11comp_targetILNS1_3genE9ELNS1_11target_archE1100ELNS1_3gpuE3ELNS1_3repE0EEENS1_36merge_oddeven_config_static_selectorELNS0_4arch9wavefront6targetE0EEEvSM_.uses_vcc, 0
	.set _ZN7rocprim17ROCPRIM_400000_NS6detail17trampoline_kernelINS0_14default_configENS1_38merge_sort_block_merge_config_selectorIN6thrust23THRUST_200600_302600_NS4pairIiiEENS0_10empty_typeEEEZZNS1_27merge_sort_block_merge_implIS3_NS6_6detail15normal_iteratorINS6_10device_ptrIS8_EEEEPS9_mNS6_4lessIS8_EEEE10hipError_tT0_T1_T2_jT3_P12ihipStream_tbPNSt15iterator_traitsISL_E10value_typeEPNSR_ISM_E10value_typeEPSN_NS1_7vsmem_tEENKUlT_SL_SM_SN_E_clIPS8_SG_SH_SH_EESK_S10_SL_SM_SN_EUlS10_E1_NS1_11comp_targetILNS1_3genE9ELNS1_11target_archE1100ELNS1_3gpuE3ELNS1_3repE0EEENS1_36merge_oddeven_config_static_selectorELNS0_4arch9wavefront6targetE0EEEvSM_.uses_flat_scratch, 0
	.set _ZN7rocprim17ROCPRIM_400000_NS6detail17trampoline_kernelINS0_14default_configENS1_38merge_sort_block_merge_config_selectorIN6thrust23THRUST_200600_302600_NS4pairIiiEENS0_10empty_typeEEEZZNS1_27merge_sort_block_merge_implIS3_NS6_6detail15normal_iteratorINS6_10device_ptrIS8_EEEEPS9_mNS6_4lessIS8_EEEE10hipError_tT0_T1_T2_jT3_P12ihipStream_tbPNSt15iterator_traitsISL_E10value_typeEPNSR_ISM_E10value_typeEPSN_NS1_7vsmem_tEENKUlT_SL_SM_SN_E_clIPS8_SG_SH_SH_EESK_S10_SL_SM_SN_EUlS10_E1_NS1_11comp_targetILNS1_3genE9ELNS1_11target_archE1100ELNS1_3gpuE3ELNS1_3repE0EEENS1_36merge_oddeven_config_static_selectorELNS0_4arch9wavefront6targetE0EEEvSM_.has_dyn_sized_stack, 0
	.set _ZN7rocprim17ROCPRIM_400000_NS6detail17trampoline_kernelINS0_14default_configENS1_38merge_sort_block_merge_config_selectorIN6thrust23THRUST_200600_302600_NS4pairIiiEENS0_10empty_typeEEEZZNS1_27merge_sort_block_merge_implIS3_NS6_6detail15normal_iteratorINS6_10device_ptrIS8_EEEEPS9_mNS6_4lessIS8_EEEE10hipError_tT0_T1_T2_jT3_P12ihipStream_tbPNSt15iterator_traitsISL_E10value_typeEPNSR_ISM_E10value_typeEPSN_NS1_7vsmem_tEENKUlT_SL_SM_SN_E_clIPS8_SG_SH_SH_EESK_S10_SL_SM_SN_EUlS10_E1_NS1_11comp_targetILNS1_3genE9ELNS1_11target_archE1100ELNS1_3gpuE3ELNS1_3repE0EEENS1_36merge_oddeven_config_static_selectorELNS0_4arch9wavefront6targetE0EEEvSM_.has_recursion, 0
	.set _ZN7rocprim17ROCPRIM_400000_NS6detail17trampoline_kernelINS0_14default_configENS1_38merge_sort_block_merge_config_selectorIN6thrust23THRUST_200600_302600_NS4pairIiiEENS0_10empty_typeEEEZZNS1_27merge_sort_block_merge_implIS3_NS6_6detail15normal_iteratorINS6_10device_ptrIS8_EEEEPS9_mNS6_4lessIS8_EEEE10hipError_tT0_T1_T2_jT3_P12ihipStream_tbPNSt15iterator_traitsISL_E10value_typeEPNSR_ISM_E10value_typeEPSN_NS1_7vsmem_tEENKUlT_SL_SM_SN_E_clIPS8_SG_SH_SH_EESK_S10_SL_SM_SN_EUlS10_E1_NS1_11comp_targetILNS1_3genE9ELNS1_11target_archE1100ELNS1_3gpuE3ELNS1_3repE0EEENS1_36merge_oddeven_config_static_selectorELNS0_4arch9wavefront6targetE0EEEvSM_.has_indirect_call, 0
	.section	.AMDGPU.csdata,"",@progbits
; Kernel info:
; codeLenInByte = 0
; TotalNumSgprs: 0
; NumVgprs: 0
; ScratchSize: 0
; MemoryBound: 0
; FloatMode: 240
; IeeeMode: 1
; LDSByteSize: 0 bytes/workgroup (compile time only)
; SGPRBlocks: 0
; VGPRBlocks: 0
; NumSGPRsForWavesPerEU: 1
; NumVGPRsForWavesPerEU: 1
; Occupancy: 16
; WaveLimiterHint : 0
; COMPUTE_PGM_RSRC2:SCRATCH_EN: 0
; COMPUTE_PGM_RSRC2:USER_SGPR: 6
; COMPUTE_PGM_RSRC2:TRAP_HANDLER: 0
; COMPUTE_PGM_RSRC2:TGID_X_EN: 1
; COMPUTE_PGM_RSRC2:TGID_Y_EN: 0
; COMPUTE_PGM_RSRC2:TGID_Z_EN: 0
; COMPUTE_PGM_RSRC2:TIDIG_COMP_CNT: 0
	.section	.text._ZN7rocprim17ROCPRIM_400000_NS6detail17trampoline_kernelINS0_14default_configENS1_38merge_sort_block_merge_config_selectorIN6thrust23THRUST_200600_302600_NS4pairIiiEENS0_10empty_typeEEEZZNS1_27merge_sort_block_merge_implIS3_NS6_6detail15normal_iteratorINS6_10device_ptrIS8_EEEEPS9_mNS6_4lessIS8_EEEE10hipError_tT0_T1_T2_jT3_P12ihipStream_tbPNSt15iterator_traitsISL_E10value_typeEPNSR_ISM_E10value_typeEPSN_NS1_7vsmem_tEENKUlT_SL_SM_SN_E_clIPS8_SG_SH_SH_EESK_S10_SL_SM_SN_EUlS10_E1_NS1_11comp_targetILNS1_3genE8ELNS1_11target_archE1030ELNS1_3gpuE2ELNS1_3repE0EEENS1_36merge_oddeven_config_static_selectorELNS0_4arch9wavefront6targetE0EEEvSM_,"axG",@progbits,_ZN7rocprim17ROCPRIM_400000_NS6detail17trampoline_kernelINS0_14default_configENS1_38merge_sort_block_merge_config_selectorIN6thrust23THRUST_200600_302600_NS4pairIiiEENS0_10empty_typeEEEZZNS1_27merge_sort_block_merge_implIS3_NS6_6detail15normal_iteratorINS6_10device_ptrIS8_EEEEPS9_mNS6_4lessIS8_EEEE10hipError_tT0_T1_T2_jT3_P12ihipStream_tbPNSt15iterator_traitsISL_E10value_typeEPNSR_ISM_E10value_typeEPSN_NS1_7vsmem_tEENKUlT_SL_SM_SN_E_clIPS8_SG_SH_SH_EESK_S10_SL_SM_SN_EUlS10_E1_NS1_11comp_targetILNS1_3genE8ELNS1_11target_archE1030ELNS1_3gpuE2ELNS1_3repE0EEENS1_36merge_oddeven_config_static_selectorELNS0_4arch9wavefront6targetE0EEEvSM_,comdat
	.protected	_ZN7rocprim17ROCPRIM_400000_NS6detail17trampoline_kernelINS0_14default_configENS1_38merge_sort_block_merge_config_selectorIN6thrust23THRUST_200600_302600_NS4pairIiiEENS0_10empty_typeEEEZZNS1_27merge_sort_block_merge_implIS3_NS6_6detail15normal_iteratorINS6_10device_ptrIS8_EEEEPS9_mNS6_4lessIS8_EEEE10hipError_tT0_T1_T2_jT3_P12ihipStream_tbPNSt15iterator_traitsISL_E10value_typeEPNSR_ISM_E10value_typeEPSN_NS1_7vsmem_tEENKUlT_SL_SM_SN_E_clIPS8_SG_SH_SH_EESK_S10_SL_SM_SN_EUlS10_E1_NS1_11comp_targetILNS1_3genE8ELNS1_11target_archE1030ELNS1_3gpuE2ELNS1_3repE0EEENS1_36merge_oddeven_config_static_selectorELNS0_4arch9wavefront6targetE0EEEvSM_ ; -- Begin function _ZN7rocprim17ROCPRIM_400000_NS6detail17trampoline_kernelINS0_14default_configENS1_38merge_sort_block_merge_config_selectorIN6thrust23THRUST_200600_302600_NS4pairIiiEENS0_10empty_typeEEEZZNS1_27merge_sort_block_merge_implIS3_NS6_6detail15normal_iteratorINS6_10device_ptrIS8_EEEEPS9_mNS6_4lessIS8_EEEE10hipError_tT0_T1_T2_jT3_P12ihipStream_tbPNSt15iterator_traitsISL_E10value_typeEPNSR_ISM_E10value_typeEPSN_NS1_7vsmem_tEENKUlT_SL_SM_SN_E_clIPS8_SG_SH_SH_EESK_S10_SL_SM_SN_EUlS10_E1_NS1_11comp_targetILNS1_3genE8ELNS1_11target_archE1030ELNS1_3gpuE2ELNS1_3repE0EEENS1_36merge_oddeven_config_static_selectorELNS0_4arch9wavefront6targetE0EEEvSM_
	.globl	_ZN7rocprim17ROCPRIM_400000_NS6detail17trampoline_kernelINS0_14default_configENS1_38merge_sort_block_merge_config_selectorIN6thrust23THRUST_200600_302600_NS4pairIiiEENS0_10empty_typeEEEZZNS1_27merge_sort_block_merge_implIS3_NS6_6detail15normal_iteratorINS6_10device_ptrIS8_EEEEPS9_mNS6_4lessIS8_EEEE10hipError_tT0_T1_T2_jT3_P12ihipStream_tbPNSt15iterator_traitsISL_E10value_typeEPNSR_ISM_E10value_typeEPSN_NS1_7vsmem_tEENKUlT_SL_SM_SN_E_clIPS8_SG_SH_SH_EESK_S10_SL_SM_SN_EUlS10_E1_NS1_11comp_targetILNS1_3genE8ELNS1_11target_archE1030ELNS1_3gpuE2ELNS1_3repE0EEENS1_36merge_oddeven_config_static_selectorELNS0_4arch9wavefront6targetE0EEEvSM_
	.p2align	8
	.type	_ZN7rocprim17ROCPRIM_400000_NS6detail17trampoline_kernelINS0_14default_configENS1_38merge_sort_block_merge_config_selectorIN6thrust23THRUST_200600_302600_NS4pairIiiEENS0_10empty_typeEEEZZNS1_27merge_sort_block_merge_implIS3_NS6_6detail15normal_iteratorINS6_10device_ptrIS8_EEEEPS9_mNS6_4lessIS8_EEEE10hipError_tT0_T1_T2_jT3_P12ihipStream_tbPNSt15iterator_traitsISL_E10value_typeEPNSR_ISM_E10value_typeEPSN_NS1_7vsmem_tEENKUlT_SL_SM_SN_E_clIPS8_SG_SH_SH_EESK_S10_SL_SM_SN_EUlS10_E1_NS1_11comp_targetILNS1_3genE8ELNS1_11target_archE1030ELNS1_3gpuE2ELNS1_3repE0EEENS1_36merge_oddeven_config_static_selectorELNS0_4arch9wavefront6targetE0EEEvSM_,@function
_ZN7rocprim17ROCPRIM_400000_NS6detail17trampoline_kernelINS0_14default_configENS1_38merge_sort_block_merge_config_selectorIN6thrust23THRUST_200600_302600_NS4pairIiiEENS0_10empty_typeEEEZZNS1_27merge_sort_block_merge_implIS3_NS6_6detail15normal_iteratorINS6_10device_ptrIS8_EEEEPS9_mNS6_4lessIS8_EEEE10hipError_tT0_T1_T2_jT3_P12ihipStream_tbPNSt15iterator_traitsISL_E10value_typeEPNSR_ISM_E10value_typeEPSN_NS1_7vsmem_tEENKUlT_SL_SM_SN_E_clIPS8_SG_SH_SH_EESK_S10_SL_SM_SN_EUlS10_E1_NS1_11comp_targetILNS1_3genE8ELNS1_11target_archE1030ELNS1_3gpuE2ELNS1_3repE0EEENS1_36merge_oddeven_config_static_selectorELNS0_4arch9wavefront6targetE0EEEvSM_: ; @_ZN7rocprim17ROCPRIM_400000_NS6detail17trampoline_kernelINS0_14default_configENS1_38merge_sort_block_merge_config_selectorIN6thrust23THRUST_200600_302600_NS4pairIiiEENS0_10empty_typeEEEZZNS1_27merge_sort_block_merge_implIS3_NS6_6detail15normal_iteratorINS6_10device_ptrIS8_EEEEPS9_mNS6_4lessIS8_EEEE10hipError_tT0_T1_T2_jT3_P12ihipStream_tbPNSt15iterator_traitsISL_E10value_typeEPNSR_ISM_E10value_typeEPSN_NS1_7vsmem_tEENKUlT_SL_SM_SN_E_clIPS8_SG_SH_SH_EESK_S10_SL_SM_SN_EUlS10_E1_NS1_11comp_targetILNS1_3genE8ELNS1_11target_archE1030ELNS1_3gpuE2ELNS1_3repE0EEENS1_36merge_oddeven_config_static_selectorELNS0_4arch9wavefront6targetE0EEEvSM_
; %bb.0:
	s_load_dword s1, s[4:5], 0x20
	s_lshl_b32 s2, s6, 8
	s_waitcnt lgkmcnt(0)
	s_lshr_b32 s0, s1, 8
	s_cmp_lg_u32 s6, s0
	s_cselect_b32 s13, -1, 0
	s_cmp_eq_u32 s6, s0
	s_cselect_b32 s7, -1, 0
	s_sub_i32 s0, s1, s2
	v_cmp_gt_u32_e64 s0, s0, v0
	s_or_b32 s3, s13, s0
	s_and_saveexec_b32 s8, s3
	s_cbranch_execz .LBB656_28
; %bb.1:
	s_clause 0x1
	s_load_dwordx4 s[8:11], s[4:5], 0x0
	s_load_dword s12, s[4:5], 0x28
	s_mov_b32 s3, 0
	v_lshlrev_b32_e32 v1, 3, v0
	s_lshl_b64 s[14:15], s[2:3], 3
	v_add_nc_u32_e32 v3, s2, v0
	s_waitcnt lgkmcnt(0)
	s_add_u32 s4, s8, s14
	s_addc_u32 s5, s9, s15
	global_load_dwordx2 v[1:2], v1, s[4:5]
	s_lshr_b32 s4, s12, 8
	s_sub_i32 s5, 0, s4
	s_and_b32 s5, s6, s5
	s_and_b32 s14, s5, s4
	s_cmp_lg_u32 s14, 0
	s_cselect_b32 s4, -1, 0
	s_lshl_b32 s6, s5, 8
	s_sub_i32 s5, 0, s12
	s_cmp_eq_u32 s14, 0
	s_cselect_b32 s5, s12, s5
	s_add_i32 s5, s5, s6
	s_cmp_lt_u32 s5, s1
	s_cbranch_scc1 .LBB656_3
; %bb.2:
	v_cmp_gt_u32_e32 vcc_lo, s1, v3
	s_or_b32 s3, vcc_lo, s13
	s_and_b32 s3, s3, exec_lo
	s_cbranch_execz .LBB656_4
	s_branch .LBB656_26
.LBB656_3:
.LBB656_4:
	s_min_u32 s2, s5, s1
	s_and_b32 vcc_lo, exec_lo, s7
	s_add_i32 s13, s6, s2
	s_min_u32 s6, s6, s2
	v_subrev_nc_u32_e32 v0, s13, v3
	s_add_i32 s12, s2, s12
	v_add_nc_u32_e32 v0, s6, v0
	s_min_u32 s6, s12, s1
	s_cbranch_vccz .LBB656_13
; %bb.5:
                                        ; implicit-def: $vgpr3
	s_and_saveexec_b32 s7, s0
	s_cbranch_execz .LBB656_16
; %bb.6:
	v_mov_b32_e32 v7, s2
	s_cmp_ge_u32 s5, s6
	s_cbranch_scc1 .LBB656_15
; %bb.7:
	v_mov_b32_e32 v8, s6
	v_mov_b32_e32 v7, s2
	;; [unrolled: 1-line block ×3, first 2 shown]
	s_mov_b32 s12, 0
	s_inst_prefetch 0x1
	s_branch .LBB656_9
	.p2align	6
.LBB656_8:                              ;   in Loop: Header=BB656_9 Depth=1
	v_add_nc_u32_e32 v5, 1, v3
	v_cndmask_b32_e64 v8, v3, v8, s13
	v_cndmask_b32_e64 v7, v7, v5, s13
	v_cmp_ge_u32_e32 vcc_lo, v7, v8
	s_or_b32 s12, vcc_lo, s12
	s_andn2_b32 exec_lo, exec_lo, s12
	s_cbranch_execz .LBB656_14
.LBB656_9:                              ; =>This Inner Loop Header: Depth=1
	v_add_nc_u32_e32 v3, v7, v8
	s_mov_b32 s14, -1
                                        ; implicit-def: $sgpr13
	v_lshrrev_b32_e32 v3, 1, v3
	v_lshlrev_b64 v[5:6], 3, v[3:4]
	v_add_co_u32 v5, vcc_lo, s8, v5
	v_add_co_ci_u32_e64 v6, null, s9, v6, vcc_lo
	s_andn2_b32 vcc_lo, exec_lo, s4
	global_load_dwordx2 v[5:6], v[5:6], off
	s_waitcnt vmcnt(0)
	v_cmp_ge_i32_e64 s0, v1, v5
	v_cmp_gt_i32_e64 s1, v1, v5
	s_cbranch_vccnz .LBB656_11
; %bb.10:                               ;   in Loop: Header=BB656_9 Depth=1
	v_cmp_ge_i32_e32 vcc_lo, v2, v6
	s_mov_b32 s14, 0
	s_or_b32 s1, s1, vcc_lo
	s_and_b32 s13, s0, s1
.LBB656_11:                             ;   in Loop: Header=BB656_9 Depth=1
	s_andn2_b32 vcc_lo, exec_lo, s14
	s_cbranch_vccnz .LBB656_8
; %bb.12:                               ;   in Loop: Header=BB656_9 Depth=1
	v_cmp_ge_i32_e32 vcc_lo, v1, v5
	v_cmp_gt_i32_e64 s0, v2, v6
	v_cmp_gt_i32_e64 s1, v1, v5
	s_and_b32 s0, vcc_lo, s0
	s_or_b32 s0, s1, s0
	s_andn2_b32 s1, s13, exec_lo
	s_and_b32 s0, s0, exec_lo
	s_or_b32 s13, s1, s0
	s_branch .LBB656_8
.LBB656_13:
                                        ; implicit-def: $vgpr3
	s_cbranch_execnz .LBB656_17
	s_branch .LBB656_26
.LBB656_14:
	s_inst_prefetch 0x2
	s_or_b32 exec_lo, exec_lo, s12
.LBB656_15:
	v_add_nc_u32_e32 v3, v7, v0
	s_or_b32 s3, s3, exec_lo
.LBB656_16:
	s_or_b32 exec_lo, exec_lo, s7
	s_branch .LBB656_26
.LBB656_17:
	v_mov_b32_e32 v7, s2
	s_cmp_ge_u32 s5, s6
	s_cbranch_scc1 .LBB656_25
; %bb.18:
	v_mov_b32_e32 v8, s6
	v_mov_b32_e32 v7, s2
	;; [unrolled: 1-line block ×3, first 2 shown]
	s_mov_b32 s2, 0
	s_inst_prefetch 0x1
	s_branch .LBB656_20
	.p2align	6
.LBB656_19:                             ;   in Loop: Header=BB656_20 Depth=1
	v_add_nc_u32_e32 v5, 1, v3
	v_cndmask_b32_e64 v8, v3, v8, s3
	v_cndmask_b32_e64 v7, v7, v5, s3
	v_cmp_ge_u32_e32 vcc_lo, v7, v8
	s_or_b32 s2, vcc_lo, s2
	s_andn2_b32 exec_lo, exec_lo, s2
	s_cbranch_execz .LBB656_24
.LBB656_20:                             ; =>This Inner Loop Header: Depth=1
	v_add_nc_u32_e32 v3, v7, v8
	s_mov_b32 s5, -1
                                        ; implicit-def: $sgpr3
	v_lshrrev_b32_e32 v3, 1, v3
	v_lshlrev_b64 v[5:6], 3, v[3:4]
	v_add_co_u32 v5, vcc_lo, s8, v5
	v_add_co_ci_u32_e64 v6, null, s9, v6, vcc_lo
	s_andn2_b32 vcc_lo, exec_lo, s4
	global_load_dwordx2 v[5:6], v[5:6], off
	s_waitcnt vmcnt(0)
	v_cmp_ge_i32_e64 s0, v1, v5
	v_cmp_gt_i32_e64 s1, v1, v5
	s_cbranch_vccnz .LBB656_22
; %bb.21:                               ;   in Loop: Header=BB656_20 Depth=1
	v_cmp_ge_i32_e32 vcc_lo, v2, v6
	s_mov_b32 s5, 0
	s_or_b32 s1, s1, vcc_lo
	s_and_b32 s3, s0, s1
.LBB656_22:                             ;   in Loop: Header=BB656_20 Depth=1
	s_andn2_b32 vcc_lo, exec_lo, s5
	s_cbranch_vccnz .LBB656_19
; %bb.23:                               ;   in Loop: Header=BB656_20 Depth=1
	v_cmp_ge_i32_e32 vcc_lo, v1, v5
	v_cmp_gt_i32_e64 s0, v2, v6
	v_cmp_gt_i32_e64 s1, v1, v5
	s_and_b32 s0, vcc_lo, s0
	s_or_b32 s0, s1, s0
	s_andn2_b32 s1, s3, exec_lo
	s_and_b32 s0, s0, exec_lo
	s_or_b32 s3, s1, s0
	s_branch .LBB656_19
.LBB656_24:
	s_inst_prefetch 0x2
	s_or_b32 exec_lo, exec_lo, s2
.LBB656_25:
	v_add_nc_u32_e32 v3, v7, v0
	s_mov_b32 s3, -1
.LBB656_26:
	s_and_b32 exec_lo, exec_lo, s3
	s_cbranch_execz .LBB656_28
; %bb.27:
	v_mov_b32_e32 v4, 0
	v_lshlrev_b64 v[3:4], 3, v[3:4]
	v_add_co_u32 v3, vcc_lo, s10, v3
	v_add_co_ci_u32_e64 v4, null, s11, v4, vcc_lo
	s_waitcnt vmcnt(0)
	global_store_dwordx2 v[3:4], v[1:2], off
.LBB656_28:
	s_endpgm
	.section	.rodata,"a",@progbits
	.p2align	6, 0x0
	.amdhsa_kernel _ZN7rocprim17ROCPRIM_400000_NS6detail17trampoline_kernelINS0_14default_configENS1_38merge_sort_block_merge_config_selectorIN6thrust23THRUST_200600_302600_NS4pairIiiEENS0_10empty_typeEEEZZNS1_27merge_sort_block_merge_implIS3_NS6_6detail15normal_iteratorINS6_10device_ptrIS8_EEEEPS9_mNS6_4lessIS8_EEEE10hipError_tT0_T1_T2_jT3_P12ihipStream_tbPNSt15iterator_traitsISL_E10value_typeEPNSR_ISM_E10value_typeEPSN_NS1_7vsmem_tEENKUlT_SL_SM_SN_E_clIPS8_SG_SH_SH_EESK_S10_SL_SM_SN_EUlS10_E1_NS1_11comp_targetILNS1_3genE8ELNS1_11target_archE1030ELNS1_3gpuE2ELNS1_3repE0EEENS1_36merge_oddeven_config_static_selectorELNS0_4arch9wavefront6targetE0EEEvSM_
		.amdhsa_group_segment_fixed_size 0
		.amdhsa_private_segment_fixed_size 0
		.amdhsa_kernarg_size 56
		.amdhsa_user_sgpr_count 6
		.amdhsa_user_sgpr_private_segment_buffer 1
		.amdhsa_user_sgpr_dispatch_ptr 0
		.amdhsa_user_sgpr_queue_ptr 0
		.amdhsa_user_sgpr_kernarg_segment_ptr 1
		.amdhsa_user_sgpr_dispatch_id 0
		.amdhsa_user_sgpr_flat_scratch_init 0
		.amdhsa_user_sgpr_private_segment_size 0
		.amdhsa_wavefront_size32 1
		.amdhsa_uses_dynamic_stack 0
		.amdhsa_system_sgpr_private_segment_wavefront_offset 0
		.amdhsa_system_sgpr_workgroup_id_x 1
		.amdhsa_system_sgpr_workgroup_id_y 0
		.amdhsa_system_sgpr_workgroup_id_z 0
		.amdhsa_system_sgpr_workgroup_info 0
		.amdhsa_system_vgpr_workitem_id 0
		.amdhsa_next_free_vgpr 9
		.amdhsa_next_free_sgpr 16
		.amdhsa_reserve_vcc 1
		.amdhsa_reserve_flat_scratch 0
		.amdhsa_float_round_mode_32 0
		.amdhsa_float_round_mode_16_64 0
		.amdhsa_float_denorm_mode_32 3
		.amdhsa_float_denorm_mode_16_64 3
		.amdhsa_dx10_clamp 1
		.amdhsa_ieee_mode 1
		.amdhsa_fp16_overflow 0
		.amdhsa_workgroup_processor_mode 1
		.amdhsa_memory_ordered 1
		.amdhsa_forward_progress 1
		.amdhsa_shared_vgpr_count 0
		.amdhsa_exception_fp_ieee_invalid_op 0
		.amdhsa_exception_fp_denorm_src 0
		.amdhsa_exception_fp_ieee_div_zero 0
		.amdhsa_exception_fp_ieee_overflow 0
		.amdhsa_exception_fp_ieee_underflow 0
		.amdhsa_exception_fp_ieee_inexact 0
		.amdhsa_exception_int_div_zero 0
	.end_amdhsa_kernel
	.section	.text._ZN7rocprim17ROCPRIM_400000_NS6detail17trampoline_kernelINS0_14default_configENS1_38merge_sort_block_merge_config_selectorIN6thrust23THRUST_200600_302600_NS4pairIiiEENS0_10empty_typeEEEZZNS1_27merge_sort_block_merge_implIS3_NS6_6detail15normal_iteratorINS6_10device_ptrIS8_EEEEPS9_mNS6_4lessIS8_EEEE10hipError_tT0_T1_T2_jT3_P12ihipStream_tbPNSt15iterator_traitsISL_E10value_typeEPNSR_ISM_E10value_typeEPSN_NS1_7vsmem_tEENKUlT_SL_SM_SN_E_clIPS8_SG_SH_SH_EESK_S10_SL_SM_SN_EUlS10_E1_NS1_11comp_targetILNS1_3genE8ELNS1_11target_archE1030ELNS1_3gpuE2ELNS1_3repE0EEENS1_36merge_oddeven_config_static_selectorELNS0_4arch9wavefront6targetE0EEEvSM_,"axG",@progbits,_ZN7rocprim17ROCPRIM_400000_NS6detail17trampoline_kernelINS0_14default_configENS1_38merge_sort_block_merge_config_selectorIN6thrust23THRUST_200600_302600_NS4pairIiiEENS0_10empty_typeEEEZZNS1_27merge_sort_block_merge_implIS3_NS6_6detail15normal_iteratorINS6_10device_ptrIS8_EEEEPS9_mNS6_4lessIS8_EEEE10hipError_tT0_T1_T2_jT3_P12ihipStream_tbPNSt15iterator_traitsISL_E10value_typeEPNSR_ISM_E10value_typeEPSN_NS1_7vsmem_tEENKUlT_SL_SM_SN_E_clIPS8_SG_SH_SH_EESK_S10_SL_SM_SN_EUlS10_E1_NS1_11comp_targetILNS1_3genE8ELNS1_11target_archE1030ELNS1_3gpuE2ELNS1_3repE0EEENS1_36merge_oddeven_config_static_selectorELNS0_4arch9wavefront6targetE0EEEvSM_,comdat
.Lfunc_end656:
	.size	_ZN7rocprim17ROCPRIM_400000_NS6detail17trampoline_kernelINS0_14default_configENS1_38merge_sort_block_merge_config_selectorIN6thrust23THRUST_200600_302600_NS4pairIiiEENS0_10empty_typeEEEZZNS1_27merge_sort_block_merge_implIS3_NS6_6detail15normal_iteratorINS6_10device_ptrIS8_EEEEPS9_mNS6_4lessIS8_EEEE10hipError_tT0_T1_T2_jT3_P12ihipStream_tbPNSt15iterator_traitsISL_E10value_typeEPNSR_ISM_E10value_typeEPSN_NS1_7vsmem_tEENKUlT_SL_SM_SN_E_clIPS8_SG_SH_SH_EESK_S10_SL_SM_SN_EUlS10_E1_NS1_11comp_targetILNS1_3genE8ELNS1_11target_archE1030ELNS1_3gpuE2ELNS1_3repE0EEENS1_36merge_oddeven_config_static_selectorELNS0_4arch9wavefront6targetE0EEEvSM_, .Lfunc_end656-_ZN7rocprim17ROCPRIM_400000_NS6detail17trampoline_kernelINS0_14default_configENS1_38merge_sort_block_merge_config_selectorIN6thrust23THRUST_200600_302600_NS4pairIiiEENS0_10empty_typeEEEZZNS1_27merge_sort_block_merge_implIS3_NS6_6detail15normal_iteratorINS6_10device_ptrIS8_EEEEPS9_mNS6_4lessIS8_EEEE10hipError_tT0_T1_T2_jT3_P12ihipStream_tbPNSt15iterator_traitsISL_E10value_typeEPNSR_ISM_E10value_typeEPSN_NS1_7vsmem_tEENKUlT_SL_SM_SN_E_clIPS8_SG_SH_SH_EESK_S10_SL_SM_SN_EUlS10_E1_NS1_11comp_targetILNS1_3genE8ELNS1_11target_archE1030ELNS1_3gpuE2ELNS1_3repE0EEENS1_36merge_oddeven_config_static_selectorELNS0_4arch9wavefront6targetE0EEEvSM_
                                        ; -- End function
	.set _ZN7rocprim17ROCPRIM_400000_NS6detail17trampoline_kernelINS0_14default_configENS1_38merge_sort_block_merge_config_selectorIN6thrust23THRUST_200600_302600_NS4pairIiiEENS0_10empty_typeEEEZZNS1_27merge_sort_block_merge_implIS3_NS6_6detail15normal_iteratorINS6_10device_ptrIS8_EEEEPS9_mNS6_4lessIS8_EEEE10hipError_tT0_T1_T2_jT3_P12ihipStream_tbPNSt15iterator_traitsISL_E10value_typeEPNSR_ISM_E10value_typeEPSN_NS1_7vsmem_tEENKUlT_SL_SM_SN_E_clIPS8_SG_SH_SH_EESK_S10_SL_SM_SN_EUlS10_E1_NS1_11comp_targetILNS1_3genE8ELNS1_11target_archE1030ELNS1_3gpuE2ELNS1_3repE0EEENS1_36merge_oddeven_config_static_selectorELNS0_4arch9wavefront6targetE0EEEvSM_.num_vgpr, 9
	.set _ZN7rocprim17ROCPRIM_400000_NS6detail17trampoline_kernelINS0_14default_configENS1_38merge_sort_block_merge_config_selectorIN6thrust23THRUST_200600_302600_NS4pairIiiEENS0_10empty_typeEEEZZNS1_27merge_sort_block_merge_implIS3_NS6_6detail15normal_iteratorINS6_10device_ptrIS8_EEEEPS9_mNS6_4lessIS8_EEEE10hipError_tT0_T1_T2_jT3_P12ihipStream_tbPNSt15iterator_traitsISL_E10value_typeEPNSR_ISM_E10value_typeEPSN_NS1_7vsmem_tEENKUlT_SL_SM_SN_E_clIPS8_SG_SH_SH_EESK_S10_SL_SM_SN_EUlS10_E1_NS1_11comp_targetILNS1_3genE8ELNS1_11target_archE1030ELNS1_3gpuE2ELNS1_3repE0EEENS1_36merge_oddeven_config_static_selectorELNS0_4arch9wavefront6targetE0EEEvSM_.num_agpr, 0
	.set _ZN7rocprim17ROCPRIM_400000_NS6detail17trampoline_kernelINS0_14default_configENS1_38merge_sort_block_merge_config_selectorIN6thrust23THRUST_200600_302600_NS4pairIiiEENS0_10empty_typeEEEZZNS1_27merge_sort_block_merge_implIS3_NS6_6detail15normal_iteratorINS6_10device_ptrIS8_EEEEPS9_mNS6_4lessIS8_EEEE10hipError_tT0_T1_T2_jT3_P12ihipStream_tbPNSt15iterator_traitsISL_E10value_typeEPNSR_ISM_E10value_typeEPSN_NS1_7vsmem_tEENKUlT_SL_SM_SN_E_clIPS8_SG_SH_SH_EESK_S10_SL_SM_SN_EUlS10_E1_NS1_11comp_targetILNS1_3genE8ELNS1_11target_archE1030ELNS1_3gpuE2ELNS1_3repE0EEENS1_36merge_oddeven_config_static_selectorELNS0_4arch9wavefront6targetE0EEEvSM_.numbered_sgpr, 16
	.set _ZN7rocprim17ROCPRIM_400000_NS6detail17trampoline_kernelINS0_14default_configENS1_38merge_sort_block_merge_config_selectorIN6thrust23THRUST_200600_302600_NS4pairIiiEENS0_10empty_typeEEEZZNS1_27merge_sort_block_merge_implIS3_NS6_6detail15normal_iteratorINS6_10device_ptrIS8_EEEEPS9_mNS6_4lessIS8_EEEE10hipError_tT0_T1_T2_jT3_P12ihipStream_tbPNSt15iterator_traitsISL_E10value_typeEPNSR_ISM_E10value_typeEPSN_NS1_7vsmem_tEENKUlT_SL_SM_SN_E_clIPS8_SG_SH_SH_EESK_S10_SL_SM_SN_EUlS10_E1_NS1_11comp_targetILNS1_3genE8ELNS1_11target_archE1030ELNS1_3gpuE2ELNS1_3repE0EEENS1_36merge_oddeven_config_static_selectorELNS0_4arch9wavefront6targetE0EEEvSM_.num_named_barrier, 0
	.set _ZN7rocprim17ROCPRIM_400000_NS6detail17trampoline_kernelINS0_14default_configENS1_38merge_sort_block_merge_config_selectorIN6thrust23THRUST_200600_302600_NS4pairIiiEENS0_10empty_typeEEEZZNS1_27merge_sort_block_merge_implIS3_NS6_6detail15normal_iteratorINS6_10device_ptrIS8_EEEEPS9_mNS6_4lessIS8_EEEE10hipError_tT0_T1_T2_jT3_P12ihipStream_tbPNSt15iterator_traitsISL_E10value_typeEPNSR_ISM_E10value_typeEPSN_NS1_7vsmem_tEENKUlT_SL_SM_SN_E_clIPS8_SG_SH_SH_EESK_S10_SL_SM_SN_EUlS10_E1_NS1_11comp_targetILNS1_3genE8ELNS1_11target_archE1030ELNS1_3gpuE2ELNS1_3repE0EEENS1_36merge_oddeven_config_static_selectorELNS0_4arch9wavefront6targetE0EEEvSM_.private_seg_size, 0
	.set _ZN7rocprim17ROCPRIM_400000_NS6detail17trampoline_kernelINS0_14default_configENS1_38merge_sort_block_merge_config_selectorIN6thrust23THRUST_200600_302600_NS4pairIiiEENS0_10empty_typeEEEZZNS1_27merge_sort_block_merge_implIS3_NS6_6detail15normal_iteratorINS6_10device_ptrIS8_EEEEPS9_mNS6_4lessIS8_EEEE10hipError_tT0_T1_T2_jT3_P12ihipStream_tbPNSt15iterator_traitsISL_E10value_typeEPNSR_ISM_E10value_typeEPSN_NS1_7vsmem_tEENKUlT_SL_SM_SN_E_clIPS8_SG_SH_SH_EESK_S10_SL_SM_SN_EUlS10_E1_NS1_11comp_targetILNS1_3genE8ELNS1_11target_archE1030ELNS1_3gpuE2ELNS1_3repE0EEENS1_36merge_oddeven_config_static_selectorELNS0_4arch9wavefront6targetE0EEEvSM_.uses_vcc, 1
	.set _ZN7rocprim17ROCPRIM_400000_NS6detail17trampoline_kernelINS0_14default_configENS1_38merge_sort_block_merge_config_selectorIN6thrust23THRUST_200600_302600_NS4pairIiiEENS0_10empty_typeEEEZZNS1_27merge_sort_block_merge_implIS3_NS6_6detail15normal_iteratorINS6_10device_ptrIS8_EEEEPS9_mNS6_4lessIS8_EEEE10hipError_tT0_T1_T2_jT3_P12ihipStream_tbPNSt15iterator_traitsISL_E10value_typeEPNSR_ISM_E10value_typeEPSN_NS1_7vsmem_tEENKUlT_SL_SM_SN_E_clIPS8_SG_SH_SH_EESK_S10_SL_SM_SN_EUlS10_E1_NS1_11comp_targetILNS1_3genE8ELNS1_11target_archE1030ELNS1_3gpuE2ELNS1_3repE0EEENS1_36merge_oddeven_config_static_selectorELNS0_4arch9wavefront6targetE0EEEvSM_.uses_flat_scratch, 0
	.set _ZN7rocprim17ROCPRIM_400000_NS6detail17trampoline_kernelINS0_14default_configENS1_38merge_sort_block_merge_config_selectorIN6thrust23THRUST_200600_302600_NS4pairIiiEENS0_10empty_typeEEEZZNS1_27merge_sort_block_merge_implIS3_NS6_6detail15normal_iteratorINS6_10device_ptrIS8_EEEEPS9_mNS6_4lessIS8_EEEE10hipError_tT0_T1_T2_jT3_P12ihipStream_tbPNSt15iterator_traitsISL_E10value_typeEPNSR_ISM_E10value_typeEPSN_NS1_7vsmem_tEENKUlT_SL_SM_SN_E_clIPS8_SG_SH_SH_EESK_S10_SL_SM_SN_EUlS10_E1_NS1_11comp_targetILNS1_3genE8ELNS1_11target_archE1030ELNS1_3gpuE2ELNS1_3repE0EEENS1_36merge_oddeven_config_static_selectorELNS0_4arch9wavefront6targetE0EEEvSM_.has_dyn_sized_stack, 0
	.set _ZN7rocprim17ROCPRIM_400000_NS6detail17trampoline_kernelINS0_14default_configENS1_38merge_sort_block_merge_config_selectorIN6thrust23THRUST_200600_302600_NS4pairIiiEENS0_10empty_typeEEEZZNS1_27merge_sort_block_merge_implIS3_NS6_6detail15normal_iteratorINS6_10device_ptrIS8_EEEEPS9_mNS6_4lessIS8_EEEE10hipError_tT0_T1_T2_jT3_P12ihipStream_tbPNSt15iterator_traitsISL_E10value_typeEPNSR_ISM_E10value_typeEPSN_NS1_7vsmem_tEENKUlT_SL_SM_SN_E_clIPS8_SG_SH_SH_EESK_S10_SL_SM_SN_EUlS10_E1_NS1_11comp_targetILNS1_3genE8ELNS1_11target_archE1030ELNS1_3gpuE2ELNS1_3repE0EEENS1_36merge_oddeven_config_static_selectorELNS0_4arch9wavefront6targetE0EEEvSM_.has_recursion, 0
	.set _ZN7rocprim17ROCPRIM_400000_NS6detail17trampoline_kernelINS0_14default_configENS1_38merge_sort_block_merge_config_selectorIN6thrust23THRUST_200600_302600_NS4pairIiiEENS0_10empty_typeEEEZZNS1_27merge_sort_block_merge_implIS3_NS6_6detail15normal_iteratorINS6_10device_ptrIS8_EEEEPS9_mNS6_4lessIS8_EEEE10hipError_tT0_T1_T2_jT3_P12ihipStream_tbPNSt15iterator_traitsISL_E10value_typeEPNSR_ISM_E10value_typeEPSN_NS1_7vsmem_tEENKUlT_SL_SM_SN_E_clIPS8_SG_SH_SH_EESK_S10_SL_SM_SN_EUlS10_E1_NS1_11comp_targetILNS1_3genE8ELNS1_11target_archE1030ELNS1_3gpuE2ELNS1_3repE0EEENS1_36merge_oddeven_config_static_selectorELNS0_4arch9wavefront6targetE0EEEvSM_.has_indirect_call, 0
	.section	.AMDGPU.csdata,"",@progbits
; Kernel info:
; codeLenInByte = 820
; TotalNumSgprs: 18
; NumVgprs: 9
; ScratchSize: 0
; MemoryBound: 0
; FloatMode: 240
; IeeeMode: 1
; LDSByteSize: 0 bytes/workgroup (compile time only)
; SGPRBlocks: 0
; VGPRBlocks: 1
; NumSGPRsForWavesPerEU: 18
; NumVGPRsForWavesPerEU: 9
; Occupancy: 16
; WaveLimiterHint : 0
; COMPUTE_PGM_RSRC2:SCRATCH_EN: 0
; COMPUTE_PGM_RSRC2:USER_SGPR: 6
; COMPUTE_PGM_RSRC2:TRAP_HANDLER: 0
; COMPUTE_PGM_RSRC2:TGID_X_EN: 1
; COMPUTE_PGM_RSRC2:TGID_Y_EN: 0
; COMPUTE_PGM_RSRC2:TGID_Z_EN: 0
; COMPUTE_PGM_RSRC2:TIDIG_COMP_CNT: 0
	.section	.text._ZN7rocprim17ROCPRIM_400000_NS6detail17trampoline_kernelINS0_14default_configENS1_38merge_sort_block_merge_config_selectorIN6thrust23THRUST_200600_302600_NS4pairIiiEENS0_10empty_typeEEEZZNS1_27merge_sort_block_merge_implIS3_NS6_6detail15normal_iteratorINS6_10device_ptrIS8_EEEEPS9_mNS6_4lessIS8_EEEE10hipError_tT0_T1_T2_jT3_P12ihipStream_tbPNSt15iterator_traitsISL_E10value_typeEPNSR_ISM_E10value_typeEPSN_NS1_7vsmem_tEENKUlT_SL_SM_SN_E_clISG_PS8_SH_SH_EESK_S10_SL_SM_SN_EUlS10_E_NS1_11comp_targetILNS1_3genE0ELNS1_11target_archE4294967295ELNS1_3gpuE0ELNS1_3repE0EEENS1_48merge_mergepath_partition_config_static_selectorELNS0_4arch9wavefront6targetE0EEEvSM_,"axG",@progbits,_ZN7rocprim17ROCPRIM_400000_NS6detail17trampoline_kernelINS0_14default_configENS1_38merge_sort_block_merge_config_selectorIN6thrust23THRUST_200600_302600_NS4pairIiiEENS0_10empty_typeEEEZZNS1_27merge_sort_block_merge_implIS3_NS6_6detail15normal_iteratorINS6_10device_ptrIS8_EEEEPS9_mNS6_4lessIS8_EEEE10hipError_tT0_T1_T2_jT3_P12ihipStream_tbPNSt15iterator_traitsISL_E10value_typeEPNSR_ISM_E10value_typeEPSN_NS1_7vsmem_tEENKUlT_SL_SM_SN_E_clISG_PS8_SH_SH_EESK_S10_SL_SM_SN_EUlS10_E_NS1_11comp_targetILNS1_3genE0ELNS1_11target_archE4294967295ELNS1_3gpuE0ELNS1_3repE0EEENS1_48merge_mergepath_partition_config_static_selectorELNS0_4arch9wavefront6targetE0EEEvSM_,comdat
	.protected	_ZN7rocprim17ROCPRIM_400000_NS6detail17trampoline_kernelINS0_14default_configENS1_38merge_sort_block_merge_config_selectorIN6thrust23THRUST_200600_302600_NS4pairIiiEENS0_10empty_typeEEEZZNS1_27merge_sort_block_merge_implIS3_NS6_6detail15normal_iteratorINS6_10device_ptrIS8_EEEEPS9_mNS6_4lessIS8_EEEE10hipError_tT0_T1_T2_jT3_P12ihipStream_tbPNSt15iterator_traitsISL_E10value_typeEPNSR_ISM_E10value_typeEPSN_NS1_7vsmem_tEENKUlT_SL_SM_SN_E_clISG_PS8_SH_SH_EESK_S10_SL_SM_SN_EUlS10_E_NS1_11comp_targetILNS1_3genE0ELNS1_11target_archE4294967295ELNS1_3gpuE0ELNS1_3repE0EEENS1_48merge_mergepath_partition_config_static_selectorELNS0_4arch9wavefront6targetE0EEEvSM_ ; -- Begin function _ZN7rocprim17ROCPRIM_400000_NS6detail17trampoline_kernelINS0_14default_configENS1_38merge_sort_block_merge_config_selectorIN6thrust23THRUST_200600_302600_NS4pairIiiEENS0_10empty_typeEEEZZNS1_27merge_sort_block_merge_implIS3_NS6_6detail15normal_iteratorINS6_10device_ptrIS8_EEEEPS9_mNS6_4lessIS8_EEEE10hipError_tT0_T1_T2_jT3_P12ihipStream_tbPNSt15iterator_traitsISL_E10value_typeEPNSR_ISM_E10value_typeEPSN_NS1_7vsmem_tEENKUlT_SL_SM_SN_E_clISG_PS8_SH_SH_EESK_S10_SL_SM_SN_EUlS10_E_NS1_11comp_targetILNS1_3genE0ELNS1_11target_archE4294967295ELNS1_3gpuE0ELNS1_3repE0EEENS1_48merge_mergepath_partition_config_static_selectorELNS0_4arch9wavefront6targetE0EEEvSM_
	.globl	_ZN7rocprim17ROCPRIM_400000_NS6detail17trampoline_kernelINS0_14default_configENS1_38merge_sort_block_merge_config_selectorIN6thrust23THRUST_200600_302600_NS4pairIiiEENS0_10empty_typeEEEZZNS1_27merge_sort_block_merge_implIS3_NS6_6detail15normal_iteratorINS6_10device_ptrIS8_EEEEPS9_mNS6_4lessIS8_EEEE10hipError_tT0_T1_T2_jT3_P12ihipStream_tbPNSt15iterator_traitsISL_E10value_typeEPNSR_ISM_E10value_typeEPSN_NS1_7vsmem_tEENKUlT_SL_SM_SN_E_clISG_PS8_SH_SH_EESK_S10_SL_SM_SN_EUlS10_E_NS1_11comp_targetILNS1_3genE0ELNS1_11target_archE4294967295ELNS1_3gpuE0ELNS1_3repE0EEENS1_48merge_mergepath_partition_config_static_selectorELNS0_4arch9wavefront6targetE0EEEvSM_
	.p2align	8
	.type	_ZN7rocprim17ROCPRIM_400000_NS6detail17trampoline_kernelINS0_14default_configENS1_38merge_sort_block_merge_config_selectorIN6thrust23THRUST_200600_302600_NS4pairIiiEENS0_10empty_typeEEEZZNS1_27merge_sort_block_merge_implIS3_NS6_6detail15normal_iteratorINS6_10device_ptrIS8_EEEEPS9_mNS6_4lessIS8_EEEE10hipError_tT0_T1_T2_jT3_P12ihipStream_tbPNSt15iterator_traitsISL_E10value_typeEPNSR_ISM_E10value_typeEPSN_NS1_7vsmem_tEENKUlT_SL_SM_SN_E_clISG_PS8_SH_SH_EESK_S10_SL_SM_SN_EUlS10_E_NS1_11comp_targetILNS1_3genE0ELNS1_11target_archE4294967295ELNS1_3gpuE0ELNS1_3repE0EEENS1_48merge_mergepath_partition_config_static_selectorELNS0_4arch9wavefront6targetE0EEEvSM_,@function
_ZN7rocprim17ROCPRIM_400000_NS6detail17trampoline_kernelINS0_14default_configENS1_38merge_sort_block_merge_config_selectorIN6thrust23THRUST_200600_302600_NS4pairIiiEENS0_10empty_typeEEEZZNS1_27merge_sort_block_merge_implIS3_NS6_6detail15normal_iteratorINS6_10device_ptrIS8_EEEEPS9_mNS6_4lessIS8_EEEE10hipError_tT0_T1_T2_jT3_P12ihipStream_tbPNSt15iterator_traitsISL_E10value_typeEPNSR_ISM_E10value_typeEPSN_NS1_7vsmem_tEENKUlT_SL_SM_SN_E_clISG_PS8_SH_SH_EESK_S10_SL_SM_SN_EUlS10_E_NS1_11comp_targetILNS1_3genE0ELNS1_11target_archE4294967295ELNS1_3gpuE0ELNS1_3repE0EEENS1_48merge_mergepath_partition_config_static_selectorELNS0_4arch9wavefront6targetE0EEEvSM_: ; @_ZN7rocprim17ROCPRIM_400000_NS6detail17trampoline_kernelINS0_14default_configENS1_38merge_sort_block_merge_config_selectorIN6thrust23THRUST_200600_302600_NS4pairIiiEENS0_10empty_typeEEEZZNS1_27merge_sort_block_merge_implIS3_NS6_6detail15normal_iteratorINS6_10device_ptrIS8_EEEEPS9_mNS6_4lessIS8_EEEE10hipError_tT0_T1_T2_jT3_P12ihipStream_tbPNSt15iterator_traitsISL_E10value_typeEPNSR_ISM_E10value_typeEPSN_NS1_7vsmem_tEENKUlT_SL_SM_SN_E_clISG_PS8_SH_SH_EESK_S10_SL_SM_SN_EUlS10_E_NS1_11comp_targetILNS1_3genE0ELNS1_11target_archE4294967295ELNS1_3gpuE0ELNS1_3repE0EEENS1_48merge_mergepath_partition_config_static_selectorELNS0_4arch9wavefront6targetE0EEEvSM_
; %bb.0:
	.section	.rodata,"a",@progbits
	.p2align	6, 0x0
	.amdhsa_kernel _ZN7rocprim17ROCPRIM_400000_NS6detail17trampoline_kernelINS0_14default_configENS1_38merge_sort_block_merge_config_selectorIN6thrust23THRUST_200600_302600_NS4pairIiiEENS0_10empty_typeEEEZZNS1_27merge_sort_block_merge_implIS3_NS6_6detail15normal_iteratorINS6_10device_ptrIS8_EEEEPS9_mNS6_4lessIS8_EEEE10hipError_tT0_T1_T2_jT3_P12ihipStream_tbPNSt15iterator_traitsISL_E10value_typeEPNSR_ISM_E10value_typeEPSN_NS1_7vsmem_tEENKUlT_SL_SM_SN_E_clISG_PS8_SH_SH_EESK_S10_SL_SM_SN_EUlS10_E_NS1_11comp_targetILNS1_3genE0ELNS1_11target_archE4294967295ELNS1_3gpuE0ELNS1_3repE0EEENS1_48merge_mergepath_partition_config_static_selectorELNS0_4arch9wavefront6targetE0EEEvSM_
		.amdhsa_group_segment_fixed_size 0
		.amdhsa_private_segment_fixed_size 0
		.amdhsa_kernarg_size 48
		.amdhsa_user_sgpr_count 6
		.amdhsa_user_sgpr_private_segment_buffer 1
		.amdhsa_user_sgpr_dispatch_ptr 0
		.amdhsa_user_sgpr_queue_ptr 0
		.amdhsa_user_sgpr_kernarg_segment_ptr 1
		.amdhsa_user_sgpr_dispatch_id 0
		.amdhsa_user_sgpr_flat_scratch_init 0
		.amdhsa_user_sgpr_private_segment_size 0
		.amdhsa_wavefront_size32 1
		.amdhsa_uses_dynamic_stack 0
		.amdhsa_system_sgpr_private_segment_wavefront_offset 0
		.amdhsa_system_sgpr_workgroup_id_x 1
		.amdhsa_system_sgpr_workgroup_id_y 0
		.amdhsa_system_sgpr_workgroup_id_z 0
		.amdhsa_system_sgpr_workgroup_info 0
		.amdhsa_system_vgpr_workitem_id 0
		.amdhsa_next_free_vgpr 1
		.amdhsa_next_free_sgpr 1
		.amdhsa_reserve_vcc 0
		.amdhsa_reserve_flat_scratch 0
		.amdhsa_float_round_mode_32 0
		.amdhsa_float_round_mode_16_64 0
		.amdhsa_float_denorm_mode_32 3
		.amdhsa_float_denorm_mode_16_64 3
		.amdhsa_dx10_clamp 1
		.amdhsa_ieee_mode 1
		.amdhsa_fp16_overflow 0
		.amdhsa_workgroup_processor_mode 1
		.amdhsa_memory_ordered 1
		.amdhsa_forward_progress 1
		.amdhsa_shared_vgpr_count 0
		.amdhsa_exception_fp_ieee_invalid_op 0
		.amdhsa_exception_fp_denorm_src 0
		.amdhsa_exception_fp_ieee_div_zero 0
		.amdhsa_exception_fp_ieee_overflow 0
		.amdhsa_exception_fp_ieee_underflow 0
		.amdhsa_exception_fp_ieee_inexact 0
		.amdhsa_exception_int_div_zero 0
	.end_amdhsa_kernel
	.section	.text._ZN7rocprim17ROCPRIM_400000_NS6detail17trampoline_kernelINS0_14default_configENS1_38merge_sort_block_merge_config_selectorIN6thrust23THRUST_200600_302600_NS4pairIiiEENS0_10empty_typeEEEZZNS1_27merge_sort_block_merge_implIS3_NS6_6detail15normal_iteratorINS6_10device_ptrIS8_EEEEPS9_mNS6_4lessIS8_EEEE10hipError_tT0_T1_T2_jT3_P12ihipStream_tbPNSt15iterator_traitsISL_E10value_typeEPNSR_ISM_E10value_typeEPSN_NS1_7vsmem_tEENKUlT_SL_SM_SN_E_clISG_PS8_SH_SH_EESK_S10_SL_SM_SN_EUlS10_E_NS1_11comp_targetILNS1_3genE0ELNS1_11target_archE4294967295ELNS1_3gpuE0ELNS1_3repE0EEENS1_48merge_mergepath_partition_config_static_selectorELNS0_4arch9wavefront6targetE0EEEvSM_,"axG",@progbits,_ZN7rocprim17ROCPRIM_400000_NS6detail17trampoline_kernelINS0_14default_configENS1_38merge_sort_block_merge_config_selectorIN6thrust23THRUST_200600_302600_NS4pairIiiEENS0_10empty_typeEEEZZNS1_27merge_sort_block_merge_implIS3_NS6_6detail15normal_iteratorINS6_10device_ptrIS8_EEEEPS9_mNS6_4lessIS8_EEEE10hipError_tT0_T1_T2_jT3_P12ihipStream_tbPNSt15iterator_traitsISL_E10value_typeEPNSR_ISM_E10value_typeEPSN_NS1_7vsmem_tEENKUlT_SL_SM_SN_E_clISG_PS8_SH_SH_EESK_S10_SL_SM_SN_EUlS10_E_NS1_11comp_targetILNS1_3genE0ELNS1_11target_archE4294967295ELNS1_3gpuE0ELNS1_3repE0EEENS1_48merge_mergepath_partition_config_static_selectorELNS0_4arch9wavefront6targetE0EEEvSM_,comdat
.Lfunc_end657:
	.size	_ZN7rocprim17ROCPRIM_400000_NS6detail17trampoline_kernelINS0_14default_configENS1_38merge_sort_block_merge_config_selectorIN6thrust23THRUST_200600_302600_NS4pairIiiEENS0_10empty_typeEEEZZNS1_27merge_sort_block_merge_implIS3_NS6_6detail15normal_iteratorINS6_10device_ptrIS8_EEEEPS9_mNS6_4lessIS8_EEEE10hipError_tT0_T1_T2_jT3_P12ihipStream_tbPNSt15iterator_traitsISL_E10value_typeEPNSR_ISM_E10value_typeEPSN_NS1_7vsmem_tEENKUlT_SL_SM_SN_E_clISG_PS8_SH_SH_EESK_S10_SL_SM_SN_EUlS10_E_NS1_11comp_targetILNS1_3genE0ELNS1_11target_archE4294967295ELNS1_3gpuE0ELNS1_3repE0EEENS1_48merge_mergepath_partition_config_static_selectorELNS0_4arch9wavefront6targetE0EEEvSM_, .Lfunc_end657-_ZN7rocprim17ROCPRIM_400000_NS6detail17trampoline_kernelINS0_14default_configENS1_38merge_sort_block_merge_config_selectorIN6thrust23THRUST_200600_302600_NS4pairIiiEENS0_10empty_typeEEEZZNS1_27merge_sort_block_merge_implIS3_NS6_6detail15normal_iteratorINS6_10device_ptrIS8_EEEEPS9_mNS6_4lessIS8_EEEE10hipError_tT0_T1_T2_jT3_P12ihipStream_tbPNSt15iterator_traitsISL_E10value_typeEPNSR_ISM_E10value_typeEPSN_NS1_7vsmem_tEENKUlT_SL_SM_SN_E_clISG_PS8_SH_SH_EESK_S10_SL_SM_SN_EUlS10_E_NS1_11comp_targetILNS1_3genE0ELNS1_11target_archE4294967295ELNS1_3gpuE0ELNS1_3repE0EEENS1_48merge_mergepath_partition_config_static_selectorELNS0_4arch9wavefront6targetE0EEEvSM_
                                        ; -- End function
	.set _ZN7rocprim17ROCPRIM_400000_NS6detail17trampoline_kernelINS0_14default_configENS1_38merge_sort_block_merge_config_selectorIN6thrust23THRUST_200600_302600_NS4pairIiiEENS0_10empty_typeEEEZZNS1_27merge_sort_block_merge_implIS3_NS6_6detail15normal_iteratorINS6_10device_ptrIS8_EEEEPS9_mNS6_4lessIS8_EEEE10hipError_tT0_T1_T2_jT3_P12ihipStream_tbPNSt15iterator_traitsISL_E10value_typeEPNSR_ISM_E10value_typeEPSN_NS1_7vsmem_tEENKUlT_SL_SM_SN_E_clISG_PS8_SH_SH_EESK_S10_SL_SM_SN_EUlS10_E_NS1_11comp_targetILNS1_3genE0ELNS1_11target_archE4294967295ELNS1_3gpuE0ELNS1_3repE0EEENS1_48merge_mergepath_partition_config_static_selectorELNS0_4arch9wavefront6targetE0EEEvSM_.num_vgpr, 0
	.set _ZN7rocprim17ROCPRIM_400000_NS6detail17trampoline_kernelINS0_14default_configENS1_38merge_sort_block_merge_config_selectorIN6thrust23THRUST_200600_302600_NS4pairIiiEENS0_10empty_typeEEEZZNS1_27merge_sort_block_merge_implIS3_NS6_6detail15normal_iteratorINS6_10device_ptrIS8_EEEEPS9_mNS6_4lessIS8_EEEE10hipError_tT0_T1_T2_jT3_P12ihipStream_tbPNSt15iterator_traitsISL_E10value_typeEPNSR_ISM_E10value_typeEPSN_NS1_7vsmem_tEENKUlT_SL_SM_SN_E_clISG_PS8_SH_SH_EESK_S10_SL_SM_SN_EUlS10_E_NS1_11comp_targetILNS1_3genE0ELNS1_11target_archE4294967295ELNS1_3gpuE0ELNS1_3repE0EEENS1_48merge_mergepath_partition_config_static_selectorELNS0_4arch9wavefront6targetE0EEEvSM_.num_agpr, 0
	.set _ZN7rocprim17ROCPRIM_400000_NS6detail17trampoline_kernelINS0_14default_configENS1_38merge_sort_block_merge_config_selectorIN6thrust23THRUST_200600_302600_NS4pairIiiEENS0_10empty_typeEEEZZNS1_27merge_sort_block_merge_implIS3_NS6_6detail15normal_iteratorINS6_10device_ptrIS8_EEEEPS9_mNS6_4lessIS8_EEEE10hipError_tT0_T1_T2_jT3_P12ihipStream_tbPNSt15iterator_traitsISL_E10value_typeEPNSR_ISM_E10value_typeEPSN_NS1_7vsmem_tEENKUlT_SL_SM_SN_E_clISG_PS8_SH_SH_EESK_S10_SL_SM_SN_EUlS10_E_NS1_11comp_targetILNS1_3genE0ELNS1_11target_archE4294967295ELNS1_3gpuE0ELNS1_3repE0EEENS1_48merge_mergepath_partition_config_static_selectorELNS0_4arch9wavefront6targetE0EEEvSM_.numbered_sgpr, 0
	.set _ZN7rocprim17ROCPRIM_400000_NS6detail17trampoline_kernelINS0_14default_configENS1_38merge_sort_block_merge_config_selectorIN6thrust23THRUST_200600_302600_NS4pairIiiEENS0_10empty_typeEEEZZNS1_27merge_sort_block_merge_implIS3_NS6_6detail15normal_iteratorINS6_10device_ptrIS8_EEEEPS9_mNS6_4lessIS8_EEEE10hipError_tT0_T1_T2_jT3_P12ihipStream_tbPNSt15iterator_traitsISL_E10value_typeEPNSR_ISM_E10value_typeEPSN_NS1_7vsmem_tEENKUlT_SL_SM_SN_E_clISG_PS8_SH_SH_EESK_S10_SL_SM_SN_EUlS10_E_NS1_11comp_targetILNS1_3genE0ELNS1_11target_archE4294967295ELNS1_3gpuE0ELNS1_3repE0EEENS1_48merge_mergepath_partition_config_static_selectorELNS0_4arch9wavefront6targetE0EEEvSM_.num_named_barrier, 0
	.set _ZN7rocprim17ROCPRIM_400000_NS6detail17trampoline_kernelINS0_14default_configENS1_38merge_sort_block_merge_config_selectorIN6thrust23THRUST_200600_302600_NS4pairIiiEENS0_10empty_typeEEEZZNS1_27merge_sort_block_merge_implIS3_NS6_6detail15normal_iteratorINS6_10device_ptrIS8_EEEEPS9_mNS6_4lessIS8_EEEE10hipError_tT0_T1_T2_jT3_P12ihipStream_tbPNSt15iterator_traitsISL_E10value_typeEPNSR_ISM_E10value_typeEPSN_NS1_7vsmem_tEENKUlT_SL_SM_SN_E_clISG_PS8_SH_SH_EESK_S10_SL_SM_SN_EUlS10_E_NS1_11comp_targetILNS1_3genE0ELNS1_11target_archE4294967295ELNS1_3gpuE0ELNS1_3repE0EEENS1_48merge_mergepath_partition_config_static_selectorELNS0_4arch9wavefront6targetE0EEEvSM_.private_seg_size, 0
	.set _ZN7rocprim17ROCPRIM_400000_NS6detail17trampoline_kernelINS0_14default_configENS1_38merge_sort_block_merge_config_selectorIN6thrust23THRUST_200600_302600_NS4pairIiiEENS0_10empty_typeEEEZZNS1_27merge_sort_block_merge_implIS3_NS6_6detail15normal_iteratorINS6_10device_ptrIS8_EEEEPS9_mNS6_4lessIS8_EEEE10hipError_tT0_T1_T2_jT3_P12ihipStream_tbPNSt15iterator_traitsISL_E10value_typeEPNSR_ISM_E10value_typeEPSN_NS1_7vsmem_tEENKUlT_SL_SM_SN_E_clISG_PS8_SH_SH_EESK_S10_SL_SM_SN_EUlS10_E_NS1_11comp_targetILNS1_3genE0ELNS1_11target_archE4294967295ELNS1_3gpuE0ELNS1_3repE0EEENS1_48merge_mergepath_partition_config_static_selectorELNS0_4arch9wavefront6targetE0EEEvSM_.uses_vcc, 0
	.set _ZN7rocprim17ROCPRIM_400000_NS6detail17trampoline_kernelINS0_14default_configENS1_38merge_sort_block_merge_config_selectorIN6thrust23THRUST_200600_302600_NS4pairIiiEENS0_10empty_typeEEEZZNS1_27merge_sort_block_merge_implIS3_NS6_6detail15normal_iteratorINS6_10device_ptrIS8_EEEEPS9_mNS6_4lessIS8_EEEE10hipError_tT0_T1_T2_jT3_P12ihipStream_tbPNSt15iterator_traitsISL_E10value_typeEPNSR_ISM_E10value_typeEPSN_NS1_7vsmem_tEENKUlT_SL_SM_SN_E_clISG_PS8_SH_SH_EESK_S10_SL_SM_SN_EUlS10_E_NS1_11comp_targetILNS1_3genE0ELNS1_11target_archE4294967295ELNS1_3gpuE0ELNS1_3repE0EEENS1_48merge_mergepath_partition_config_static_selectorELNS0_4arch9wavefront6targetE0EEEvSM_.uses_flat_scratch, 0
	.set _ZN7rocprim17ROCPRIM_400000_NS6detail17trampoline_kernelINS0_14default_configENS1_38merge_sort_block_merge_config_selectorIN6thrust23THRUST_200600_302600_NS4pairIiiEENS0_10empty_typeEEEZZNS1_27merge_sort_block_merge_implIS3_NS6_6detail15normal_iteratorINS6_10device_ptrIS8_EEEEPS9_mNS6_4lessIS8_EEEE10hipError_tT0_T1_T2_jT3_P12ihipStream_tbPNSt15iterator_traitsISL_E10value_typeEPNSR_ISM_E10value_typeEPSN_NS1_7vsmem_tEENKUlT_SL_SM_SN_E_clISG_PS8_SH_SH_EESK_S10_SL_SM_SN_EUlS10_E_NS1_11comp_targetILNS1_3genE0ELNS1_11target_archE4294967295ELNS1_3gpuE0ELNS1_3repE0EEENS1_48merge_mergepath_partition_config_static_selectorELNS0_4arch9wavefront6targetE0EEEvSM_.has_dyn_sized_stack, 0
	.set _ZN7rocprim17ROCPRIM_400000_NS6detail17trampoline_kernelINS0_14default_configENS1_38merge_sort_block_merge_config_selectorIN6thrust23THRUST_200600_302600_NS4pairIiiEENS0_10empty_typeEEEZZNS1_27merge_sort_block_merge_implIS3_NS6_6detail15normal_iteratorINS6_10device_ptrIS8_EEEEPS9_mNS6_4lessIS8_EEEE10hipError_tT0_T1_T2_jT3_P12ihipStream_tbPNSt15iterator_traitsISL_E10value_typeEPNSR_ISM_E10value_typeEPSN_NS1_7vsmem_tEENKUlT_SL_SM_SN_E_clISG_PS8_SH_SH_EESK_S10_SL_SM_SN_EUlS10_E_NS1_11comp_targetILNS1_3genE0ELNS1_11target_archE4294967295ELNS1_3gpuE0ELNS1_3repE0EEENS1_48merge_mergepath_partition_config_static_selectorELNS0_4arch9wavefront6targetE0EEEvSM_.has_recursion, 0
	.set _ZN7rocprim17ROCPRIM_400000_NS6detail17trampoline_kernelINS0_14default_configENS1_38merge_sort_block_merge_config_selectorIN6thrust23THRUST_200600_302600_NS4pairIiiEENS0_10empty_typeEEEZZNS1_27merge_sort_block_merge_implIS3_NS6_6detail15normal_iteratorINS6_10device_ptrIS8_EEEEPS9_mNS6_4lessIS8_EEEE10hipError_tT0_T1_T2_jT3_P12ihipStream_tbPNSt15iterator_traitsISL_E10value_typeEPNSR_ISM_E10value_typeEPSN_NS1_7vsmem_tEENKUlT_SL_SM_SN_E_clISG_PS8_SH_SH_EESK_S10_SL_SM_SN_EUlS10_E_NS1_11comp_targetILNS1_3genE0ELNS1_11target_archE4294967295ELNS1_3gpuE0ELNS1_3repE0EEENS1_48merge_mergepath_partition_config_static_selectorELNS0_4arch9wavefront6targetE0EEEvSM_.has_indirect_call, 0
	.section	.AMDGPU.csdata,"",@progbits
; Kernel info:
; codeLenInByte = 0
; TotalNumSgprs: 0
; NumVgprs: 0
; ScratchSize: 0
; MemoryBound: 0
; FloatMode: 240
; IeeeMode: 1
; LDSByteSize: 0 bytes/workgroup (compile time only)
; SGPRBlocks: 0
; VGPRBlocks: 0
; NumSGPRsForWavesPerEU: 1
; NumVGPRsForWavesPerEU: 1
; Occupancy: 16
; WaveLimiterHint : 0
; COMPUTE_PGM_RSRC2:SCRATCH_EN: 0
; COMPUTE_PGM_RSRC2:USER_SGPR: 6
; COMPUTE_PGM_RSRC2:TRAP_HANDLER: 0
; COMPUTE_PGM_RSRC2:TGID_X_EN: 1
; COMPUTE_PGM_RSRC2:TGID_Y_EN: 0
; COMPUTE_PGM_RSRC2:TGID_Z_EN: 0
; COMPUTE_PGM_RSRC2:TIDIG_COMP_CNT: 0
	.section	.text._ZN7rocprim17ROCPRIM_400000_NS6detail17trampoline_kernelINS0_14default_configENS1_38merge_sort_block_merge_config_selectorIN6thrust23THRUST_200600_302600_NS4pairIiiEENS0_10empty_typeEEEZZNS1_27merge_sort_block_merge_implIS3_NS6_6detail15normal_iteratorINS6_10device_ptrIS8_EEEEPS9_mNS6_4lessIS8_EEEE10hipError_tT0_T1_T2_jT3_P12ihipStream_tbPNSt15iterator_traitsISL_E10value_typeEPNSR_ISM_E10value_typeEPSN_NS1_7vsmem_tEENKUlT_SL_SM_SN_E_clISG_PS8_SH_SH_EESK_S10_SL_SM_SN_EUlS10_E_NS1_11comp_targetILNS1_3genE10ELNS1_11target_archE1201ELNS1_3gpuE5ELNS1_3repE0EEENS1_48merge_mergepath_partition_config_static_selectorELNS0_4arch9wavefront6targetE0EEEvSM_,"axG",@progbits,_ZN7rocprim17ROCPRIM_400000_NS6detail17trampoline_kernelINS0_14default_configENS1_38merge_sort_block_merge_config_selectorIN6thrust23THRUST_200600_302600_NS4pairIiiEENS0_10empty_typeEEEZZNS1_27merge_sort_block_merge_implIS3_NS6_6detail15normal_iteratorINS6_10device_ptrIS8_EEEEPS9_mNS6_4lessIS8_EEEE10hipError_tT0_T1_T2_jT3_P12ihipStream_tbPNSt15iterator_traitsISL_E10value_typeEPNSR_ISM_E10value_typeEPSN_NS1_7vsmem_tEENKUlT_SL_SM_SN_E_clISG_PS8_SH_SH_EESK_S10_SL_SM_SN_EUlS10_E_NS1_11comp_targetILNS1_3genE10ELNS1_11target_archE1201ELNS1_3gpuE5ELNS1_3repE0EEENS1_48merge_mergepath_partition_config_static_selectorELNS0_4arch9wavefront6targetE0EEEvSM_,comdat
	.protected	_ZN7rocprim17ROCPRIM_400000_NS6detail17trampoline_kernelINS0_14default_configENS1_38merge_sort_block_merge_config_selectorIN6thrust23THRUST_200600_302600_NS4pairIiiEENS0_10empty_typeEEEZZNS1_27merge_sort_block_merge_implIS3_NS6_6detail15normal_iteratorINS6_10device_ptrIS8_EEEEPS9_mNS6_4lessIS8_EEEE10hipError_tT0_T1_T2_jT3_P12ihipStream_tbPNSt15iterator_traitsISL_E10value_typeEPNSR_ISM_E10value_typeEPSN_NS1_7vsmem_tEENKUlT_SL_SM_SN_E_clISG_PS8_SH_SH_EESK_S10_SL_SM_SN_EUlS10_E_NS1_11comp_targetILNS1_3genE10ELNS1_11target_archE1201ELNS1_3gpuE5ELNS1_3repE0EEENS1_48merge_mergepath_partition_config_static_selectorELNS0_4arch9wavefront6targetE0EEEvSM_ ; -- Begin function _ZN7rocprim17ROCPRIM_400000_NS6detail17trampoline_kernelINS0_14default_configENS1_38merge_sort_block_merge_config_selectorIN6thrust23THRUST_200600_302600_NS4pairIiiEENS0_10empty_typeEEEZZNS1_27merge_sort_block_merge_implIS3_NS6_6detail15normal_iteratorINS6_10device_ptrIS8_EEEEPS9_mNS6_4lessIS8_EEEE10hipError_tT0_T1_T2_jT3_P12ihipStream_tbPNSt15iterator_traitsISL_E10value_typeEPNSR_ISM_E10value_typeEPSN_NS1_7vsmem_tEENKUlT_SL_SM_SN_E_clISG_PS8_SH_SH_EESK_S10_SL_SM_SN_EUlS10_E_NS1_11comp_targetILNS1_3genE10ELNS1_11target_archE1201ELNS1_3gpuE5ELNS1_3repE0EEENS1_48merge_mergepath_partition_config_static_selectorELNS0_4arch9wavefront6targetE0EEEvSM_
	.globl	_ZN7rocprim17ROCPRIM_400000_NS6detail17trampoline_kernelINS0_14default_configENS1_38merge_sort_block_merge_config_selectorIN6thrust23THRUST_200600_302600_NS4pairIiiEENS0_10empty_typeEEEZZNS1_27merge_sort_block_merge_implIS3_NS6_6detail15normal_iteratorINS6_10device_ptrIS8_EEEEPS9_mNS6_4lessIS8_EEEE10hipError_tT0_T1_T2_jT3_P12ihipStream_tbPNSt15iterator_traitsISL_E10value_typeEPNSR_ISM_E10value_typeEPSN_NS1_7vsmem_tEENKUlT_SL_SM_SN_E_clISG_PS8_SH_SH_EESK_S10_SL_SM_SN_EUlS10_E_NS1_11comp_targetILNS1_3genE10ELNS1_11target_archE1201ELNS1_3gpuE5ELNS1_3repE0EEENS1_48merge_mergepath_partition_config_static_selectorELNS0_4arch9wavefront6targetE0EEEvSM_
	.p2align	8
	.type	_ZN7rocprim17ROCPRIM_400000_NS6detail17trampoline_kernelINS0_14default_configENS1_38merge_sort_block_merge_config_selectorIN6thrust23THRUST_200600_302600_NS4pairIiiEENS0_10empty_typeEEEZZNS1_27merge_sort_block_merge_implIS3_NS6_6detail15normal_iteratorINS6_10device_ptrIS8_EEEEPS9_mNS6_4lessIS8_EEEE10hipError_tT0_T1_T2_jT3_P12ihipStream_tbPNSt15iterator_traitsISL_E10value_typeEPNSR_ISM_E10value_typeEPSN_NS1_7vsmem_tEENKUlT_SL_SM_SN_E_clISG_PS8_SH_SH_EESK_S10_SL_SM_SN_EUlS10_E_NS1_11comp_targetILNS1_3genE10ELNS1_11target_archE1201ELNS1_3gpuE5ELNS1_3repE0EEENS1_48merge_mergepath_partition_config_static_selectorELNS0_4arch9wavefront6targetE0EEEvSM_,@function
_ZN7rocprim17ROCPRIM_400000_NS6detail17trampoline_kernelINS0_14default_configENS1_38merge_sort_block_merge_config_selectorIN6thrust23THRUST_200600_302600_NS4pairIiiEENS0_10empty_typeEEEZZNS1_27merge_sort_block_merge_implIS3_NS6_6detail15normal_iteratorINS6_10device_ptrIS8_EEEEPS9_mNS6_4lessIS8_EEEE10hipError_tT0_T1_T2_jT3_P12ihipStream_tbPNSt15iterator_traitsISL_E10value_typeEPNSR_ISM_E10value_typeEPSN_NS1_7vsmem_tEENKUlT_SL_SM_SN_E_clISG_PS8_SH_SH_EESK_S10_SL_SM_SN_EUlS10_E_NS1_11comp_targetILNS1_3genE10ELNS1_11target_archE1201ELNS1_3gpuE5ELNS1_3repE0EEENS1_48merge_mergepath_partition_config_static_selectorELNS0_4arch9wavefront6targetE0EEEvSM_: ; @_ZN7rocprim17ROCPRIM_400000_NS6detail17trampoline_kernelINS0_14default_configENS1_38merge_sort_block_merge_config_selectorIN6thrust23THRUST_200600_302600_NS4pairIiiEENS0_10empty_typeEEEZZNS1_27merge_sort_block_merge_implIS3_NS6_6detail15normal_iteratorINS6_10device_ptrIS8_EEEEPS9_mNS6_4lessIS8_EEEE10hipError_tT0_T1_T2_jT3_P12ihipStream_tbPNSt15iterator_traitsISL_E10value_typeEPNSR_ISM_E10value_typeEPSN_NS1_7vsmem_tEENKUlT_SL_SM_SN_E_clISG_PS8_SH_SH_EESK_S10_SL_SM_SN_EUlS10_E_NS1_11comp_targetILNS1_3genE10ELNS1_11target_archE1201ELNS1_3gpuE5ELNS1_3repE0EEENS1_48merge_mergepath_partition_config_static_selectorELNS0_4arch9wavefront6targetE0EEEvSM_
; %bb.0:
	.section	.rodata,"a",@progbits
	.p2align	6, 0x0
	.amdhsa_kernel _ZN7rocprim17ROCPRIM_400000_NS6detail17trampoline_kernelINS0_14default_configENS1_38merge_sort_block_merge_config_selectorIN6thrust23THRUST_200600_302600_NS4pairIiiEENS0_10empty_typeEEEZZNS1_27merge_sort_block_merge_implIS3_NS6_6detail15normal_iteratorINS6_10device_ptrIS8_EEEEPS9_mNS6_4lessIS8_EEEE10hipError_tT0_T1_T2_jT3_P12ihipStream_tbPNSt15iterator_traitsISL_E10value_typeEPNSR_ISM_E10value_typeEPSN_NS1_7vsmem_tEENKUlT_SL_SM_SN_E_clISG_PS8_SH_SH_EESK_S10_SL_SM_SN_EUlS10_E_NS1_11comp_targetILNS1_3genE10ELNS1_11target_archE1201ELNS1_3gpuE5ELNS1_3repE0EEENS1_48merge_mergepath_partition_config_static_selectorELNS0_4arch9wavefront6targetE0EEEvSM_
		.amdhsa_group_segment_fixed_size 0
		.amdhsa_private_segment_fixed_size 0
		.amdhsa_kernarg_size 48
		.amdhsa_user_sgpr_count 6
		.amdhsa_user_sgpr_private_segment_buffer 1
		.amdhsa_user_sgpr_dispatch_ptr 0
		.amdhsa_user_sgpr_queue_ptr 0
		.amdhsa_user_sgpr_kernarg_segment_ptr 1
		.amdhsa_user_sgpr_dispatch_id 0
		.amdhsa_user_sgpr_flat_scratch_init 0
		.amdhsa_user_sgpr_private_segment_size 0
		.amdhsa_wavefront_size32 1
		.amdhsa_uses_dynamic_stack 0
		.amdhsa_system_sgpr_private_segment_wavefront_offset 0
		.amdhsa_system_sgpr_workgroup_id_x 1
		.amdhsa_system_sgpr_workgroup_id_y 0
		.amdhsa_system_sgpr_workgroup_id_z 0
		.amdhsa_system_sgpr_workgroup_info 0
		.amdhsa_system_vgpr_workitem_id 0
		.amdhsa_next_free_vgpr 1
		.amdhsa_next_free_sgpr 1
		.amdhsa_reserve_vcc 0
		.amdhsa_reserve_flat_scratch 0
		.amdhsa_float_round_mode_32 0
		.amdhsa_float_round_mode_16_64 0
		.amdhsa_float_denorm_mode_32 3
		.amdhsa_float_denorm_mode_16_64 3
		.amdhsa_dx10_clamp 1
		.amdhsa_ieee_mode 1
		.amdhsa_fp16_overflow 0
		.amdhsa_workgroup_processor_mode 1
		.amdhsa_memory_ordered 1
		.amdhsa_forward_progress 1
		.amdhsa_shared_vgpr_count 0
		.amdhsa_exception_fp_ieee_invalid_op 0
		.amdhsa_exception_fp_denorm_src 0
		.amdhsa_exception_fp_ieee_div_zero 0
		.amdhsa_exception_fp_ieee_overflow 0
		.amdhsa_exception_fp_ieee_underflow 0
		.amdhsa_exception_fp_ieee_inexact 0
		.amdhsa_exception_int_div_zero 0
	.end_amdhsa_kernel
	.section	.text._ZN7rocprim17ROCPRIM_400000_NS6detail17trampoline_kernelINS0_14default_configENS1_38merge_sort_block_merge_config_selectorIN6thrust23THRUST_200600_302600_NS4pairIiiEENS0_10empty_typeEEEZZNS1_27merge_sort_block_merge_implIS3_NS6_6detail15normal_iteratorINS6_10device_ptrIS8_EEEEPS9_mNS6_4lessIS8_EEEE10hipError_tT0_T1_T2_jT3_P12ihipStream_tbPNSt15iterator_traitsISL_E10value_typeEPNSR_ISM_E10value_typeEPSN_NS1_7vsmem_tEENKUlT_SL_SM_SN_E_clISG_PS8_SH_SH_EESK_S10_SL_SM_SN_EUlS10_E_NS1_11comp_targetILNS1_3genE10ELNS1_11target_archE1201ELNS1_3gpuE5ELNS1_3repE0EEENS1_48merge_mergepath_partition_config_static_selectorELNS0_4arch9wavefront6targetE0EEEvSM_,"axG",@progbits,_ZN7rocprim17ROCPRIM_400000_NS6detail17trampoline_kernelINS0_14default_configENS1_38merge_sort_block_merge_config_selectorIN6thrust23THRUST_200600_302600_NS4pairIiiEENS0_10empty_typeEEEZZNS1_27merge_sort_block_merge_implIS3_NS6_6detail15normal_iteratorINS6_10device_ptrIS8_EEEEPS9_mNS6_4lessIS8_EEEE10hipError_tT0_T1_T2_jT3_P12ihipStream_tbPNSt15iterator_traitsISL_E10value_typeEPNSR_ISM_E10value_typeEPSN_NS1_7vsmem_tEENKUlT_SL_SM_SN_E_clISG_PS8_SH_SH_EESK_S10_SL_SM_SN_EUlS10_E_NS1_11comp_targetILNS1_3genE10ELNS1_11target_archE1201ELNS1_3gpuE5ELNS1_3repE0EEENS1_48merge_mergepath_partition_config_static_selectorELNS0_4arch9wavefront6targetE0EEEvSM_,comdat
.Lfunc_end658:
	.size	_ZN7rocprim17ROCPRIM_400000_NS6detail17trampoline_kernelINS0_14default_configENS1_38merge_sort_block_merge_config_selectorIN6thrust23THRUST_200600_302600_NS4pairIiiEENS0_10empty_typeEEEZZNS1_27merge_sort_block_merge_implIS3_NS6_6detail15normal_iteratorINS6_10device_ptrIS8_EEEEPS9_mNS6_4lessIS8_EEEE10hipError_tT0_T1_T2_jT3_P12ihipStream_tbPNSt15iterator_traitsISL_E10value_typeEPNSR_ISM_E10value_typeEPSN_NS1_7vsmem_tEENKUlT_SL_SM_SN_E_clISG_PS8_SH_SH_EESK_S10_SL_SM_SN_EUlS10_E_NS1_11comp_targetILNS1_3genE10ELNS1_11target_archE1201ELNS1_3gpuE5ELNS1_3repE0EEENS1_48merge_mergepath_partition_config_static_selectorELNS0_4arch9wavefront6targetE0EEEvSM_, .Lfunc_end658-_ZN7rocprim17ROCPRIM_400000_NS6detail17trampoline_kernelINS0_14default_configENS1_38merge_sort_block_merge_config_selectorIN6thrust23THRUST_200600_302600_NS4pairIiiEENS0_10empty_typeEEEZZNS1_27merge_sort_block_merge_implIS3_NS6_6detail15normal_iteratorINS6_10device_ptrIS8_EEEEPS9_mNS6_4lessIS8_EEEE10hipError_tT0_T1_T2_jT3_P12ihipStream_tbPNSt15iterator_traitsISL_E10value_typeEPNSR_ISM_E10value_typeEPSN_NS1_7vsmem_tEENKUlT_SL_SM_SN_E_clISG_PS8_SH_SH_EESK_S10_SL_SM_SN_EUlS10_E_NS1_11comp_targetILNS1_3genE10ELNS1_11target_archE1201ELNS1_3gpuE5ELNS1_3repE0EEENS1_48merge_mergepath_partition_config_static_selectorELNS0_4arch9wavefront6targetE0EEEvSM_
                                        ; -- End function
	.set _ZN7rocprim17ROCPRIM_400000_NS6detail17trampoline_kernelINS0_14default_configENS1_38merge_sort_block_merge_config_selectorIN6thrust23THRUST_200600_302600_NS4pairIiiEENS0_10empty_typeEEEZZNS1_27merge_sort_block_merge_implIS3_NS6_6detail15normal_iteratorINS6_10device_ptrIS8_EEEEPS9_mNS6_4lessIS8_EEEE10hipError_tT0_T1_T2_jT3_P12ihipStream_tbPNSt15iterator_traitsISL_E10value_typeEPNSR_ISM_E10value_typeEPSN_NS1_7vsmem_tEENKUlT_SL_SM_SN_E_clISG_PS8_SH_SH_EESK_S10_SL_SM_SN_EUlS10_E_NS1_11comp_targetILNS1_3genE10ELNS1_11target_archE1201ELNS1_3gpuE5ELNS1_3repE0EEENS1_48merge_mergepath_partition_config_static_selectorELNS0_4arch9wavefront6targetE0EEEvSM_.num_vgpr, 0
	.set _ZN7rocprim17ROCPRIM_400000_NS6detail17trampoline_kernelINS0_14default_configENS1_38merge_sort_block_merge_config_selectorIN6thrust23THRUST_200600_302600_NS4pairIiiEENS0_10empty_typeEEEZZNS1_27merge_sort_block_merge_implIS3_NS6_6detail15normal_iteratorINS6_10device_ptrIS8_EEEEPS9_mNS6_4lessIS8_EEEE10hipError_tT0_T1_T2_jT3_P12ihipStream_tbPNSt15iterator_traitsISL_E10value_typeEPNSR_ISM_E10value_typeEPSN_NS1_7vsmem_tEENKUlT_SL_SM_SN_E_clISG_PS8_SH_SH_EESK_S10_SL_SM_SN_EUlS10_E_NS1_11comp_targetILNS1_3genE10ELNS1_11target_archE1201ELNS1_3gpuE5ELNS1_3repE0EEENS1_48merge_mergepath_partition_config_static_selectorELNS0_4arch9wavefront6targetE0EEEvSM_.num_agpr, 0
	.set _ZN7rocprim17ROCPRIM_400000_NS6detail17trampoline_kernelINS0_14default_configENS1_38merge_sort_block_merge_config_selectorIN6thrust23THRUST_200600_302600_NS4pairIiiEENS0_10empty_typeEEEZZNS1_27merge_sort_block_merge_implIS3_NS6_6detail15normal_iteratorINS6_10device_ptrIS8_EEEEPS9_mNS6_4lessIS8_EEEE10hipError_tT0_T1_T2_jT3_P12ihipStream_tbPNSt15iterator_traitsISL_E10value_typeEPNSR_ISM_E10value_typeEPSN_NS1_7vsmem_tEENKUlT_SL_SM_SN_E_clISG_PS8_SH_SH_EESK_S10_SL_SM_SN_EUlS10_E_NS1_11comp_targetILNS1_3genE10ELNS1_11target_archE1201ELNS1_3gpuE5ELNS1_3repE0EEENS1_48merge_mergepath_partition_config_static_selectorELNS0_4arch9wavefront6targetE0EEEvSM_.numbered_sgpr, 0
	.set _ZN7rocprim17ROCPRIM_400000_NS6detail17trampoline_kernelINS0_14default_configENS1_38merge_sort_block_merge_config_selectorIN6thrust23THRUST_200600_302600_NS4pairIiiEENS0_10empty_typeEEEZZNS1_27merge_sort_block_merge_implIS3_NS6_6detail15normal_iteratorINS6_10device_ptrIS8_EEEEPS9_mNS6_4lessIS8_EEEE10hipError_tT0_T1_T2_jT3_P12ihipStream_tbPNSt15iterator_traitsISL_E10value_typeEPNSR_ISM_E10value_typeEPSN_NS1_7vsmem_tEENKUlT_SL_SM_SN_E_clISG_PS8_SH_SH_EESK_S10_SL_SM_SN_EUlS10_E_NS1_11comp_targetILNS1_3genE10ELNS1_11target_archE1201ELNS1_3gpuE5ELNS1_3repE0EEENS1_48merge_mergepath_partition_config_static_selectorELNS0_4arch9wavefront6targetE0EEEvSM_.num_named_barrier, 0
	.set _ZN7rocprim17ROCPRIM_400000_NS6detail17trampoline_kernelINS0_14default_configENS1_38merge_sort_block_merge_config_selectorIN6thrust23THRUST_200600_302600_NS4pairIiiEENS0_10empty_typeEEEZZNS1_27merge_sort_block_merge_implIS3_NS6_6detail15normal_iteratorINS6_10device_ptrIS8_EEEEPS9_mNS6_4lessIS8_EEEE10hipError_tT0_T1_T2_jT3_P12ihipStream_tbPNSt15iterator_traitsISL_E10value_typeEPNSR_ISM_E10value_typeEPSN_NS1_7vsmem_tEENKUlT_SL_SM_SN_E_clISG_PS8_SH_SH_EESK_S10_SL_SM_SN_EUlS10_E_NS1_11comp_targetILNS1_3genE10ELNS1_11target_archE1201ELNS1_3gpuE5ELNS1_3repE0EEENS1_48merge_mergepath_partition_config_static_selectorELNS0_4arch9wavefront6targetE0EEEvSM_.private_seg_size, 0
	.set _ZN7rocprim17ROCPRIM_400000_NS6detail17trampoline_kernelINS0_14default_configENS1_38merge_sort_block_merge_config_selectorIN6thrust23THRUST_200600_302600_NS4pairIiiEENS0_10empty_typeEEEZZNS1_27merge_sort_block_merge_implIS3_NS6_6detail15normal_iteratorINS6_10device_ptrIS8_EEEEPS9_mNS6_4lessIS8_EEEE10hipError_tT0_T1_T2_jT3_P12ihipStream_tbPNSt15iterator_traitsISL_E10value_typeEPNSR_ISM_E10value_typeEPSN_NS1_7vsmem_tEENKUlT_SL_SM_SN_E_clISG_PS8_SH_SH_EESK_S10_SL_SM_SN_EUlS10_E_NS1_11comp_targetILNS1_3genE10ELNS1_11target_archE1201ELNS1_3gpuE5ELNS1_3repE0EEENS1_48merge_mergepath_partition_config_static_selectorELNS0_4arch9wavefront6targetE0EEEvSM_.uses_vcc, 0
	.set _ZN7rocprim17ROCPRIM_400000_NS6detail17trampoline_kernelINS0_14default_configENS1_38merge_sort_block_merge_config_selectorIN6thrust23THRUST_200600_302600_NS4pairIiiEENS0_10empty_typeEEEZZNS1_27merge_sort_block_merge_implIS3_NS6_6detail15normal_iteratorINS6_10device_ptrIS8_EEEEPS9_mNS6_4lessIS8_EEEE10hipError_tT0_T1_T2_jT3_P12ihipStream_tbPNSt15iterator_traitsISL_E10value_typeEPNSR_ISM_E10value_typeEPSN_NS1_7vsmem_tEENKUlT_SL_SM_SN_E_clISG_PS8_SH_SH_EESK_S10_SL_SM_SN_EUlS10_E_NS1_11comp_targetILNS1_3genE10ELNS1_11target_archE1201ELNS1_3gpuE5ELNS1_3repE0EEENS1_48merge_mergepath_partition_config_static_selectorELNS0_4arch9wavefront6targetE0EEEvSM_.uses_flat_scratch, 0
	.set _ZN7rocprim17ROCPRIM_400000_NS6detail17trampoline_kernelINS0_14default_configENS1_38merge_sort_block_merge_config_selectorIN6thrust23THRUST_200600_302600_NS4pairIiiEENS0_10empty_typeEEEZZNS1_27merge_sort_block_merge_implIS3_NS6_6detail15normal_iteratorINS6_10device_ptrIS8_EEEEPS9_mNS6_4lessIS8_EEEE10hipError_tT0_T1_T2_jT3_P12ihipStream_tbPNSt15iterator_traitsISL_E10value_typeEPNSR_ISM_E10value_typeEPSN_NS1_7vsmem_tEENKUlT_SL_SM_SN_E_clISG_PS8_SH_SH_EESK_S10_SL_SM_SN_EUlS10_E_NS1_11comp_targetILNS1_3genE10ELNS1_11target_archE1201ELNS1_3gpuE5ELNS1_3repE0EEENS1_48merge_mergepath_partition_config_static_selectorELNS0_4arch9wavefront6targetE0EEEvSM_.has_dyn_sized_stack, 0
	.set _ZN7rocprim17ROCPRIM_400000_NS6detail17trampoline_kernelINS0_14default_configENS1_38merge_sort_block_merge_config_selectorIN6thrust23THRUST_200600_302600_NS4pairIiiEENS0_10empty_typeEEEZZNS1_27merge_sort_block_merge_implIS3_NS6_6detail15normal_iteratorINS6_10device_ptrIS8_EEEEPS9_mNS6_4lessIS8_EEEE10hipError_tT0_T1_T2_jT3_P12ihipStream_tbPNSt15iterator_traitsISL_E10value_typeEPNSR_ISM_E10value_typeEPSN_NS1_7vsmem_tEENKUlT_SL_SM_SN_E_clISG_PS8_SH_SH_EESK_S10_SL_SM_SN_EUlS10_E_NS1_11comp_targetILNS1_3genE10ELNS1_11target_archE1201ELNS1_3gpuE5ELNS1_3repE0EEENS1_48merge_mergepath_partition_config_static_selectorELNS0_4arch9wavefront6targetE0EEEvSM_.has_recursion, 0
	.set _ZN7rocprim17ROCPRIM_400000_NS6detail17trampoline_kernelINS0_14default_configENS1_38merge_sort_block_merge_config_selectorIN6thrust23THRUST_200600_302600_NS4pairIiiEENS0_10empty_typeEEEZZNS1_27merge_sort_block_merge_implIS3_NS6_6detail15normal_iteratorINS6_10device_ptrIS8_EEEEPS9_mNS6_4lessIS8_EEEE10hipError_tT0_T1_T2_jT3_P12ihipStream_tbPNSt15iterator_traitsISL_E10value_typeEPNSR_ISM_E10value_typeEPSN_NS1_7vsmem_tEENKUlT_SL_SM_SN_E_clISG_PS8_SH_SH_EESK_S10_SL_SM_SN_EUlS10_E_NS1_11comp_targetILNS1_3genE10ELNS1_11target_archE1201ELNS1_3gpuE5ELNS1_3repE0EEENS1_48merge_mergepath_partition_config_static_selectorELNS0_4arch9wavefront6targetE0EEEvSM_.has_indirect_call, 0
	.section	.AMDGPU.csdata,"",@progbits
; Kernel info:
; codeLenInByte = 0
; TotalNumSgprs: 0
; NumVgprs: 0
; ScratchSize: 0
; MemoryBound: 0
; FloatMode: 240
; IeeeMode: 1
; LDSByteSize: 0 bytes/workgroup (compile time only)
; SGPRBlocks: 0
; VGPRBlocks: 0
; NumSGPRsForWavesPerEU: 1
; NumVGPRsForWavesPerEU: 1
; Occupancy: 16
; WaveLimiterHint : 0
; COMPUTE_PGM_RSRC2:SCRATCH_EN: 0
; COMPUTE_PGM_RSRC2:USER_SGPR: 6
; COMPUTE_PGM_RSRC2:TRAP_HANDLER: 0
; COMPUTE_PGM_RSRC2:TGID_X_EN: 1
; COMPUTE_PGM_RSRC2:TGID_Y_EN: 0
; COMPUTE_PGM_RSRC2:TGID_Z_EN: 0
; COMPUTE_PGM_RSRC2:TIDIG_COMP_CNT: 0
	.section	.text._ZN7rocprim17ROCPRIM_400000_NS6detail17trampoline_kernelINS0_14default_configENS1_38merge_sort_block_merge_config_selectorIN6thrust23THRUST_200600_302600_NS4pairIiiEENS0_10empty_typeEEEZZNS1_27merge_sort_block_merge_implIS3_NS6_6detail15normal_iteratorINS6_10device_ptrIS8_EEEEPS9_mNS6_4lessIS8_EEEE10hipError_tT0_T1_T2_jT3_P12ihipStream_tbPNSt15iterator_traitsISL_E10value_typeEPNSR_ISM_E10value_typeEPSN_NS1_7vsmem_tEENKUlT_SL_SM_SN_E_clISG_PS8_SH_SH_EESK_S10_SL_SM_SN_EUlS10_E_NS1_11comp_targetILNS1_3genE5ELNS1_11target_archE942ELNS1_3gpuE9ELNS1_3repE0EEENS1_48merge_mergepath_partition_config_static_selectorELNS0_4arch9wavefront6targetE0EEEvSM_,"axG",@progbits,_ZN7rocprim17ROCPRIM_400000_NS6detail17trampoline_kernelINS0_14default_configENS1_38merge_sort_block_merge_config_selectorIN6thrust23THRUST_200600_302600_NS4pairIiiEENS0_10empty_typeEEEZZNS1_27merge_sort_block_merge_implIS3_NS6_6detail15normal_iteratorINS6_10device_ptrIS8_EEEEPS9_mNS6_4lessIS8_EEEE10hipError_tT0_T1_T2_jT3_P12ihipStream_tbPNSt15iterator_traitsISL_E10value_typeEPNSR_ISM_E10value_typeEPSN_NS1_7vsmem_tEENKUlT_SL_SM_SN_E_clISG_PS8_SH_SH_EESK_S10_SL_SM_SN_EUlS10_E_NS1_11comp_targetILNS1_3genE5ELNS1_11target_archE942ELNS1_3gpuE9ELNS1_3repE0EEENS1_48merge_mergepath_partition_config_static_selectorELNS0_4arch9wavefront6targetE0EEEvSM_,comdat
	.protected	_ZN7rocprim17ROCPRIM_400000_NS6detail17trampoline_kernelINS0_14default_configENS1_38merge_sort_block_merge_config_selectorIN6thrust23THRUST_200600_302600_NS4pairIiiEENS0_10empty_typeEEEZZNS1_27merge_sort_block_merge_implIS3_NS6_6detail15normal_iteratorINS6_10device_ptrIS8_EEEEPS9_mNS6_4lessIS8_EEEE10hipError_tT0_T1_T2_jT3_P12ihipStream_tbPNSt15iterator_traitsISL_E10value_typeEPNSR_ISM_E10value_typeEPSN_NS1_7vsmem_tEENKUlT_SL_SM_SN_E_clISG_PS8_SH_SH_EESK_S10_SL_SM_SN_EUlS10_E_NS1_11comp_targetILNS1_3genE5ELNS1_11target_archE942ELNS1_3gpuE9ELNS1_3repE0EEENS1_48merge_mergepath_partition_config_static_selectorELNS0_4arch9wavefront6targetE0EEEvSM_ ; -- Begin function _ZN7rocprim17ROCPRIM_400000_NS6detail17trampoline_kernelINS0_14default_configENS1_38merge_sort_block_merge_config_selectorIN6thrust23THRUST_200600_302600_NS4pairIiiEENS0_10empty_typeEEEZZNS1_27merge_sort_block_merge_implIS3_NS6_6detail15normal_iteratorINS6_10device_ptrIS8_EEEEPS9_mNS6_4lessIS8_EEEE10hipError_tT0_T1_T2_jT3_P12ihipStream_tbPNSt15iterator_traitsISL_E10value_typeEPNSR_ISM_E10value_typeEPSN_NS1_7vsmem_tEENKUlT_SL_SM_SN_E_clISG_PS8_SH_SH_EESK_S10_SL_SM_SN_EUlS10_E_NS1_11comp_targetILNS1_3genE5ELNS1_11target_archE942ELNS1_3gpuE9ELNS1_3repE0EEENS1_48merge_mergepath_partition_config_static_selectorELNS0_4arch9wavefront6targetE0EEEvSM_
	.globl	_ZN7rocprim17ROCPRIM_400000_NS6detail17trampoline_kernelINS0_14default_configENS1_38merge_sort_block_merge_config_selectorIN6thrust23THRUST_200600_302600_NS4pairIiiEENS0_10empty_typeEEEZZNS1_27merge_sort_block_merge_implIS3_NS6_6detail15normal_iteratorINS6_10device_ptrIS8_EEEEPS9_mNS6_4lessIS8_EEEE10hipError_tT0_T1_T2_jT3_P12ihipStream_tbPNSt15iterator_traitsISL_E10value_typeEPNSR_ISM_E10value_typeEPSN_NS1_7vsmem_tEENKUlT_SL_SM_SN_E_clISG_PS8_SH_SH_EESK_S10_SL_SM_SN_EUlS10_E_NS1_11comp_targetILNS1_3genE5ELNS1_11target_archE942ELNS1_3gpuE9ELNS1_3repE0EEENS1_48merge_mergepath_partition_config_static_selectorELNS0_4arch9wavefront6targetE0EEEvSM_
	.p2align	8
	.type	_ZN7rocprim17ROCPRIM_400000_NS6detail17trampoline_kernelINS0_14default_configENS1_38merge_sort_block_merge_config_selectorIN6thrust23THRUST_200600_302600_NS4pairIiiEENS0_10empty_typeEEEZZNS1_27merge_sort_block_merge_implIS3_NS6_6detail15normal_iteratorINS6_10device_ptrIS8_EEEEPS9_mNS6_4lessIS8_EEEE10hipError_tT0_T1_T2_jT3_P12ihipStream_tbPNSt15iterator_traitsISL_E10value_typeEPNSR_ISM_E10value_typeEPSN_NS1_7vsmem_tEENKUlT_SL_SM_SN_E_clISG_PS8_SH_SH_EESK_S10_SL_SM_SN_EUlS10_E_NS1_11comp_targetILNS1_3genE5ELNS1_11target_archE942ELNS1_3gpuE9ELNS1_3repE0EEENS1_48merge_mergepath_partition_config_static_selectorELNS0_4arch9wavefront6targetE0EEEvSM_,@function
_ZN7rocprim17ROCPRIM_400000_NS6detail17trampoline_kernelINS0_14default_configENS1_38merge_sort_block_merge_config_selectorIN6thrust23THRUST_200600_302600_NS4pairIiiEENS0_10empty_typeEEEZZNS1_27merge_sort_block_merge_implIS3_NS6_6detail15normal_iteratorINS6_10device_ptrIS8_EEEEPS9_mNS6_4lessIS8_EEEE10hipError_tT0_T1_T2_jT3_P12ihipStream_tbPNSt15iterator_traitsISL_E10value_typeEPNSR_ISM_E10value_typeEPSN_NS1_7vsmem_tEENKUlT_SL_SM_SN_E_clISG_PS8_SH_SH_EESK_S10_SL_SM_SN_EUlS10_E_NS1_11comp_targetILNS1_3genE5ELNS1_11target_archE942ELNS1_3gpuE9ELNS1_3repE0EEENS1_48merge_mergepath_partition_config_static_selectorELNS0_4arch9wavefront6targetE0EEEvSM_: ; @_ZN7rocprim17ROCPRIM_400000_NS6detail17trampoline_kernelINS0_14default_configENS1_38merge_sort_block_merge_config_selectorIN6thrust23THRUST_200600_302600_NS4pairIiiEENS0_10empty_typeEEEZZNS1_27merge_sort_block_merge_implIS3_NS6_6detail15normal_iteratorINS6_10device_ptrIS8_EEEEPS9_mNS6_4lessIS8_EEEE10hipError_tT0_T1_T2_jT3_P12ihipStream_tbPNSt15iterator_traitsISL_E10value_typeEPNSR_ISM_E10value_typeEPSN_NS1_7vsmem_tEENKUlT_SL_SM_SN_E_clISG_PS8_SH_SH_EESK_S10_SL_SM_SN_EUlS10_E_NS1_11comp_targetILNS1_3genE5ELNS1_11target_archE942ELNS1_3gpuE9ELNS1_3repE0EEENS1_48merge_mergepath_partition_config_static_selectorELNS0_4arch9wavefront6targetE0EEEvSM_
; %bb.0:
	.section	.rodata,"a",@progbits
	.p2align	6, 0x0
	.amdhsa_kernel _ZN7rocprim17ROCPRIM_400000_NS6detail17trampoline_kernelINS0_14default_configENS1_38merge_sort_block_merge_config_selectorIN6thrust23THRUST_200600_302600_NS4pairIiiEENS0_10empty_typeEEEZZNS1_27merge_sort_block_merge_implIS3_NS6_6detail15normal_iteratorINS6_10device_ptrIS8_EEEEPS9_mNS6_4lessIS8_EEEE10hipError_tT0_T1_T2_jT3_P12ihipStream_tbPNSt15iterator_traitsISL_E10value_typeEPNSR_ISM_E10value_typeEPSN_NS1_7vsmem_tEENKUlT_SL_SM_SN_E_clISG_PS8_SH_SH_EESK_S10_SL_SM_SN_EUlS10_E_NS1_11comp_targetILNS1_3genE5ELNS1_11target_archE942ELNS1_3gpuE9ELNS1_3repE0EEENS1_48merge_mergepath_partition_config_static_selectorELNS0_4arch9wavefront6targetE0EEEvSM_
		.amdhsa_group_segment_fixed_size 0
		.amdhsa_private_segment_fixed_size 0
		.amdhsa_kernarg_size 48
		.amdhsa_user_sgpr_count 6
		.amdhsa_user_sgpr_private_segment_buffer 1
		.amdhsa_user_sgpr_dispatch_ptr 0
		.amdhsa_user_sgpr_queue_ptr 0
		.amdhsa_user_sgpr_kernarg_segment_ptr 1
		.amdhsa_user_sgpr_dispatch_id 0
		.amdhsa_user_sgpr_flat_scratch_init 0
		.amdhsa_user_sgpr_private_segment_size 0
		.amdhsa_wavefront_size32 1
		.amdhsa_uses_dynamic_stack 0
		.amdhsa_system_sgpr_private_segment_wavefront_offset 0
		.amdhsa_system_sgpr_workgroup_id_x 1
		.amdhsa_system_sgpr_workgroup_id_y 0
		.amdhsa_system_sgpr_workgroup_id_z 0
		.amdhsa_system_sgpr_workgroup_info 0
		.amdhsa_system_vgpr_workitem_id 0
		.amdhsa_next_free_vgpr 1
		.amdhsa_next_free_sgpr 1
		.amdhsa_reserve_vcc 0
		.amdhsa_reserve_flat_scratch 0
		.amdhsa_float_round_mode_32 0
		.amdhsa_float_round_mode_16_64 0
		.amdhsa_float_denorm_mode_32 3
		.amdhsa_float_denorm_mode_16_64 3
		.amdhsa_dx10_clamp 1
		.amdhsa_ieee_mode 1
		.amdhsa_fp16_overflow 0
		.amdhsa_workgroup_processor_mode 1
		.amdhsa_memory_ordered 1
		.amdhsa_forward_progress 1
		.amdhsa_shared_vgpr_count 0
		.amdhsa_exception_fp_ieee_invalid_op 0
		.amdhsa_exception_fp_denorm_src 0
		.amdhsa_exception_fp_ieee_div_zero 0
		.amdhsa_exception_fp_ieee_overflow 0
		.amdhsa_exception_fp_ieee_underflow 0
		.amdhsa_exception_fp_ieee_inexact 0
		.amdhsa_exception_int_div_zero 0
	.end_amdhsa_kernel
	.section	.text._ZN7rocprim17ROCPRIM_400000_NS6detail17trampoline_kernelINS0_14default_configENS1_38merge_sort_block_merge_config_selectorIN6thrust23THRUST_200600_302600_NS4pairIiiEENS0_10empty_typeEEEZZNS1_27merge_sort_block_merge_implIS3_NS6_6detail15normal_iteratorINS6_10device_ptrIS8_EEEEPS9_mNS6_4lessIS8_EEEE10hipError_tT0_T1_T2_jT3_P12ihipStream_tbPNSt15iterator_traitsISL_E10value_typeEPNSR_ISM_E10value_typeEPSN_NS1_7vsmem_tEENKUlT_SL_SM_SN_E_clISG_PS8_SH_SH_EESK_S10_SL_SM_SN_EUlS10_E_NS1_11comp_targetILNS1_3genE5ELNS1_11target_archE942ELNS1_3gpuE9ELNS1_3repE0EEENS1_48merge_mergepath_partition_config_static_selectorELNS0_4arch9wavefront6targetE0EEEvSM_,"axG",@progbits,_ZN7rocprim17ROCPRIM_400000_NS6detail17trampoline_kernelINS0_14default_configENS1_38merge_sort_block_merge_config_selectorIN6thrust23THRUST_200600_302600_NS4pairIiiEENS0_10empty_typeEEEZZNS1_27merge_sort_block_merge_implIS3_NS6_6detail15normal_iteratorINS6_10device_ptrIS8_EEEEPS9_mNS6_4lessIS8_EEEE10hipError_tT0_T1_T2_jT3_P12ihipStream_tbPNSt15iterator_traitsISL_E10value_typeEPNSR_ISM_E10value_typeEPSN_NS1_7vsmem_tEENKUlT_SL_SM_SN_E_clISG_PS8_SH_SH_EESK_S10_SL_SM_SN_EUlS10_E_NS1_11comp_targetILNS1_3genE5ELNS1_11target_archE942ELNS1_3gpuE9ELNS1_3repE0EEENS1_48merge_mergepath_partition_config_static_selectorELNS0_4arch9wavefront6targetE0EEEvSM_,comdat
.Lfunc_end659:
	.size	_ZN7rocprim17ROCPRIM_400000_NS6detail17trampoline_kernelINS0_14default_configENS1_38merge_sort_block_merge_config_selectorIN6thrust23THRUST_200600_302600_NS4pairIiiEENS0_10empty_typeEEEZZNS1_27merge_sort_block_merge_implIS3_NS6_6detail15normal_iteratorINS6_10device_ptrIS8_EEEEPS9_mNS6_4lessIS8_EEEE10hipError_tT0_T1_T2_jT3_P12ihipStream_tbPNSt15iterator_traitsISL_E10value_typeEPNSR_ISM_E10value_typeEPSN_NS1_7vsmem_tEENKUlT_SL_SM_SN_E_clISG_PS8_SH_SH_EESK_S10_SL_SM_SN_EUlS10_E_NS1_11comp_targetILNS1_3genE5ELNS1_11target_archE942ELNS1_3gpuE9ELNS1_3repE0EEENS1_48merge_mergepath_partition_config_static_selectorELNS0_4arch9wavefront6targetE0EEEvSM_, .Lfunc_end659-_ZN7rocprim17ROCPRIM_400000_NS6detail17trampoline_kernelINS0_14default_configENS1_38merge_sort_block_merge_config_selectorIN6thrust23THRUST_200600_302600_NS4pairIiiEENS0_10empty_typeEEEZZNS1_27merge_sort_block_merge_implIS3_NS6_6detail15normal_iteratorINS6_10device_ptrIS8_EEEEPS9_mNS6_4lessIS8_EEEE10hipError_tT0_T1_T2_jT3_P12ihipStream_tbPNSt15iterator_traitsISL_E10value_typeEPNSR_ISM_E10value_typeEPSN_NS1_7vsmem_tEENKUlT_SL_SM_SN_E_clISG_PS8_SH_SH_EESK_S10_SL_SM_SN_EUlS10_E_NS1_11comp_targetILNS1_3genE5ELNS1_11target_archE942ELNS1_3gpuE9ELNS1_3repE0EEENS1_48merge_mergepath_partition_config_static_selectorELNS0_4arch9wavefront6targetE0EEEvSM_
                                        ; -- End function
	.set _ZN7rocprim17ROCPRIM_400000_NS6detail17trampoline_kernelINS0_14default_configENS1_38merge_sort_block_merge_config_selectorIN6thrust23THRUST_200600_302600_NS4pairIiiEENS0_10empty_typeEEEZZNS1_27merge_sort_block_merge_implIS3_NS6_6detail15normal_iteratorINS6_10device_ptrIS8_EEEEPS9_mNS6_4lessIS8_EEEE10hipError_tT0_T1_T2_jT3_P12ihipStream_tbPNSt15iterator_traitsISL_E10value_typeEPNSR_ISM_E10value_typeEPSN_NS1_7vsmem_tEENKUlT_SL_SM_SN_E_clISG_PS8_SH_SH_EESK_S10_SL_SM_SN_EUlS10_E_NS1_11comp_targetILNS1_3genE5ELNS1_11target_archE942ELNS1_3gpuE9ELNS1_3repE0EEENS1_48merge_mergepath_partition_config_static_selectorELNS0_4arch9wavefront6targetE0EEEvSM_.num_vgpr, 0
	.set _ZN7rocprim17ROCPRIM_400000_NS6detail17trampoline_kernelINS0_14default_configENS1_38merge_sort_block_merge_config_selectorIN6thrust23THRUST_200600_302600_NS4pairIiiEENS0_10empty_typeEEEZZNS1_27merge_sort_block_merge_implIS3_NS6_6detail15normal_iteratorINS6_10device_ptrIS8_EEEEPS9_mNS6_4lessIS8_EEEE10hipError_tT0_T1_T2_jT3_P12ihipStream_tbPNSt15iterator_traitsISL_E10value_typeEPNSR_ISM_E10value_typeEPSN_NS1_7vsmem_tEENKUlT_SL_SM_SN_E_clISG_PS8_SH_SH_EESK_S10_SL_SM_SN_EUlS10_E_NS1_11comp_targetILNS1_3genE5ELNS1_11target_archE942ELNS1_3gpuE9ELNS1_3repE0EEENS1_48merge_mergepath_partition_config_static_selectorELNS0_4arch9wavefront6targetE0EEEvSM_.num_agpr, 0
	.set _ZN7rocprim17ROCPRIM_400000_NS6detail17trampoline_kernelINS0_14default_configENS1_38merge_sort_block_merge_config_selectorIN6thrust23THRUST_200600_302600_NS4pairIiiEENS0_10empty_typeEEEZZNS1_27merge_sort_block_merge_implIS3_NS6_6detail15normal_iteratorINS6_10device_ptrIS8_EEEEPS9_mNS6_4lessIS8_EEEE10hipError_tT0_T1_T2_jT3_P12ihipStream_tbPNSt15iterator_traitsISL_E10value_typeEPNSR_ISM_E10value_typeEPSN_NS1_7vsmem_tEENKUlT_SL_SM_SN_E_clISG_PS8_SH_SH_EESK_S10_SL_SM_SN_EUlS10_E_NS1_11comp_targetILNS1_3genE5ELNS1_11target_archE942ELNS1_3gpuE9ELNS1_3repE0EEENS1_48merge_mergepath_partition_config_static_selectorELNS0_4arch9wavefront6targetE0EEEvSM_.numbered_sgpr, 0
	.set _ZN7rocprim17ROCPRIM_400000_NS6detail17trampoline_kernelINS0_14default_configENS1_38merge_sort_block_merge_config_selectorIN6thrust23THRUST_200600_302600_NS4pairIiiEENS0_10empty_typeEEEZZNS1_27merge_sort_block_merge_implIS3_NS6_6detail15normal_iteratorINS6_10device_ptrIS8_EEEEPS9_mNS6_4lessIS8_EEEE10hipError_tT0_T1_T2_jT3_P12ihipStream_tbPNSt15iterator_traitsISL_E10value_typeEPNSR_ISM_E10value_typeEPSN_NS1_7vsmem_tEENKUlT_SL_SM_SN_E_clISG_PS8_SH_SH_EESK_S10_SL_SM_SN_EUlS10_E_NS1_11comp_targetILNS1_3genE5ELNS1_11target_archE942ELNS1_3gpuE9ELNS1_3repE0EEENS1_48merge_mergepath_partition_config_static_selectorELNS0_4arch9wavefront6targetE0EEEvSM_.num_named_barrier, 0
	.set _ZN7rocprim17ROCPRIM_400000_NS6detail17trampoline_kernelINS0_14default_configENS1_38merge_sort_block_merge_config_selectorIN6thrust23THRUST_200600_302600_NS4pairIiiEENS0_10empty_typeEEEZZNS1_27merge_sort_block_merge_implIS3_NS6_6detail15normal_iteratorINS6_10device_ptrIS8_EEEEPS9_mNS6_4lessIS8_EEEE10hipError_tT0_T1_T2_jT3_P12ihipStream_tbPNSt15iterator_traitsISL_E10value_typeEPNSR_ISM_E10value_typeEPSN_NS1_7vsmem_tEENKUlT_SL_SM_SN_E_clISG_PS8_SH_SH_EESK_S10_SL_SM_SN_EUlS10_E_NS1_11comp_targetILNS1_3genE5ELNS1_11target_archE942ELNS1_3gpuE9ELNS1_3repE0EEENS1_48merge_mergepath_partition_config_static_selectorELNS0_4arch9wavefront6targetE0EEEvSM_.private_seg_size, 0
	.set _ZN7rocprim17ROCPRIM_400000_NS6detail17trampoline_kernelINS0_14default_configENS1_38merge_sort_block_merge_config_selectorIN6thrust23THRUST_200600_302600_NS4pairIiiEENS0_10empty_typeEEEZZNS1_27merge_sort_block_merge_implIS3_NS6_6detail15normal_iteratorINS6_10device_ptrIS8_EEEEPS9_mNS6_4lessIS8_EEEE10hipError_tT0_T1_T2_jT3_P12ihipStream_tbPNSt15iterator_traitsISL_E10value_typeEPNSR_ISM_E10value_typeEPSN_NS1_7vsmem_tEENKUlT_SL_SM_SN_E_clISG_PS8_SH_SH_EESK_S10_SL_SM_SN_EUlS10_E_NS1_11comp_targetILNS1_3genE5ELNS1_11target_archE942ELNS1_3gpuE9ELNS1_3repE0EEENS1_48merge_mergepath_partition_config_static_selectorELNS0_4arch9wavefront6targetE0EEEvSM_.uses_vcc, 0
	.set _ZN7rocprim17ROCPRIM_400000_NS6detail17trampoline_kernelINS0_14default_configENS1_38merge_sort_block_merge_config_selectorIN6thrust23THRUST_200600_302600_NS4pairIiiEENS0_10empty_typeEEEZZNS1_27merge_sort_block_merge_implIS3_NS6_6detail15normal_iteratorINS6_10device_ptrIS8_EEEEPS9_mNS6_4lessIS8_EEEE10hipError_tT0_T1_T2_jT3_P12ihipStream_tbPNSt15iterator_traitsISL_E10value_typeEPNSR_ISM_E10value_typeEPSN_NS1_7vsmem_tEENKUlT_SL_SM_SN_E_clISG_PS8_SH_SH_EESK_S10_SL_SM_SN_EUlS10_E_NS1_11comp_targetILNS1_3genE5ELNS1_11target_archE942ELNS1_3gpuE9ELNS1_3repE0EEENS1_48merge_mergepath_partition_config_static_selectorELNS0_4arch9wavefront6targetE0EEEvSM_.uses_flat_scratch, 0
	.set _ZN7rocprim17ROCPRIM_400000_NS6detail17trampoline_kernelINS0_14default_configENS1_38merge_sort_block_merge_config_selectorIN6thrust23THRUST_200600_302600_NS4pairIiiEENS0_10empty_typeEEEZZNS1_27merge_sort_block_merge_implIS3_NS6_6detail15normal_iteratorINS6_10device_ptrIS8_EEEEPS9_mNS6_4lessIS8_EEEE10hipError_tT0_T1_T2_jT3_P12ihipStream_tbPNSt15iterator_traitsISL_E10value_typeEPNSR_ISM_E10value_typeEPSN_NS1_7vsmem_tEENKUlT_SL_SM_SN_E_clISG_PS8_SH_SH_EESK_S10_SL_SM_SN_EUlS10_E_NS1_11comp_targetILNS1_3genE5ELNS1_11target_archE942ELNS1_3gpuE9ELNS1_3repE0EEENS1_48merge_mergepath_partition_config_static_selectorELNS0_4arch9wavefront6targetE0EEEvSM_.has_dyn_sized_stack, 0
	.set _ZN7rocprim17ROCPRIM_400000_NS6detail17trampoline_kernelINS0_14default_configENS1_38merge_sort_block_merge_config_selectorIN6thrust23THRUST_200600_302600_NS4pairIiiEENS0_10empty_typeEEEZZNS1_27merge_sort_block_merge_implIS3_NS6_6detail15normal_iteratorINS6_10device_ptrIS8_EEEEPS9_mNS6_4lessIS8_EEEE10hipError_tT0_T1_T2_jT3_P12ihipStream_tbPNSt15iterator_traitsISL_E10value_typeEPNSR_ISM_E10value_typeEPSN_NS1_7vsmem_tEENKUlT_SL_SM_SN_E_clISG_PS8_SH_SH_EESK_S10_SL_SM_SN_EUlS10_E_NS1_11comp_targetILNS1_3genE5ELNS1_11target_archE942ELNS1_3gpuE9ELNS1_3repE0EEENS1_48merge_mergepath_partition_config_static_selectorELNS0_4arch9wavefront6targetE0EEEvSM_.has_recursion, 0
	.set _ZN7rocprim17ROCPRIM_400000_NS6detail17trampoline_kernelINS0_14default_configENS1_38merge_sort_block_merge_config_selectorIN6thrust23THRUST_200600_302600_NS4pairIiiEENS0_10empty_typeEEEZZNS1_27merge_sort_block_merge_implIS3_NS6_6detail15normal_iteratorINS6_10device_ptrIS8_EEEEPS9_mNS6_4lessIS8_EEEE10hipError_tT0_T1_T2_jT3_P12ihipStream_tbPNSt15iterator_traitsISL_E10value_typeEPNSR_ISM_E10value_typeEPSN_NS1_7vsmem_tEENKUlT_SL_SM_SN_E_clISG_PS8_SH_SH_EESK_S10_SL_SM_SN_EUlS10_E_NS1_11comp_targetILNS1_3genE5ELNS1_11target_archE942ELNS1_3gpuE9ELNS1_3repE0EEENS1_48merge_mergepath_partition_config_static_selectorELNS0_4arch9wavefront6targetE0EEEvSM_.has_indirect_call, 0
	.section	.AMDGPU.csdata,"",@progbits
; Kernel info:
; codeLenInByte = 0
; TotalNumSgprs: 0
; NumVgprs: 0
; ScratchSize: 0
; MemoryBound: 0
; FloatMode: 240
; IeeeMode: 1
; LDSByteSize: 0 bytes/workgroup (compile time only)
; SGPRBlocks: 0
; VGPRBlocks: 0
; NumSGPRsForWavesPerEU: 1
; NumVGPRsForWavesPerEU: 1
; Occupancy: 16
; WaveLimiterHint : 0
; COMPUTE_PGM_RSRC2:SCRATCH_EN: 0
; COMPUTE_PGM_RSRC2:USER_SGPR: 6
; COMPUTE_PGM_RSRC2:TRAP_HANDLER: 0
; COMPUTE_PGM_RSRC2:TGID_X_EN: 1
; COMPUTE_PGM_RSRC2:TGID_Y_EN: 0
; COMPUTE_PGM_RSRC2:TGID_Z_EN: 0
; COMPUTE_PGM_RSRC2:TIDIG_COMP_CNT: 0
	.section	.text._ZN7rocprim17ROCPRIM_400000_NS6detail17trampoline_kernelINS0_14default_configENS1_38merge_sort_block_merge_config_selectorIN6thrust23THRUST_200600_302600_NS4pairIiiEENS0_10empty_typeEEEZZNS1_27merge_sort_block_merge_implIS3_NS6_6detail15normal_iteratorINS6_10device_ptrIS8_EEEEPS9_mNS6_4lessIS8_EEEE10hipError_tT0_T1_T2_jT3_P12ihipStream_tbPNSt15iterator_traitsISL_E10value_typeEPNSR_ISM_E10value_typeEPSN_NS1_7vsmem_tEENKUlT_SL_SM_SN_E_clISG_PS8_SH_SH_EESK_S10_SL_SM_SN_EUlS10_E_NS1_11comp_targetILNS1_3genE4ELNS1_11target_archE910ELNS1_3gpuE8ELNS1_3repE0EEENS1_48merge_mergepath_partition_config_static_selectorELNS0_4arch9wavefront6targetE0EEEvSM_,"axG",@progbits,_ZN7rocprim17ROCPRIM_400000_NS6detail17trampoline_kernelINS0_14default_configENS1_38merge_sort_block_merge_config_selectorIN6thrust23THRUST_200600_302600_NS4pairIiiEENS0_10empty_typeEEEZZNS1_27merge_sort_block_merge_implIS3_NS6_6detail15normal_iteratorINS6_10device_ptrIS8_EEEEPS9_mNS6_4lessIS8_EEEE10hipError_tT0_T1_T2_jT3_P12ihipStream_tbPNSt15iterator_traitsISL_E10value_typeEPNSR_ISM_E10value_typeEPSN_NS1_7vsmem_tEENKUlT_SL_SM_SN_E_clISG_PS8_SH_SH_EESK_S10_SL_SM_SN_EUlS10_E_NS1_11comp_targetILNS1_3genE4ELNS1_11target_archE910ELNS1_3gpuE8ELNS1_3repE0EEENS1_48merge_mergepath_partition_config_static_selectorELNS0_4arch9wavefront6targetE0EEEvSM_,comdat
	.protected	_ZN7rocprim17ROCPRIM_400000_NS6detail17trampoline_kernelINS0_14default_configENS1_38merge_sort_block_merge_config_selectorIN6thrust23THRUST_200600_302600_NS4pairIiiEENS0_10empty_typeEEEZZNS1_27merge_sort_block_merge_implIS3_NS6_6detail15normal_iteratorINS6_10device_ptrIS8_EEEEPS9_mNS6_4lessIS8_EEEE10hipError_tT0_T1_T2_jT3_P12ihipStream_tbPNSt15iterator_traitsISL_E10value_typeEPNSR_ISM_E10value_typeEPSN_NS1_7vsmem_tEENKUlT_SL_SM_SN_E_clISG_PS8_SH_SH_EESK_S10_SL_SM_SN_EUlS10_E_NS1_11comp_targetILNS1_3genE4ELNS1_11target_archE910ELNS1_3gpuE8ELNS1_3repE0EEENS1_48merge_mergepath_partition_config_static_selectorELNS0_4arch9wavefront6targetE0EEEvSM_ ; -- Begin function _ZN7rocprim17ROCPRIM_400000_NS6detail17trampoline_kernelINS0_14default_configENS1_38merge_sort_block_merge_config_selectorIN6thrust23THRUST_200600_302600_NS4pairIiiEENS0_10empty_typeEEEZZNS1_27merge_sort_block_merge_implIS3_NS6_6detail15normal_iteratorINS6_10device_ptrIS8_EEEEPS9_mNS6_4lessIS8_EEEE10hipError_tT0_T1_T2_jT3_P12ihipStream_tbPNSt15iterator_traitsISL_E10value_typeEPNSR_ISM_E10value_typeEPSN_NS1_7vsmem_tEENKUlT_SL_SM_SN_E_clISG_PS8_SH_SH_EESK_S10_SL_SM_SN_EUlS10_E_NS1_11comp_targetILNS1_3genE4ELNS1_11target_archE910ELNS1_3gpuE8ELNS1_3repE0EEENS1_48merge_mergepath_partition_config_static_selectorELNS0_4arch9wavefront6targetE0EEEvSM_
	.globl	_ZN7rocprim17ROCPRIM_400000_NS6detail17trampoline_kernelINS0_14default_configENS1_38merge_sort_block_merge_config_selectorIN6thrust23THRUST_200600_302600_NS4pairIiiEENS0_10empty_typeEEEZZNS1_27merge_sort_block_merge_implIS3_NS6_6detail15normal_iteratorINS6_10device_ptrIS8_EEEEPS9_mNS6_4lessIS8_EEEE10hipError_tT0_T1_T2_jT3_P12ihipStream_tbPNSt15iterator_traitsISL_E10value_typeEPNSR_ISM_E10value_typeEPSN_NS1_7vsmem_tEENKUlT_SL_SM_SN_E_clISG_PS8_SH_SH_EESK_S10_SL_SM_SN_EUlS10_E_NS1_11comp_targetILNS1_3genE4ELNS1_11target_archE910ELNS1_3gpuE8ELNS1_3repE0EEENS1_48merge_mergepath_partition_config_static_selectorELNS0_4arch9wavefront6targetE0EEEvSM_
	.p2align	8
	.type	_ZN7rocprim17ROCPRIM_400000_NS6detail17trampoline_kernelINS0_14default_configENS1_38merge_sort_block_merge_config_selectorIN6thrust23THRUST_200600_302600_NS4pairIiiEENS0_10empty_typeEEEZZNS1_27merge_sort_block_merge_implIS3_NS6_6detail15normal_iteratorINS6_10device_ptrIS8_EEEEPS9_mNS6_4lessIS8_EEEE10hipError_tT0_T1_T2_jT3_P12ihipStream_tbPNSt15iterator_traitsISL_E10value_typeEPNSR_ISM_E10value_typeEPSN_NS1_7vsmem_tEENKUlT_SL_SM_SN_E_clISG_PS8_SH_SH_EESK_S10_SL_SM_SN_EUlS10_E_NS1_11comp_targetILNS1_3genE4ELNS1_11target_archE910ELNS1_3gpuE8ELNS1_3repE0EEENS1_48merge_mergepath_partition_config_static_selectorELNS0_4arch9wavefront6targetE0EEEvSM_,@function
_ZN7rocprim17ROCPRIM_400000_NS6detail17trampoline_kernelINS0_14default_configENS1_38merge_sort_block_merge_config_selectorIN6thrust23THRUST_200600_302600_NS4pairIiiEENS0_10empty_typeEEEZZNS1_27merge_sort_block_merge_implIS3_NS6_6detail15normal_iteratorINS6_10device_ptrIS8_EEEEPS9_mNS6_4lessIS8_EEEE10hipError_tT0_T1_T2_jT3_P12ihipStream_tbPNSt15iterator_traitsISL_E10value_typeEPNSR_ISM_E10value_typeEPSN_NS1_7vsmem_tEENKUlT_SL_SM_SN_E_clISG_PS8_SH_SH_EESK_S10_SL_SM_SN_EUlS10_E_NS1_11comp_targetILNS1_3genE4ELNS1_11target_archE910ELNS1_3gpuE8ELNS1_3repE0EEENS1_48merge_mergepath_partition_config_static_selectorELNS0_4arch9wavefront6targetE0EEEvSM_: ; @_ZN7rocprim17ROCPRIM_400000_NS6detail17trampoline_kernelINS0_14default_configENS1_38merge_sort_block_merge_config_selectorIN6thrust23THRUST_200600_302600_NS4pairIiiEENS0_10empty_typeEEEZZNS1_27merge_sort_block_merge_implIS3_NS6_6detail15normal_iteratorINS6_10device_ptrIS8_EEEEPS9_mNS6_4lessIS8_EEEE10hipError_tT0_T1_T2_jT3_P12ihipStream_tbPNSt15iterator_traitsISL_E10value_typeEPNSR_ISM_E10value_typeEPSN_NS1_7vsmem_tEENKUlT_SL_SM_SN_E_clISG_PS8_SH_SH_EESK_S10_SL_SM_SN_EUlS10_E_NS1_11comp_targetILNS1_3genE4ELNS1_11target_archE910ELNS1_3gpuE8ELNS1_3repE0EEENS1_48merge_mergepath_partition_config_static_selectorELNS0_4arch9wavefront6targetE0EEEvSM_
; %bb.0:
	.section	.rodata,"a",@progbits
	.p2align	6, 0x0
	.amdhsa_kernel _ZN7rocprim17ROCPRIM_400000_NS6detail17trampoline_kernelINS0_14default_configENS1_38merge_sort_block_merge_config_selectorIN6thrust23THRUST_200600_302600_NS4pairIiiEENS0_10empty_typeEEEZZNS1_27merge_sort_block_merge_implIS3_NS6_6detail15normal_iteratorINS6_10device_ptrIS8_EEEEPS9_mNS6_4lessIS8_EEEE10hipError_tT0_T1_T2_jT3_P12ihipStream_tbPNSt15iterator_traitsISL_E10value_typeEPNSR_ISM_E10value_typeEPSN_NS1_7vsmem_tEENKUlT_SL_SM_SN_E_clISG_PS8_SH_SH_EESK_S10_SL_SM_SN_EUlS10_E_NS1_11comp_targetILNS1_3genE4ELNS1_11target_archE910ELNS1_3gpuE8ELNS1_3repE0EEENS1_48merge_mergepath_partition_config_static_selectorELNS0_4arch9wavefront6targetE0EEEvSM_
		.amdhsa_group_segment_fixed_size 0
		.amdhsa_private_segment_fixed_size 0
		.amdhsa_kernarg_size 48
		.amdhsa_user_sgpr_count 6
		.amdhsa_user_sgpr_private_segment_buffer 1
		.amdhsa_user_sgpr_dispatch_ptr 0
		.amdhsa_user_sgpr_queue_ptr 0
		.amdhsa_user_sgpr_kernarg_segment_ptr 1
		.amdhsa_user_sgpr_dispatch_id 0
		.amdhsa_user_sgpr_flat_scratch_init 0
		.amdhsa_user_sgpr_private_segment_size 0
		.amdhsa_wavefront_size32 1
		.amdhsa_uses_dynamic_stack 0
		.amdhsa_system_sgpr_private_segment_wavefront_offset 0
		.amdhsa_system_sgpr_workgroup_id_x 1
		.amdhsa_system_sgpr_workgroup_id_y 0
		.amdhsa_system_sgpr_workgroup_id_z 0
		.amdhsa_system_sgpr_workgroup_info 0
		.amdhsa_system_vgpr_workitem_id 0
		.amdhsa_next_free_vgpr 1
		.amdhsa_next_free_sgpr 1
		.amdhsa_reserve_vcc 0
		.amdhsa_reserve_flat_scratch 0
		.amdhsa_float_round_mode_32 0
		.amdhsa_float_round_mode_16_64 0
		.amdhsa_float_denorm_mode_32 3
		.amdhsa_float_denorm_mode_16_64 3
		.amdhsa_dx10_clamp 1
		.amdhsa_ieee_mode 1
		.amdhsa_fp16_overflow 0
		.amdhsa_workgroup_processor_mode 1
		.amdhsa_memory_ordered 1
		.amdhsa_forward_progress 1
		.amdhsa_shared_vgpr_count 0
		.amdhsa_exception_fp_ieee_invalid_op 0
		.amdhsa_exception_fp_denorm_src 0
		.amdhsa_exception_fp_ieee_div_zero 0
		.amdhsa_exception_fp_ieee_overflow 0
		.amdhsa_exception_fp_ieee_underflow 0
		.amdhsa_exception_fp_ieee_inexact 0
		.amdhsa_exception_int_div_zero 0
	.end_amdhsa_kernel
	.section	.text._ZN7rocprim17ROCPRIM_400000_NS6detail17trampoline_kernelINS0_14default_configENS1_38merge_sort_block_merge_config_selectorIN6thrust23THRUST_200600_302600_NS4pairIiiEENS0_10empty_typeEEEZZNS1_27merge_sort_block_merge_implIS3_NS6_6detail15normal_iteratorINS6_10device_ptrIS8_EEEEPS9_mNS6_4lessIS8_EEEE10hipError_tT0_T1_T2_jT3_P12ihipStream_tbPNSt15iterator_traitsISL_E10value_typeEPNSR_ISM_E10value_typeEPSN_NS1_7vsmem_tEENKUlT_SL_SM_SN_E_clISG_PS8_SH_SH_EESK_S10_SL_SM_SN_EUlS10_E_NS1_11comp_targetILNS1_3genE4ELNS1_11target_archE910ELNS1_3gpuE8ELNS1_3repE0EEENS1_48merge_mergepath_partition_config_static_selectorELNS0_4arch9wavefront6targetE0EEEvSM_,"axG",@progbits,_ZN7rocprim17ROCPRIM_400000_NS6detail17trampoline_kernelINS0_14default_configENS1_38merge_sort_block_merge_config_selectorIN6thrust23THRUST_200600_302600_NS4pairIiiEENS0_10empty_typeEEEZZNS1_27merge_sort_block_merge_implIS3_NS6_6detail15normal_iteratorINS6_10device_ptrIS8_EEEEPS9_mNS6_4lessIS8_EEEE10hipError_tT0_T1_T2_jT3_P12ihipStream_tbPNSt15iterator_traitsISL_E10value_typeEPNSR_ISM_E10value_typeEPSN_NS1_7vsmem_tEENKUlT_SL_SM_SN_E_clISG_PS8_SH_SH_EESK_S10_SL_SM_SN_EUlS10_E_NS1_11comp_targetILNS1_3genE4ELNS1_11target_archE910ELNS1_3gpuE8ELNS1_3repE0EEENS1_48merge_mergepath_partition_config_static_selectorELNS0_4arch9wavefront6targetE0EEEvSM_,comdat
.Lfunc_end660:
	.size	_ZN7rocprim17ROCPRIM_400000_NS6detail17trampoline_kernelINS0_14default_configENS1_38merge_sort_block_merge_config_selectorIN6thrust23THRUST_200600_302600_NS4pairIiiEENS0_10empty_typeEEEZZNS1_27merge_sort_block_merge_implIS3_NS6_6detail15normal_iteratorINS6_10device_ptrIS8_EEEEPS9_mNS6_4lessIS8_EEEE10hipError_tT0_T1_T2_jT3_P12ihipStream_tbPNSt15iterator_traitsISL_E10value_typeEPNSR_ISM_E10value_typeEPSN_NS1_7vsmem_tEENKUlT_SL_SM_SN_E_clISG_PS8_SH_SH_EESK_S10_SL_SM_SN_EUlS10_E_NS1_11comp_targetILNS1_3genE4ELNS1_11target_archE910ELNS1_3gpuE8ELNS1_3repE0EEENS1_48merge_mergepath_partition_config_static_selectorELNS0_4arch9wavefront6targetE0EEEvSM_, .Lfunc_end660-_ZN7rocprim17ROCPRIM_400000_NS6detail17trampoline_kernelINS0_14default_configENS1_38merge_sort_block_merge_config_selectorIN6thrust23THRUST_200600_302600_NS4pairIiiEENS0_10empty_typeEEEZZNS1_27merge_sort_block_merge_implIS3_NS6_6detail15normal_iteratorINS6_10device_ptrIS8_EEEEPS9_mNS6_4lessIS8_EEEE10hipError_tT0_T1_T2_jT3_P12ihipStream_tbPNSt15iterator_traitsISL_E10value_typeEPNSR_ISM_E10value_typeEPSN_NS1_7vsmem_tEENKUlT_SL_SM_SN_E_clISG_PS8_SH_SH_EESK_S10_SL_SM_SN_EUlS10_E_NS1_11comp_targetILNS1_3genE4ELNS1_11target_archE910ELNS1_3gpuE8ELNS1_3repE0EEENS1_48merge_mergepath_partition_config_static_selectorELNS0_4arch9wavefront6targetE0EEEvSM_
                                        ; -- End function
	.set _ZN7rocprim17ROCPRIM_400000_NS6detail17trampoline_kernelINS0_14default_configENS1_38merge_sort_block_merge_config_selectorIN6thrust23THRUST_200600_302600_NS4pairIiiEENS0_10empty_typeEEEZZNS1_27merge_sort_block_merge_implIS3_NS6_6detail15normal_iteratorINS6_10device_ptrIS8_EEEEPS9_mNS6_4lessIS8_EEEE10hipError_tT0_T1_T2_jT3_P12ihipStream_tbPNSt15iterator_traitsISL_E10value_typeEPNSR_ISM_E10value_typeEPSN_NS1_7vsmem_tEENKUlT_SL_SM_SN_E_clISG_PS8_SH_SH_EESK_S10_SL_SM_SN_EUlS10_E_NS1_11comp_targetILNS1_3genE4ELNS1_11target_archE910ELNS1_3gpuE8ELNS1_3repE0EEENS1_48merge_mergepath_partition_config_static_selectorELNS0_4arch9wavefront6targetE0EEEvSM_.num_vgpr, 0
	.set _ZN7rocprim17ROCPRIM_400000_NS6detail17trampoline_kernelINS0_14default_configENS1_38merge_sort_block_merge_config_selectorIN6thrust23THRUST_200600_302600_NS4pairIiiEENS0_10empty_typeEEEZZNS1_27merge_sort_block_merge_implIS3_NS6_6detail15normal_iteratorINS6_10device_ptrIS8_EEEEPS9_mNS6_4lessIS8_EEEE10hipError_tT0_T1_T2_jT3_P12ihipStream_tbPNSt15iterator_traitsISL_E10value_typeEPNSR_ISM_E10value_typeEPSN_NS1_7vsmem_tEENKUlT_SL_SM_SN_E_clISG_PS8_SH_SH_EESK_S10_SL_SM_SN_EUlS10_E_NS1_11comp_targetILNS1_3genE4ELNS1_11target_archE910ELNS1_3gpuE8ELNS1_3repE0EEENS1_48merge_mergepath_partition_config_static_selectorELNS0_4arch9wavefront6targetE0EEEvSM_.num_agpr, 0
	.set _ZN7rocprim17ROCPRIM_400000_NS6detail17trampoline_kernelINS0_14default_configENS1_38merge_sort_block_merge_config_selectorIN6thrust23THRUST_200600_302600_NS4pairIiiEENS0_10empty_typeEEEZZNS1_27merge_sort_block_merge_implIS3_NS6_6detail15normal_iteratorINS6_10device_ptrIS8_EEEEPS9_mNS6_4lessIS8_EEEE10hipError_tT0_T1_T2_jT3_P12ihipStream_tbPNSt15iterator_traitsISL_E10value_typeEPNSR_ISM_E10value_typeEPSN_NS1_7vsmem_tEENKUlT_SL_SM_SN_E_clISG_PS8_SH_SH_EESK_S10_SL_SM_SN_EUlS10_E_NS1_11comp_targetILNS1_3genE4ELNS1_11target_archE910ELNS1_3gpuE8ELNS1_3repE0EEENS1_48merge_mergepath_partition_config_static_selectorELNS0_4arch9wavefront6targetE0EEEvSM_.numbered_sgpr, 0
	.set _ZN7rocprim17ROCPRIM_400000_NS6detail17trampoline_kernelINS0_14default_configENS1_38merge_sort_block_merge_config_selectorIN6thrust23THRUST_200600_302600_NS4pairIiiEENS0_10empty_typeEEEZZNS1_27merge_sort_block_merge_implIS3_NS6_6detail15normal_iteratorINS6_10device_ptrIS8_EEEEPS9_mNS6_4lessIS8_EEEE10hipError_tT0_T1_T2_jT3_P12ihipStream_tbPNSt15iterator_traitsISL_E10value_typeEPNSR_ISM_E10value_typeEPSN_NS1_7vsmem_tEENKUlT_SL_SM_SN_E_clISG_PS8_SH_SH_EESK_S10_SL_SM_SN_EUlS10_E_NS1_11comp_targetILNS1_3genE4ELNS1_11target_archE910ELNS1_3gpuE8ELNS1_3repE0EEENS1_48merge_mergepath_partition_config_static_selectorELNS0_4arch9wavefront6targetE0EEEvSM_.num_named_barrier, 0
	.set _ZN7rocprim17ROCPRIM_400000_NS6detail17trampoline_kernelINS0_14default_configENS1_38merge_sort_block_merge_config_selectorIN6thrust23THRUST_200600_302600_NS4pairIiiEENS0_10empty_typeEEEZZNS1_27merge_sort_block_merge_implIS3_NS6_6detail15normal_iteratorINS6_10device_ptrIS8_EEEEPS9_mNS6_4lessIS8_EEEE10hipError_tT0_T1_T2_jT3_P12ihipStream_tbPNSt15iterator_traitsISL_E10value_typeEPNSR_ISM_E10value_typeEPSN_NS1_7vsmem_tEENKUlT_SL_SM_SN_E_clISG_PS8_SH_SH_EESK_S10_SL_SM_SN_EUlS10_E_NS1_11comp_targetILNS1_3genE4ELNS1_11target_archE910ELNS1_3gpuE8ELNS1_3repE0EEENS1_48merge_mergepath_partition_config_static_selectorELNS0_4arch9wavefront6targetE0EEEvSM_.private_seg_size, 0
	.set _ZN7rocprim17ROCPRIM_400000_NS6detail17trampoline_kernelINS0_14default_configENS1_38merge_sort_block_merge_config_selectorIN6thrust23THRUST_200600_302600_NS4pairIiiEENS0_10empty_typeEEEZZNS1_27merge_sort_block_merge_implIS3_NS6_6detail15normal_iteratorINS6_10device_ptrIS8_EEEEPS9_mNS6_4lessIS8_EEEE10hipError_tT0_T1_T2_jT3_P12ihipStream_tbPNSt15iterator_traitsISL_E10value_typeEPNSR_ISM_E10value_typeEPSN_NS1_7vsmem_tEENKUlT_SL_SM_SN_E_clISG_PS8_SH_SH_EESK_S10_SL_SM_SN_EUlS10_E_NS1_11comp_targetILNS1_3genE4ELNS1_11target_archE910ELNS1_3gpuE8ELNS1_3repE0EEENS1_48merge_mergepath_partition_config_static_selectorELNS0_4arch9wavefront6targetE0EEEvSM_.uses_vcc, 0
	.set _ZN7rocprim17ROCPRIM_400000_NS6detail17trampoline_kernelINS0_14default_configENS1_38merge_sort_block_merge_config_selectorIN6thrust23THRUST_200600_302600_NS4pairIiiEENS0_10empty_typeEEEZZNS1_27merge_sort_block_merge_implIS3_NS6_6detail15normal_iteratorINS6_10device_ptrIS8_EEEEPS9_mNS6_4lessIS8_EEEE10hipError_tT0_T1_T2_jT3_P12ihipStream_tbPNSt15iterator_traitsISL_E10value_typeEPNSR_ISM_E10value_typeEPSN_NS1_7vsmem_tEENKUlT_SL_SM_SN_E_clISG_PS8_SH_SH_EESK_S10_SL_SM_SN_EUlS10_E_NS1_11comp_targetILNS1_3genE4ELNS1_11target_archE910ELNS1_3gpuE8ELNS1_3repE0EEENS1_48merge_mergepath_partition_config_static_selectorELNS0_4arch9wavefront6targetE0EEEvSM_.uses_flat_scratch, 0
	.set _ZN7rocprim17ROCPRIM_400000_NS6detail17trampoline_kernelINS0_14default_configENS1_38merge_sort_block_merge_config_selectorIN6thrust23THRUST_200600_302600_NS4pairIiiEENS0_10empty_typeEEEZZNS1_27merge_sort_block_merge_implIS3_NS6_6detail15normal_iteratorINS6_10device_ptrIS8_EEEEPS9_mNS6_4lessIS8_EEEE10hipError_tT0_T1_T2_jT3_P12ihipStream_tbPNSt15iterator_traitsISL_E10value_typeEPNSR_ISM_E10value_typeEPSN_NS1_7vsmem_tEENKUlT_SL_SM_SN_E_clISG_PS8_SH_SH_EESK_S10_SL_SM_SN_EUlS10_E_NS1_11comp_targetILNS1_3genE4ELNS1_11target_archE910ELNS1_3gpuE8ELNS1_3repE0EEENS1_48merge_mergepath_partition_config_static_selectorELNS0_4arch9wavefront6targetE0EEEvSM_.has_dyn_sized_stack, 0
	.set _ZN7rocprim17ROCPRIM_400000_NS6detail17trampoline_kernelINS0_14default_configENS1_38merge_sort_block_merge_config_selectorIN6thrust23THRUST_200600_302600_NS4pairIiiEENS0_10empty_typeEEEZZNS1_27merge_sort_block_merge_implIS3_NS6_6detail15normal_iteratorINS6_10device_ptrIS8_EEEEPS9_mNS6_4lessIS8_EEEE10hipError_tT0_T1_T2_jT3_P12ihipStream_tbPNSt15iterator_traitsISL_E10value_typeEPNSR_ISM_E10value_typeEPSN_NS1_7vsmem_tEENKUlT_SL_SM_SN_E_clISG_PS8_SH_SH_EESK_S10_SL_SM_SN_EUlS10_E_NS1_11comp_targetILNS1_3genE4ELNS1_11target_archE910ELNS1_3gpuE8ELNS1_3repE0EEENS1_48merge_mergepath_partition_config_static_selectorELNS0_4arch9wavefront6targetE0EEEvSM_.has_recursion, 0
	.set _ZN7rocprim17ROCPRIM_400000_NS6detail17trampoline_kernelINS0_14default_configENS1_38merge_sort_block_merge_config_selectorIN6thrust23THRUST_200600_302600_NS4pairIiiEENS0_10empty_typeEEEZZNS1_27merge_sort_block_merge_implIS3_NS6_6detail15normal_iteratorINS6_10device_ptrIS8_EEEEPS9_mNS6_4lessIS8_EEEE10hipError_tT0_T1_T2_jT3_P12ihipStream_tbPNSt15iterator_traitsISL_E10value_typeEPNSR_ISM_E10value_typeEPSN_NS1_7vsmem_tEENKUlT_SL_SM_SN_E_clISG_PS8_SH_SH_EESK_S10_SL_SM_SN_EUlS10_E_NS1_11comp_targetILNS1_3genE4ELNS1_11target_archE910ELNS1_3gpuE8ELNS1_3repE0EEENS1_48merge_mergepath_partition_config_static_selectorELNS0_4arch9wavefront6targetE0EEEvSM_.has_indirect_call, 0
	.section	.AMDGPU.csdata,"",@progbits
; Kernel info:
; codeLenInByte = 0
; TotalNumSgprs: 0
; NumVgprs: 0
; ScratchSize: 0
; MemoryBound: 0
; FloatMode: 240
; IeeeMode: 1
; LDSByteSize: 0 bytes/workgroup (compile time only)
; SGPRBlocks: 0
; VGPRBlocks: 0
; NumSGPRsForWavesPerEU: 1
; NumVGPRsForWavesPerEU: 1
; Occupancy: 16
; WaveLimiterHint : 0
; COMPUTE_PGM_RSRC2:SCRATCH_EN: 0
; COMPUTE_PGM_RSRC2:USER_SGPR: 6
; COMPUTE_PGM_RSRC2:TRAP_HANDLER: 0
; COMPUTE_PGM_RSRC2:TGID_X_EN: 1
; COMPUTE_PGM_RSRC2:TGID_Y_EN: 0
; COMPUTE_PGM_RSRC2:TGID_Z_EN: 0
; COMPUTE_PGM_RSRC2:TIDIG_COMP_CNT: 0
	.section	.text._ZN7rocprim17ROCPRIM_400000_NS6detail17trampoline_kernelINS0_14default_configENS1_38merge_sort_block_merge_config_selectorIN6thrust23THRUST_200600_302600_NS4pairIiiEENS0_10empty_typeEEEZZNS1_27merge_sort_block_merge_implIS3_NS6_6detail15normal_iteratorINS6_10device_ptrIS8_EEEEPS9_mNS6_4lessIS8_EEEE10hipError_tT0_T1_T2_jT3_P12ihipStream_tbPNSt15iterator_traitsISL_E10value_typeEPNSR_ISM_E10value_typeEPSN_NS1_7vsmem_tEENKUlT_SL_SM_SN_E_clISG_PS8_SH_SH_EESK_S10_SL_SM_SN_EUlS10_E_NS1_11comp_targetILNS1_3genE3ELNS1_11target_archE908ELNS1_3gpuE7ELNS1_3repE0EEENS1_48merge_mergepath_partition_config_static_selectorELNS0_4arch9wavefront6targetE0EEEvSM_,"axG",@progbits,_ZN7rocprim17ROCPRIM_400000_NS6detail17trampoline_kernelINS0_14default_configENS1_38merge_sort_block_merge_config_selectorIN6thrust23THRUST_200600_302600_NS4pairIiiEENS0_10empty_typeEEEZZNS1_27merge_sort_block_merge_implIS3_NS6_6detail15normal_iteratorINS6_10device_ptrIS8_EEEEPS9_mNS6_4lessIS8_EEEE10hipError_tT0_T1_T2_jT3_P12ihipStream_tbPNSt15iterator_traitsISL_E10value_typeEPNSR_ISM_E10value_typeEPSN_NS1_7vsmem_tEENKUlT_SL_SM_SN_E_clISG_PS8_SH_SH_EESK_S10_SL_SM_SN_EUlS10_E_NS1_11comp_targetILNS1_3genE3ELNS1_11target_archE908ELNS1_3gpuE7ELNS1_3repE0EEENS1_48merge_mergepath_partition_config_static_selectorELNS0_4arch9wavefront6targetE0EEEvSM_,comdat
	.protected	_ZN7rocprim17ROCPRIM_400000_NS6detail17trampoline_kernelINS0_14default_configENS1_38merge_sort_block_merge_config_selectorIN6thrust23THRUST_200600_302600_NS4pairIiiEENS0_10empty_typeEEEZZNS1_27merge_sort_block_merge_implIS3_NS6_6detail15normal_iteratorINS6_10device_ptrIS8_EEEEPS9_mNS6_4lessIS8_EEEE10hipError_tT0_T1_T2_jT3_P12ihipStream_tbPNSt15iterator_traitsISL_E10value_typeEPNSR_ISM_E10value_typeEPSN_NS1_7vsmem_tEENKUlT_SL_SM_SN_E_clISG_PS8_SH_SH_EESK_S10_SL_SM_SN_EUlS10_E_NS1_11comp_targetILNS1_3genE3ELNS1_11target_archE908ELNS1_3gpuE7ELNS1_3repE0EEENS1_48merge_mergepath_partition_config_static_selectorELNS0_4arch9wavefront6targetE0EEEvSM_ ; -- Begin function _ZN7rocprim17ROCPRIM_400000_NS6detail17trampoline_kernelINS0_14default_configENS1_38merge_sort_block_merge_config_selectorIN6thrust23THRUST_200600_302600_NS4pairIiiEENS0_10empty_typeEEEZZNS1_27merge_sort_block_merge_implIS3_NS6_6detail15normal_iteratorINS6_10device_ptrIS8_EEEEPS9_mNS6_4lessIS8_EEEE10hipError_tT0_T1_T2_jT3_P12ihipStream_tbPNSt15iterator_traitsISL_E10value_typeEPNSR_ISM_E10value_typeEPSN_NS1_7vsmem_tEENKUlT_SL_SM_SN_E_clISG_PS8_SH_SH_EESK_S10_SL_SM_SN_EUlS10_E_NS1_11comp_targetILNS1_3genE3ELNS1_11target_archE908ELNS1_3gpuE7ELNS1_3repE0EEENS1_48merge_mergepath_partition_config_static_selectorELNS0_4arch9wavefront6targetE0EEEvSM_
	.globl	_ZN7rocprim17ROCPRIM_400000_NS6detail17trampoline_kernelINS0_14default_configENS1_38merge_sort_block_merge_config_selectorIN6thrust23THRUST_200600_302600_NS4pairIiiEENS0_10empty_typeEEEZZNS1_27merge_sort_block_merge_implIS3_NS6_6detail15normal_iteratorINS6_10device_ptrIS8_EEEEPS9_mNS6_4lessIS8_EEEE10hipError_tT0_T1_T2_jT3_P12ihipStream_tbPNSt15iterator_traitsISL_E10value_typeEPNSR_ISM_E10value_typeEPSN_NS1_7vsmem_tEENKUlT_SL_SM_SN_E_clISG_PS8_SH_SH_EESK_S10_SL_SM_SN_EUlS10_E_NS1_11comp_targetILNS1_3genE3ELNS1_11target_archE908ELNS1_3gpuE7ELNS1_3repE0EEENS1_48merge_mergepath_partition_config_static_selectorELNS0_4arch9wavefront6targetE0EEEvSM_
	.p2align	8
	.type	_ZN7rocprim17ROCPRIM_400000_NS6detail17trampoline_kernelINS0_14default_configENS1_38merge_sort_block_merge_config_selectorIN6thrust23THRUST_200600_302600_NS4pairIiiEENS0_10empty_typeEEEZZNS1_27merge_sort_block_merge_implIS3_NS6_6detail15normal_iteratorINS6_10device_ptrIS8_EEEEPS9_mNS6_4lessIS8_EEEE10hipError_tT0_T1_T2_jT3_P12ihipStream_tbPNSt15iterator_traitsISL_E10value_typeEPNSR_ISM_E10value_typeEPSN_NS1_7vsmem_tEENKUlT_SL_SM_SN_E_clISG_PS8_SH_SH_EESK_S10_SL_SM_SN_EUlS10_E_NS1_11comp_targetILNS1_3genE3ELNS1_11target_archE908ELNS1_3gpuE7ELNS1_3repE0EEENS1_48merge_mergepath_partition_config_static_selectorELNS0_4arch9wavefront6targetE0EEEvSM_,@function
_ZN7rocprim17ROCPRIM_400000_NS6detail17trampoline_kernelINS0_14default_configENS1_38merge_sort_block_merge_config_selectorIN6thrust23THRUST_200600_302600_NS4pairIiiEENS0_10empty_typeEEEZZNS1_27merge_sort_block_merge_implIS3_NS6_6detail15normal_iteratorINS6_10device_ptrIS8_EEEEPS9_mNS6_4lessIS8_EEEE10hipError_tT0_T1_T2_jT3_P12ihipStream_tbPNSt15iterator_traitsISL_E10value_typeEPNSR_ISM_E10value_typeEPSN_NS1_7vsmem_tEENKUlT_SL_SM_SN_E_clISG_PS8_SH_SH_EESK_S10_SL_SM_SN_EUlS10_E_NS1_11comp_targetILNS1_3genE3ELNS1_11target_archE908ELNS1_3gpuE7ELNS1_3repE0EEENS1_48merge_mergepath_partition_config_static_selectorELNS0_4arch9wavefront6targetE0EEEvSM_: ; @_ZN7rocprim17ROCPRIM_400000_NS6detail17trampoline_kernelINS0_14default_configENS1_38merge_sort_block_merge_config_selectorIN6thrust23THRUST_200600_302600_NS4pairIiiEENS0_10empty_typeEEEZZNS1_27merge_sort_block_merge_implIS3_NS6_6detail15normal_iteratorINS6_10device_ptrIS8_EEEEPS9_mNS6_4lessIS8_EEEE10hipError_tT0_T1_T2_jT3_P12ihipStream_tbPNSt15iterator_traitsISL_E10value_typeEPNSR_ISM_E10value_typeEPSN_NS1_7vsmem_tEENKUlT_SL_SM_SN_E_clISG_PS8_SH_SH_EESK_S10_SL_SM_SN_EUlS10_E_NS1_11comp_targetILNS1_3genE3ELNS1_11target_archE908ELNS1_3gpuE7ELNS1_3repE0EEENS1_48merge_mergepath_partition_config_static_selectorELNS0_4arch9wavefront6targetE0EEEvSM_
; %bb.0:
	.section	.rodata,"a",@progbits
	.p2align	6, 0x0
	.amdhsa_kernel _ZN7rocprim17ROCPRIM_400000_NS6detail17trampoline_kernelINS0_14default_configENS1_38merge_sort_block_merge_config_selectorIN6thrust23THRUST_200600_302600_NS4pairIiiEENS0_10empty_typeEEEZZNS1_27merge_sort_block_merge_implIS3_NS6_6detail15normal_iteratorINS6_10device_ptrIS8_EEEEPS9_mNS6_4lessIS8_EEEE10hipError_tT0_T1_T2_jT3_P12ihipStream_tbPNSt15iterator_traitsISL_E10value_typeEPNSR_ISM_E10value_typeEPSN_NS1_7vsmem_tEENKUlT_SL_SM_SN_E_clISG_PS8_SH_SH_EESK_S10_SL_SM_SN_EUlS10_E_NS1_11comp_targetILNS1_3genE3ELNS1_11target_archE908ELNS1_3gpuE7ELNS1_3repE0EEENS1_48merge_mergepath_partition_config_static_selectorELNS0_4arch9wavefront6targetE0EEEvSM_
		.amdhsa_group_segment_fixed_size 0
		.amdhsa_private_segment_fixed_size 0
		.amdhsa_kernarg_size 48
		.amdhsa_user_sgpr_count 6
		.amdhsa_user_sgpr_private_segment_buffer 1
		.amdhsa_user_sgpr_dispatch_ptr 0
		.amdhsa_user_sgpr_queue_ptr 0
		.amdhsa_user_sgpr_kernarg_segment_ptr 1
		.amdhsa_user_sgpr_dispatch_id 0
		.amdhsa_user_sgpr_flat_scratch_init 0
		.amdhsa_user_sgpr_private_segment_size 0
		.amdhsa_wavefront_size32 1
		.amdhsa_uses_dynamic_stack 0
		.amdhsa_system_sgpr_private_segment_wavefront_offset 0
		.amdhsa_system_sgpr_workgroup_id_x 1
		.amdhsa_system_sgpr_workgroup_id_y 0
		.amdhsa_system_sgpr_workgroup_id_z 0
		.amdhsa_system_sgpr_workgroup_info 0
		.amdhsa_system_vgpr_workitem_id 0
		.amdhsa_next_free_vgpr 1
		.amdhsa_next_free_sgpr 1
		.amdhsa_reserve_vcc 0
		.amdhsa_reserve_flat_scratch 0
		.amdhsa_float_round_mode_32 0
		.amdhsa_float_round_mode_16_64 0
		.amdhsa_float_denorm_mode_32 3
		.amdhsa_float_denorm_mode_16_64 3
		.amdhsa_dx10_clamp 1
		.amdhsa_ieee_mode 1
		.amdhsa_fp16_overflow 0
		.amdhsa_workgroup_processor_mode 1
		.amdhsa_memory_ordered 1
		.amdhsa_forward_progress 1
		.amdhsa_shared_vgpr_count 0
		.amdhsa_exception_fp_ieee_invalid_op 0
		.amdhsa_exception_fp_denorm_src 0
		.amdhsa_exception_fp_ieee_div_zero 0
		.amdhsa_exception_fp_ieee_overflow 0
		.amdhsa_exception_fp_ieee_underflow 0
		.amdhsa_exception_fp_ieee_inexact 0
		.amdhsa_exception_int_div_zero 0
	.end_amdhsa_kernel
	.section	.text._ZN7rocprim17ROCPRIM_400000_NS6detail17trampoline_kernelINS0_14default_configENS1_38merge_sort_block_merge_config_selectorIN6thrust23THRUST_200600_302600_NS4pairIiiEENS0_10empty_typeEEEZZNS1_27merge_sort_block_merge_implIS3_NS6_6detail15normal_iteratorINS6_10device_ptrIS8_EEEEPS9_mNS6_4lessIS8_EEEE10hipError_tT0_T1_T2_jT3_P12ihipStream_tbPNSt15iterator_traitsISL_E10value_typeEPNSR_ISM_E10value_typeEPSN_NS1_7vsmem_tEENKUlT_SL_SM_SN_E_clISG_PS8_SH_SH_EESK_S10_SL_SM_SN_EUlS10_E_NS1_11comp_targetILNS1_3genE3ELNS1_11target_archE908ELNS1_3gpuE7ELNS1_3repE0EEENS1_48merge_mergepath_partition_config_static_selectorELNS0_4arch9wavefront6targetE0EEEvSM_,"axG",@progbits,_ZN7rocprim17ROCPRIM_400000_NS6detail17trampoline_kernelINS0_14default_configENS1_38merge_sort_block_merge_config_selectorIN6thrust23THRUST_200600_302600_NS4pairIiiEENS0_10empty_typeEEEZZNS1_27merge_sort_block_merge_implIS3_NS6_6detail15normal_iteratorINS6_10device_ptrIS8_EEEEPS9_mNS6_4lessIS8_EEEE10hipError_tT0_T1_T2_jT3_P12ihipStream_tbPNSt15iterator_traitsISL_E10value_typeEPNSR_ISM_E10value_typeEPSN_NS1_7vsmem_tEENKUlT_SL_SM_SN_E_clISG_PS8_SH_SH_EESK_S10_SL_SM_SN_EUlS10_E_NS1_11comp_targetILNS1_3genE3ELNS1_11target_archE908ELNS1_3gpuE7ELNS1_3repE0EEENS1_48merge_mergepath_partition_config_static_selectorELNS0_4arch9wavefront6targetE0EEEvSM_,comdat
.Lfunc_end661:
	.size	_ZN7rocprim17ROCPRIM_400000_NS6detail17trampoline_kernelINS0_14default_configENS1_38merge_sort_block_merge_config_selectorIN6thrust23THRUST_200600_302600_NS4pairIiiEENS0_10empty_typeEEEZZNS1_27merge_sort_block_merge_implIS3_NS6_6detail15normal_iteratorINS6_10device_ptrIS8_EEEEPS9_mNS6_4lessIS8_EEEE10hipError_tT0_T1_T2_jT3_P12ihipStream_tbPNSt15iterator_traitsISL_E10value_typeEPNSR_ISM_E10value_typeEPSN_NS1_7vsmem_tEENKUlT_SL_SM_SN_E_clISG_PS8_SH_SH_EESK_S10_SL_SM_SN_EUlS10_E_NS1_11comp_targetILNS1_3genE3ELNS1_11target_archE908ELNS1_3gpuE7ELNS1_3repE0EEENS1_48merge_mergepath_partition_config_static_selectorELNS0_4arch9wavefront6targetE0EEEvSM_, .Lfunc_end661-_ZN7rocprim17ROCPRIM_400000_NS6detail17trampoline_kernelINS0_14default_configENS1_38merge_sort_block_merge_config_selectorIN6thrust23THRUST_200600_302600_NS4pairIiiEENS0_10empty_typeEEEZZNS1_27merge_sort_block_merge_implIS3_NS6_6detail15normal_iteratorINS6_10device_ptrIS8_EEEEPS9_mNS6_4lessIS8_EEEE10hipError_tT0_T1_T2_jT3_P12ihipStream_tbPNSt15iterator_traitsISL_E10value_typeEPNSR_ISM_E10value_typeEPSN_NS1_7vsmem_tEENKUlT_SL_SM_SN_E_clISG_PS8_SH_SH_EESK_S10_SL_SM_SN_EUlS10_E_NS1_11comp_targetILNS1_3genE3ELNS1_11target_archE908ELNS1_3gpuE7ELNS1_3repE0EEENS1_48merge_mergepath_partition_config_static_selectorELNS0_4arch9wavefront6targetE0EEEvSM_
                                        ; -- End function
	.set _ZN7rocprim17ROCPRIM_400000_NS6detail17trampoline_kernelINS0_14default_configENS1_38merge_sort_block_merge_config_selectorIN6thrust23THRUST_200600_302600_NS4pairIiiEENS0_10empty_typeEEEZZNS1_27merge_sort_block_merge_implIS3_NS6_6detail15normal_iteratorINS6_10device_ptrIS8_EEEEPS9_mNS6_4lessIS8_EEEE10hipError_tT0_T1_T2_jT3_P12ihipStream_tbPNSt15iterator_traitsISL_E10value_typeEPNSR_ISM_E10value_typeEPSN_NS1_7vsmem_tEENKUlT_SL_SM_SN_E_clISG_PS8_SH_SH_EESK_S10_SL_SM_SN_EUlS10_E_NS1_11comp_targetILNS1_3genE3ELNS1_11target_archE908ELNS1_3gpuE7ELNS1_3repE0EEENS1_48merge_mergepath_partition_config_static_selectorELNS0_4arch9wavefront6targetE0EEEvSM_.num_vgpr, 0
	.set _ZN7rocprim17ROCPRIM_400000_NS6detail17trampoline_kernelINS0_14default_configENS1_38merge_sort_block_merge_config_selectorIN6thrust23THRUST_200600_302600_NS4pairIiiEENS0_10empty_typeEEEZZNS1_27merge_sort_block_merge_implIS3_NS6_6detail15normal_iteratorINS6_10device_ptrIS8_EEEEPS9_mNS6_4lessIS8_EEEE10hipError_tT0_T1_T2_jT3_P12ihipStream_tbPNSt15iterator_traitsISL_E10value_typeEPNSR_ISM_E10value_typeEPSN_NS1_7vsmem_tEENKUlT_SL_SM_SN_E_clISG_PS8_SH_SH_EESK_S10_SL_SM_SN_EUlS10_E_NS1_11comp_targetILNS1_3genE3ELNS1_11target_archE908ELNS1_3gpuE7ELNS1_3repE0EEENS1_48merge_mergepath_partition_config_static_selectorELNS0_4arch9wavefront6targetE0EEEvSM_.num_agpr, 0
	.set _ZN7rocprim17ROCPRIM_400000_NS6detail17trampoline_kernelINS0_14default_configENS1_38merge_sort_block_merge_config_selectorIN6thrust23THRUST_200600_302600_NS4pairIiiEENS0_10empty_typeEEEZZNS1_27merge_sort_block_merge_implIS3_NS6_6detail15normal_iteratorINS6_10device_ptrIS8_EEEEPS9_mNS6_4lessIS8_EEEE10hipError_tT0_T1_T2_jT3_P12ihipStream_tbPNSt15iterator_traitsISL_E10value_typeEPNSR_ISM_E10value_typeEPSN_NS1_7vsmem_tEENKUlT_SL_SM_SN_E_clISG_PS8_SH_SH_EESK_S10_SL_SM_SN_EUlS10_E_NS1_11comp_targetILNS1_3genE3ELNS1_11target_archE908ELNS1_3gpuE7ELNS1_3repE0EEENS1_48merge_mergepath_partition_config_static_selectorELNS0_4arch9wavefront6targetE0EEEvSM_.numbered_sgpr, 0
	.set _ZN7rocprim17ROCPRIM_400000_NS6detail17trampoline_kernelINS0_14default_configENS1_38merge_sort_block_merge_config_selectorIN6thrust23THRUST_200600_302600_NS4pairIiiEENS0_10empty_typeEEEZZNS1_27merge_sort_block_merge_implIS3_NS6_6detail15normal_iteratorINS6_10device_ptrIS8_EEEEPS9_mNS6_4lessIS8_EEEE10hipError_tT0_T1_T2_jT3_P12ihipStream_tbPNSt15iterator_traitsISL_E10value_typeEPNSR_ISM_E10value_typeEPSN_NS1_7vsmem_tEENKUlT_SL_SM_SN_E_clISG_PS8_SH_SH_EESK_S10_SL_SM_SN_EUlS10_E_NS1_11comp_targetILNS1_3genE3ELNS1_11target_archE908ELNS1_3gpuE7ELNS1_3repE0EEENS1_48merge_mergepath_partition_config_static_selectorELNS0_4arch9wavefront6targetE0EEEvSM_.num_named_barrier, 0
	.set _ZN7rocprim17ROCPRIM_400000_NS6detail17trampoline_kernelINS0_14default_configENS1_38merge_sort_block_merge_config_selectorIN6thrust23THRUST_200600_302600_NS4pairIiiEENS0_10empty_typeEEEZZNS1_27merge_sort_block_merge_implIS3_NS6_6detail15normal_iteratorINS6_10device_ptrIS8_EEEEPS9_mNS6_4lessIS8_EEEE10hipError_tT0_T1_T2_jT3_P12ihipStream_tbPNSt15iterator_traitsISL_E10value_typeEPNSR_ISM_E10value_typeEPSN_NS1_7vsmem_tEENKUlT_SL_SM_SN_E_clISG_PS8_SH_SH_EESK_S10_SL_SM_SN_EUlS10_E_NS1_11comp_targetILNS1_3genE3ELNS1_11target_archE908ELNS1_3gpuE7ELNS1_3repE0EEENS1_48merge_mergepath_partition_config_static_selectorELNS0_4arch9wavefront6targetE0EEEvSM_.private_seg_size, 0
	.set _ZN7rocprim17ROCPRIM_400000_NS6detail17trampoline_kernelINS0_14default_configENS1_38merge_sort_block_merge_config_selectorIN6thrust23THRUST_200600_302600_NS4pairIiiEENS0_10empty_typeEEEZZNS1_27merge_sort_block_merge_implIS3_NS6_6detail15normal_iteratorINS6_10device_ptrIS8_EEEEPS9_mNS6_4lessIS8_EEEE10hipError_tT0_T1_T2_jT3_P12ihipStream_tbPNSt15iterator_traitsISL_E10value_typeEPNSR_ISM_E10value_typeEPSN_NS1_7vsmem_tEENKUlT_SL_SM_SN_E_clISG_PS8_SH_SH_EESK_S10_SL_SM_SN_EUlS10_E_NS1_11comp_targetILNS1_3genE3ELNS1_11target_archE908ELNS1_3gpuE7ELNS1_3repE0EEENS1_48merge_mergepath_partition_config_static_selectorELNS0_4arch9wavefront6targetE0EEEvSM_.uses_vcc, 0
	.set _ZN7rocprim17ROCPRIM_400000_NS6detail17trampoline_kernelINS0_14default_configENS1_38merge_sort_block_merge_config_selectorIN6thrust23THRUST_200600_302600_NS4pairIiiEENS0_10empty_typeEEEZZNS1_27merge_sort_block_merge_implIS3_NS6_6detail15normal_iteratorINS6_10device_ptrIS8_EEEEPS9_mNS6_4lessIS8_EEEE10hipError_tT0_T1_T2_jT3_P12ihipStream_tbPNSt15iterator_traitsISL_E10value_typeEPNSR_ISM_E10value_typeEPSN_NS1_7vsmem_tEENKUlT_SL_SM_SN_E_clISG_PS8_SH_SH_EESK_S10_SL_SM_SN_EUlS10_E_NS1_11comp_targetILNS1_3genE3ELNS1_11target_archE908ELNS1_3gpuE7ELNS1_3repE0EEENS1_48merge_mergepath_partition_config_static_selectorELNS0_4arch9wavefront6targetE0EEEvSM_.uses_flat_scratch, 0
	.set _ZN7rocprim17ROCPRIM_400000_NS6detail17trampoline_kernelINS0_14default_configENS1_38merge_sort_block_merge_config_selectorIN6thrust23THRUST_200600_302600_NS4pairIiiEENS0_10empty_typeEEEZZNS1_27merge_sort_block_merge_implIS3_NS6_6detail15normal_iteratorINS6_10device_ptrIS8_EEEEPS9_mNS6_4lessIS8_EEEE10hipError_tT0_T1_T2_jT3_P12ihipStream_tbPNSt15iterator_traitsISL_E10value_typeEPNSR_ISM_E10value_typeEPSN_NS1_7vsmem_tEENKUlT_SL_SM_SN_E_clISG_PS8_SH_SH_EESK_S10_SL_SM_SN_EUlS10_E_NS1_11comp_targetILNS1_3genE3ELNS1_11target_archE908ELNS1_3gpuE7ELNS1_3repE0EEENS1_48merge_mergepath_partition_config_static_selectorELNS0_4arch9wavefront6targetE0EEEvSM_.has_dyn_sized_stack, 0
	.set _ZN7rocprim17ROCPRIM_400000_NS6detail17trampoline_kernelINS0_14default_configENS1_38merge_sort_block_merge_config_selectorIN6thrust23THRUST_200600_302600_NS4pairIiiEENS0_10empty_typeEEEZZNS1_27merge_sort_block_merge_implIS3_NS6_6detail15normal_iteratorINS6_10device_ptrIS8_EEEEPS9_mNS6_4lessIS8_EEEE10hipError_tT0_T1_T2_jT3_P12ihipStream_tbPNSt15iterator_traitsISL_E10value_typeEPNSR_ISM_E10value_typeEPSN_NS1_7vsmem_tEENKUlT_SL_SM_SN_E_clISG_PS8_SH_SH_EESK_S10_SL_SM_SN_EUlS10_E_NS1_11comp_targetILNS1_3genE3ELNS1_11target_archE908ELNS1_3gpuE7ELNS1_3repE0EEENS1_48merge_mergepath_partition_config_static_selectorELNS0_4arch9wavefront6targetE0EEEvSM_.has_recursion, 0
	.set _ZN7rocprim17ROCPRIM_400000_NS6detail17trampoline_kernelINS0_14default_configENS1_38merge_sort_block_merge_config_selectorIN6thrust23THRUST_200600_302600_NS4pairIiiEENS0_10empty_typeEEEZZNS1_27merge_sort_block_merge_implIS3_NS6_6detail15normal_iteratorINS6_10device_ptrIS8_EEEEPS9_mNS6_4lessIS8_EEEE10hipError_tT0_T1_T2_jT3_P12ihipStream_tbPNSt15iterator_traitsISL_E10value_typeEPNSR_ISM_E10value_typeEPSN_NS1_7vsmem_tEENKUlT_SL_SM_SN_E_clISG_PS8_SH_SH_EESK_S10_SL_SM_SN_EUlS10_E_NS1_11comp_targetILNS1_3genE3ELNS1_11target_archE908ELNS1_3gpuE7ELNS1_3repE0EEENS1_48merge_mergepath_partition_config_static_selectorELNS0_4arch9wavefront6targetE0EEEvSM_.has_indirect_call, 0
	.section	.AMDGPU.csdata,"",@progbits
; Kernel info:
; codeLenInByte = 0
; TotalNumSgprs: 0
; NumVgprs: 0
; ScratchSize: 0
; MemoryBound: 0
; FloatMode: 240
; IeeeMode: 1
; LDSByteSize: 0 bytes/workgroup (compile time only)
; SGPRBlocks: 0
; VGPRBlocks: 0
; NumSGPRsForWavesPerEU: 1
; NumVGPRsForWavesPerEU: 1
; Occupancy: 16
; WaveLimiterHint : 0
; COMPUTE_PGM_RSRC2:SCRATCH_EN: 0
; COMPUTE_PGM_RSRC2:USER_SGPR: 6
; COMPUTE_PGM_RSRC2:TRAP_HANDLER: 0
; COMPUTE_PGM_RSRC2:TGID_X_EN: 1
; COMPUTE_PGM_RSRC2:TGID_Y_EN: 0
; COMPUTE_PGM_RSRC2:TGID_Z_EN: 0
; COMPUTE_PGM_RSRC2:TIDIG_COMP_CNT: 0
	.section	.text._ZN7rocprim17ROCPRIM_400000_NS6detail17trampoline_kernelINS0_14default_configENS1_38merge_sort_block_merge_config_selectorIN6thrust23THRUST_200600_302600_NS4pairIiiEENS0_10empty_typeEEEZZNS1_27merge_sort_block_merge_implIS3_NS6_6detail15normal_iteratorINS6_10device_ptrIS8_EEEEPS9_mNS6_4lessIS8_EEEE10hipError_tT0_T1_T2_jT3_P12ihipStream_tbPNSt15iterator_traitsISL_E10value_typeEPNSR_ISM_E10value_typeEPSN_NS1_7vsmem_tEENKUlT_SL_SM_SN_E_clISG_PS8_SH_SH_EESK_S10_SL_SM_SN_EUlS10_E_NS1_11comp_targetILNS1_3genE2ELNS1_11target_archE906ELNS1_3gpuE6ELNS1_3repE0EEENS1_48merge_mergepath_partition_config_static_selectorELNS0_4arch9wavefront6targetE0EEEvSM_,"axG",@progbits,_ZN7rocprim17ROCPRIM_400000_NS6detail17trampoline_kernelINS0_14default_configENS1_38merge_sort_block_merge_config_selectorIN6thrust23THRUST_200600_302600_NS4pairIiiEENS0_10empty_typeEEEZZNS1_27merge_sort_block_merge_implIS3_NS6_6detail15normal_iteratorINS6_10device_ptrIS8_EEEEPS9_mNS6_4lessIS8_EEEE10hipError_tT0_T1_T2_jT3_P12ihipStream_tbPNSt15iterator_traitsISL_E10value_typeEPNSR_ISM_E10value_typeEPSN_NS1_7vsmem_tEENKUlT_SL_SM_SN_E_clISG_PS8_SH_SH_EESK_S10_SL_SM_SN_EUlS10_E_NS1_11comp_targetILNS1_3genE2ELNS1_11target_archE906ELNS1_3gpuE6ELNS1_3repE0EEENS1_48merge_mergepath_partition_config_static_selectorELNS0_4arch9wavefront6targetE0EEEvSM_,comdat
	.protected	_ZN7rocprim17ROCPRIM_400000_NS6detail17trampoline_kernelINS0_14default_configENS1_38merge_sort_block_merge_config_selectorIN6thrust23THRUST_200600_302600_NS4pairIiiEENS0_10empty_typeEEEZZNS1_27merge_sort_block_merge_implIS3_NS6_6detail15normal_iteratorINS6_10device_ptrIS8_EEEEPS9_mNS6_4lessIS8_EEEE10hipError_tT0_T1_T2_jT3_P12ihipStream_tbPNSt15iterator_traitsISL_E10value_typeEPNSR_ISM_E10value_typeEPSN_NS1_7vsmem_tEENKUlT_SL_SM_SN_E_clISG_PS8_SH_SH_EESK_S10_SL_SM_SN_EUlS10_E_NS1_11comp_targetILNS1_3genE2ELNS1_11target_archE906ELNS1_3gpuE6ELNS1_3repE0EEENS1_48merge_mergepath_partition_config_static_selectorELNS0_4arch9wavefront6targetE0EEEvSM_ ; -- Begin function _ZN7rocprim17ROCPRIM_400000_NS6detail17trampoline_kernelINS0_14default_configENS1_38merge_sort_block_merge_config_selectorIN6thrust23THRUST_200600_302600_NS4pairIiiEENS0_10empty_typeEEEZZNS1_27merge_sort_block_merge_implIS3_NS6_6detail15normal_iteratorINS6_10device_ptrIS8_EEEEPS9_mNS6_4lessIS8_EEEE10hipError_tT0_T1_T2_jT3_P12ihipStream_tbPNSt15iterator_traitsISL_E10value_typeEPNSR_ISM_E10value_typeEPSN_NS1_7vsmem_tEENKUlT_SL_SM_SN_E_clISG_PS8_SH_SH_EESK_S10_SL_SM_SN_EUlS10_E_NS1_11comp_targetILNS1_3genE2ELNS1_11target_archE906ELNS1_3gpuE6ELNS1_3repE0EEENS1_48merge_mergepath_partition_config_static_selectorELNS0_4arch9wavefront6targetE0EEEvSM_
	.globl	_ZN7rocprim17ROCPRIM_400000_NS6detail17trampoline_kernelINS0_14default_configENS1_38merge_sort_block_merge_config_selectorIN6thrust23THRUST_200600_302600_NS4pairIiiEENS0_10empty_typeEEEZZNS1_27merge_sort_block_merge_implIS3_NS6_6detail15normal_iteratorINS6_10device_ptrIS8_EEEEPS9_mNS6_4lessIS8_EEEE10hipError_tT0_T1_T2_jT3_P12ihipStream_tbPNSt15iterator_traitsISL_E10value_typeEPNSR_ISM_E10value_typeEPSN_NS1_7vsmem_tEENKUlT_SL_SM_SN_E_clISG_PS8_SH_SH_EESK_S10_SL_SM_SN_EUlS10_E_NS1_11comp_targetILNS1_3genE2ELNS1_11target_archE906ELNS1_3gpuE6ELNS1_3repE0EEENS1_48merge_mergepath_partition_config_static_selectorELNS0_4arch9wavefront6targetE0EEEvSM_
	.p2align	8
	.type	_ZN7rocprim17ROCPRIM_400000_NS6detail17trampoline_kernelINS0_14default_configENS1_38merge_sort_block_merge_config_selectorIN6thrust23THRUST_200600_302600_NS4pairIiiEENS0_10empty_typeEEEZZNS1_27merge_sort_block_merge_implIS3_NS6_6detail15normal_iteratorINS6_10device_ptrIS8_EEEEPS9_mNS6_4lessIS8_EEEE10hipError_tT0_T1_T2_jT3_P12ihipStream_tbPNSt15iterator_traitsISL_E10value_typeEPNSR_ISM_E10value_typeEPSN_NS1_7vsmem_tEENKUlT_SL_SM_SN_E_clISG_PS8_SH_SH_EESK_S10_SL_SM_SN_EUlS10_E_NS1_11comp_targetILNS1_3genE2ELNS1_11target_archE906ELNS1_3gpuE6ELNS1_3repE0EEENS1_48merge_mergepath_partition_config_static_selectorELNS0_4arch9wavefront6targetE0EEEvSM_,@function
_ZN7rocprim17ROCPRIM_400000_NS6detail17trampoline_kernelINS0_14default_configENS1_38merge_sort_block_merge_config_selectorIN6thrust23THRUST_200600_302600_NS4pairIiiEENS0_10empty_typeEEEZZNS1_27merge_sort_block_merge_implIS3_NS6_6detail15normal_iteratorINS6_10device_ptrIS8_EEEEPS9_mNS6_4lessIS8_EEEE10hipError_tT0_T1_T2_jT3_P12ihipStream_tbPNSt15iterator_traitsISL_E10value_typeEPNSR_ISM_E10value_typeEPSN_NS1_7vsmem_tEENKUlT_SL_SM_SN_E_clISG_PS8_SH_SH_EESK_S10_SL_SM_SN_EUlS10_E_NS1_11comp_targetILNS1_3genE2ELNS1_11target_archE906ELNS1_3gpuE6ELNS1_3repE0EEENS1_48merge_mergepath_partition_config_static_selectorELNS0_4arch9wavefront6targetE0EEEvSM_: ; @_ZN7rocprim17ROCPRIM_400000_NS6detail17trampoline_kernelINS0_14default_configENS1_38merge_sort_block_merge_config_selectorIN6thrust23THRUST_200600_302600_NS4pairIiiEENS0_10empty_typeEEEZZNS1_27merge_sort_block_merge_implIS3_NS6_6detail15normal_iteratorINS6_10device_ptrIS8_EEEEPS9_mNS6_4lessIS8_EEEE10hipError_tT0_T1_T2_jT3_P12ihipStream_tbPNSt15iterator_traitsISL_E10value_typeEPNSR_ISM_E10value_typeEPSN_NS1_7vsmem_tEENKUlT_SL_SM_SN_E_clISG_PS8_SH_SH_EESK_S10_SL_SM_SN_EUlS10_E_NS1_11comp_targetILNS1_3genE2ELNS1_11target_archE906ELNS1_3gpuE6ELNS1_3repE0EEENS1_48merge_mergepath_partition_config_static_selectorELNS0_4arch9wavefront6targetE0EEEvSM_
; %bb.0:
	.section	.rodata,"a",@progbits
	.p2align	6, 0x0
	.amdhsa_kernel _ZN7rocprim17ROCPRIM_400000_NS6detail17trampoline_kernelINS0_14default_configENS1_38merge_sort_block_merge_config_selectorIN6thrust23THRUST_200600_302600_NS4pairIiiEENS0_10empty_typeEEEZZNS1_27merge_sort_block_merge_implIS3_NS6_6detail15normal_iteratorINS6_10device_ptrIS8_EEEEPS9_mNS6_4lessIS8_EEEE10hipError_tT0_T1_T2_jT3_P12ihipStream_tbPNSt15iterator_traitsISL_E10value_typeEPNSR_ISM_E10value_typeEPSN_NS1_7vsmem_tEENKUlT_SL_SM_SN_E_clISG_PS8_SH_SH_EESK_S10_SL_SM_SN_EUlS10_E_NS1_11comp_targetILNS1_3genE2ELNS1_11target_archE906ELNS1_3gpuE6ELNS1_3repE0EEENS1_48merge_mergepath_partition_config_static_selectorELNS0_4arch9wavefront6targetE0EEEvSM_
		.amdhsa_group_segment_fixed_size 0
		.amdhsa_private_segment_fixed_size 0
		.amdhsa_kernarg_size 48
		.amdhsa_user_sgpr_count 6
		.amdhsa_user_sgpr_private_segment_buffer 1
		.amdhsa_user_sgpr_dispatch_ptr 0
		.amdhsa_user_sgpr_queue_ptr 0
		.amdhsa_user_sgpr_kernarg_segment_ptr 1
		.amdhsa_user_sgpr_dispatch_id 0
		.amdhsa_user_sgpr_flat_scratch_init 0
		.amdhsa_user_sgpr_private_segment_size 0
		.amdhsa_wavefront_size32 1
		.amdhsa_uses_dynamic_stack 0
		.amdhsa_system_sgpr_private_segment_wavefront_offset 0
		.amdhsa_system_sgpr_workgroup_id_x 1
		.amdhsa_system_sgpr_workgroup_id_y 0
		.amdhsa_system_sgpr_workgroup_id_z 0
		.amdhsa_system_sgpr_workgroup_info 0
		.amdhsa_system_vgpr_workitem_id 0
		.amdhsa_next_free_vgpr 1
		.amdhsa_next_free_sgpr 1
		.amdhsa_reserve_vcc 0
		.amdhsa_reserve_flat_scratch 0
		.amdhsa_float_round_mode_32 0
		.amdhsa_float_round_mode_16_64 0
		.amdhsa_float_denorm_mode_32 3
		.amdhsa_float_denorm_mode_16_64 3
		.amdhsa_dx10_clamp 1
		.amdhsa_ieee_mode 1
		.amdhsa_fp16_overflow 0
		.amdhsa_workgroup_processor_mode 1
		.amdhsa_memory_ordered 1
		.amdhsa_forward_progress 1
		.amdhsa_shared_vgpr_count 0
		.amdhsa_exception_fp_ieee_invalid_op 0
		.amdhsa_exception_fp_denorm_src 0
		.amdhsa_exception_fp_ieee_div_zero 0
		.amdhsa_exception_fp_ieee_overflow 0
		.amdhsa_exception_fp_ieee_underflow 0
		.amdhsa_exception_fp_ieee_inexact 0
		.amdhsa_exception_int_div_zero 0
	.end_amdhsa_kernel
	.section	.text._ZN7rocprim17ROCPRIM_400000_NS6detail17trampoline_kernelINS0_14default_configENS1_38merge_sort_block_merge_config_selectorIN6thrust23THRUST_200600_302600_NS4pairIiiEENS0_10empty_typeEEEZZNS1_27merge_sort_block_merge_implIS3_NS6_6detail15normal_iteratorINS6_10device_ptrIS8_EEEEPS9_mNS6_4lessIS8_EEEE10hipError_tT0_T1_T2_jT3_P12ihipStream_tbPNSt15iterator_traitsISL_E10value_typeEPNSR_ISM_E10value_typeEPSN_NS1_7vsmem_tEENKUlT_SL_SM_SN_E_clISG_PS8_SH_SH_EESK_S10_SL_SM_SN_EUlS10_E_NS1_11comp_targetILNS1_3genE2ELNS1_11target_archE906ELNS1_3gpuE6ELNS1_3repE0EEENS1_48merge_mergepath_partition_config_static_selectorELNS0_4arch9wavefront6targetE0EEEvSM_,"axG",@progbits,_ZN7rocprim17ROCPRIM_400000_NS6detail17trampoline_kernelINS0_14default_configENS1_38merge_sort_block_merge_config_selectorIN6thrust23THRUST_200600_302600_NS4pairIiiEENS0_10empty_typeEEEZZNS1_27merge_sort_block_merge_implIS3_NS6_6detail15normal_iteratorINS6_10device_ptrIS8_EEEEPS9_mNS6_4lessIS8_EEEE10hipError_tT0_T1_T2_jT3_P12ihipStream_tbPNSt15iterator_traitsISL_E10value_typeEPNSR_ISM_E10value_typeEPSN_NS1_7vsmem_tEENKUlT_SL_SM_SN_E_clISG_PS8_SH_SH_EESK_S10_SL_SM_SN_EUlS10_E_NS1_11comp_targetILNS1_3genE2ELNS1_11target_archE906ELNS1_3gpuE6ELNS1_3repE0EEENS1_48merge_mergepath_partition_config_static_selectorELNS0_4arch9wavefront6targetE0EEEvSM_,comdat
.Lfunc_end662:
	.size	_ZN7rocprim17ROCPRIM_400000_NS6detail17trampoline_kernelINS0_14default_configENS1_38merge_sort_block_merge_config_selectorIN6thrust23THRUST_200600_302600_NS4pairIiiEENS0_10empty_typeEEEZZNS1_27merge_sort_block_merge_implIS3_NS6_6detail15normal_iteratorINS6_10device_ptrIS8_EEEEPS9_mNS6_4lessIS8_EEEE10hipError_tT0_T1_T2_jT3_P12ihipStream_tbPNSt15iterator_traitsISL_E10value_typeEPNSR_ISM_E10value_typeEPSN_NS1_7vsmem_tEENKUlT_SL_SM_SN_E_clISG_PS8_SH_SH_EESK_S10_SL_SM_SN_EUlS10_E_NS1_11comp_targetILNS1_3genE2ELNS1_11target_archE906ELNS1_3gpuE6ELNS1_3repE0EEENS1_48merge_mergepath_partition_config_static_selectorELNS0_4arch9wavefront6targetE0EEEvSM_, .Lfunc_end662-_ZN7rocprim17ROCPRIM_400000_NS6detail17trampoline_kernelINS0_14default_configENS1_38merge_sort_block_merge_config_selectorIN6thrust23THRUST_200600_302600_NS4pairIiiEENS0_10empty_typeEEEZZNS1_27merge_sort_block_merge_implIS3_NS6_6detail15normal_iteratorINS6_10device_ptrIS8_EEEEPS9_mNS6_4lessIS8_EEEE10hipError_tT0_T1_T2_jT3_P12ihipStream_tbPNSt15iterator_traitsISL_E10value_typeEPNSR_ISM_E10value_typeEPSN_NS1_7vsmem_tEENKUlT_SL_SM_SN_E_clISG_PS8_SH_SH_EESK_S10_SL_SM_SN_EUlS10_E_NS1_11comp_targetILNS1_3genE2ELNS1_11target_archE906ELNS1_3gpuE6ELNS1_3repE0EEENS1_48merge_mergepath_partition_config_static_selectorELNS0_4arch9wavefront6targetE0EEEvSM_
                                        ; -- End function
	.set _ZN7rocprim17ROCPRIM_400000_NS6detail17trampoline_kernelINS0_14default_configENS1_38merge_sort_block_merge_config_selectorIN6thrust23THRUST_200600_302600_NS4pairIiiEENS0_10empty_typeEEEZZNS1_27merge_sort_block_merge_implIS3_NS6_6detail15normal_iteratorINS6_10device_ptrIS8_EEEEPS9_mNS6_4lessIS8_EEEE10hipError_tT0_T1_T2_jT3_P12ihipStream_tbPNSt15iterator_traitsISL_E10value_typeEPNSR_ISM_E10value_typeEPSN_NS1_7vsmem_tEENKUlT_SL_SM_SN_E_clISG_PS8_SH_SH_EESK_S10_SL_SM_SN_EUlS10_E_NS1_11comp_targetILNS1_3genE2ELNS1_11target_archE906ELNS1_3gpuE6ELNS1_3repE0EEENS1_48merge_mergepath_partition_config_static_selectorELNS0_4arch9wavefront6targetE0EEEvSM_.num_vgpr, 0
	.set _ZN7rocprim17ROCPRIM_400000_NS6detail17trampoline_kernelINS0_14default_configENS1_38merge_sort_block_merge_config_selectorIN6thrust23THRUST_200600_302600_NS4pairIiiEENS0_10empty_typeEEEZZNS1_27merge_sort_block_merge_implIS3_NS6_6detail15normal_iteratorINS6_10device_ptrIS8_EEEEPS9_mNS6_4lessIS8_EEEE10hipError_tT0_T1_T2_jT3_P12ihipStream_tbPNSt15iterator_traitsISL_E10value_typeEPNSR_ISM_E10value_typeEPSN_NS1_7vsmem_tEENKUlT_SL_SM_SN_E_clISG_PS8_SH_SH_EESK_S10_SL_SM_SN_EUlS10_E_NS1_11comp_targetILNS1_3genE2ELNS1_11target_archE906ELNS1_3gpuE6ELNS1_3repE0EEENS1_48merge_mergepath_partition_config_static_selectorELNS0_4arch9wavefront6targetE0EEEvSM_.num_agpr, 0
	.set _ZN7rocprim17ROCPRIM_400000_NS6detail17trampoline_kernelINS0_14default_configENS1_38merge_sort_block_merge_config_selectorIN6thrust23THRUST_200600_302600_NS4pairIiiEENS0_10empty_typeEEEZZNS1_27merge_sort_block_merge_implIS3_NS6_6detail15normal_iteratorINS6_10device_ptrIS8_EEEEPS9_mNS6_4lessIS8_EEEE10hipError_tT0_T1_T2_jT3_P12ihipStream_tbPNSt15iterator_traitsISL_E10value_typeEPNSR_ISM_E10value_typeEPSN_NS1_7vsmem_tEENKUlT_SL_SM_SN_E_clISG_PS8_SH_SH_EESK_S10_SL_SM_SN_EUlS10_E_NS1_11comp_targetILNS1_3genE2ELNS1_11target_archE906ELNS1_3gpuE6ELNS1_3repE0EEENS1_48merge_mergepath_partition_config_static_selectorELNS0_4arch9wavefront6targetE0EEEvSM_.numbered_sgpr, 0
	.set _ZN7rocprim17ROCPRIM_400000_NS6detail17trampoline_kernelINS0_14default_configENS1_38merge_sort_block_merge_config_selectorIN6thrust23THRUST_200600_302600_NS4pairIiiEENS0_10empty_typeEEEZZNS1_27merge_sort_block_merge_implIS3_NS6_6detail15normal_iteratorINS6_10device_ptrIS8_EEEEPS9_mNS6_4lessIS8_EEEE10hipError_tT0_T1_T2_jT3_P12ihipStream_tbPNSt15iterator_traitsISL_E10value_typeEPNSR_ISM_E10value_typeEPSN_NS1_7vsmem_tEENKUlT_SL_SM_SN_E_clISG_PS8_SH_SH_EESK_S10_SL_SM_SN_EUlS10_E_NS1_11comp_targetILNS1_3genE2ELNS1_11target_archE906ELNS1_3gpuE6ELNS1_3repE0EEENS1_48merge_mergepath_partition_config_static_selectorELNS0_4arch9wavefront6targetE0EEEvSM_.num_named_barrier, 0
	.set _ZN7rocprim17ROCPRIM_400000_NS6detail17trampoline_kernelINS0_14default_configENS1_38merge_sort_block_merge_config_selectorIN6thrust23THRUST_200600_302600_NS4pairIiiEENS0_10empty_typeEEEZZNS1_27merge_sort_block_merge_implIS3_NS6_6detail15normal_iteratorINS6_10device_ptrIS8_EEEEPS9_mNS6_4lessIS8_EEEE10hipError_tT0_T1_T2_jT3_P12ihipStream_tbPNSt15iterator_traitsISL_E10value_typeEPNSR_ISM_E10value_typeEPSN_NS1_7vsmem_tEENKUlT_SL_SM_SN_E_clISG_PS8_SH_SH_EESK_S10_SL_SM_SN_EUlS10_E_NS1_11comp_targetILNS1_3genE2ELNS1_11target_archE906ELNS1_3gpuE6ELNS1_3repE0EEENS1_48merge_mergepath_partition_config_static_selectorELNS0_4arch9wavefront6targetE0EEEvSM_.private_seg_size, 0
	.set _ZN7rocprim17ROCPRIM_400000_NS6detail17trampoline_kernelINS0_14default_configENS1_38merge_sort_block_merge_config_selectorIN6thrust23THRUST_200600_302600_NS4pairIiiEENS0_10empty_typeEEEZZNS1_27merge_sort_block_merge_implIS3_NS6_6detail15normal_iteratorINS6_10device_ptrIS8_EEEEPS9_mNS6_4lessIS8_EEEE10hipError_tT0_T1_T2_jT3_P12ihipStream_tbPNSt15iterator_traitsISL_E10value_typeEPNSR_ISM_E10value_typeEPSN_NS1_7vsmem_tEENKUlT_SL_SM_SN_E_clISG_PS8_SH_SH_EESK_S10_SL_SM_SN_EUlS10_E_NS1_11comp_targetILNS1_3genE2ELNS1_11target_archE906ELNS1_3gpuE6ELNS1_3repE0EEENS1_48merge_mergepath_partition_config_static_selectorELNS0_4arch9wavefront6targetE0EEEvSM_.uses_vcc, 0
	.set _ZN7rocprim17ROCPRIM_400000_NS6detail17trampoline_kernelINS0_14default_configENS1_38merge_sort_block_merge_config_selectorIN6thrust23THRUST_200600_302600_NS4pairIiiEENS0_10empty_typeEEEZZNS1_27merge_sort_block_merge_implIS3_NS6_6detail15normal_iteratorINS6_10device_ptrIS8_EEEEPS9_mNS6_4lessIS8_EEEE10hipError_tT0_T1_T2_jT3_P12ihipStream_tbPNSt15iterator_traitsISL_E10value_typeEPNSR_ISM_E10value_typeEPSN_NS1_7vsmem_tEENKUlT_SL_SM_SN_E_clISG_PS8_SH_SH_EESK_S10_SL_SM_SN_EUlS10_E_NS1_11comp_targetILNS1_3genE2ELNS1_11target_archE906ELNS1_3gpuE6ELNS1_3repE0EEENS1_48merge_mergepath_partition_config_static_selectorELNS0_4arch9wavefront6targetE0EEEvSM_.uses_flat_scratch, 0
	.set _ZN7rocprim17ROCPRIM_400000_NS6detail17trampoline_kernelINS0_14default_configENS1_38merge_sort_block_merge_config_selectorIN6thrust23THRUST_200600_302600_NS4pairIiiEENS0_10empty_typeEEEZZNS1_27merge_sort_block_merge_implIS3_NS6_6detail15normal_iteratorINS6_10device_ptrIS8_EEEEPS9_mNS6_4lessIS8_EEEE10hipError_tT0_T1_T2_jT3_P12ihipStream_tbPNSt15iterator_traitsISL_E10value_typeEPNSR_ISM_E10value_typeEPSN_NS1_7vsmem_tEENKUlT_SL_SM_SN_E_clISG_PS8_SH_SH_EESK_S10_SL_SM_SN_EUlS10_E_NS1_11comp_targetILNS1_3genE2ELNS1_11target_archE906ELNS1_3gpuE6ELNS1_3repE0EEENS1_48merge_mergepath_partition_config_static_selectorELNS0_4arch9wavefront6targetE0EEEvSM_.has_dyn_sized_stack, 0
	.set _ZN7rocprim17ROCPRIM_400000_NS6detail17trampoline_kernelINS0_14default_configENS1_38merge_sort_block_merge_config_selectorIN6thrust23THRUST_200600_302600_NS4pairIiiEENS0_10empty_typeEEEZZNS1_27merge_sort_block_merge_implIS3_NS6_6detail15normal_iteratorINS6_10device_ptrIS8_EEEEPS9_mNS6_4lessIS8_EEEE10hipError_tT0_T1_T2_jT3_P12ihipStream_tbPNSt15iterator_traitsISL_E10value_typeEPNSR_ISM_E10value_typeEPSN_NS1_7vsmem_tEENKUlT_SL_SM_SN_E_clISG_PS8_SH_SH_EESK_S10_SL_SM_SN_EUlS10_E_NS1_11comp_targetILNS1_3genE2ELNS1_11target_archE906ELNS1_3gpuE6ELNS1_3repE0EEENS1_48merge_mergepath_partition_config_static_selectorELNS0_4arch9wavefront6targetE0EEEvSM_.has_recursion, 0
	.set _ZN7rocprim17ROCPRIM_400000_NS6detail17trampoline_kernelINS0_14default_configENS1_38merge_sort_block_merge_config_selectorIN6thrust23THRUST_200600_302600_NS4pairIiiEENS0_10empty_typeEEEZZNS1_27merge_sort_block_merge_implIS3_NS6_6detail15normal_iteratorINS6_10device_ptrIS8_EEEEPS9_mNS6_4lessIS8_EEEE10hipError_tT0_T1_T2_jT3_P12ihipStream_tbPNSt15iterator_traitsISL_E10value_typeEPNSR_ISM_E10value_typeEPSN_NS1_7vsmem_tEENKUlT_SL_SM_SN_E_clISG_PS8_SH_SH_EESK_S10_SL_SM_SN_EUlS10_E_NS1_11comp_targetILNS1_3genE2ELNS1_11target_archE906ELNS1_3gpuE6ELNS1_3repE0EEENS1_48merge_mergepath_partition_config_static_selectorELNS0_4arch9wavefront6targetE0EEEvSM_.has_indirect_call, 0
	.section	.AMDGPU.csdata,"",@progbits
; Kernel info:
; codeLenInByte = 0
; TotalNumSgprs: 0
; NumVgprs: 0
; ScratchSize: 0
; MemoryBound: 0
; FloatMode: 240
; IeeeMode: 1
; LDSByteSize: 0 bytes/workgroup (compile time only)
; SGPRBlocks: 0
; VGPRBlocks: 0
; NumSGPRsForWavesPerEU: 1
; NumVGPRsForWavesPerEU: 1
; Occupancy: 16
; WaveLimiterHint : 0
; COMPUTE_PGM_RSRC2:SCRATCH_EN: 0
; COMPUTE_PGM_RSRC2:USER_SGPR: 6
; COMPUTE_PGM_RSRC2:TRAP_HANDLER: 0
; COMPUTE_PGM_RSRC2:TGID_X_EN: 1
; COMPUTE_PGM_RSRC2:TGID_Y_EN: 0
; COMPUTE_PGM_RSRC2:TGID_Z_EN: 0
; COMPUTE_PGM_RSRC2:TIDIG_COMP_CNT: 0
	.section	.text._ZN7rocprim17ROCPRIM_400000_NS6detail17trampoline_kernelINS0_14default_configENS1_38merge_sort_block_merge_config_selectorIN6thrust23THRUST_200600_302600_NS4pairIiiEENS0_10empty_typeEEEZZNS1_27merge_sort_block_merge_implIS3_NS6_6detail15normal_iteratorINS6_10device_ptrIS8_EEEEPS9_mNS6_4lessIS8_EEEE10hipError_tT0_T1_T2_jT3_P12ihipStream_tbPNSt15iterator_traitsISL_E10value_typeEPNSR_ISM_E10value_typeEPSN_NS1_7vsmem_tEENKUlT_SL_SM_SN_E_clISG_PS8_SH_SH_EESK_S10_SL_SM_SN_EUlS10_E_NS1_11comp_targetILNS1_3genE9ELNS1_11target_archE1100ELNS1_3gpuE3ELNS1_3repE0EEENS1_48merge_mergepath_partition_config_static_selectorELNS0_4arch9wavefront6targetE0EEEvSM_,"axG",@progbits,_ZN7rocprim17ROCPRIM_400000_NS6detail17trampoline_kernelINS0_14default_configENS1_38merge_sort_block_merge_config_selectorIN6thrust23THRUST_200600_302600_NS4pairIiiEENS0_10empty_typeEEEZZNS1_27merge_sort_block_merge_implIS3_NS6_6detail15normal_iteratorINS6_10device_ptrIS8_EEEEPS9_mNS6_4lessIS8_EEEE10hipError_tT0_T1_T2_jT3_P12ihipStream_tbPNSt15iterator_traitsISL_E10value_typeEPNSR_ISM_E10value_typeEPSN_NS1_7vsmem_tEENKUlT_SL_SM_SN_E_clISG_PS8_SH_SH_EESK_S10_SL_SM_SN_EUlS10_E_NS1_11comp_targetILNS1_3genE9ELNS1_11target_archE1100ELNS1_3gpuE3ELNS1_3repE0EEENS1_48merge_mergepath_partition_config_static_selectorELNS0_4arch9wavefront6targetE0EEEvSM_,comdat
	.protected	_ZN7rocprim17ROCPRIM_400000_NS6detail17trampoline_kernelINS0_14default_configENS1_38merge_sort_block_merge_config_selectorIN6thrust23THRUST_200600_302600_NS4pairIiiEENS0_10empty_typeEEEZZNS1_27merge_sort_block_merge_implIS3_NS6_6detail15normal_iteratorINS6_10device_ptrIS8_EEEEPS9_mNS6_4lessIS8_EEEE10hipError_tT0_T1_T2_jT3_P12ihipStream_tbPNSt15iterator_traitsISL_E10value_typeEPNSR_ISM_E10value_typeEPSN_NS1_7vsmem_tEENKUlT_SL_SM_SN_E_clISG_PS8_SH_SH_EESK_S10_SL_SM_SN_EUlS10_E_NS1_11comp_targetILNS1_3genE9ELNS1_11target_archE1100ELNS1_3gpuE3ELNS1_3repE0EEENS1_48merge_mergepath_partition_config_static_selectorELNS0_4arch9wavefront6targetE0EEEvSM_ ; -- Begin function _ZN7rocprim17ROCPRIM_400000_NS6detail17trampoline_kernelINS0_14default_configENS1_38merge_sort_block_merge_config_selectorIN6thrust23THRUST_200600_302600_NS4pairIiiEENS0_10empty_typeEEEZZNS1_27merge_sort_block_merge_implIS3_NS6_6detail15normal_iteratorINS6_10device_ptrIS8_EEEEPS9_mNS6_4lessIS8_EEEE10hipError_tT0_T1_T2_jT3_P12ihipStream_tbPNSt15iterator_traitsISL_E10value_typeEPNSR_ISM_E10value_typeEPSN_NS1_7vsmem_tEENKUlT_SL_SM_SN_E_clISG_PS8_SH_SH_EESK_S10_SL_SM_SN_EUlS10_E_NS1_11comp_targetILNS1_3genE9ELNS1_11target_archE1100ELNS1_3gpuE3ELNS1_3repE0EEENS1_48merge_mergepath_partition_config_static_selectorELNS0_4arch9wavefront6targetE0EEEvSM_
	.globl	_ZN7rocprim17ROCPRIM_400000_NS6detail17trampoline_kernelINS0_14default_configENS1_38merge_sort_block_merge_config_selectorIN6thrust23THRUST_200600_302600_NS4pairIiiEENS0_10empty_typeEEEZZNS1_27merge_sort_block_merge_implIS3_NS6_6detail15normal_iteratorINS6_10device_ptrIS8_EEEEPS9_mNS6_4lessIS8_EEEE10hipError_tT0_T1_T2_jT3_P12ihipStream_tbPNSt15iterator_traitsISL_E10value_typeEPNSR_ISM_E10value_typeEPSN_NS1_7vsmem_tEENKUlT_SL_SM_SN_E_clISG_PS8_SH_SH_EESK_S10_SL_SM_SN_EUlS10_E_NS1_11comp_targetILNS1_3genE9ELNS1_11target_archE1100ELNS1_3gpuE3ELNS1_3repE0EEENS1_48merge_mergepath_partition_config_static_selectorELNS0_4arch9wavefront6targetE0EEEvSM_
	.p2align	8
	.type	_ZN7rocprim17ROCPRIM_400000_NS6detail17trampoline_kernelINS0_14default_configENS1_38merge_sort_block_merge_config_selectorIN6thrust23THRUST_200600_302600_NS4pairIiiEENS0_10empty_typeEEEZZNS1_27merge_sort_block_merge_implIS3_NS6_6detail15normal_iteratorINS6_10device_ptrIS8_EEEEPS9_mNS6_4lessIS8_EEEE10hipError_tT0_T1_T2_jT3_P12ihipStream_tbPNSt15iterator_traitsISL_E10value_typeEPNSR_ISM_E10value_typeEPSN_NS1_7vsmem_tEENKUlT_SL_SM_SN_E_clISG_PS8_SH_SH_EESK_S10_SL_SM_SN_EUlS10_E_NS1_11comp_targetILNS1_3genE9ELNS1_11target_archE1100ELNS1_3gpuE3ELNS1_3repE0EEENS1_48merge_mergepath_partition_config_static_selectorELNS0_4arch9wavefront6targetE0EEEvSM_,@function
_ZN7rocprim17ROCPRIM_400000_NS6detail17trampoline_kernelINS0_14default_configENS1_38merge_sort_block_merge_config_selectorIN6thrust23THRUST_200600_302600_NS4pairIiiEENS0_10empty_typeEEEZZNS1_27merge_sort_block_merge_implIS3_NS6_6detail15normal_iteratorINS6_10device_ptrIS8_EEEEPS9_mNS6_4lessIS8_EEEE10hipError_tT0_T1_T2_jT3_P12ihipStream_tbPNSt15iterator_traitsISL_E10value_typeEPNSR_ISM_E10value_typeEPSN_NS1_7vsmem_tEENKUlT_SL_SM_SN_E_clISG_PS8_SH_SH_EESK_S10_SL_SM_SN_EUlS10_E_NS1_11comp_targetILNS1_3genE9ELNS1_11target_archE1100ELNS1_3gpuE3ELNS1_3repE0EEENS1_48merge_mergepath_partition_config_static_selectorELNS0_4arch9wavefront6targetE0EEEvSM_: ; @_ZN7rocprim17ROCPRIM_400000_NS6detail17trampoline_kernelINS0_14default_configENS1_38merge_sort_block_merge_config_selectorIN6thrust23THRUST_200600_302600_NS4pairIiiEENS0_10empty_typeEEEZZNS1_27merge_sort_block_merge_implIS3_NS6_6detail15normal_iteratorINS6_10device_ptrIS8_EEEEPS9_mNS6_4lessIS8_EEEE10hipError_tT0_T1_T2_jT3_P12ihipStream_tbPNSt15iterator_traitsISL_E10value_typeEPNSR_ISM_E10value_typeEPSN_NS1_7vsmem_tEENKUlT_SL_SM_SN_E_clISG_PS8_SH_SH_EESK_S10_SL_SM_SN_EUlS10_E_NS1_11comp_targetILNS1_3genE9ELNS1_11target_archE1100ELNS1_3gpuE3ELNS1_3repE0EEENS1_48merge_mergepath_partition_config_static_selectorELNS0_4arch9wavefront6targetE0EEEvSM_
; %bb.0:
	.section	.rodata,"a",@progbits
	.p2align	6, 0x0
	.amdhsa_kernel _ZN7rocprim17ROCPRIM_400000_NS6detail17trampoline_kernelINS0_14default_configENS1_38merge_sort_block_merge_config_selectorIN6thrust23THRUST_200600_302600_NS4pairIiiEENS0_10empty_typeEEEZZNS1_27merge_sort_block_merge_implIS3_NS6_6detail15normal_iteratorINS6_10device_ptrIS8_EEEEPS9_mNS6_4lessIS8_EEEE10hipError_tT0_T1_T2_jT3_P12ihipStream_tbPNSt15iterator_traitsISL_E10value_typeEPNSR_ISM_E10value_typeEPSN_NS1_7vsmem_tEENKUlT_SL_SM_SN_E_clISG_PS8_SH_SH_EESK_S10_SL_SM_SN_EUlS10_E_NS1_11comp_targetILNS1_3genE9ELNS1_11target_archE1100ELNS1_3gpuE3ELNS1_3repE0EEENS1_48merge_mergepath_partition_config_static_selectorELNS0_4arch9wavefront6targetE0EEEvSM_
		.amdhsa_group_segment_fixed_size 0
		.amdhsa_private_segment_fixed_size 0
		.amdhsa_kernarg_size 48
		.amdhsa_user_sgpr_count 6
		.amdhsa_user_sgpr_private_segment_buffer 1
		.amdhsa_user_sgpr_dispatch_ptr 0
		.amdhsa_user_sgpr_queue_ptr 0
		.amdhsa_user_sgpr_kernarg_segment_ptr 1
		.amdhsa_user_sgpr_dispatch_id 0
		.amdhsa_user_sgpr_flat_scratch_init 0
		.amdhsa_user_sgpr_private_segment_size 0
		.amdhsa_wavefront_size32 1
		.amdhsa_uses_dynamic_stack 0
		.amdhsa_system_sgpr_private_segment_wavefront_offset 0
		.amdhsa_system_sgpr_workgroup_id_x 1
		.amdhsa_system_sgpr_workgroup_id_y 0
		.amdhsa_system_sgpr_workgroup_id_z 0
		.amdhsa_system_sgpr_workgroup_info 0
		.amdhsa_system_vgpr_workitem_id 0
		.amdhsa_next_free_vgpr 1
		.amdhsa_next_free_sgpr 1
		.amdhsa_reserve_vcc 0
		.amdhsa_reserve_flat_scratch 0
		.amdhsa_float_round_mode_32 0
		.amdhsa_float_round_mode_16_64 0
		.amdhsa_float_denorm_mode_32 3
		.amdhsa_float_denorm_mode_16_64 3
		.amdhsa_dx10_clamp 1
		.amdhsa_ieee_mode 1
		.amdhsa_fp16_overflow 0
		.amdhsa_workgroup_processor_mode 1
		.amdhsa_memory_ordered 1
		.amdhsa_forward_progress 1
		.amdhsa_shared_vgpr_count 0
		.amdhsa_exception_fp_ieee_invalid_op 0
		.amdhsa_exception_fp_denorm_src 0
		.amdhsa_exception_fp_ieee_div_zero 0
		.amdhsa_exception_fp_ieee_overflow 0
		.amdhsa_exception_fp_ieee_underflow 0
		.amdhsa_exception_fp_ieee_inexact 0
		.amdhsa_exception_int_div_zero 0
	.end_amdhsa_kernel
	.section	.text._ZN7rocprim17ROCPRIM_400000_NS6detail17trampoline_kernelINS0_14default_configENS1_38merge_sort_block_merge_config_selectorIN6thrust23THRUST_200600_302600_NS4pairIiiEENS0_10empty_typeEEEZZNS1_27merge_sort_block_merge_implIS3_NS6_6detail15normal_iteratorINS6_10device_ptrIS8_EEEEPS9_mNS6_4lessIS8_EEEE10hipError_tT0_T1_T2_jT3_P12ihipStream_tbPNSt15iterator_traitsISL_E10value_typeEPNSR_ISM_E10value_typeEPSN_NS1_7vsmem_tEENKUlT_SL_SM_SN_E_clISG_PS8_SH_SH_EESK_S10_SL_SM_SN_EUlS10_E_NS1_11comp_targetILNS1_3genE9ELNS1_11target_archE1100ELNS1_3gpuE3ELNS1_3repE0EEENS1_48merge_mergepath_partition_config_static_selectorELNS0_4arch9wavefront6targetE0EEEvSM_,"axG",@progbits,_ZN7rocprim17ROCPRIM_400000_NS6detail17trampoline_kernelINS0_14default_configENS1_38merge_sort_block_merge_config_selectorIN6thrust23THRUST_200600_302600_NS4pairIiiEENS0_10empty_typeEEEZZNS1_27merge_sort_block_merge_implIS3_NS6_6detail15normal_iteratorINS6_10device_ptrIS8_EEEEPS9_mNS6_4lessIS8_EEEE10hipError_tT0_T1_T2_jT3_P12ihipStream_tbPNSt15iterator_traitsISL_E10value_typeEPNSR_ISM_E10value_typeEPSN_NS1_7vsmem_tEENKUlT_SL_SM_SN_E_clISG_PS8_SH_SH_EESK_S10_SL_SM_SN_EUlS10_E_NS1_11comp_targetILNS1_3genE9ELNS1_11target_archE1100ELNS1_3gpuE3ELNS1_3repE0EEENS1_48merge_mergepath_partition_config_static_selectorELNS0_4arch9wavefront6targetE0EEEvSM_,comdat
.Lfunc_end663:
	.size	_ZN7rocprim17ROCPRIM_400000_NS6detail17trampoline_kernelINS0_14default_configENS1_38merge_sort_block_merge_config_selectorIN6thrust23THRUST_200600_302600_NS4pairIiiEENS0_10empty_typeEEEZZNS1_27merge_sort_block_merge_implIS3_NS6_6detail15normal_iteratorINS6_10device_ptrIS8_EEEEPS9_mNS6_4lessIS8_EEEE10hipError_tT0_T1_T2_jT3_P12ihipStream_tbPNSt15iterator_traitsISL_E10value_typeEPNSR_ISM_E10value_typeEPSN_NS1_7vsmem_tEENKUlT_SL_SM_SN_E_clISG_PS8_SH_SH_EESK_S10_SL_SM_SN_EUlS10_E_NS1_11comp_targetILNS1_3genE9ELNS1_11target_archE1100ELNS1_3gpuE3ELNS1_3repE0EEENS1_48merge_mergepath_partition_config_static_selectorELNS0_4arch9wavefront6targetE0EEEvSM_, .Lfunc_end663-_ZN7rocprim17ROCPRIM_400000_NS6detail17trampoline_kernelINS0_14default_configENS1_38merge_sort_block_merge_config_selectorIN6thrust23THRUST_200600_302600_NS4pairIiiEENS0_10empty_typeEEEZZNS1_27merge_sort_block_merge_implIS3_NS6_6detail15normal_iteratorINS6_10device_ptrIS8_EEEEPS9_mNS6_4lessIS8_EEEE10hipError_tT0_T1_T2_jT3_P12ihipStream_tbPNSt15iterator_traitsISL_E10value_typeEPNSR_ISM_E10value_typeEPSN_NS1_7vsmem_tEENKUlT_SL_SM_SN_E_clISG_PS8_SH_SH_EESK_S10_SL_SM_SN_EUlS10_E_NS1_11comp_targetILNS1_3genE9ELNS1_11target_archE1100ELNS1_3gpuE3ELNS1_3repE0EEENS1_48merge_mergepath_partition_config_static_selectorELNS0_4arch9wavefront6targetE0EEEvSM_
                                        ; -- End function
	.set _ZN7rocprim17ROCPRIM_400000_NS6detail17trampoline_kernelINS0_14default_configENS1_38merge_sort_block_merge_config_selectorIN6thrust23THRUST_200600_302600_NS4pairIiiEENS0_10empty_typeEEEZZNS1_27merge_sort_block_merge_implIS3_NS6_6detail15normal_iteratorINS6_10device_ptrIS8_EEEEPS9_mNS6_4lessIS8_EEEE10hipError_tT0_T1_T2_jT3_P12ihipStream_tbPNSt15iterator_traitsISL_E10value_typeEPNSR_ISM_E10value_typeEPSN_NS1_7vsmem_tEENKUlT_SL_SM_SN_E_clISG_PS8_SH_SH_EESK_S10_SL_SM_SN_EUlS10_E_NS1_11comp_targetILNS1_3genE9ELNS1_11target_archE1100ELNS1_3gpuE3ELNS1_3repE0EEENS1_48merge_mergepath_partition_config_static_selectorELNS0_4arch9wavefront6targetE0EEEvSM_.num_vgpr, 0
	.set _ZN7rocprim17ROCPRIM_400000_NS6detail17trampoline_kernelINS0_14default_configENS1_38merge_sort_block_merge_config_selectorIN6thrust23THRUST_200600_302600_NS4pairIiiEENS0_10empty_typeEEEZZNS1_27merge_sort_block_merge_implIS3_NS6_6detail15normal_iteratorINS6_10device_ptrIS8_EEEEPS9_mNS6_4lessIS8_EEEE10hipError_tT0_T1_T2_jT3_P12ihipStream_tbPNSt15iterator_traitsISL_E10value_typeEPNSR_ISM_E10value_typeEPSN_NS1_7vsmem_tEENKUlT_SL_SM_SN_E_clISG_PS8_SH_SH_EESK_S10_SL_SM_SN_EUlS10_E_NS1_11comp_targetILNS1_3genE9ELNS1_11target_archE1100ELNS1_3gpuE3ELNS1_3repE0EEENS1_48merge_mergepath_partition_config_static_selectorELNS0_4arch9wavefront6targetE0EEEvSM_.num_agpr, 0
	.set _ZN7rocprim17ROCPRIM_400000_NS6detail17trampoline_kernelINS0_14default_configENS1_38merge_sort_block_merge_config_selectorIN6thrust23THRUST_200600_302600_NS4pairIiiEENS0_10empty_typeEEEZZNS1_27merge_sort_block_merge_implIS3_NS6_6detail15normal_iteratorINS6_10device_ptrIS8_EEEEPS9_mNS6_4lessIS8_EEEE10hipError_tT0_T1_T2_jT3_P12ihipStream_tbPNSt15iterator_traitsISL_E10value_typeEPNSR_ISM_E10value_typeEPSN_NS1_7vsmem_tEENKUlT_SL_SM_SN_E_clISG_PS8_SH_SH_EESK_S10_SL_SM_SN_EUlS10_E_NS1_11comp_targetILNS1_3genE9ELNS1_11target_archE1100ELNS1_3gpuE3ELNS1_3repE0EEENS1_48merge_mergepath_partition_config_static_selectorELNS0_4arch9wavefront6targetE0EEEvSM_.numbered_sgpr, 0
	.set _ZN7rocprim17ROCPRIM_400000_NS6detail17trampoline_kernelINS0_14default_configENS1_38merge_sort_block_merge_config_selectorIN6thrust23THRUST_200600_302600_NS4pairIiiEENS0_10empty_typeEEEZZNS1_27merge_sort_block_merge_implIS3_NS6_6detail15normal_iteratorINS6_10device_ptrIS8_EEEEPS9_mNS6_4lessIS8_EEEE10hipError_tT0_T1_T2_jT3_P12ihipStream_tbPNSt15iterator_traitsISL_E10value_typeEPNSR_ISM_E10value_typeEPSN_NS1_7vsmem_tEENKUlT_SL_SM_SN_E_clISG_PS8_SH_SH_EESK_S10_SL_SM_SN_EUlS10_E_NS1_11comp_targetILNS1_3genE9ELNS1_11target_archE1100ELNS1_3gpuE3ELNS1_3repE0EEENS1_48merge_mergepath_partition_config_static_selectorELNS0_4arch9wavefront6targetE0EEEvSM_.num_named_barrier, 0
	.set _ZN7rocprim17ROCPRIM_400000_NS6detail17trampoline_kernelINS0_14default_configENS1_38merge_sort_block_merge_config_selectorIN6thrust23THRUST_200600_302600_NS4pairIiiEENS0_10empty_typeEEEZZNS1_27merge_sort_block_merge_implIS3_NS6_6detail15normal_iteratorINS6_10device_ptrIS8_EEEEPS9_mNS6_4lessIS8_EEEE10hipError_tT0_T1_T2_jT3_P12ihipStream_tbPNSt15iterator_traitsISL_E10value_typeEPNSR_ISM_E10value_typeEPSN_NS1_7vsmem_tEENKUlT_SL_SM_SN_E_clISG_PS8_SH_SH_EESK_S10_SL_SM_SN_EUlS10_E_NS1_11comp_targetILNS1_3genE9ELNS1_11target_archE1100ELNS1_3gpuE3ELNS1_3repE0EEENS1_48merge_mergepath_partition_config_static_selectorELNS0_4arch9wavefront6targetE0EEEvSM_.private_seg_size, 0
	.set _ZN7rocprim17ROCPRIM_400000_NS6detail17trampoline_kernelINS0_14default_configENS1_38merge_sort_block_merge_config_selectorIN6thrust23THRUST_200600_302600_NS4pairIiiEENS0_10empty_typeEEEZZNS1_27merge_sort_block_merge_implIS3_NS6_6detail15normal_iteratorINS6_10device_ptrIS8_EEEEPS9_mNS6_4lessIS8_EEEE10hipError_tT0_T1_T2_jT3_P12ihipStream_tbPNSt15iterator_traitsISL_E10value_typeEPNSR_ISM_E10value_typeEPSN_NS1_7vsmem_tEENKUlT_SL_SM_SN_E_clISG_PS8_SH_SH_EESK_S10_SL_SM_SN_EUlS10_E_NS1_11comp_targetILNS1_3genE9ELNS1_11target_archE1100ELNS1_3gpuE3ELNS1_3repE0EEENS1_48merge_mergepath_partition_config_static_selectorELNS0_4arch9wavefront6targetE0EEEvSM_.uses_vcc, 0
	.set _ZN7rocprim17ROCPRIM_400000_NS6detail17trampoline_kernelINS0_14default_configENS1_38merge_sort_block_merge_config_selectorIN6thrust23THRUST_200600_302600_NS4pairIiiEENS0_10empty_typeEEEZZNS1_27merge_sort_block_merge_implIS3_NS6_6detail15normal_iteratorINS6_10device_ptrIS8_EEEEPS9_mNS6_4lessIS8_EEEE10hipError_tT0_T1_T2_jT3_P12ihipStream_tbPNSt15iterator_traitsISL_E10value_typeEPNSR_ISM_E10value_typeEPSN_NS1_7vsmem_tEENKUlT_SL_SM_SN_E_clISG_PS8_SH_SH_EESK_S10_SL_SM_SN_EUlS10_E_NS1_11comp_targetILNS1_3genE9ELNS1_11target_archE1100ELNS1_3gpuE3ELNS1_3repE0EEENS1_48merge_mergepath_partition_config_static_selectorELNS0_4arch9wavefront6targetE0EEEvSM_.uses_flat_scratch, 0
	.set _ZN7rocprim17ROCPRIM_400000_NS6detail17trampoline_kernelINS0_14default_configENS1_38merge_sort_block_merge_config_selectorIN6thrust23THRUST_200600_302600_NS4pairIiiEENS0_10empty_typeEEEZZNS1_27merge_sort_block_merge_implIS3_NS6_6detail15normal_iteratorINS6_10device_ptrIS8_EEEEPS9_mNS6_4lessIS8_EEEE10hipError_tT0_T1_T2_jT3_P12ihipStream_tbPNSt15iterator_traitsISL_E10value_typeEPNSR_ISM_E10value_typeEPSN_NS1_7vsmem_tEENKUlT_SL_SM_SN_E_clISG_PS8_SH_SH_EESK_S10_SL_SM_SN_EUlS10_E_NS1_11comp_targetILNS1_3genE9ELNS1_11target_archE1100ELNS1_3gpuE3ELNS1_3repE0EEENS1_48merge_mergepath_partition_config_static_selectorELNS0_4arch9wavefront6targetE0EEEvSM_.has_dyn_sized_stack, 0
	.set _ZN7rocprim17ROCPRIM_400000_NS6detail17trampoline_kernelINS0_14default_configENS1_38merge_sort_block_merge_config_selectorIN6thrust23THRUST_200600_302600_NS4pairIiiEENS0_10empty_typeEEEZZNS1_27merge_sort_block_merge_implIS3_NS6_6detail15normal_iteratorINS6_10device_ptrIS8_EEEEPS9_mNS6_4lessIS8_EEEE10hipError_tT0_T1_T2_jT3_P12ihipStream_tbPNSt15iterator_traitsISL_E10value_typeEPNSR_ISM_E10value_typeEPSN_NS1_7vsmem_tEENKUlT_SL_SM_SN_E_clISG_PS8_SH_SH_EESK_S10_SL_SM_SN_EUlS10_E_NS1_11comp_targetILNS1_3genE9ELNS1_11target_archE1100ELNS1_3gpuE3ELNS1_3repE0EEENS1_48merge_mergepath_partition_config_static_selectorELNS0_4arch9wavefront6targetE0EEEvSM_.has_recursion, 0
	.set _ZN7rocprim17ROCPRIM_400000_NS6detail17trampoline_kernelINS0_14default_configENS1_38merge_sort_block_merge_config_selectorIN6thrust23THRUST_200600_302600_NS4pairIiiEENS0_10empty_typeEEEZZNS1_27merge_sort_block_merge_implIS3_NS6_6detail15normal_iteratorINS6_10device_ptrIS8_EEEEPS9_mNS6_4lessIS8_EEEE10hipError_tT0_T1_T2_jT3_P12ihipStream_tbPNSt15iterator_traitsISL_E10value_typeEPNSR_ISM_E10value_typeEPSN_NS1_7vsmem_tEENKUlT_SL_SM_SN_E_clISG_PS8_SH_SH_EESK_S10_SL_SM_SN_EUlS10_E_NS1_11comp_targetILNS1_3genE9ELNS1_11target_archE1100ELNS1_3gpuE3ELNS1_3repE0EEENS1_48merge_mergepath_partition_config_static_selectorELNS0_4arch9wavefront6targetE0EEEvSM_.has_indirect_call, 0
	.section	.AMDGPU.csdata,"",@progbits
; Kernel info:
; codeLenInByte = 0
; TotalNumSgprs: 0
; NumVgprs: 0
; ScratchSize: 0
; MemoryBound: 0
; FloatMode: 240
; IeeeMode: 1
; LDSByteSize: 0 bytes/workgroup (compile time only)
; SGPRBlocks: 0
; VGPRBlocks: 0
; NumSGPRsForWavesPerEU: 1
; NumVGPRsForWavesPerEU: 1
; Occupancy: 16
; WaveLimiterHint : 0
; COMPUTE_PGM_RSRC2:SCRATCH_EN: 0
; COMPUTE_PGM_RSRC2:USER_SGPR: 6
; COMPUTE_PGM_RSRC2:TRAP_HANDLER: 0
; COMPUTE_PGM_RSRC2:TGID_X_EN: 1
; COMPUTE_PGM_RSRC2:TGID_Y_EN: 0
; COMPUTE_PGM_RSRC2:TGID_Z_EN: 0
; COMPUTE_PGM_RSRC2:TIDIG_COMP_CNT: 0
	.section	.text._ZN7rocprim17ROCPRIM_400000_NS6detail17trampoline_kernelINS0_14default_configENS1_38merge_sort_block_merge_config_selectorIN6thrust23THRUST_200600_302600_NS4pairIiiEENS0_10empty_typeEEEZZNS1_27merge_sort_block_merge_implIS3_NS6_6detail15normal_iteratorINS6_10device_ptrIS8_EEEEPS9_mNS6_4lessIS8_EEEE10hipError_tT0_T1_T2_jT3_P12ihipStream_tbPNSt15iterator_traitsISL_E10value_typeEPNSR_ISM_E10value_typeEPSN_NS1_7vsmem_tEENKUlT_SL_SM_SN_E_clISG_PS8_SH_SH_EESK_S10_SL_SM_SN_EUlS10_E_NS1_11comp_targetILNS1_3genE8ELNS1_11target_archE1030ELNS1_3gpuE2ELNS1_3repE0EEENS1_48merge_mergepath_partition_config_static_selectorELNS0_4arch9wavefront6targetE0EEEvSM_,"axG",@progbits,_ZN7rocprim17ROCPRIM_400000_NS6detail17trampoline_kernelINS0_14default_configENS1_38merge_sort_block_merge_config_selectorIN6thrust23THRUST_200600_302600_NS4pairIiiEENS0_10empty_typeEEEZZNS1_27merge_sort_block_merge_implIS3_NS6_6detail15normal_iteratorINS6_10device_ptrIS8_EEEEPS9_mNS6_4lessIS8_EEEE10hipError_tT0_T1_T2_jT3_P12ihipStream_tbPNSt15iterator_traitsISL_E10value_typeEPNSR_ISM_E10value_typeEPSN_NS1_7vsmem_tEENKUlT_SL_SM_SN_E_clISG_PS8_SH_SH_EESK_S10_SL_SM_SN_EUlS10_E_NS1_11comp_targetILNS1_3genE8ELNS1_11target_archE1030ELNS1_3gpuE2ELNS1_3repE0EEENS1_48merge_mergepath_partition_config_static_selectorELNS0_4arch9wavefront6targetE0EEEvSM_,comdat
	.protected	_ZN7rocprim17ROCPRIM_400000_NS6detail17trampoline_kernelINS0_14default_configENS1_38merge_sort_block_merge_config_selectorIN6thrust23THRUST_200600_302600_NS4pairIiiEENS0_10empty_typeEEEZZNS1_27merge_sort_block_merge_implIS3_NS6_6detail15normal_iteratorINS6_10device_ptrIS8_EEEEPS9_mNS6_4lessIS8_EEEE10hipError_tT0_T1_T2_jT3_P12ihipStream_tbPNSt15iterator_traitsISL_E10value_typeEPNSR_ISM_E10value_typeEPSN_NS1_7vsmem_tEENKUlT_SL_SM_SN_E_clISG_PS8_SH_SH_EESK_S10_SL_SM_SN_EUlS10_E_NS1_11comp_targetILNS1_3genE8ELNS1_11target_archE1030ELNS1_3gpuE2ELNS1_3repE0EEENS1_48merge_mergepath_partition_config_static_selectorELNS0_4arch9wavefront6targetE0EEEvSM_ ; -- Begin function _ZN7rocprim17ROCPRIM_400000_NS6detail17trampoline_kernelINS0_14default_configENS1_38merge_sort_block_merge_config_selectorIN6thrust23THRUST_200600_302600_NS4pairIiiEENS0_10empty_typeEEEZZNS1_27merge_sort_block_merge_implIS3_NS6_6detail15normal_iteratorINS6_10device_ptrIS8_EEEEPS9_mNS6_4lessIS8_EEEE10hipError_tT0_T1_T2_jT3_P12ihipStream_tbPNSt15iterator_traitsISL_E10value_typeEPNSR_ISM_E10value_typeEPSN_NS1_7vsmem_tEENKUlT_SL_SM_SN_E_clISG_PS8_SH_SH_EESK_S10_SL_SM_SN_EUlS10_E_NS1_11comp_targetILNS1_3genE8ELNS1_11target_archE1030ELNS1_3gpuE2ELNS1_3repE0EEENS1_48merge_mergepath_partition_config_static_selectorELNS0_4arch9wavefront6targetE0EEEvSM_
	.globl	_ZN7rocprim17ROCPRIM_400000_NS6detail17trampoline_kernelINS0_14default_configENS1_38merge_sort_block_merge_config_selectorIN6thrust23THRUST_200600_302600_NS4pairIiiEENS0_10empty_typeEEEZZNS1_27merge_sort_block_merge_implIS3_NS6_6detail15normal_iteratorINS6_10device_ptrIS8_EEEEPS9_mNS6_4lessIS8_EEEE10hipError_tT0_T1_T2_jT3_P12ihipStream_tbPNSt15iterator_traitsISL_E10value_typeEPNSR_ISM_E10value_typeEPSN_NS1_7vsmem_tEENKUlT_SL_SM_SN_E_clISG_PS8_SH_SH_EESK_S10_SL_SM_SN_EUlS10_E_NS1_11comp_targetILNS1_3genE8ELNS1_11target_archE1030ELNS1_3gpuE2ELNS1_3repE0EEENS1_48merge_mergepath_partition_config_static_selectorELNS0_4arch9wavefront6targetE0EEEvSM_
	.p2align	8
	.type	_ZN7rocprim17ROCPRIM_400000_NS6detail17trampoline_kernelINS0_14default_configENS1_38merge_sort_block_merge_config_selectorIN6thrust23THRUST_200600_302600_NS4pairIiiEENS0_10empty_typeEEEZZNS1_27merge_sort_block_merge_implIS3_NS6_6detail15normal_iteratorINS6_10device_ptrIS8_EEEEPS9_mNS6_4lessIS8_EEEE10hipError_tT0_T1_T2_jT3_P12ihipStream_tbPNSt15iterator_traitsISL_E10value_typeEPNSR_ISM_E10value_typeEPSN_NS1_7vsmem_tEENKUlT_SL_SM_SN_E_clISG_PS8_SH_SH_EESK_S10_SL_SM_SN_EUlS10_E_NS1_11comp_targetILNS1_3genE8ELNS1_11target_archE1030ELNS1_3gpuE2ELNS1_3repE0EEENS1_48merge_mergepath_partition_config_static_selectorELNS0_4arch9wavefront6targetE0EEEvSM_,@function
_ZN7rocprim17ROCPRIM_400000_NS6detail17trampoline_kernelINS0_14default_configENS1_38merge_sort_block_merge_config_selectorIN6thrust23THRUST_200600_302600_NS4pairIiiEENS0_10empty_typeEEEZZNS1_27merge_sort_block_merge_implIS3_NS6_6detail15normal_iteratorINS6_10device_ptrIS8_EEEEPS9_mNS6_4lessIS8_EEEE10hipError_tT0_T1_T2_jT3_P12ihipStream_tbPNSt15iterator_traitsISL_E10value_typeEPNSR_ISM_E10value_typeEPSN_NS1_7vsmem_tEENKUlT_SL_SM_SN_E_clISG_PS8_SH_SH_EESK_S10_SL_SM_SN_EUlS10_E_NS1_11comp_targetILNS1_3genE8ELNS1_11target_archE1030ELNS1_3gpuE2ELNS1_3repE0EEENS1_48merge_mergepath_partition_config_static_selectorELNS0_4arch9wavefront6targetE0EEEvSM_: ; @_ZN7rocprim17ROCPRIM_400000_NS6detail17trampoline_kernelINS0_14default_configENS1_38merge_sort_block_merge_config_selectorIN6thrust23THRUST_200600_302600_NS4pairIiiEENS0_10empty_typeEEEZZNS1_27merge_sort_block_merge_implIS3_NS6_6detail15normal_iteratorINS6_10device_ptrIS8_EEEEPS9_mNS6_4lessIS8_EEEE10hipError_tT0_T1_T2_jT3_P12ihipStream_tbPNSt15iterator_traitsISL_E10value_typeEPNSR_ISM_E10value_typeEPSN_NS1_7vsmem_tEENKUlT_SL_SM_SN_E_clISG_PS8_SH_SH_EESK_S10_SL_SM_SN_EUlS10_E_NS1_11comp_targetILNS1_3genE8ELNS1_11target_archE1030ELNS1_3gpuE2ELNS1_3repE0EEENS1_48merge_mergepath_partition_config_static_selectorELNS0_4arch9wavefront6targetE0EEEvSM_
; %bb.0:
	s_load_dword s0, s[4:5], 0x0
	v_lshl_or_b32 v0, s6, 7, v0
	s_waitcnt lgkmcnt(0)
	v_cmp_gt_u32_e32 vcc_lo, s0, v0
	s_and_saveexec_b32 s0, vcc_lo
	s_cbranch_execz .LBB664_6
; %bb.1:
	s_load_dwordx4 s[0:3], s[4:5], 0x8
	v_mov_b32_e32 v2, 0
	v_mov_b32_e32 v11, v2
	s_waitcnt lgkmcnt(0)
	s_lshr_b64 s[6:7], s[0:1], 9
	s_and_b32 s6, s6, -2
	s_sub_i32 s7, 0, s6
	s_add_i32 s6, s6, -1
	v_and_b32_e32 v1, s7, v0
	v_and_b32_e32 v10, s6, v0
	s_mov_b32 s7, 0
	s_mov_b32 s6, exec_lo
	v_lshlrev_b64 v[4:5], 10, v[1:2]
	v_add_co_u32 v6, vcc_lo, v4, s0
	v_add_co_ci_u32_e64 v7, null, s1, v5, vcc_lo
	v_cmp_lt_u64_e32 vcc_lo, s[2:3], v[6:7]
	v_cndmask_b32_e64 v8, v6, s2, vcc_lo
	v_cndmask_b32_e64 v9, v7, s3, vcc_lo
	v_add_co_u32 v6, vcc_lo, v8, s0
	v_add_co_ci_u32_e64 v7, null, s1, v9, vcc_lo
	v_cmp_lt_u64_e32 vcc_lo, s[2:3], v[4:5]
	v_cmp_lt_u64_e64 s0, s[2:3], v[6:7]
	v_cndmask_b32_e64 v2, v4, s2, vcc_lo
	v_cndmask_b32_e64 v3, v5, s3, vcc_lo
	v_lshlrev_b64 v[4:5], 10, v[10:11]
	v_cndmask_b32_e64 v12, v6, s2, s0
	v_cndmask_b32_e64 v1, v7, s3, s0
	s_load_dwordx2 s[2:3], s[4:5], 0x28
	v_sub_co_u32 v6, vcc_lo, v12, v2
	v_sub_co_ci_u32_e64 v7, null, v1, v3, vcc_lo
	v_cmp_lt_u64_e32 vcc_lo, v[6:7], v[4:5]
	v_cndmask_b32_e32 v11, v5, v7, vcc_lo
	v_cndmask_b32_e32 v10, v4, v6, vcc_lo
	v_sub_co_u32 v4, vcc_lo, v8, v12
	v_sub_co_ci_u32_e64 v1, null, v9, v1, vcc_lo
	v_add_co_u32 v4, vcc_lo, v10, v4
	v_add_co_ci_u32_e64 v5, null, v11, v1, vcc_lo
	v_sub_co_u32 v6, vcc_lo, v8, v2
	v_sub_co_ci_u32_e64 v7, null, v9, v3, vcc_lo
	v_cmp_gt_u64_e32 vcc_lo, v[4:5], v[10:11]
	v_cmp_lt_u64_e64 s0, v[10:11], v[6:7]
	v_cndmask_b32_e64 v5, v5, 0, vcc_lo
	v_cndmask_b32_e64 v4, v4, 0, vcc_lo
	v_cndmask_b32_e64 v7, v7, v11, s0
	v_cndmask_b32_e64 v6, v6, v10, s0
	v_cmpx_lt_u64_e64 v[4:5], v[6:7]
	s_cbranch_execz .LBB664_5
; %bb.2:
	s_load_dwordx2 s[0:1], s[4:5], 0x18
	v_lshlrev_b64 v[8:9], 3, v[8:9]
	v_lshlrev_b64 v[12:13], 3, v[2:3]
	;; [unrolled: 1-line block ×3, first 2 shown]
	s_waitcnt lgkmcnt(0)
	v_add_co_u32 v14, vcc_lo, s0, v8
	v_add_co_ci_u32_e64 v15, null, s1, v9, vcc_lo
	v_add_co_u32 v1, vcc_lo, s0, v12
	v_add_co_ci_u32_e64 v8, null, s1, v13, vcc_lo
	;; [unrolled: 2-line block ×3, first 2 shown]
	s_inst_prefetch 0x1
	.p2align	6
.LBB664_3:                              ; =>This Inner Loop Header: Depth=1
	v_add_co_u32 v11, vcc_lo, v6, v4
	v_add_co_ci_u32_e64 v12, null, v7, v5, vcc_lo
	v_lshrrev_b64 v[11:12], 1, v[11:12]
	v_lshlrev_b64 v[13:14], 3, v[11:12]
	v_xor_b32_e32 v15, -8, v13
	v_xor_b32_e32 v16, -1, v14
	v_add_co_u32 v13, vcc_lo, v1, v13
	v_add_co_ci_u32_e64 v14, null, v8, v14, vcc_lo
	v_add_co_u32 v15, vcc_lo, v9, v15
	v_add_co_ci_u32_e64 v16, null, v10, v16, vcc_lo
	v_add_co_u32 v17, vcc_lo, v11, 1
	flat_load_dwordx2 v[13:14], v[13:14]
	flat_load_dwordx2 v[15:16], v[15:16]
	v_add_co_ci_u32_e64 v18, null, 0, v12, vcc_lo
	s_waitcnt vmcnt(0) lgkmcnt(0)
	v_cmp_ge_i32_e32 vcc_lo, v13, v15
	v_cmp_lt_i32_e64 s0, v16, v14
	v_cmp_lt_i32_e64 s1, v15, v13
	s_and_b32 s0, vcc_lo, s0
	s_or_b32 vcc_lo, s1, s0
	v_cndmask_b32_e32 v7, v7, v12, vcc_lo
	v_cndmask_b32_e32 v6, v6, v11, vcc_lo
	;; [unrolled: 1-line block ×4, first 2 shown]
	v_cmp_ge_u64_e32 vcc_lo, v[4:5], v[6:7]
	s_or_b32 s7, vcc_lo, s7
	s_andn2_b32 exec_lo, exec_lo, s7
	s_cbranch_execnz .LBB664_3
; %bb.4:
	s_inst_prefetch 0x2
	s_or_b32 exec_lo, exec_lo, s7
.LBB664_5:
	s_or_b32 exec_lo, exec_lo, s6
	v_mov_b32_e32 v1, 0
	v_add_co_u32 v2, vcc_lo, v4, v2
	v_add_co_ci_u32_e64 v3, null, v5, v3, vcc_lo
	v_lshlrev_b64 v[0:1], 3, v[0:1]
	s_waitcnt lgkmcnt(0)
	v_add_co_u32 v0, vcc_lo, s2, v0
	v_add_co_ci_u32_e64 v1, null, s3, v1, vcc_lo
	global_store_dwordx2 v[0:1], v[2:3], off
.LBB664_6:
	s_endpgm
	.section	.rodata,"a",@progbits
	.p2align	6, 0x0
	.amdhsa_kernel _ZN7rocprim17ROCPRIM_400000_NS6detail17trampoline_kernelINS0_14default_configENS1_38merge_sort_block_merge_config_selectorIN6thrust23THRUST_200600_302600_NS4pairIiiEENS0_10empty_typeEEEZZNS1_27merge_sort_block_merge_implIS3_NS6_6detail15normal_iteratorINS6_10device_ptrIS8_EEEEPS9_mNS6_4lessIS8_EEEE10hipError_tT0_T1_T2_jT3_P12ihipStream_tbPNSt15iterator_traitsISL_E10value_typeEPNSR_ISM_E10value_typeEPSN_NS1_7vsmem_tEENKUlT_SL_SM_SN_E_clISG_PS8_SH_SH_EESK_S10_SL_SM_SN_EUlS10_E_NS1_11comp_targetILNS1_3genE8ELNS1_11target_archE1030ELNS1_3gpuE2ELNS1_3repE0EEENS1_48merge_mergepath_partition_config_static_selectorELNS0_4arch9wavefront6targetE0EEEvSM_
		.amdhsa_group_segment_fixed_size 0
		.amdhsa_private_segment_fixed_size 0
		.amdhsa_kernarg_size 48
		.amdhsa_user_sgpr_count 6
		.amdhsa_user_sgpr_private_segment_buffer 1
		.amdhsa_user_sgpr_dispatch_ptr 0
		.amdhsa_user_sgpr_queue_ptr 0
		.amdhsa_user_sgpr_kernarg_segment_ptr 1
		.amdhsa_user_sgpr_dispatch_id 0
		.amdhsa_user_sgpr_flat_scratch_init 0
		.amdhsa_user_sgpr_private_segment_size 0
		.amdhsa_wavefront_size32 1
		.amdhsa_uses_dynamic_stack 0
		.amdhsa_system_sgpr_private_segment_wavefront_offset 0
		.amdhsa_system_sgpr_workgroup_id_x 1
		.amdhsa_system_sgpr_workgroup_id_y 0
		.amdhsa_system_sgpr_workgroup_id_z 0
		.amdhsa_system_sgpr_workgroup_info 0
		.amdhsa_system_vgpr_workitem_id 0
		.amdhsa_next_free_vgpr 19
		.amdhsa_next_free_sgpr 8
		.amdhsa_reserve_vcc 1
		.amdhsa_reserve_flat_scratch 0
		.amdhsa_float_round_mode_32 0
		.amdhsa_float_round_mode_16_64 0
		.amdhsa_float_denorm_mode_32 3
		.amdhsa_float_denorm_mode_16_64 3
		.amdhsa_dx10_clamp 1
		.amdhsa_ieee_mode 1
		.amdhsa_fp16_overflow 0
		.amdhsa_workgroup_processor_mode 1
		.amdhsa_memory_ordered 1
		.amdhsa_forward_progress 1
		.amdhsa_shared_vgpr_count 0
		.amdhsa_exception_fp_ieee_invalid_op 0
		.amdhsa_exception_fp_denorm_src 0
		.amdhsa_exception_fp_ieee_div_zero 0
		.amdhsa_exception_fp_ieee_overflow 0
		.amdhsa_exception_fp_ieee_underflow 0
		.amdhsa_exception_fp_ieee_inexact 0
		.amdhsa_exception_int_div_zero 0
	.end_amdhsa_kernel
	.section	.text._ZN7rocprim17ROCPRIM_400000_NS6detail17trampoline_kernelINS0_14default_configENS1_38merge_sort_block_merge_config_selectorIN6thrust23THRUST_200600_302600_NS4pairIiiEENS0_10empty_typeEEEZZNS1_27merge_sort_block_merge_implIS3_NS6_6detail15normal_iteratorINS6_10device_ptrIS8_EEEEPS9_mNS6_4lessIS8_EEEE10hipError_tT0_T1_T2_jT3_P12ihipStream_tbPNSt15iterator_traitsISL_E10value_typeEPNSR_ISM_E10value_typeEPSN_NS1_7vsmem_tEENKUlT_SL_SM_SN_E_clISG_PS8_SH_SH_EESK_S10_SL_SM_SN_EUlS10_E_NS1_11comp_targetILNS1_3genE8ELNS1_11target_archE1030ELNS1_3gpuE2ELNS1_3repE0EEENS1_48merge_mergepath_partition_config_static_selectorELNS0_4arch9wavefront6targetE0EEEvSM_,"axG",@progbits,_ZN7rocprim17ROCPRIM_400000_NS6detail17trampoline_kernelINS0_14default_configENS1_38merge_sort_block_merge_config_selectorIN6thrust23THRUST_200600_302600_NS4pairIiiEENS0_10empty_typeEEEZZNS1_27merge_sort_block_merge_implIS3_NS6_6detail15normal_iteratorINS6_10device_ptrIS8_EEEEPS9_mNS6_4lessIS8_EEEE10hipError_tT0_T1_T2_jT3_P12ihipStream_tbPNSt15iterator_traitsISL_E10value_typeEPNSR_ISM_E10value_typeEPSN_NS1_7vsmem_tEENKUlT_SL_SM_SN_E_clISG_PS8_SH_SH_EESK_S10_SL_SM_SN_EUlS10_E_NS1_11comp_targetILNS1_3genE8ELNS1_11target_archE1030ELNS1_3gpuE2ELNS1_3repE0EEENS1_48merge_mergepath_partition_config_static_selectorELNS0_4arch9wavefront6targetE0EEEvSM_,comdat
.Lfunc_end664:
	.size	_ZN7rocprim17ROCPRIM_400000_NS6detail17trampoline_kernelINS0_14default_configENS1_38merge_sort_block_merge_config_selectorIN6thrust23THRUST_200600_302600_NS4pairIiiEENS0_10empty_typeEEEZZNS1_27merge_sort_block_merge_implIS3_NS6_6detail15normal_iteratorINS6_10device_ptrIS8_EEEEPS9_mNS6_4lessIS8_EEEE10hipError_tT0_T1_T2_jT3_P12ihipStream_tbPNSt15iterator_traitsISL_E10value_typeEPNSR_ISM_E10value_typeEPSN_NS1_7vsmem_tEENKUlT_SL_SM_SN_E_clISG_PS8_SH_SH_EESK_S10_SL_SM_SN_EUlS10_E_NS1_11comp_targetILNS1_3genE8ELNS1_11target_archE1030ELNS1_3gpuE2ELNS1_3repE0EEENS1_48merge_mergepath_partition_config_static_selectorELNS0_4arch9wavefront6targetE0EEEvSM_, .Lfunc_end664-_ZN7rocprim17ROCPRIM_400000_NS6detail17trampoline_kernelINS0_14default_configENS1_38merge_sort_block_merge_config_selectorIN6thrust23THRUST_200600_302600_NS4pairIiiEENS0_10empty_typeEEEZZNS1_27merge_sort_block_merge_implIS3_NS6_6detail15normal_iteratorINS6_10device_ptrIS8_EEEEPS9_mNS6_4lessIS8_EEEE10hipError_tT0_T1_T2_jT3_P12ihipStream_tbPNSt15iterator_traitsISL_E10value_typeEPNSR_ISM_E10value_typeEPSN_NS1_7vsmem_tEENKUlT_SL_SM_SN_E_clISG_PS8_SH_SH_EESK_S10_SL_SM_SN_EUlS10_E_NS1_11comp_targetILNS1_3genE8ELNS1_11target_archE1030ELNS1_3gpuE2ELNS1_3repE0EEENS1_48merge_mergepath_partition_config_static_selectorELNS0_4arch9wavefront6targetE0EEEvSM_
                                        ; -- End function
	.set _ZN7rocprim17ROCPRIM_400000_NS6detail17trampoline_kernelINS0_14default_configENS1_38merge_sort_block_merge_config_selectorIN6thrust23THRUST_200600_302600_NS4pairIiiEENS0_10empty_typeEEEZZNS1_27merge_sort_block_merge_implIS3_NS6_6detail15normal_iteratorINS6_10device_ptrIS8_EEEEPS9_mNS6_4lessIS8_EEEE10hipError_tT0_T1_T2_jT3_P12ihipStream_tbPNSt15iterator_traitsISL_E10value_typeEPNSR_ISM_E10value_typeEPSN_NS1_7vsmem_tEENKUlT_SL_SM_SN_E_clISG_PS8_SH_SH_EESK_S10_SL_SM_SN_EUlS10_E_NS1_11comp_targetILNS1_3genE8ELNS1_11target_archE1030ELNS1_3gpuE2ELNS1_3repE0EEENS1_48merge_mergepath_partition_config_static_selectorELNS0_4arch9wavefront6targetE0EEEvSM_.num_vgpr, 19
	.set _ZN7rocprim17ROCPRIM_400000_NS6detail17trampoline_kernelINS0_14default_configENS1_38merge_sort_block_merge_config_selectorIN6thrust23THRUST_200600_302600_NS4pairIiiEENS0_10empty_typeEEEZZNS1_27merge_sort_block_merge_implIS3_NS6_6detail15normal_iteratorINS6_10device_ptrIS8_EEEEPS9_mNS6_4lessIS8_EEEE10hipError_tT0_T1_T2_jT3_P12ihipStream_tbPNSt15iterator_traitsISL_E10value_typeEPNSR_ISM_E10value_typeEPSN_NS1_7vsmem_tEENKUlT_SL_SM_SN_E_clISG_PS8_SH_SH_EESK_S10_SL_SM_SN_EUlS10_E_NS1_11comp_targetILNS1_3genE8ELNS1_11target_archE1030ELNS1_3gpuE2ELNS1_3repE0EEENS1_48merge_mergepath_partition_config_static_selectorELNS0_4arch9wavefront6targetE0EEEvSM_.num_agpr, 0
	.set _ZN7rocprim17ROCPRIM_400000_NS6detail17trampoline_kernelINS0_14default_configENS1_38merge_sort_block_merge_config_selectorIN6thrust23THRUST_200600_302600_NS4pairIiiEENS0_10empty_typeEEEZZNS1_27merge_sort_block_merge_implIS3_NS6_6detail15normal_iteratorINS6_10device_ptrIS8_EEEEPS9_mNS6_4lessIS8_EEEE10hipError_tT0_T1_T2_jT3_P12ihipStream_tbPNSt15iterator_traitsISL_E10value_typeEPNSR_ISM_E10value_typeEPSN_NS1_7vsmem_tEENKUlT_SL_SM_SN_E_clISG_PS8_SH_SH_EESK_S10_SL_SM_SN_EUlS10_E_NS1_11comp_targetILNS1_3genE8ELNS1_11target_archE1030ELNS1_3gpuE2ELNS1_3repE0EEENS1_48merge_mergepath_partition_config_static_selectorELNS0_4arch9wavefront6targetE0EEEvSM_.numbered_sgpr, 8
	.set _ZN7rocprim17ROCPRIM_400000_NS6detail17trampoline_kernelINS0_14default_configENS1_38merge_sort_block_merge_config_selectorIN6thrust23THRUST_200600_302600_NS4pairIiiEENS0_10empty_typeEEEZZNS1_27merge_sort_block_merge_implIS3_NS6_6detail15normal_iteratorINS6_10device_ptrIS8_EEEEPS9_mNS6_4lessIS8_EEEE10hipError_tT0_T1_T2_jT3_P12ihipStream_tbPNSt15iterator_traitsISL_E10value_typeEPNSR_ISM_E10value_typeEPSN_NS1_7vsmem_tEENKUlT_SL_SM_SN_E_clISG_PS8_SH_SH_EESK_S10_SL_SM_SN_EUlS10_E_NS1_11comp_targetILNS1_3genE8ELNS1_11target_archE1030ELNS1_3gpuE2ELNS1_3repE0EEENS1_48merge_mergepath_partition_config_static_selectorELNS0_4arch9wavefront6targetE0EEEvSM_.num_named_barrier, 0
	.set _ZN7rocprim17ROCPRIM_400000_NS6detail17trampoline_kernelINS0_14default_configENS1_38merge_sort_block_merge_config_selectorIN6thrust23THRUST_200600_302600_NS4pairIiiEENS0_10empty_typeEEEZZNS1_27merge_sort_block_merge_implIS3_NS6_6detail15normal_iteratorINS6_10device_ptrIS8_EEEEPS9_mNS6_4lessIS8_EEEE10hipError_tT0_T1_T2_jT3_P12ihipStream_tbPNSt15iterator_traitsISL_E10value_typeEPNSR_ISM_E10value_typeEPSN_NS1_7vsmem_tEENKUlT_SL_SM_SN_E_clISG_PS8_SH_SH_EESK_S10_SL_SM_SN_EUlS10_E_NS1_11comp_targetILNS1_3genE8ELNS1_11target_archE1030ELNS1_3gpuE2ELNS1_3repE0EEENS1_48merge_mergepath_partition_config_static_selectorELNS0_4arch9wavefront6targetE0EEEvSM_.private_seg_size, 0
	.set _ZN7rocprim17ROCPRIM_400000_NS6detail17trampoline_kernelINS0_14default_configENS1_38merge_sort_block_merge_config_selectorIN6thrust23THRUST_200600_302600_NS4pairIiiEENS0_10empty_typeEEEZZNS1_27merge_sort_block_merge_implIS3_NS6_6detail15normal_iteratorINS6_10device_ptrIS8_EEEEPS9_mNS6_4lessIS8_EEEE10hipError_tT0_T1_T2_jT3_P12ihipStream_tbPNSt15iterator_traitsISL_E10value_typeEPNSR_ISM_E10value_typeEPSN_NS1_7vsmem_tEENKUlT_SL_SM_SN_E_clISG_PS8_SH_SH_EESK_S10_SL_SM_SN_EUlS10_E_NS1_11comp_targetILNS1_3genE8ELNS1_11target_archE1030ELNS1_3gpuE2ELNS1_3repE0EEENS1_48merge_mergepath_partition_config_static_selectorELNS0_4arch9wavefront6targetE0EEEvSM_.uses_vcc, 1
	.set _ZN7rocprim17ROCPRIM_400000_NS6detail17trampoline_kernelINS0_14default_configENS1_38merge_sort_block_merge_config_selectorIN6thrust23THRUST_200600_302600_NS4pairIiiEENS0_10empty_typeEEEZZNS1_27merge_sort_block_merge_implIS3_NS6_6detail15normal_iteratorINS6_10device_ptrIS8_EEEEPS9_mNS6_4lessIS8_EEEE10hipError_tT0_T1_T2_jT3_P12ihipStream_tbPNSt15iterator_traitsISL_E10value_typeEPNSR_ISM_E10value_typeEPSN_NS1_7vsmem_tEENKUlT_SL_SM_SN_E_clISG_PS8_SH_SH_EESK_S10_SL_SM_SN_EUlS10_E_NS1_11comp_targetILNS1_3genE8ELNS1_11target_archE1030ELNS1_3gpuE2ELNS1_3repE0EEENS1_48merge_mergepath_partition_config_static_selectorELNS0_4arch9wavefront6targetE0EEEvSM_.uses_flat_scratch, 0
	.set _ZN7rocprim17ROCPRIM_400000_NS6detail17trampoline_kernelINS0_14default_configENS1_38merge_sort_block_merge_config_selectorIN6thrust23THRUST_200600_302600_NS4pairIiiEENS0_10empty_typeEEEZZNS1_27merge_sort_block_merge_implIS3_NS6_6detail15normal_iteratorINS6_10device_ptrIS8_EEEEPS9_mNS6_4lessIS8_EEEE10hipError_tT0_T1_T2_jT3_P12ihipStream_tbPNSt15iterator_traitsISL_E10value_typeEPNSR_ISM_E10value_typeEPSN_NS1_7vsmem_tEENKUlT_SL_SM_SN_E_clISG_PS8_SH_SH_EESK_S10_SL_SM_SN_EUlS10_E_NS1_11comp_targetILNS1_3genE8ELNS1_11target_archE1030ELNS1_3gpuE2ELNS1_3repE0EEENS1_48merge_mergepath_partition_config_static_selectorELNS0_4arch9wavefront6targetE0EEEvSM_.has_dyn_sized_stack, 0
	.set _ZN7rocprim17ROCPRIM_400000_NS6detail17trampoline_kernelINS0_14default_configENS1_38merge_sort_block_merge_config_selectorIN6thrust23THRUST_200600_302600_NS4pairIiiEENS0_10empty_typeEEEZZNS1_27merge_sort_block_merge_implIS3_NS6_6detail15normal_iteratorINS6_10device_ptrIS8_EEEEPS9_mNS6_4lessIS8_EEEE10hipError_tT0_T1_T2_jT3_P12ihipStream_tbPNSt15iterator_traitsISL_E10value_typeEPNSR_ISM_E10value_typeEPSN_NS1_7vsmem_tEENKUlT_SL_SM_SN_E_clISG_PS8_SH_SH_EESK_S10_SL_SM_SN_EUlS10_E_NS1_11comp_targetILNS1_3genE8ELNS1_11target_archE1030ELNS1_3gpuE2ELNS1_3repE0EEENS1_48merge_mergepath_partition_config_static_selectorELNS0_4arch9wavefront6targetE0EEEvSM_.has_recursion, 0
	.set _ZN7rocprim17ROCPRIM_400000_NS6detail17trampoline_kernelINS0_14default_configENS1_38merge_sort_block_merge_config_selectorIN6thrust23THRUST_200600_302600_NS4pairIiiEENS0_10empty_typeEEEZZNS1_27merge_sort_block_merge_implIS3_NS6_6detail15normal_iteratorINS6_10device_ptrIS8_EEEEPS9_mNS6_4lessIS8_EEEE10hipError_tT0_T1_T2_jT3_P12ihipStream_tbPNSt15iterator_traitsISL_E10value_typeEPNSR_ISM_E10value_typeEPSN_NS1_7vsmem_tEENKUlT_SL_SM_SN_E_clISG_PS8_SH_SH_EESK_S10_SL_SM_SN_EUlS10_E_NS1_11comp_targetILNS1_3genE8ELNS1_11target_archE1030ELNS1_3gpuE2ELNS1_3repE0EEENS1_48merge_mergepath_partition_config_static_selectorELNS0_4arch9wavefront6targetE0EEEvSM_.has_indirect_call, 0
	.section	.AMDGPU.csdata,"",@progbits
; Kernel info:
; codeLenInByte = 688
; TotalNumSgprs: 10
; NumVgprs: 19
; ScratchSize: 0
; MemoryBound: 0
; FloatMode: 240
; IeeeMode: 1
; LDSByteSize: 0 bytes/workgroup (compile time only)
; SGPRBlocks: 0
; VGPRBlocks: 2
; NumSGPRsForWavesPerEU: 10
; NumVGPRsForWavesPerEU: 19
; Occupancy: 16
; WaveLimiterHint : 0
; COMPUTE_PGM_RSRC2:SCRATCH_EN: 0
; COMPUTE_PGM_RSRC2:USER_SGPR: 6
; COMPUTE_PGM_RSRC2:TRAP_HANDLER: 0
; COMPUTE_PGM_RSRC2:TGID_X_EN: 1
; COMPUTE_PGM_RSRC2:TGID_Y_EN: 0
; COMPUTE_PGM_RSRC2:TGID_Z_EN: 0
; COMPUTE_PGM_RSRC2:TIDIG_COMP_CNT: 0
	.section	.text._ZN7rocprim17ROCPRIM_400000_NS6detail17trampoline_kernelINS0_14default_configENS1_38merge_sort_block_merge_config_selectorIN6thrust23THRUST_200600_302600_NS4pairIiiEENS0_10empty_typeEEEZZNS1_27merge_sort_block_merge_implIS3_NS6_6detail15normal_iteratorINS6_10device_ptrIS8_EEEEPS9_mNS6_4lessIS8_EEEE10hipError_tT0_T1_T2_jT3_P12ihipStream_tbPNSt15iterator_traitsISL_E10value_typeEPNSR_ISM_E10value_typeEPSN_NS1_7vsmem_tEENKUlT_SL_SM_SN_E_clISG_PS8_SH_SH_EESK_S10_SL_SM_SN_EUlS10_E0_NS1_11comp_targetILNS1_3genE0ELNS1_11target_archE4294967295ELNS1_3gpuE0ELNS1_3repE0EEENS1_38merge_mergepath_config_static_selectorELNS0_4arch9wavefront6targetE0EEEvSM_,"axG",@progbits,_ZN7rocprim17ROCPRIM_400000_NS6detail17trampoline_kernelINS0_14default_configENS1_38merge_sort_block_merge_config_selectorIN6thrust23THRUST_200600_302600_NS4pairIiiEENS0_10empty_typeEEEZZNS1_27merge_sort_block_merge_implIS3_NS6_6detail15normal_iteratorINS6_10device_ptrIS8_EEEEPS9_mNS6_4lessIS8_EEEE10hipError_tT0_T1_T2_jT3_P12ihipStream_tbPNSt15iterator_traitsISL_E10value_typeEPNSR_ISM_E10value_typeEPSN_NS1_7vsmem_tEENKUlT_SL_SM_SN_E_clISG_PS8_SH_SH_EESK_S10_SL_SM_SN_EUlS10_E0_NS1_11comp_targetILNS1_3genE0ELNS1_11target_archE4294967295ELNS1_3gpuE0ELNS1_3repE0EEENS1_38merge_mergepath_config_static_selectorELNS0_4arch9wavefront6targetE0EEEvSM_,comdat
	.protected	_ZN7rocprim17ROCPRIM_400000_NS6detail17trampoline_kernelINS0_14default_configENS1_38merge_sort_block_merge_config_selectorIN6thrust23THRUST_200600_302600_NS4pairIiiEENS0_10empty_typeEEEZZNS1_27merge_sort_block_merge_implIS3_NS6_6detail15normal_iteratorINS6_10device_ptrIS8_EEEEPS9_mNS6_4lessIS8_EEEE10hipError_tT0_T1_T2_jT3_P12ihipStream_tbPNSt15iterator_traitsISL_E10value_typeEPNSR_ISM_E10value_typeEPSN_NS1_7vsmem_tEENKUlT_SL_SM_SN_E_clISG_PS8_SH_SH_EESK_S10_SL_SM_SN_EUlS10_E0_NS1_11comp_targetILNS1_3genE0ELNS1_11target_archE4294967295ELNS1_3gpuE0ELNS1_3repE0EEENS1_38merge_mergepath_config_static_selectorELNS0_4arch9wavefront6targetE0EEEvSM_ ; -- Begin function _ZN7rocprim17ROCPRIM_400000_NS6detail17trampoline_kernelINS0_14default_configENS1_38merge_sort_block_merge_config_selectorIN6thrust23THRUST_200600_302600_NS4pairIiiEENS0_10empty_typeEEEZZNS1_27merge_sort_block_merge_implIS3_NS6_6detail15normal_iteratorINS6_10device_ptrIS8_EEEEPS9_mNS6_4lessIS8_EEEE10hipError_tT0_T1_T2_jT3_P12ihipStream_tbPNSt15iterator_traitsISL_E10value_typeEPNSR_ISM_E10value_typeEPSN_NS1_7vsmem_tEENKUlT_SL_SM_SN_E_clISG_PS8_SH_SH_EESK_S10_SL_SM_SN_EUlS10_E0_NS1_11comp_targetILNS1_3genE0ELNS1_11target_archE4294967295ELNS1_3gpuE0ELNS1_3repE0EEENS1_38merge_mergepath_config_static_selectorELNS0_4arch9wavefront6targetE0EEEvSM_
	.globl	_ZN7rocprim17ROCPRIM_400000_NS6detail17trampoline_kernelINS0_14default_configENS1_38merge_sort_block_merge_config_selectorIN6thrust23THRUST_200600_302600_NS4pairIiiEENS0_10empty_typeEEEZZNS1_27merge_sort_block_merge_implIS3_NS6_6detail15normal_iteratorINS6_10device_ptrIS8_EEEEPS9_mNS6_4lessIS8_EEEE10hipError_tT0_T1_T2_jT3_P12ihipStream_tbPNSt15iterator_traitsISL_E10value_typeEPNSR_ISM_E10value_typeEPSN_NS1_7vsmem_tEENKUlT_SL_SM_SN_E_clISG_PS8_SH_SH_EESK_S10_SL_SM_SN_EUlS10_E0_NS1_11comp_targetILNS1_3genE0ELNS1_11target_archE4294967295ELNS1_3gpuE0ELNS1_3repE0EEENS1_38merge_mergepath_config_static_selectorELNS0_4arch9wavefront6targetE0EEEvSM_
	.p2align	8
	.type	_ZN7rocprim17ROCPRIM_400000_NS6detail17trampoline_kernelINS0_14default_configENS1_38merge_sort_block_merge_config_selectorIN6thrust23THRUST_200600_302600_NS4pairIiiEENS0_10empty_typeEEEZZNS1_27merge_sort_block_merge_implIS3_NS6_6detail15normal_iteratorINS6_10device_ptrIS8_EEEEPS9_mNS6_4lessIS8_EEEE10hipError_tT0_T1_T2_jT3_P12ihipStream_tbPNSt15iterator_traitsISL_E10value_typeEPNSR_ISM_E10value_typeEPSN_NS1_7vsmem_tEENKUlT_SL_SM_SN_E_clISG_PS8_SH_SH_EESK_S10_SL_SM_SN_EUlS10_E0_NS1_11comp_targetILNS1_3genE0ELNS1_11target_archE4294967295ELNS1_3gpuE0ELNS1_3repE0EEENS1_38merge_mergepath_config_static_selectorELNS0_4arch9wavefront6targetE0EEEvSM_,@function
_ZN7rocprim17ROCPRIM_400000_NS6detail17trampoline_kernelINS0_14default_configENS1_38merge_sort_block_merge_config_selectorIN6thrust23THRUST_200600_302600_NS4pairIiiEENS0_10empty_typeEEEZZNS1_27merge_sort_block_merge_implIS3_NS6_6detail15normal_iteratorINS6_10device_ptrIS8_EEEEPS9_mNS6_4lessIS8_EEEE10hipError_tT0_T1_T2_jT3_P12ihipStream_tbPNSt15iterator_traitsISL_E10value_typeEPNSR_ISM_E10value_typeEPSN_NS1_7vsmem_tEENKUlT_SL_SM_SN_E_clISG_PS8_SH_SH_EESK_S10_SL_SM_SN_EUlS10_E0_NS1_11comp_targetILNS1_3genE0ELNS1_11target_archE4294967295ELNS1_3gpuE0ELNS1_3repE0EEENS1_38merge_mergepath_config_static_selectorELNS0_4arch9wavefront6targetE0EEEvSM_: ; @_ZN7rocprim17ROCPRIM_400000_NS6detail17trampoline_kernelINS0_14default_configENS1_38merge_sort_block_merge_config_selectorIN6thrust23THRUST_200600_302600_NS4pairIiiEENS0_10empty_typeEEEZZNS1_27merge_sort_block_merge_implIS3_NS6_6detail15normal_iteratorINS6_10device_ptrIS8_EEEEPS9_mNS6_4lessIS8_EEEE10hipError_tT0_T1_T2_jT3_P12ihipStream_tbPNSt15iterator_traitsISL_E10value_typeEPNSR_ISM_E10value_typeEPSN_NS1_7vsmem_tEENKUlT_SL_SM_SN_E_clISG_PS8_SH_SH_EESK_S10_SL_SM_SN_EUlS10_E0_NS1_11comp_targetILNS1_3genE0ELNS1_11target_archE4294967295ELNS1_3gpuE0ELNS1_3repE0EEENS1_38merge_mergepath_config_static_selectorELNS0_4arch9wavefront6targetE0EEEvSM_
; %bb.0:
	.section	.rodata,"a",@progbits
	.p2align	6, 0x0
	.amdhsa_kernel _ZN7rocprim17ROCPRIM_400000_NS6detail17trampoline_kernelINS0_14default_configENS1_38merge_sort_block_merge_config_selectorIN6thrust23THRUST_200600_302600_NS4pairIiiEENS0_10empty_typeEEEZZNS1_27merge_sort_block_merge_implIS3_NS6_6detail15normal_iteratorINS6_10device_ptrIS8_EEEEPS9_mNS6_4lessIS8_EEEE10hipError_tT0_T1_T2_jT3_P12ihipStream_tbPNSt15iterator_traitsISL_E10value_typeEPNSR_ISM_E10value_typeEPSN_NS1_7vsmem_tEENKUlT_SL_SM_SN_E_clISG_PS8_SH_SH_EESK_S10_SL_SM_SN_EUlS10_E0_NS1_11comp_targetILNS1_3genE0ELNS1_11target_archE4294967295ELNS1_3gpuE0ELNS1_3repE0EEENS1_38merge_mergepath_config_static_selectorELNS0_4arch9wavefront6targetE0EEEvSM_
		.amdhsa_group_segment_fixed_size 0
		.amdhsa_private_segment_fixed_size 0
		.amdhsa_kernarg_size 72
		.amdhsa_user_sgpr_count 6
		.amdhsa_user_sgpr_private_segment_buffer 1
		.amdhsa_user_sgpr_dispatch_ptr 0
		.amdhsa_user_sgpr_queue_ptr 0
		.amdhsa_user_sgpr_kernarg_segment_ptr 1
		.amdhsa_user_sgpr_dispatch_id 0
		.amdhsa_user_sgpr_flat_scratch_init 0
		.amdhsa_user_sgpr_private_segment_size 0
		.amdhsa_wavefront_size32 1
		.amdhsa_uses_dynamic_stack 0
		.amdhsa_system_sgpr_private_segment_wavefront_offset 0
		.amdhsa_system_sgpr_workgroup_id_x 1
		.amdhsa_system_sgpr_workgroup_id_y 0
		.amdhsa_system_sgpr_workgroup_id_z 0
		.amdhsa_system_sgpr_workgroup_info 0
		.amdhsa_system_vgpr_workitem_id 0
		.amdhsa_next_free_vgpr 1
		.amdhsa_next_free_sgpr 1
		.amdhsa_reserve_vcc 0
		.amdhsa_reserve_flat_scratch 0
		.amdhsa_float_round_mode_32 0
		.amdhsa_float_round_mode_16_64 0
		.amdhsa_float_denorm_mode_32 3
		.amdhsa_float_denorm_mode_16_64 3
		.amdhsa_dx10_clamp 1
		.amdhsa_ieee_mode 1
		.amdhsa_fp16_overflow 0
		.amdhsa_workgroup_processor_mode 1
		.amdhsa_memory_ordered 1
		.amdhsa_forward_progress 1
		.amdhsa_shared_vgpr_count 0
		.amdhsa_exception_fp_ieee_invalid_op 0
		.amdhsa_exception_fp_denorm_src 0
		.amdhsa_exception_fp_ieee_div_zero 0
		.amdhsa_exception_fp_ieee_overflow 0
		.amdhsa_exception_fp_ieee_underflow 0
		.amdhsa_exception_fp_ieee_inexact 0
		.amdhsa_exception_int_div_zero 0
	.end_amdhsa_kernel
	.section	.text._ZN7rocprim17ROCPRIM_400000_NS6detail17trampoline_kernelINS0_14default_configENS1_38merge_sort_block_merge_config_selectorIN6thrust23THRUST_200600_302600_NS4pairIiiEENS0_10empty_typeEEEZZNS1_27merge_sort_block_merge_implIS3_NS6_6detail15normal_iteratorINS6_10device_ptrIS8_EEEEPS9_mNS6_4lessIS8_EEEE10hipError_tT0_T1_T2_jT3_P12ihipStream_tbPNSt15iterator_traitsISL_E10value_typeEPNSR_ISM_E10value_typeEPSN_NS1_7vsmem_tEENKUlT_SL_SM_SN_E_clISG_PS8_SH_SH_EESK_S10_SL_SM_SN_EUlS10_E0_NS1_11comp_targetILNS1_3genE0ELNS1_11target_archE4294967295ELNS1_3gpuE0ELNS1_3repE0EEENS1_38merge_mergepath_config_static_selectorELNS0_4arch9wavefront6targetE0EEEvSM_,"axG",@progbits,_ZN7rocprim17ROCPRIM_400000_NS6detail17trampoline_kernelINS0_14default_configENS1_38merge_sort_block_merge_config_selectorIN6thrust23THRUST_200600_302600_NS4pairIiiEENS0_10empty_typeEEEZZNS1_27merge_sort_block_merge_implIS3_NS6_6detail15normal_iteratorINS6_10device_ptrIS8_EEEEPS9_mNS6_4lessIS8_EEEE10hipError_tT0_T1_T2_jT3_P12ihipStream_tbPNSt15iterator_traitsISL_E10value_typeEPNSR_ISM_E10value_typeEPSN_NS1_7vsmem_tEENKUlT_SL_SM_SN_E_clISG_PS8_SH_SH_EESK_S10_SL_SM_SN_EUlS10_E0_NS1_11comp_targetILNS1_3genE0ELNS1_11target_archE4294967295ELNS1_3gpuE0ELNS1_3repE0EEENS1_38merge_mergepath_config_static_selectorELNS0_4arch9wavefront6targetE0EEEvSM_,comdat
.Lfunc_end665:
	.size	_ZN7rocprim17ROCPRIM_400000_NS6detail17trampoline_kernelINS0_14default_configENS1_38merge_sort_block_merge_config_selectorIN6thrust23THRUST_200600_302600_NS4pairIiiEENS0_10empty_typeEEEZZNS1_27merge_sort_block_merge_implIS3_NS6_6detail15normal_iteratorINS6_10device_ptrIS8_EEEEPS9_mNS6_4lessIS8_EEEE10hipError_tT0_T1_T2_jT3_P12ihipStream_tbPNSt15iterator_traitsISL_E10value_typeEPNSR_ISM_E10value_typeEPSN_NS1_7vsmem_tEENKUlT_SL_SM_SN_E_clISG_PS8_SH_SH_EESK_S10_SL_SM_SN_EUlS10_E0_NS1_11comp_targetILNS1_3genE0ELNS1_11target_archE4294967295ELNS1_3gpuE0ELNS1_3repE0EEENS1_38merge_mergepath_config_static_selectorELNS0_4arch9wavefront6targetE0EEEvSM_, .Lfunc_end665-_ZN7rocprim17ROCPRIM_400000_NS6detail17trampoline_kernelINS0_14default_configENS1_38merge_sort_block_merge_config_selectorIN6thrust23THRUST_200600_302600_NS4pairIiiEENS0_10empty_typeEEEZZNS1_27merge_sort_block_merge_implIS3_NS6_6detail15normal_iteratorINS6_10device_ptrIS8_EEEEPS9_mNS6_4lessIS8_EEEE10hipError_tT0_T1_T2_jT3_P12ihipStream_tbPNSt15iterator_traitsISL_E10value_typeEPNSR_ISM_E10value_typeEPSN_NS1_7vsmem_tEENKUlT_SL_SM_SN_E_clISG_PS8_SH_SH_EESK_S10_SL_SM_SN_EUlS10_E0_NS1_11comp_targetILNS1_3genE0ELNS1_11target_archE4294967295ELNS1_3gpuE0ELNS1_3repE0EEENS1_38merge_mergepath_config_static_selectorELNS0_4arch9wavefront6targetE0EEEvSM_
                                        ; -- End function
	.set _ZN7rocprim17ROCPRIM_400000_NS6detail17trampoline_kernelINS0_14default_configENS1_38merge_sort_block_merge_config_selectorIN6thrust23THRUST_200600_302600_NS4pairIiiEENS0_10empty_typeEEEZZNS1_27merge_sort_block_merge_implIS3_NS6_6detail15normal_iteratorINS6_10device_ptrIS8_EEEEPS9_mNS6_4lessIS8_EEEE10hipError_tT0_T1_T2_jT3_P12ihipStream_tbPNSt15iterator_traitsISL_E10value_typeEPNSR_ISM_E10value_typeEPSN_NS1_7vsmem_tEENKUlT_SL_SM_SN_E_clISG_PS8_SH_SH_EESK_S10_SL_SM_SN_EUlS10_E0_NS1_11comp_targetILNS1_3genE0ELNS1_11target_archE4294967295ELNS1_3gpuE0ELNS1_3repE0EEENS1_38merge_mergepath_config_static_selectorELNS0_4arch9wavefront6targetE0EEEvSM_.num_vgpr, 0
	.set _ZN7rocprim17ROCPRIM_400000_NS6detail17trampoline_kernelINS0_14default_configENS1_38merge_sort_block_merge_config_selectorIN6thrust23THRUST_200600_302600_NS4pairIiiEENS0_10empty_typeEEEZZNS1_27merge_sort_block_merge_implIS3_NS6_6detail15normal_iteratorINS6_10device_ptrIS8_EEEEPS9_mNS6_4lessIS8_EEEE10hipError_tT0_T1_T2_jT3_P12ihipStream_tbPNSt15iterator_traitsISL_E10value_typeEPNSR_ISM_E10value_typeEPSN_NS1_7vsmem_tEENKUlT_SL_SM_SN_E_clISG_PS8_SH_SH_EESK_S10_SL_SM_SN_EUlS10_E0_NS1_11comp_targetILNS1_3genE0ELNS1_11target_archE4294967295ELNS1_3gpuE0ELNS1_3repE0EEENS1_38merge_mergepath_config_static_selectorELNS0_4arch9wavefront6targetE0EEEvSM_.num_agpr, 0
	.set _ZN7rocprim17ROCPRIM_400000_NS6detail17trampoline_kernelINS0_14default_configENS1_38merge_sort_block_merge_config_selectorIN6thrust23THRUST_200600_302600_NS4pairIiiEENS0_10empty_typeEEEZZNS1_27merge_sort_block_merge_implIS3_NS6_6detail15normal_iteratorINS6_10device_ptrIS8_EEEEPS9_mNS6_4lessIS8_EEEE10hipError_tT0_T1_T2_jT3_P12ihipStream_tbPNSt15iterator_traitsISL_E10value_typeEPNSR_ISM_E10value_typeEPSN_NS1_7vsmem_tEENKUlT_SL_SM_SN_E_clISG_PS8_SH_SH_EESK_S10_SL_SM_SN_EUlS10_E0_NS1_11comp_targetILNS1_3genE0ELNS1_11target_archE4294967295ELNS1_3gpuE0ELNS1_3repE0EEENS1_38merge_mergepath_config_static_selectorELNS0_4arch9wavefront6targetE0EEEvSM_.numbered_sgpr, 0
	.set _ZN7rocprim17ROCPRIM_400000_NS6detail17trampoline_kernelINS0_14default_configENS1_38merge_sort_block_merge_config_selectorIN6thrust23THRUST_200600_302600_NS4pairIiiEENS0_10empty_typeEEEZZNS1_27merge_sort_block_merge_implIS3_NS6_6detail15normal_iteratorINS6_10device_ptrIS8_EEEEPS9_mNS6_4lessIS8_EEEE10hipError_tT0_T1_T2_jT3_P12ihipStream_tbPNSt15iterator_traitsISL_E10value_typeEPNSR_ISM_E10value_typeEPSN_NS1_7vsmem_tEENKUlT_SL_SM_SN_E_clISG_PS8_SH_SH_EESK_S10_SL_SM_SN_EUlS10_E0_NS1_11comp_targetILNS1_3genE0ELNS1_11target_archE4294967295ELNS1_3gpuE0ELNS1_3repE0EEENS1_38merge_mergepath_config_static_selectorELNS0_4arch9wavefront6targetE0EEEvSM_.num_named_barrier, 0
	.set _ZN7rocprim17ROCPRIM_400000_NS6detail17trampoline_kernelINS0_14default_configENS1_38merge_sort_block_merge_config_selectorIN6thrust23THRUST_200600_302600_NS4pairIiiEENS0_10empty_typeEEEZZNS1_27merge_sort_block_merge_implIS3_NS6_6detail15normal_iteratorINS6_10device_ptrIS8_EEEEPS9_mNS6_4lessIS8_EEEE10hipError_tT0_T1_T2_jT3_P12ihipStream_tbPNSt15iterator_traitsISL_E10value_typeEPNSR_ISM_E10value_typeEPSN_NS1_7vsmem_tEENKUlT_SL_SM_SN_E_clISG_PS8_SH_SH_EESK_S10_SL_SM_SN_EUlS10_E0_NS1_11comp_targetILNS1_3genE0ELNS1_11target_archE4294967295ELNS1_3gpuE0ELNS1_3repE0EEENS1_38merge_mergepath_config_static_selectorELNS0_4arch9wavefront6targetE0EEEvSM_.private_seg_size, 0
	.set _ZN7rocprim17ROCPRIM_400000_NS6detail17trampoline_kernelINS0_14default_configENS1_38merge_sort_block_merge_config_selectorIN6thrust23THRUST_200600_302600_NS4pairIiiEENS0_10empty_typeEEEZZNS1_27merge_sort_block_merge_implIS3_NS6_6detail15normal_iteratorINS6_10device_ptrIS8_EEEEPS9_mNS6_4lessIS8_EEEE10hipError_tT0_T1_T2_jT3_P12ihipStream_tbPNSt15iterator_traitsISL_E10value_typeEPNSR_ISM_E10value_typeEPSN_NS1_7vsmem_tEENKUlT_SL_SM_SN_E_clISG_PS8_SH_SH_EESK_S10_SL_SM_SN_EUlS10_E0_NS1_11comp_targetILNS1_3genE0ELNS1_11target_archE4294967295ELNS1_3gpuE0ELNS1_3repE0EEENS1_38merge_mergepath_config_static_selectorELNS0_4arch9wavefront6targetE0EEEvSM_.uses_vcc, 0
	.set _ZN7rocprim17ROCPRIM_400000_NS6detail17trampoline_kernelINS0_14default_configENS1_38merge_sort_block_merge_config_selectorIN6thrust23THRUST_200600_302600_NS4pairIiiEENS0_10empty_typeEEEZZNS1_27merge_sort_block_merge_implIS3_NS6_6detail15normal_iteratorINS6_10device_ptrIS8_EEEEPS9_mNS6_4lessIS8_EEEE10hipError_tT0_T1_T2_jT3_P12ihipStream_tbPNSt15iterator_traitsISL_E10value_typeEPNSR_ISM_E10value_typeEPSN_NS1_7vsmem_tEENKUlT_SL_SM_SN_E_clISG_PS8_SH_SH_EESK_S10_SL_SM_SN_EUlS10_E0_NS1_11comp_targetILNS1_3genE0ELNS1_11target_archE4294967295ELNS1_3gpuE0ELNS1_3repE0EEENS1_38merge_mergepath_config_static_selectorELNS0_4arch9wavefront6targetE0EEEvSM_.uses_flat_scratch, 0
	.set _ZN7rocprim17ROCPRIM_400000_NS6detail17trampoline_kernelINS0_14default_configENS1_38merge_sort_block_merge_config_selectorIN6thrust23THRUST_200600_302600_NS4pairIiiEENS0_10empty_typeEEEZZNS1_27merge_sort_block_merge_implIS3_NS6_6detail15normal_iteratorINS6_10device_ptrIS8_EEEEPS9_mNS6_4lessIS8_EEEE10hipError_tT0_T1_T2_jT3_P12ihipStream_tbPNSt15iterator_traitsISL_E10value_typeEPNSR_ISM_E10value_typeEPSN_NS1_7vsmem_tEENKUlT_SL_SM_SN_E_clISG_PS8_SH_SH_EESK_S10_SL_SM_SN_EUlS10_E0_NS1_11comp_targetILNS1_3genE0ELNS1_11target_archE4294967295ELNS1_3gpuE0ELNS1_3repE0EEENS1_38merge_mergepath_config_static_selectorELNS0_4arch9wavefront6targetE0EEEvSM_.has_dyn_sized_stack, 0
	.set _ZN7rocprim17ROCPRIM_400000_NS6detail17trampoline_kernelINS0_14default_configENS1_38merge_sort_block_merge_config_selectorIN6thrust23THRUST_200600_302600_NS4pairIiiEENS0_10empty_typeEEEZZNS1_27merge_sort_block_merge_implIS3_NS6_6detail15normal_iteratorINS6_10device_ptrIS8_EEEEPS9_mNS6_4lessIS8_EEEE10hipError_tT0_T1_T2_jT3_P12ihipStream_tbPNSt15iterator_traitsISL_E10value_typeEPNSR_ISM_E10value_typeEPSN_NS1_7vsmem_tEENKUlT_SL_SM_SN_E_clISG_PS8_SH_SH_EESK_S10_SL_SM_SN_EUlS10_E0_NS1_11comp_targetILNS1_3genE0ELNS1_11target_archE4294967295ELNS1_3gpuE0ELNS1_3repE0EEENS1_38merge_mergepath_config_static_selectorELNS0_4arch9wavefront6targetE0EEEvSM_.has_recursion, 0
	.set _ZN7rocprim17ROCPRIM_400000_NS6detail17trampoline_kernelINS0_14default_configENS1_38merge_sort_block_merge_config_selectorIN6thrust23THRUST_200600_302600_NS4pairIiiEENS0_10empty_typeEEEZZNS1_27merge_sort_block_merge_implIS3_NS6_6detail15normal_iteratorINS6_10device_ptrIS8_EEEEPS9_mNS6_4lessIS8_EEEE10hipError_tT0_T1_T2_jT3_P12ihipStream_tbPNSt15iterator_traitsISL_E10value_typeEPNSR_ISM_E10value_typeEPSN_NS1_7vsmem_tEENKUlT_SL_SM_SN_E_clISG_PS8_SH_SH_EESK_S10_SL_SM_SN_EUlS10_E0_NS1_11comp_targetILNS1_3genE0ELNS1_11target_archE4294967295ELNS1_3gpuE0ELNS1_3repE0EEENS1_38merge_mergepath_config_static_selectorELNS0_4arch9wavefront6targetE0EEEvSM_.has_indirect_call, 0
	.section	.AMDGPU.csdata,"",@progbits
; Kernel info:
; codeLenInByte = 0
; TotalNumSgprs: 0
; NumVgprs: 0
; ScratchSize: 0
; MemoryBound: 0
; FloatMode: 240
; IeeeMode: 1
; LDSByteSize: 0 bytes/workgroup (compile time only)
; SGPRBlocks: 0
; VGPRBlocks: 0
; NumSGPRsForWavesPerEU: 1
; NumVGPRsForWavesPerEU: 1
; Occupancy: 16
; WaveLimiterHint : 0
; COMPUTE_PGM_RSRC2:SCRATCH_EN: 0
; COMPUTE_PGM_RSRC2:USER_SGPR: 6
; COMPUTE_PGM_RSRC2:TRAP_HANDLER: 0
; COMPUTE_PGM_RSRC2:TGID_X_EN: 1
; COMPUTE_PGM_RSRC2:TGID_Y_EN: 0
; COMPUTE_PGM_RSRC2:TGID_Z_EN: 0
; COMPUTE_PGM_RSRC2:TIDIG_COMP_CNT: 0
	.section	.text._ZN7rocprim17ROCPRIM_400000_NS6detail17trampoline_kernelINS0_14default_configENS1_38merge_sort_block_merge_config_selectorIN6thrust23THRUST_200600_302600_NS4pairIiiEENS0_10empty_typeEEEZZNS1_27merge_sort_block_merge_implIS3_NS6_6detail15normal_iteratorINS6_10device_ptrIS8_EEEEPS9_mNS6_4lessIS8_EEEE10hipError_tT0_T1_T2_jT3_P12ihipStream_tbPNSt15iterator_traitsISL_E10value_typeEPNSR_ISM_E10value_typeEPSN_NS1_7vsmem_tEENKUlT_SL_SM_SN_E_clISG_PS8_SH_SH_EESK_S10_SL_SM_SN_EUlS10_E0_NS1_11comp_targetILNS1_3genE10ELNS1_11target_archE1201ELNS1_3gpuE5ELNS1_3repE0EEENS1_38merge_mergepath_config_static_selectorELNS0_4arch9wavefront6targetE0EEEvSM_,"axG",@progbits,_ZN7rocprim17ROCPRIM_400000_NS6detail17trampoline_kernelINS0_14default_configENS1_38merge_sort_block_merge_config_selectorIN6thrust23THRUST_200600_302600_NS4pairIiiEENS0_10empty_typeEEEZZNS1_27merge_sort_block_merge_implIS3_NS6_6detail15normal_iteratorINS6_10device_ptrIS8_EEEEPS9_mNS6_4lessIS8_EEEE10hipError_tT0_T1_T2_jT3_P12ihipStream_tbPNSt15iterator_traitsISL_E10value_typeEPNSR_ISM_E10value_typeEPSN_NS1_7vsmem_tEENKUlT_SL_SM_SN_E_clISG_PS8_SH_SH_EESK_S10_SL_SM_SN_EUlS10_E0_NS1_11comp_targetILNS1_3genE10ELNS1_11target_archE1201ELNS1_3gpuE5ELNS1_3repE0EEENS1_38merge_mergepath_config_static_selectorELNS0_4arch9wavefront6targetE0EEEvSM_,comdat
	.protected	_ZN7rocprim17ROCPRIM_400000_NS6detail17trampoline_kernelINS0_14default_configENS1_38merge_sort_block_merge_config_selectorIN6thrust23THRUST_200600_302600_NS4pairIiiEENS0_10empty_typeEEEZZNS1_27merge_sort_block_merge_implIS3_NS6_6detail15normal_iteratorINS6_10device_ptrIS8_EEEEPS9_mNS6_4lessIS8_EEEE10hipError_tT0_T1_T2_jT3_P12ihipStream_tbPNSt15iterator_traitsISL_E10value_typeEPNSR_ISM_E10value_typeEPSN_NS1_7vsmem_tEENKUlT_SL_SM_SN_E_clISG_PS8_SH_SH_EESK_S10_SL_SM_SN_EUlS10_E0_NS1_11comp_targetILNS1_3genE10ELNS1_11target_archE1201ELNS1_3gpuE5ELNS1_3repE0EEENS1_38merge_mergepath_config_static_selectorELNS0_4arch9wavefront6targetE0EEEvSM_ ; -- Begin function _ZN7rocprim17ROCPRIM_400000_NS6detail17trampoline_kernelINS0_14default_configENS1_38merge_sort_block_merge_config_selectorIN6thrust23THRUST_200600_302600_NS4pairIiiEENS0_10empty_typeEEEZZNS1_27merge_sort_block_merge_implIS3_NS6_6detail15normal_iteratorINS6_10device_ptrIS8_EEEEPS9_mNS6_4lessIS8_EEEE10hipError_tT0_T1_T2_jT3_P12ihipStream_tbPNSt15iterator_traitsISL_E10value_typeEPNSR_ISM_E10value_typeEPSN_NS1_7vsmem_tEENKUlT_SL_SM_SN_E_clISG_PS8_SH_SH_EESK_S10_SL_SM_SN_EUlS10_E0_NS1_11comp_targetILNS1_3genE10ELNS1_11target_archE1201ELNS1_3gpuE5ELNS1_3repE0EEENS1_38merge_mergepath_config_static_selectorELNS0_4arch9wavefront6targetE0EEEvSM_
	.globl	_ZN7rocprim17ROCPRIM_400000_NS6detail17trampoline_kernelINS0_14default_configENS1_38merge_sort_block_merge_config_selectorIN6thrust23THRUST_200600_302600_NS4pairIiiEENS0_10empty_typeEEEZZNS1_27merge_sort_block_merge_implIS3_NS6_6detail15normal_iteratorINS6_10device_ptrIS8_EEEEPS9_mNS6_4lessIS8_EEEE10hipError_tT0_T1_T2_jT3_P12ihipStream_tbPNSt15iterator_traitsISL_E10value_typeEPNSR_ISM_E10value_typeEPSN_NS1_7vsmem_tEENKUlT_SL_SM_SN_E_clISG_PS8_SH_SH_EESK_S10_SL_SM_SN_EUlS10_E0_NS1_11comp_targetILNS1_3genE10ELNS1_11target_archE1201ELNS1_3gpuE5ELNS1_3repE0EEENS1_38merge_mergepath_config_static_selectorELNS0_4arch9wavefront6targetE0EEEvSM_
	.p2align	8
	.type	_ZN7rocprim17ROCPRIM_400000_NS6detail17trampoline_kernelINS0_14default_configENS1_38merge_sort_block_merge_config_selectorIN6thrust23THRUST_200600_302600_NS4pairIiiEENS0_10empty_typeEEEZZNS1_27merge_sort_block_merge_implIS3_NS6_6detail15normal_iteratorINS6_10device_ptrIS8_EEEEPS9_mNS6_4lessIS8_EEEE10hipError_tT0_T1_T2_jT3_P12ihipStream_tbPNSt15iterator_traitsISL_E10value_typeEPNSR_ISM_E10value_typeEPSN_NS1_7vsmem_tEENKUlT_SL_SM_SN_E_clISG_PS8_SH_SH_EESK_S10_SL_SM_SN_EUlS10_E0_NS1_11comp_targetILNS1_3genE10ELNS1_11target_archE1201ELNS1_3gpuE5ELNS1_3repE0EEENS1_38merge_mergepath_config_static_selectorELNS0_4arch9wavefront6targetE0EEEvSM_,@function
_ZN7rocprim17ROCPRIM_400000_NS6detail17trampoline_kernelINS0_14default_configENS1_38merge_sort_block_merge_config_selectorIN6thrust23THRUST_200600_302600_NS4pairIiiEENS0_10empty_typeEEEZZNS1_27merge_sort_block_merge_implIS3_NS6_6detail15normal_iteratorINS6_10device_ptrIS8_EEEEPS9_mNS6_4lessIS8_EEEE10hipError_tT0_T1_T2_jT3_P12ihipStream_tbPNSt15iterator_traitsISL_E10value_typeEPNSR_ISM_E10value_typeEPSN_NS1_7vsmem_tEENKUlT_SL_SM_SN_E_clISG_PS8_SH_SH_EESK_S10_SL_SM_SN_EUlS10_E0_NS1_11comp_targetILNS1_3genE10ELNS1_11target_archE1201ELNS1_3gpuE5ELNS1_3repE0EEENS1_38merge_mergepath_config_static_selectorELNS0_4arch9wavefront6targetE0EEEvSM_: ; @_ZN7rocprim17ROCPRIM_400000_NS6detail17trampoline_kernelINS0_14default_configENS1_38merge_sort_block_merge_config_selectorIN6thrust23THRUST_200600_302600_NS4pairIiiEENS0_10empty_typeEEEZZNS1_27merge_sort_block_merge_implIS3_NS6_6detail15normal_iteratorINS6_10device_ptrIS8_EEEEPS9_mNS6_4lessIS8_EEEE10hipError_tT0_T1_T2_jT3_P12ihipStream_tbPNSt15iterator_traitsISL_E10value_typeEPNSR_ISM_E10value_typeEPSN_NS1_7vsmem_tEENKUlT_SL_SM_SN_E_clISG_PS8_SH_SH_EESK_S10_SL_SM_SN_EUlS10_E0_NS1_11comp_targetILNS1_3genE10ELNS1_11target_archE1201ELNS1_3gpuE5ELNS1_3repE0EEENS1_38merge_mergepath_config_static_selectorELNS0_4arch9wavefront6targetE0EEEvSM_
; %bb.0:
	.section	.rodata,"a",@progbits
	.p2align	6, 0x0
	.amdhsa_kernel _ZN7rocprim17ROCPRIM_400000_NS6detail17trampoline_kernelINS0_14default_configENS1_38merge_sort_block_merge_config_selectorIN6thrust23THRUST_200600_302600_NS4pairIiiEENS0_10empty_typeEEEZZNS1_27merge_sort_block_merge_implIS3_NS6_6detail15normal_iteratorINS6_10device_ptrIS8_EEEEPS9_mNS6_4lessIS8_EEEE10hipError_tT0_T1_T2_jT3_P12ihipStream_tbPNSt15iterator_traitsISL_E10value_typeEPNSR_ISM_E10value_typeEPSN_NS1_7vsmem_tEENKUlT_SL_SM_SN_E_clISG_PS8_SH_SH_EESK_S10_SL_SM_SN_EUlS10_E0_NS1_11comp_targetILNS1_3genE10ELNS1_11target_archE1201ELNS1_3gpuE5ELNS1_3repE0EEENS1_38merge_mergepath_config_static_selectorELNS0_4arch9wavefront6targetE0EEEvSM_
		.amdhsa_group_segment_fixed_size 0
		.amdhsa_private_segment_fixed_size 0
		.amdhsa_kernarg_size 72
		.amdhsa_user_sgpr_count 6
		.amdhsa_user_sgpr_private_segment_buffer 1
		.amdhsa_user_sgpr_dispatch_ptr 0
		.amdhsa_user_sgpr_queue_ptr 0
		.amdhsa_user_sgpr_kernarg_segment_ptr 1
		.amdhsa_user_sgpr_dispatch_id 0
		.amdhsa_user_sgpr_flat_scratch_init 0
		.amdhsa_user_sgpr_private_segment_size 0
		.amdhsa_wavefront_size32 1
		.amdhsa_uses_dynamic_stack 0
		.amdhsa_system_sgpr_private_segment_wavefront_offset 0
		.amdhsa_system_sgpr_workgroup_id_x 1
		.amdhsa_system_sgpr_workgroup_id_y 0
		.amdhsa_system_sgpr_workgroup_id_z 0
		.amdhsa_system_sgpr_workgroup_info 0
		.amdhsa_system_vgpr_workitem_id 0
		.amdhsa_next_free_vgpr 1
		.amdhsa_next_free_sgpr 1
		.amdhsa_reserve_vcc 0
		.amdhsa_reserve_flat_scratch 0
		.amdhsa_float_round_mode_32 0
		.amdhsa_float_round_mode_16_64 0
		.amdhsa_float_denorm_mode_32 3
		.amdhsa_float_denorm_mode_16_64 3
		.amdhsa_dx10_clamp 1
		.amdhsa_ieee_mode 1
		.amdhsa_fp16_overflow 0
		.amdhsa_workgroup_processor_mode 1
		.amdhsa_memory_ordered 1
		.amdhsa_forward_progress 1
		.amdhsa_shared_vgpr_count 0
		.amdhsa_exception_fp_ieee_invalid_op 0
		.amdhsa_exception_fp_denorm_src 0
		.amdhsa_exception_fp_ieee_div_zero 0
		.amdhsa_exception_fp_ieee_overflow 0
		.amdhsa_exception_fp_ieee_underflow 0
		.amdhsa_exception_fp_ieee_inexact 0
		.amdhsa_exception_int_div_zero 0
	.end_amdhsa_kernel
	.section	.text._ZN7rocprim17ROCPRIM_400000_NS6detail17trampoline_kernelINS0_14default_configENS1_38merge_sort_block_merge_config_selectorIN6thrust23THRUST_200600_302600_NS4pairIiiEENS0_10empty_typeEEEZZNS1_27merge_sort_block_merge_implIS3_NS6_6detail15normal_iteratorINS6_10device_ptrIS8_EEEEPS9_mNS6_4lessIS8_EEEE10hipError_tT0_T1_T2_jT3_P12ihipStream_tbPNSt15iterator_traitsISL_E10value_typeEPNSR_ISM_E10value_typeEPSN_NS1_7vsmem_tEENKUlT_SL_SM_SN_E_clISG_PS8_SH_SH_EESK_S10_SL_SM_SN_EUlS10_E0_NS1_11comp_targetILNS1_3genE10ELNS1_11target_archE1201ELNS1_3gpuE5ELNS1_3repE0EEENS1_38merge_mergepath_config_static_selectorELNS0_4arch9wavefront6targetE0EEEvSM_,"axG",@progbits,_ZN7rocprim17ROCPRIM_400000_NS6detail17trampoline_kernelINS0_14default_configENS1_38merge_sort_block_merge_config_selectorIN6thrust23THRUST_200600_302600_NS4pairIiiEENS0_10empty_typeEEEZZNS1_27merge_sort_block_merge_implIS3_NS6_6detail15normal_iteratorINS6_10device_ptrIS8_EEEEPS9_mNS6_4lessIS8_EEEE10hipError_tT0_T1_T2_jT3_P12ihipStream_tbPNSt15iterator_traitsISL_E10value_typeEPNSR_ISM_E10value_typeEPSN_NS1_7vsmem_tEENKUlT_SL_SM_SN_E_clISG_PS8_SH_SH_EESK_S10_SL_SM_SN_EUlS10_E0_NS1_11comp_targetILNS1_3genE10ELNS1_11target_archE1201ELNS1_3gpuE5ELNS1_3repE0EEENS1_38merge_mergepath_config_static_selectorELNS0_4arch9wavefront6targetE0EEEvSM_,comdat
.Lfunc_end666:
	.size	_ZN7rocprim17ROCPRIM_400000_NS6detail17trampoline_kernelINS0_14default_configENS1_38merge_sort_block_merge_config_selectorIN6thrust23THRUST_200600_302600_NS4pairIiiEENS0_10empty_typeEEEZZNS1_27merge_sort_block_merge_implIS3_NS6_6detail15normal_iteratorINS6_10device_ptrIS8_EEEEPS9_mNS6_4lessIS8_EEEE10hipError_tT0_T1_T2_jT3_P12ihipStream_tbPNSt15iterator_traitsISL_E10value_typeEPNSR_ISM_E10value_typeEPSN_NS1_7vsmem_tEENKUlT_SL_SM_SN_E_clISG_PS8_SH_SH_EESK_S10_SL_SM_SN_EUlS10_E0_NS1_11comp_targetILNS1_3genE10ELNS1_11target_archE1201ELNS1_3gpuE5ELNS1_3repE0EEENS1_38merge_mergepath_config_static_selectorELNS0_4arch9wavefront6targetE0EEEvSM_, .Lfunc_end666-_ZN7rocprim17ROCPRIM_400000_NS6detail17trampoline_kernelINS0_14default_configENS1_38merge_sort_block_merge_config_selectorIN6thrust23THRUST_200600_302600_NS4pairIiiEENS0_10empty_typeEEEZZNS1_27merge_sort_block_merge_implIS3_NS6_6detail15normal_iteratorINS6_10device_ptrIS8_EEEEPS9_mNS6_4lessIS8_EEEE10hipError_tT0_T1_T2_jT3_P12ihipStream_tbPNSt15iterator_traitsISL_E10value_typeEPNSR_ISM_E10value_typeEPSN_NS1_7vsmem_tEENKUlT_SL_SM_SN_E_clISG_PS8_SH_SH_EESK_S10_SL_SM_SN_EUlS10_E0_NS1_11comp_targetILNS1_3genE10ELNS1_11target_archE1201ELNS1_3gpuE5ELNS1_3repE0EEENS1_38merge_mergepath_config_static_selectorELNS0_4arch9wavefront6targetE0EEEvSM_
                                        ; -- End function
	.set _ZN7rocprim17ROCPRIM_400000_NS6detail17trampoline_kernelINS0_14default_configENS1_38merge_sort_block_merge_config_selectorIN6thrust23THRUST_200600_302600_NS4pairIiiEENS0_10empty_typeEEEZZNS1_27merge_sort_block_merge_implIS3_NS6_6detail15normal_iteratorINS6_10device_ptrIS8_EEEEPS9_mNS6_4lessIS8_EEEE10hipError_tT0_T1_T2_jT3_P12ihipStream_tbPNSt15iterator_traitsISL_E10value_typeEPNSR_ISM_E10value_typeEPSN_NS1_7vsmem_tEENKUlT_SL_SM_SN_E_clISG_PS8_SH_SH_EESK_S10_SL_SM_SN_EUlS10_E0_NS1_11comp_targetILNS1_3genE10ELNS1_11target_archE1201ELNS1_3gpuE5ELNS1_3repE0EEENS1_38merge_mergepath_config_static_selectorELNS0_4arch9wavefront6targetE0EEEvSM_.num_vgpr, 0
	.set _ZN7rocprim17ROCPRIM_400000_NS6detail17trampoline_kernelINS0_14default_configENS1_38merge_sort_block_merge_config_selectorIN6thrust23THRUST_200600_302600_NS4pairIiiEENS0_10empty_typeEEEZZNS1_27merge_sort_block_merge_implIS3_NS6_6detail15normal_iteratorINS6_10device_ptrIS8_EEEEPS9_mNS6_4lessIS8_EEEE10hipError_tT0_T1_T2_jT3_P12ihipStream_tbPNSt15iterator_traitsISL_E10value_typeEPNSR_ISM_E10value_typeEPSN_NS1_7vsmem_tEENKUlT_SL_SM_SN_E_clISG_PS8_SH_SH_EESK_S10_SL_SM_SN_EUlS10_E0_NS1_11comp_targetILNS1_3genE10ELNS1_11target_archE1201ELNS1_3gpuE5ELNS1_3repE0EEENS1_38merge_mergepath_config_static_selectorELNS0_4arch9wavefront6targetE0EEEvSM_.num_agpr, 0
	.set _ZN7rocprim17ROCPRIM_400000_NS6detail17trampoline_kernelINS0_14default_configENS1_38merge_sort_block_merge_config_selectorIN6thrust23THRUST_200600_302600_NS4pairIiiEENS0_10empty_typeEEEZZNS1_27merge_sort_block_merge_implIS3_NS6_6detail15normal_iteratorINS6_10device_ptrIS8_EEEEPS9_mNS6_4lessIS8_EEEE10hipError_tT0_T1_T2_jT3_P12ihipStream_tbPNSt15iterator_traitsISL_E10value_typeEPNSR_ISM_E10value_typeEPSN_NS1_7vsmem_tEENKUlT_SL_SM_SN_E_clISG_PS8_SH_SH_EESK_S10_SL_SM_SN_EUlS10_E0_NS1_11comp_targetILNS1_3genE10ELNS1_11target_archE1201ELNS1_3gpuE5ELNS1_3repE0EEENS1_38merge_mergepath_config_static_selectorELNS0_4arch9wavefront6targetE0EEEvSM_.numbered_sgpr, 0
	.set _ZN7rocprim17ROCPRIM_400000_NS6detail17trampoline_kernelINS0_14default_configENS1_38merge_sort_block_merge_config_selectorIN6thrust23THRUST_200600_302600_NS4pairIiiEENS0_10empty_typeEEEZZNS1_27merge_sort_block_merge_implIS3_NS6_6detail15normal_iteratorINS6_10device_ptrIS8_EEEEPS9_mNS6_4lessIS8_EEEE10hipError_tT0_T1_T2_jT3_P12ihipStream_tbPNSt15iterator_traitsISL_E10value_typeEPNSR_ISM_E10value_typeEPSN_NS1_7vsmem_tEENKUlT_SL_SM_SN_E_clISG_PS8_SH_SH_EESK_S10_SL_SM_SN_EUlS10_E0_NS1_11comp_targetILNS1_3genE10ELNS1_11target_archE1201ELNS1_3gpuE5ELNS1_3repE0EEENS1_38merge_mergepath_config_static_selectorELNS0_4arch9wavefront6targetE0EEEvSM_.num_named_barrier, 0
	.set _ZN7rocprim17ROCPRIM_400000_NS6detail17trampoline_kernelINS0_14default_configENS1_38merge_sort_block_merge_config_selectorIN6thrust23THRUST_200600_302600_NS4pairIiiEENS0_10empty_typeEEEZZNS1_27merge_sort_block_merge_implIS3_NS6_6detail15normal_iteratorINS6_10device_ptrIS8_EEEEPS9_mNS6_4lessIS8_EEEE10hipError_tT0_T1_T2_jT3_P12ihipStream_tbPNSt15iterator_traitsISL_E10value_typeEPNSR_ISM_E10value_typeEPSN_NS1_7vsmem_tEENKUlT_SL_SM_SN_E_clISG_PS8_SH_SH_EESK_S10_SL_SM_SN_EUlS10_E0_NS1_11comp_targetILNS1_3genE10ELNS1_11target_archE1201ELNS1_3gpuE5ELNS1_3repE0EEENS1_38merge_mergepath_config_static_selectorELNS0_4arch9wavefront6targetE0EEEvSM_.private_seg_size, 0
	.set _ZN7rocprim17ROCPRIM_400000_NS6detail17trampoline_kernelINS0_14default_configENS1_38merge_sort_block_merge_config_selectorIN6thrust23THRUST_200600_302600_NS4pairIiiEENS0_10empty_typeEEEZZNS1_27merge_sort_block_merge_implIS3_NS6_6detail15normal_iteratorINS6_10device_ptrIS8_EEEEPS9_mNS6_4lessIS8_EEEE10hipError_tT0_T1_T2_jT3_P12ihipStream_tbPNSt15iterator_traitsISL_E10value_typeEPNSR_ISM_E10value_typeEPSN_NS1_7vsmem_tEENKUlT_SL_SM_SN_E_clISG_PS8_SH_SH_EESK_S10_SL_SM_SN_EUlS10_E0_NS1_11comp_targetILNS1_3genE10ELNS1_11target_archE1201ELNS1_3gpuE5ELNS1_3repE0EEENS1_38merge_mergepath_config_static_selectorELNS0_4arch9wavefront6targetE0EEEvSM_.uses_vcc, 0
	.set _ZN7rocprim17ROCPRIM_400000_NS6detail17trampoline_kernelINS0_14default_configENS1_38merge_sort_block_merge_config_selectorIN6thrust23THRUST_200600_302600_NS4pairIiiEENS0_10empty_typeEEEZZNS1_27merge_sort_block_merge_implIS3_NS6_6detail15normal_iteratorINS6_10device_ptrIS8_EEEEPS9_mNS6_4lessIS8_EEEE10hipError_tT0_T1_T2_jT3_P12ihipStream_tbPNSt15iterator_traitsISL_E10value_typeEPNSR_ISM_E10value_typeEPSN_NS1_7vsmem_tEENKUlT_SL_SM_SN_E_clISG_PS8_SH_SH_EESK_S10_SL_SM_SN_EUlS10_E0_NS1_11comp_targetILNS1_3genE10ELNS1_11target_archE1201ELNS1_3gpuE5ELNS1_3repE0EEENS1_38merge_mergepath_config_static_selectorELNS0_4arch9wavefront6targetE0EEEvSM_.uses_flat_scratch, 0
	.set _ZN7rocprim17ROCPRIM_400000_NS6detail17trampoline_kernelINS0_14default_configENS1_38merge_sort_block_merge_config_selectorIN6thrust23THRUST_200600_302600_NS4pairIiiEENS0_10empty_typeEEEZZNS1_27merge_sort_block_merge_implIS3_NS6_6detail15normal_iteratorINS6_10device_ptrIS8_EEEEPS9_mNS6_4lessIS8_EEEE10hipError_tT0_T1_T2_jT3_P12ihipStream_tbPNSt15iterator_traitsISL_E10value_typeEPNSR_ISM_E10value_typeEPSN_NS1_7vsmem_tEENKUlT_SL_SM_SN_E_clISG_PS8_SH_SH_EESK_S10_SL_SM_SN_EUlS10_E0_NS1_11comp_targetILNS1_3genE10ELNS1_11target_archE1201ELNS1_3gpuE5ELNS1_3repE0EEENS1_38merge_mergepath_config_static_selectorELNS0_4arch9wavefront6targetE0EEEvSM_.has_dyn_sized_stack, 0
	.set _ZN7rocprim17ROCPRIM_400000_NS6detail17trampoline_kernelINS0_14default_configENS1_38merge_sort_block_merge_config_selectorIN6thrust23THRUST_200600_302600_NS4pairIiiEENS0_10empty_typeEEEZZNS1_27merge_sort_block_merge_implIS3_NS6_6detail15normal_iteratorINS6_10device_ptrIS8_EEEEPS9_mNS6_4lessIS8_EEEE10hipError_tT0_T1_T2_jT3_P12ihipStream_tbPNSt15iterator_traitsISL_E10value_typeEPNSR_ISM_E10value_typeEPSN_NS1_7vsmem_tEENKUlT_SL_SM_SN_E_clISG_PS8_SH_SH_EESK_S10_SL_SM_SN_EUlS10_E0_NS1_11comp_targetILNS1_3genE10ELNS1_11target_archE1201ELNS1_3gpuE5ELNS1_3repE0EEENS1_38merge_mergepath_config_static_selectorELNS0_4arch9wavefront6targetE0EEEvSM_.has_recursion, 0
	.set _ZN7rocprim17ROCPRIM_400000_NS6detail17trampoline_kernelINS0_14default_configENS1_38merge_sort_block_merge_config_selectorIN6thrust23THRUST_200600_302600_NS4pairIiiEENS0_10empty_typeEEEZZNS1_27merge_sort_block_merge_implIS3_NS6_6detail15normal_iteratorINS6_10device_ptrIS8_EEEEPS9_mNS6_4lessIS8_EEEE10hipError_tT0_T1_T2_jT3_P12ihipStream_tbPNSt15iterator_traitsISL_E10value_typeEPNSR_ISM_E10value_typeEPSN_NS1_7vsmem_tEENKUlT_SL_SM_SN_E_clISG_PS8_SH_SH_EESK_S10_SL_SM_SN_EUlS10_E0_NS1_11comp_targetILNS1_3genE10ELNS1_11target_archE1201ELNS1_3gpuE5ELNS1_3repE0EEENS1_38merge_mergepath_config_static_selectorELNS0_4arch9wavefront6targetE0EEEvSM_.has_indirect_call, 0
	.section	.AMDGPU.csdata,"",@progbits
; Kernel info:
; codeLenInByte = 0
; TotalNumSgprs: 0
; NumVgprs: 0
; ScratchSize: 0
; MemoryBound: 0
; FloatMode: 240
; IeeeMode: 1
; LDSByteSize: 0 bytes/workgroup (compile time only)
; SGPRBlocks: 0
; VGPRBlocks: 0
; NumSGPRsForWavesPerEU: 1
; NumVGPRsForWavesPerEU: 1
; Occupancy: 16
; WaveLimiterHint : 0
; COMPUTE_PGM_RSRC2:SCRATCH_EN: 0
; COMPUTE_PGM_RSRC2:USER_SGPR: 6
; COMPUTE_PGM_RSRC2:TRAP_HANDLER: 0
; COMPUTE_PGM_RSRC2:TGID_X_EN: 1
; COMPUTE_PGM_RSRC2:TGID_Y_EN: 0
; COMPUTE_PGM_RSRC2:TGID_Z_EN: 0
; COMPUTE_PGM_RSRC2:TIDIG_COMP_CNT: 0
	.section	.text._ZN7rocprim17ROCPRIM_400000_NS6detail17trampoline_kernelINS0_14default_configENS1_38merge_sort_block_merge_config_selectorIN6thrust23THRUST_200600_302600_NS4pairIiiEENS0_10empty_typeEEEZZNS1_27merge_sort_block_merge_implIS3_NS6_6detail15normal_iteratorINS6_10device_ptrIS8_EEEEPS9_mNS6_4lessIS8_EEEE10hipError_tT0_T1_T2_jT3_P12ihipStream_tbPNSt15iterator_traitsISL_E10value_typeEPNSR_ISM_E10value_typeEPSN_NS1_7vsmem_tEENKUlT_SL_SM_SN_E_clISG_PS8_SH_SH_EESK_S10_SL_SM_SN_EUlS10_E0_NS1_11comp_targetILNS1_3genE5ELNS1_11target_archE942ELNS1_3gpuE9ELNS1_3repE0EEENS1_38merge_mergepath_config_static_selectorELNS0_4arch9wavefront6targetE0EEEvSM_,"axG",@progbits,_ZN7rocprim17ROCPRIM_400000_NS6detail17trampoline_kernelINS0_14default_configENS1_38merge_sort_block_merge_config_selectorIN6thrust23THRUST_200600_302600_NS4pairIiiEENS0_10empty_typeEEEZZNS1_27merge_sort_block_merge_implIS3_NS6_6detail15normal_iteratorINS6_10device_ptrIS8_EEEEPS9_mNS6_4lessIS8_EEEE10hipError_tT0_T1_T2_jT3_P12ihipStream_tbPNSt15iterator_traitsISL_E10value_typeEPNSR_ISM_E10value_typeEPSN_NS1_7vsmem_tEENKUlT_SL_SM_SN_E_clISG_PS8_SH_SH_EESK_S10_SL_SM_SN_EUlS10_E0_NS1_11comp_targetILNS1_3genE5ELNS1_11target_archE942ELNS1_3gpuE9ELNS1_3repE0EEENS1_38merge_mergepath_config_static_selectorELNS0_4arch9wavefront6targetE0EEEvSM_,comdat
	.protected	_ZN7rocprim17ROCPRIM_400000_NS6detail17trampoline_kernelINS0_14default_configENS1_38merge_sort_block_merge_config_selectorIN6thrust23THRUST_200600_302600_NS4pairIiiEENS0_10empty_typeEEEZZNS1_27merge_sort_block_merge_implIS3_NS6_6detail15normal_iteratorINS6_10device_ptrIS8_EEEEPS9_mNS6_4lessIS8_EEEE10hipError_tT0_T1_T2_jT3_P12ihipStream_tbPNSt15iterator_traitsISL_E10value_typeEPNSR_ISM_E10value_typeEPSN_NS1_7vsmem_tEENKUlT_SL_SM_SN_E_clISG_PS8_SH_SH_EESK_S10_SL_SM_SN_EUlS10_E0_NS1_11comp_targetILNS1_3genE5ELNS1_11target_archE942ELNS1_3gpuE9ELNS1_3repE0EEENS1_38merge_mergepath_config_static_selectorELNS0_4arch9wavefront6targetE0EEEvSM_ ; -- Begin function _ZN7rocprim17ROCPRIM_400000_NS6detail17trampoline_kernelINS0_14default_configENS1_38merge_sort_block_merge_config_selectorIN6thrust23THRUST_200600_302600_NS4pairIiiEENS0_10empty_typeEEEZZNS1_27merge_sort_block_merge_implIS3_NS6_6detail15normal_iteratorINS6_10device_ptrIS8_EEEEPS9_mNS6_4lessIS8_EEEE10hipError_tT0_T1_T2_jT3_P12ihipStream_tbPNSt15iterator_traitsISL_E10value_typeEPNSR_ISM_E10value_typeEPSN_NS1_7vsmem_tEENKUlT_SL_SM_SN_E_clISG_PS8_SH_SH_EESK_S10_SL_SM_SN_EUlS10_E0_NS1_11comp_targetILNS1_3genE5ELNS1_11target_archE942ELNS1_3gpuE9ELNS1_3repE0EEENS1_38merge_mergepath_config_static_selectorELNS0_4arch9wavefront6targetE0EEEvSM_
	.globl	_ZN7rocprim17ROCPRIM_400000_NS6detail17trampoline_kernelINS0_14default_configENS1_38merge_sort_block_merge_config_selectorIN6thrust23THRUST_200600_302600_NS4pairIiiEENS0_10empty_typeEEEZZNS1_27merge_sort_block_merge_implIS3_NS6_6detail15normal_iteratorINS6_10device_ptrIS8_EEEEPS9_mNS6_4lessIS8_EEEE10hipError_tT0_T1_T2_jT3_P12ihipStream_tbPNSt15iterator_traitsISL_E10value_typeEPNSR_ISM_E10value_typeEPSN_NS1_7vsmem_tEENKUlT_SL_SM_SN_E_clISG_PS8_SH_SH_EESK_S10_SL_SM_SN_EUlS10_E0_NS1_11comp_targetILNS1_3genE5ELNS1_11target_archE942ELNS1_3gpuE9ELNS1_3repE0EEENS1_38merge_mergepath_config_static_selectorELNS0_4arch9wavefront6targetE0EEEvSM_
	.p2align	8
	.type	_ZN7rocprim17ROCPRIM_400000_NS6detail17trampoline_kernelINS0_14default_configENS1_38merge_sort_block_merge_config_selectorIN6thrust23THRUST_200600_302600_NS4pairIiiEENS0_10empty_typeEEEZZNS1_27merge_sort_block_merge_implIS3_NS6_6detail15normal_iteratorINS6_10device_ptrIS8_EEEEPS9_mNS6_4lessIS8_EEEE10hipError_tT0_T1_T2_jT3_P12ihipStream_tbPNSt15iterator_traitsISL_E10value_typeEPNSR_ISM_E10value_typeEPSN_NS1_7vsmem_tEENKUlT_SL_SM_SN_E_clISG_PS8_SH_SH_EESK_S10_SL_SM_SN_EUlS10_E0_NS1_11comp_targetILNS1_3genE5ELNS1_11target_archE942ELNS1_3gpuE9ELNS1_3repE0EEENS1_38merge_mergepath_config_static_selectorELNS0_4arch9wavefront6targetE0EEEvSM_,@function
_ZN7rocprim17ROCPRIM_400000_NS6detail17trampoline_kernelINS0_14default_configENS1_38merge_sort_block_merge_config_selectorIN6thrust23THRUST_200600_302600_NS4pairIiiEENS0_10empty_typeEEEZZNS1_27merge_sort_block_merge_implIS3_NS6_6detail15normal_iteratorINS6_10device_ptrIS8_EEEEPS9_mNS6_4lessIS8_EEEE10hipError_tT0_T1_T2_jT3_P12ihipStream_tbPNSt15iterator_traitsISL_E10value_typeEPNSR_ISM_E10value_typeEPSN_NS1_7vsmem_tEENKUlT_SL_SM_SN_E_clISG_PS8_SH_SH_EESK_S10_SL_SM_SN_EUlS10_E0_NS1_11comp_targetILNS1_3genE5ELNS1_11target_archE942ELNS1_3gpuE9ELNS1_3repE0EEENS1_38merge_mergepath_config_static_selectorELNS0_4arch9wavefront6targetE0EEEvSM_: ; @_ZN7rocprim17ROCPRIM_400000_NS6detail17trampoline_kernelINS0_14default_configENS1_38merge_sort_block_merge_config_selectorIN6thrust23THRUST_200600_302600_NS4pairIiiEENS0_10empty_typeEEEZZNS1_27merge_sort_block_merge_implIS3_NS6_6detail15normal_iteratorINS6_10device_ptrIS8_EEEEPS9_mNS6_4lessIS8_EEEE10hipError_tT0_T1_T2_jT3_P12ihipStream_tbPNSt15iterator_traitsISL_E10value_typeEPNSR_ISM_E10value_typeEPSN_NS1_7vsmem_tEENKUlT_SL_SM_SN_E_clISG_PS8_SH_SH_EESK_S10_SL_SM_SN_EUlS10_E0_NS1_11comp_targetILNS1_3genE5ELNS1_11target_archE942ELNS1_3gpuE9ELNS1_3repE0EEENS1_38merge_mergepath_config_static_selectorELNS0_4arch9wavefront6targetE0EEEvSM_
; %bb.0:
	.section	.rodata,"a",@progbits
	.p2align	6, 0x0
	.amdhsa_kernel _ZN7rocprim17ROCPRIM_400000_NS6detail17trampoline_kernelINS0_14default_configENS1_38merge_sort_block_merge_config_selectorIN6thrust23THRUST_200600_302600_NS4pairIiiEENS0_10empty_typeEEEZZNS1_27merge_sort_block_merge_implIS3_NS6_6detail15normal_iteratorINS6_10device_ptrIS8_EEEEPS9_mNS6_4lessIS8_EEEE10hipError_tT0_T1_T2_jT3_P12ihipStream_tbPNSt15iterator_traitsISL_E10value_typeEPNSR_ISM_E10value_typeEPSN_NS1_7vsmem_tEENKUlT_SL_SM_SN_E_clISG_PS8_SH_SH_EESK_S10_SL_SM_SN_EUlS10_E0_NS1_11comp_targetILNS1_3genE5ELNS1_11target_archE942ELNS1_3gpuE9ELNS1_3repE0EEENS1_38merge_mergepath_config_static_selectorELNS0_4arch9wavefront6targetE0EEEvSM_
		.amdhsa_group_segment_fixed_size 0
		.amdhsa_private_segment_fixed_size 0
		.amdhsa_kernarg_size 72
		.amdhsa_user_sgpr_count 6
		.amdhsa_user_sgpr_private_segment_buffer 1
		.amdhsa_user_sgpr_dispatch_ptr 0
		.amdhsa_user_sgpr_queue_ptr 0
		.amdhsa_user_sgpr_kernarg_segment_ptr 1
		.amdhsa_user_sgpr_dispatch_id 0
		.amdhsa_user_sgpr_flat_scratch_init 0
		.amdhsa_user_sgpr_private_segment_size 0
		.amdhsa_wavefront_size32 1
		.amdhsa_uses_dynamic_stack 0
		.amdhsa_system_sgpr_private_segment_wavefront_offset 0
		.amdhsa_system_sgpr_workgroup_id_x 1
		.amdhsa_system_sgpr_workgroup_id_y 0
		.amdhsa_system_sgpr_workgroup_id_z 0
		.amdhsa_system_sgpr_workgroup_info 0
		.amdhsa_system_vgpr_workitem_id 0
		.amdhsa_next_free_vgpr 1
		.amdhsa_next_free_sgpr 1
		.amdhsa_reserve_vcc 0
		.amdhsa_reserve_flat_scratch 0
		.amdhsa_float_round_mode_32 0
		.amdhsa_float_round_mode_16_64 0
		.amdhsa_float_denorm_mode_32 3
		.amdhsa_float_denorm_mode_16_64 3
		.amdhsa_dx10_clamp 1
		.amdhsa_ieee_mode 1
		.amdhsa_fp16_overflow 0
		.amdhsa_workgroup_processor_mode 1
		.amdhsa_memory_ordered 1
		.amdhsa_forward_progress 1
		.amdhsa_shared_vgpr_count 0
		.amdhsa_exception_fp_ieee_invalid_op 0
		.amdhsa_exception_fp_denorm_src 0
		.amdhsa_exception_fp_ieee_div_zero 0
		.amdhsa_exception_fp_ieee_overflow 0
		.amdhsa_exception_fp_ieee_underflow 0
		.amdhsa_exception_fp_ieee_inexact 0
		.amdhsa_exception_int_div_zero 0
	.end_amdhsa_kernel
	.section	.text._ZN7rocprim17ROCPRIM_400000_NS6detail17trampoline_kernelINS0_14default_configENS1_38merge_sort_block_merge_config_selectorIN6thrust23THRUST_200600_302600_NS4pairIiiEENS0_10empty_typeEEEZZNS1_27merge_sort_block_merge_implIS3_NS6_6detail15normal_iteratorINS6_10device_ptrIS8_EEEEPS9_mNS6_4lessIS8_EEEE10hipError_tT0_T1_T2_jT3_P12ihipStream_tbPNSt15iterator_traitsISL_E10value_typeEPNSR_ISM_E10value_typeEPSN_NS1_7vsmem_tEENKUlT_SL_SM_SN_E_clISG_PS8_SH_SH_EESK_S10_SL_SM_SN_EUlS10_E0_NS1_11comp_targetILNS1_3genE5ELNS1_11target_archE942ELNS1_3gpuE9ELNS1_3repE0EEENS1_38merge_mergepath_config_static_selectorELNS0_4arch9wavefront6targetE0EEEvSM_,"axG",@progbits,_ZN7rocprim17ROCPRIM_400000_NS6detail17trampoline_kernelINS0_14default_configENS1_38merge_sort_block_merge_config_selectorIN6thrust23THRUST_200600_302600_NS4pairIiiEENS0_10empty_typeEEEZZNS1_27merge_sort_block_merge_implIS3_NS6_6detail15normal_iteratorINS6_10device_ptrIS8_EEEEPS9_mNS6_4lessIS8_EEEE10hipError_tT0_T1_T2_jT3_P12ihipStream_tbPNSt15iterator_traitsISL_E10value_typeEPNSR_ISM_E10value_typeEPSN_NS1_7vsmem_tEENKUlT_SL_SM_SN_E_clISG_PS8_SH_SH_EESK_S10_SL_SM_SN_EUlS10_E0_NS1_11comp_targetILNS1_3genE5ELNS1_11target_archE942ELNS1_3gpuE9ELNS1_3repE0EEENS1_38merge_mergepath_config_static_selectorELNS0_4arch9wavefront6targetE0EEEvSM_,comdat
.Lfunc_end667:
	.size	_ZN7rocprim17ROCPRIM_400000_NS6detail17trampoline_kernelINS0_14default_configENS1_38merge_sort_block_merge_config_selectorIN6thrust23THRUST_200600_302600_NS4pairIiiEENS0_10empty_typeEEEZZNS1_27merge_sort_block_merge_implIS3_NS6_6detail15normal_iteratorINS6_10device_ptrIS8_EEEEPS9_mNS6_4lessIS8_EEEE10hipError_tT0_T1_T2_jT3_P12ihipStream_tbPNSt15iterator_traitsISL_E10value_typeEPNSR_ISM_E10value_typeEPSN_NS1_7vsmem_tEENKUlT_SL_SM_SN_E_clISG_PS8_SH_SH_EESK_S10_SL_SM_SN_EUlS10_E0_NS1_11comp_targetILNS1_3genE5ELNS1_11target_archE942ELNS1_3gpuE9ELNS1_3repE0EEENS1_38merge_mergepath_config_static_selectorELNS0_4arch9wavefront6targetE0EEEvSM_, .Lfunc_end667-_ZN7rocprim17ROCPRIM_400000_NS6detail17trampoline_kernelINS0_14default_configENS1_38merge_sort_block_merge_config_selectorIN6thrust23THRUST_200600_302600_NS4pairIiiEENS0_10empty_typeEEEZZNS1_27merge_sort_block_merge_implIS3_NS6_6detail15normal_iteratorINS6_10device_ptrIS8_EEEEPS9_mNS6_4lessIS8_EEEE10hipError_tT0_T1_T2_jT3_P12ihipStream_tbPNSt15iterator_traitsISL_E10value_typeEPNSR_ISM_E10value_typeEPSN_NS1_7vsmem_tEENKUlT_SL_SM_SN_E_clISG_PS8_SH_SH_EESK_S10_SL_SM_SN_EUlS10_E0_NS1_11comp_targetILNS1_3genE5ELNS1_11target_archE942ELNS1_3gpuE9ELNS1_3repE0EEENS1_38merge_mergepath_config_static_selectorELNS0_4arch9wavefront6targetE0EEEvSM_
                                        ; -- End function
	.set _ZN7rocprim17ROCPRIM_400000_NS6detail17trampoline_kernelINS0_14default_configENS1_38merge_sort_block_merge_config_selectorIN6thrust23THRUST_200600_302600_NS4pairIiiEENS0_10empty_typeEEEZZNS1_27merge_sort_block_merge_implIS3_NS6_6detail15normal_iteratorINS6_10device_ptrIS8_EEEEPS9_mNS6_4lessIS8_EEEE10hipError_tT0_T1_T2_jT3_P12ihipStream_tbPNSt15iterator_traitsISL_E10value_typeEPNSR_ISM_E10value_typeEPSN_NS1_7vsmem_tEENKUlT_SL_SM_SN_E_clISG_PS8_SH_SH_EESK_S10_SL_SM_SN_EUlS10_E0_NS1_11comp_targetILNS1_3genE5ELNS1_11target_archE942ELNS1_3gpuE9ELNS1_3repE0EEENS1_38merge_mergepath_config_static_selectorELNS0_4arch9wavefront6targetE0EEEvSM_.num_vgpr, 0
	.set _ZN7rocprim17ROCPRIM_400000_NS6detail17trampoline_kernelINS0_14default_configENS1_38merge_sort_block_merge_config_selectorIN6thrust23THRUST_200600_302600_NS4pairIiiEENS0_10empty_typeEEEZZNS1_27merge_sort_block_merge_implIS3_NS6_6detail15normal_iteratorINS6_10device_ptrIS8_EEEEPS9_mNS6_4lessIS8_EEEE10hipError_tT0_T1_T2_jT3_P12ihipStream_tbPNSt15iterator_traitsISL_E10value_typeEPNSR_ISM_E10value_typeEPSN_NS1_7vsmem_tEENKUlT_SL_SM_SN_E_clISG_PS8_SH_SH_EESK_S10_SL_SM_SN_EUlS10_E0_NS1_11comp_targetILNS1_3genE5ELNS1_11target_archE942ELNS1_3gpuE9ELNS1_3repE0EEENS1_38merge_mergepath_config_static_selectorELNS0_4arch9wavefront6targetE0EEEvSM_.num_agpr, 0
	.set _ZN7rocprim17ROCPRIM_400000_NS6detail17trampoline_kernelINS0_14default_configENS1_38merge_sort_block_merge_config_selectorIN6thrust23THRUST_200600_302600_NS4pairIiiEENS0_10empty_typeEEEZZNS1_27merge_sort_block_merge_implIS3_NS6_6detail15normal_iteratorINS6_10device_ptrIS8_EEEEPS9_mNS6_4lessIS8_EEEE10hipError_tT0_T1_T2_jT3_P12ihipStream_tbPNSt15iterator_traitsISL_E10value_typeEPNSR_ISM_E10value_typeEPSN_NS1_7vsmem_tEENKUlT_SL_SM_SN_E_clISG_PS8_SH_SH_EESK_S10_SL_SM_SN_EUlS10_E0_NS1_11comp_targetILNS1_3genE5ELNS1_11target_archE942ELNS1_3gpuE9ELNS1_3repE0EEENS1_38merge_mergepath_config_static_selectorELNS0_4arch9wavefront6targetE0EEEvSM_.numbered_sgpr, 0
	.set _ZN7rocprim17ROCPRIM_400000_NS6detail17trampoline_kernelINS0_14default_configENS1_38merge_sort_block_merge_config_selectorIN6thrust23THRUST_200600_302600_NS4pairIiiEENS0_10empty_typeEEEZZNS1_27merge_sort_block_merge_implIS3_NS6_6detail15normal_iteratorINS6_10device_ptrIS8_EEEEPS9_mNS6_4lessIS8_EEEE10hipError_tT0_T1_T2_jT3_P12ihipStream_tbPNSt15iterator_traitsISL_E10value_typeEPNSR_ISM_E10value_typeEPSN_NS1_7vsmem_tEENKUlT_SL_SM_SN_E_clISG_PS8_SH_SH_EESK_S10_SL_SM_SN_EUlS10_E0_NS1_11comp_targetILNS1_3genE5ELNS1_11target_archE942ELNS1_3gpuE9ELNS1_3repE0EEENS1_38merge_mergepath_config_static_selectorELNS0_4arch9wavefront6targetE0EEEvSM_.num_named_barrier, 0
	.set _ZN7rocprim17ROCPRIM_400000_NS6detail17trampoline_kernelINS0_14default_configENS1_38merge_sort_block_merge_config_selectorIN6thrust23THRUST_200600_302600_NS4pairIiiEENS0_10empty_typeEEEZZNS1_27merge_sort_block_merge_implIS3_NS6_6detail15normal_iteratorINS6_10device_ptrIS8_EEEEPS9_mNS6_4lessIS8_EEEE10hipError_tT0_T1_T2_jT3_P12ihipStream_tbPNSt15iterator_traitsISL_E10value_typeEPNSR_ISM_E10value_typeEPSN_NS1_7vsmem_tEENKUlT_SL_SM_SN_E_clISG_PS8_SH_SH_EESK_S10_SL_SM_SN_EUlS10_E0_NS1_11comp_targetILNS1_3genE5ELNS1_11target_archE942ELNS1_3gpuE9ELNS1_3repE0EEENS1_38merge_mergepath_config_static_selectorELNS0_4arch9wavefront6targetE0EEEvSM_.private_seg_size, 0
	.set _ZN7rocprim17ROCPRIM_400000_NS6detail17trampoline_kernelINS0_14default_configENS1_38merge_sort_block_merge_config_selectorIN6thrust23THRUST_200600_302600_NS4pairIiiEENS0_10empty_typeEEEZZNS1_27merge_sort_block_merge_implIS3_NS6_6detail15normal_iteratorINS6_10device_ptrIS8_EEEEPS9_mNS6_4lessIS8_EEEE10hipError_tT0_T1_T2_jT3_P12ihipStream_tbPNSt15iterator_traitsISL_E10value_typeEPNSR_ISM_E10value_typeEPSN_NS1_7vsmem_tEENKUlT_SL_SM_SN_E_clISG_PS8_SH_SH_EESK_S10_SL_SM_SN_EUlS10_E0_NS1_11comp_targetILNS1_3genE5ELNS1_11target_archE942ELNS1_3gpuE9ELNS1_3repE0EEENS1_38merge_mergepath_config_static_selectorELNS0_4arch9wavefront6targetE0EEEvSM_.uses_vcc, 0
	.set _ZN7rocprim17ROCPRIM_400000_NS6detail17trampoline_kernelINS0_14default_configENS1_38merge_sort_block_merge_config_selectorIN6thrust23THRUST_200600_302600_NS4pairIiiEENS0_10empty_typeEEEZZNS1_27merge_sort_block_merge_implIS3_NS6_6detail15normal_iteratorINS6_10device_ptrIS8_EEEEPS9_mNS6_4lessIS8_EEEE10hipError_tT0_T1_T2_jT3_P12ihipStream_tbPNSt15iterator_traitsISL_E10value_typeEPNSR_ISM_E10value_typeEPSN_NS1_7vsmem_tEENKUlT_SL_SM_SN_E_clISG_PS8_SH_SH_EESK_S10_SL_SM_SN_EUlS10_E0_NS1_11comp_targetILNS1_3genE5ELNS1_11target_archE942ELNS1_3gpuE9ELNS1_3repE0EEENS1_38merge_mergepath_config_static_selectorELNS0_4arch9wavefront6targetE0EEEvSM_.uses_flat_scratch, 0
	.set _ZN7rocprim17ROCPRIM_400000_NS6detail17trampoline_kernelINS0_14default_configENS1_38merge_sort_block_merge_config_selectorIN6thrust23THRUST_200600_302600_NS4pairIiiEENS0_10empty_typeEEEZZNS1_27merge_sort_block_merge_implIS3_NS6_6detail15normal_iteratorINS6_10device_ptrIS8_EEEEPS9_mNS6_4lessIS8_EEEE10hipError_tT0_T1_T2_jT3_P12ihipStream_tbPNSt15iterator_traitsISL_E10value_typeEPNSR_ISM_E10value_typeEPSN_NS1_7vsmem_tEENKUlT_SL_SM_SN_E_clISG_PS8_SH_SH_EESK_S10_SL_SM_SN_EUlS10_E0_NS1_11comp_targetILNS1_3genE5ELNS1_11target_archE942ELNS1_3gpuE9ELNS1_3repE0EEENS1_38merge_mergepath_config_static_selectorELNS0_4arch9wavefront6targetE0EEEvSM_.has_dyn_sized_stack, 0
	.set _ZN7rocprim17ROCPRIM_400000_NS6detail17trampoline_kernelINS0_14default_configENS1_38merge_sort_block_merge_config_selectorIN6thrust23THRUST_200600_302600_NS4pairIiiEENS0_10empty_typeEEEZZNS1_27merge_sort_block_merge_implIS3_NS6_6detail15normal_iteratorINS6_10device_ptrIS8_EEEEPS9_mNS6_4lessIS8_EEEE10hipError_tT0_T1_T2_jT3_P12ihipStream_tbPNSt15iterator_traitsISL_E10value_typeEPNSR_ISM_E10value_typeEPSN_NS1_7vsmem_tEENKUlT_SL_SM_SN_E_clISG_PS8_SH_SH_EESK_S10_SL_SM_SN_EUlS10_E0_NS1_11comp_targetILNS1_3genE5ELNS1_11target_archE942ELNS1_3gpuE9ELNS1_3repE0EEENS1_38merge_mergepath_config_static_selectorELNS0_4arch9wavefront6targetE0EEEvSM_.has_recursion, 0
	.set _ZN7rocprim17ROCPRIM_400000_NS6detail17trampoline_kernelINS0_14default_configENS1_38merge_sort_block_merge_config_selectorIN6thrust23THRUST_200600_302600_NS4pairIiiEENS0_10empty_typeEEEZZNS1_27merge_sort_block_merge_implIS3_NS6_6detail15normal_iteratorINS6_10device_ptrIS8_EEEEPS9_mNS6_4lessIS8_EEEE10hipError_tT0_T1_T2_jT3_P12ihipStream_tbPNSt15iterator_traitsISL_E10value_typeEPNSR_ISM_E10value_typeEPSN_NS1_7vsmem_tEENKUlT_SL_SM_SN_E_clISG_PS8_SH_SH_EESK_S10_SL_SM_SN_EUlS10_E0_NS1_11comp_targetILNS1_3genE5ELNS1_11target_archE942ELNS1_3gpuE9ELNS1_3repE0EEENS1_38merge_mergepath_config_static_selectorELNS0_4arch9wavefront6targetE0EEEvSM_.has_indirect_call, 0
	.section	.AMDGPU.csdata,"",@progbits
; Kernel info:
; codeLenInByte = 0
; TotalNumSgprs: 0
; NumVgprs: 0
; ScratchSize: 0
; MemoryBound: 0
; FloatMode: 240
; IeeeMode: 1
; LDSByteSize: 0 bytes/workgroup (compile time only)
; SGPRBlocks: 0
; VGPRBlocks: 0
; NumSGPRsForWavesPerEU: 1
; NumVGPRsForWavesPerEU: 1
; Occupancy: 16
; WaveLimiterHint : 0
; COMPUTE_PGM_RSRC2:SCRATCH_EN: 0
; COMPUTE_PGM_RSRC2:USER_SGPR: 6
; COMPUTE_PGM_RSRC2:TRAP_HANDLER: 0
; COMPUTE_PGM_RSRC2:TGID_X_EN: 1
; COMPUTE_PGM_RSRC2:TGID_Y_EN: 0
; COMPUTE_PGM_RSRC2:TGID_Z_EN: 0
; COMPUTE_PGM_RSRC2:TIDIG_COMP_CNT: 0
	.section	.text._ZN7rocprim17ROCPRIM_400000_NS6detail17trampoline_kernelINS0_14default_configENS1_38merge_sort_block_merge_config_selectorIN6thrust23THRUST_200600_302600_NS4pairIiiEENS0_10empty_typeEEEZZNS1_27merge_sort_block_merge_implIS3_NS6_6detail15normal_iteratorINS6_10device_ptrIS8_EEEEPS9_mNS6_4lessIS8_EEEE10hipError_tT0_T1_T2_jT3_P12ihipStream_tbPNSt15iterator_traitsISL_E10value_typeEPNSR_ISM_E10value_typeEPSN_NS1_7vsmem_tEENKUlT_SL_SM_SN_E_clISG_PS8_SH_SH_EESK_S10_SL_SM_SN_EUlS10_E0_NS1_11comp_targetILNS1_3genE4ELNS1_11target_archE910ELNS1_3gpuE8ELNS1_3repE0EEENS1_38merge_mergepath_config_static_selectorELNS0_4arch9wavefront6targetE0EEEvSM_,"axG",@progbits,_ZN7rocprim17ROCPRIM_400000_NS6detail17trampoline_kernelINS0_14default_configENS1_38merge_sort_block_merge_config_selectorIN6thrust23THRUST_200600_302600_NS4pairIiiEENS0_10empty_typeEEEZZNS1_27merge_sort_block_merge_implIS3_NS6_6detail15normal_iteratorINS6_10device_ptrIS8_EEEEPS9_mNS6_4lessIS8_EEEE10hipError_tT0_T1_T2_jT3_P12ihipStream_tbPNSt15iterator_traitsISL_E10value_typeEPNSR_ISM_E10value_typeEPSN_NS1_7vsmem_tEENKUlT_SL_SM_SN_E_clISG_PS8_SH_SH_EESK_S10_SL_SM_SN_EUlS10_E0_NS1_11comp_targetILNS1_3genE4ELNS1_11target_archE910ELNS1_3gpuE8ELNS1_3repE0EEENS1_38merge_mergepath_config_static_selectorELNS0_4arch9wavefront6targetE0EEEvSM_,comdat
	.protected	_ZN7rocprim17ROCPRIM_400000_NS6detail17trampoline_kernelINS0_14default_configENS1_38merge_sort_block_merge_config_selectorIN6thrust23THRUST_200600_302600_NS4pairIiiEENS0_10empty_typeEEEZZNS1_27merge_sort_block_merge_implIS3_NS6_6detail15normal_iteratorINS6_10device_ptrIS8_EEEEPS9_mNS6_4lessIS8_EEEE10hipError_tT0_T1_T2_jT3_P12ihipStream_tbPNSt15iterator_traitsISL_E10value_typeEPNSR_ISM_E10value_typeEPSN_NS1_7vsmem_tEENKUlT_SL_SM_SN_E_clISG_PS8_SH_SH_EESK_S10_SL_SM_SN_EUlS10_E0_NS1_11comp_targetILNS1_3genE4ELNS1_11target_archE910ELNS1_3gpuE8ELNS1_3repE0EEENS1_38merge_mergepath_config_static_selectorELNS0_4arch9wavefront6targetE0EEEvSM_ ; -- Begin function _ZN7rocprim17ROCPRIM_400000_NS6detail17trampoline_kernelINS0_14default_configENS1_38merge_sort_block_merge_config_selectorIN6thrust23THRUST_200600_302600_NS4pairIiiEENS0_10empty_typeEEEZZNS1_27merge_sort_block_merge_implIS3_NS6_6detail15normal_iteratorINS6_10device_ptrIS8_EEEEPS9_mNS6_4lessIS8_EEEE10hipError_tT0_T1_T2_jT3_P12ihipStream_tbPNSt15iterator_traitsISL_E10value_typeEPNSR_ISM_E10value_typeEPSN_NS1_7vsmem_tEENKUlT_SL_SM_SN_E_clISG_PS8_SH_SH_EESK_S10_SL_SM_SN_EUlS10_E0_NS1_11comp_targetILNS1_3genE4ELNS1_11target_archE910ELNS1_3gpuE8ELNS1_3repE0EEENS1_38merge_mergepath_config_static_selectorELNS0_4arch9wavefront6targetE0EEEvSM_
	.globl	_ZN7rocprim17ROCPRIM_400000_NS6detail17trampoline_kernelINS0_14default_configENS1_38merge_sort_block_merge_config_selectorIN6thrust23THRUST_200600_302600_NS4pairIiiEENS0_10empty_typeEEEZZNS1_27merge_sort_block_merge_implIS3_NS6_6detail15normal_iteratorINS6_10device_ptrIS8_EEEEPS9_mNS6_4lessIS8_EEEE10hipError_tT0_T1_T2_jT3_P12ihipStream_tbPNSt15iterator_traitsISL_E10value_typeEPNSR_ISM_E10value_typeEPSN_NS1_7vsmem_tEENKUlT_SL_SM_SN_E_clISG_PS8_SH_SH_EESK_S10_SL_SM_SN_EUlS10_E0_NS1_11comp_targetILNS1_3genE4ELNS1_11target_archE910ELNS1_3gpuE8ELNS1_3repE0EEENS1_38merge_mergepath_config_static_selectorELNS0_4arch9wavefront6targetE0EEEvSM_
	.p2align	8
	.type	_ZN7rocprim17ROCPRIM_400000_NS6detail17trampoline_kernelINS0_14default_configENS1_38merge_sort_block_merge_config_selectorIN6thrust23THRUST_200600_302600_NS4pairIiiEENS0_10empty_typeEEEZZNS1_27merge_sort_block_merge_implIS3_NS6_6detail15normal_iteratorINS6_10device_ptrIS8_EEEEPS9_mNS6_4lessIS8_EEEE10hipError_tT0_T1_T2_jT3_P12ihipStream_tbPNSt15iterator_traitsISL_E10value_typeEPNSR_ISM_E10value_typeEPSN_NS1_7vsmem_tEENKUlT_SL_SM_SN_E_clISG_PS8_SH_SH_EESK_S10_SL_SM_SN_EUlS10_E0_NS1_11comp_targetILNS1_3genE4ELNS1_11target_archE910ELNS1_3gpuE8ELNS1_3repE0EEENS1_38merge_mergepath_config_static_selectorELNS0_4arch9wavefront6targetE0EEEvSM_,@function
_ZN7rocprim17ROCPRIM_400000_NS6detail17trampoline_kernelINS0_14default_configENS1_38merge_sort_block_merge_config_selectorIN6thrust23THRUST_200600_302600_NS4pairIiiEENS0_10empty_typeEEEZZNS1_27merge_sort_block_merge_implIS3_NS6_6detail15normal_iteratorINS6_10device_ptrIS8_EEEEPS9_mNS6_4lessIS8_EEEE10hipError_tT0_T1_T2_jT3_P12ihipStream_tbPNSt15iterator_traitsISL_E10value_typeEPNSR_ISM_E10value_typeEPSN_NS1_7vsmem_tEENKUlT_SL_SM_SN_E_clISG_PS8_SH_SH_EESK_S10_SL_SM_SN_EUlS10_E0_NS1_11comp_targetILNS1_3genE4ELNS1_11target_archE910ELNS1_3gpuE8ELNS1_3repE0EEENS1_38merge_mergepath_config_static_selectorELNS0_4arch9wavefront6targetE0EEEvSM_: ; @_ZN7rocprim17ROCPRIM_400000_NS6detail17trampoline_kernelINS0_14default_configENS1_38merge_sort_block_merge_config_selectorIN6thrust23THRUST_200600_302600_NS4pairIiiEENS0_10empty_typeEEEZZNS1_27merge_sort_block_merge_implIS3_NS6_6detail15normal_iteratorINS6_10device_ptrIS8_EEEEPS9_mNS6_4lessIS8_EEEE10hipError_tT0_T1_T2_jT3_P12ihipStream_tbPNSt15iterator_traitsISL_E10value_typeEPNSR_ISM_E10value_typeEPSN_NS1_7vsmem_tEENKUlT_SL_SM_SN_E_clISG_PS8_SH_SH_EESK_S10_SL_SM_SN_EUlS10_E0_NS1_11comp_targetILNS1_3genE4ELNS1_11target_archE910ELNS1_3gpuE8ELNS1_3repE0EEENS1_38merge_mergepath_config_static_selectorELNS0_4arch9wavefront6targetE0EEEvSM_
; %bb.0:
	.section	.rodata,"a",@progbits
	.p2align	6, 0x0
	.amdhsa_kernel _ZN7rocprim17ROCPRIM_400000_NS6detail17trampoline_kernelINS0_14default_configENS1_38merge_sort_block_merge_config_selectorIN6thrust23THRUST_200600_302600_NS4pairIiiEENS0_10empty_typeEEEZZNS1_27merge_sort_block_merge_implIS3_NS6_6detail15normal_iteratorINS6_10device_ptrIS8_EEEEPS9_mNS6_4lessIS8_EEEE10hipError_tT0_T1_T2_jT3_P12ihipStream_tbPNSt15iterator_traitsISL_E10value_typeEPNSR_ISM_E10value_typeEPSN_NS1_7vsmem_tEENKUlT_SL_SM_SN_E_clISG_PS8_SH_SH_EESK_S10_SL_SM_SN_EUlS10_E0_NS1_11comp_targetILNS1_3genE4ELNS1_11target_archE910ELNS1_3gpuE8ELNS1_3repE0EEENS1_38merge_mergepath_config_static_selectorELNS0_4arch9wavefront6targetE0EEEvSM_
		.amdhsa_group_segment_fixed_size 0
		.amdhsa_private_segment_fixed_size 0
		.amdhsa_kernarg_size 72
		.amdhsa_user_sgpr_count 6
		.amdhsa_user_sgpr_private_segment_buffer 1
		.amdhsa_user_sgpr_dispatch_ptr 0
		.amdhsa_user_sgpr_queue_ptr 0
		.amdhsa_user_sgpr_kernarg_segment_ptr 1
		.amdhsa_user_sgpr_dispatch_id 0
		.amdhsa_user_sgpr_flat_scratch_init 0
		.amdhsa_user_sgpr_private_segment_size 0
		.amdhsa_wavefront_size32 1
		.amdhsa_uses_dynamic_stack 0
		.amdhsa_system_sgpr_private_segment_wavefront_offset 0
		.amdhsa_system_sgpr_workgroup_id_x 1
		.amdhsa_system_sgpr_workgroup_id_y 0
		.amdhsa_system_sgpr_workgroup_id_z 0
		.amdhsa_system_sgpr_workgroup_info 0
		.amdhsa_system_vgpr_workitem_id 0
		.amdhsa_next_free_vgpr 1
		.amdhsa_next_free_sgpr 1
		.amdhsa_reserve_vcc 0
		.amdhsa_reserve_flat_scratch 0
		.amdhsa_float_round_mode_32 0
		.amdhsa_float_round_mode_16_64 0
		.amdhsa_float_denorm_mode_32 3
		.amdhsa_float_denorm_mode_16_64 3
		.amdhsa_dx10_clamp 1
		.amdhsa_ieee_mode 1
		.amdhsa_fp16_overflow 0
		.amdhsa_workgroup_processor_mode 1
		.amdhsa_memory_ordered 1
		.amdhsa_forward_progress 1
		.amdhsa_shared_vgpr_count 0
		.amdhsa_exception_fp_ieee_invalid_op 0
		.amdhsa_exception_fp_denorm_src 0
		.amdhsa_exception_fp_ieee_div_zero 0
		.amdhsa_exception_fp_ieee_overflow 0
		.amdhsa_exception_fp_ieee_underflow 0
		.amdhsa_exception_fp_ieee_inexact 0
		.amdhsa_exception_int_div_zero 0
	.end_amdhsa_kernel
	.section	.text._ZN7rocprim17ROCPRIM_400000_NS6detail17trampoline_kernelINS0_14default_configENS1_38merge_sort_block_merge_config_selectorIN6thrust23THRUST_200600_302600_NS4pairIiiEENS0_10empty_typeEEEZZNS1_27merge_sort_block_merge_implIS3_NS6_6detail15normal_iteratorINS6_10device_ptrIS8_EEEEPS9_mNS6_4lessIS8_EEEE10hipError_tT0_T1_T2_jT3_P12ihipStream_tbPNSt15iterator_traitsISL_E10value_typeEPNSR_ISM_E10value_typeEPSN_NS1_7vsmem_tEENKUlT_SL_SM_SN_E_clISG_PS8_SH_SH_EESK_S10_SL_SM_SN_EUlS10_E0_NS1_11comp_targetILNS1_3genE4ELNS1_11target_archE910ELNS1_3gpuE8ELNS1_3repE0EEENS1_38merge_mergepath_config_static_selectorELNS0_4arch9wavefront6targetE0EEEvSM_,"axG",@progbits,_ZN7rocprim17ROCPRIM_400000_NS6detail17trampoline_kernelINS0_14default_configENS1_38merge_sort_block_merge_config_selectorIN6thrust23THRUST_200600_302600_NS4pairIiiEENS0_10empty_typeEEEZZNS1_27merge_sort_block_merge_implIS3_NS6_6detail15normal_iteratorINS6_10device_ptrIS8_EEEEPS9_mNS6_4lessIS8_EEEE10hipError_tT0_T1_T2_jT3_P12ihipStream_tbPNSt15iterator_traitsISL_E10value_typeEPNSR_ISM_E10value_typeEPSN_NS1_7vsmem_tEENKUlT_SL_SM_SN_E_clISG_PS8_SH_SH_EESK_S10_SL_SM_SN_EUlS10_E0_NS1_11comp_targetILNS1_3genE4ELNS1_11target_archE910ELNS1_3gpuE8ELNS1_3repE0EEENS1_38merge_mergepath_config_static_selectorELNS0_4arch9wavefront6targetE0EEEvSM_,comdat
.Lfunc_end668:
	.size	_ZN7rocprim17ROCPRIM_400000_NS6detail17trampoline_kernelINS0_14default_configENS1_38merge_sort_block_merge_config_selectorIN6thrust23THRUST_200600_302600_NS4pairIiiEENS0_10empty_typeEEEZZNS1_27merge_sort_block_merge_implIS3_NS6_6detail15normal_iteratorINS6_10device_ptrIS8_EEEEPS9_mNS6_4lessIS8_EEEE10hipError_tT0_T1_T2_jT3_P12ihipStream_tbPNSt15iterator_traitsISL_E10value_typeEPNSR_ISM_E10value_typeEPSN_NS1_7vsmem_tEENKUlT_SL_SM_SN_E_clISG_PS8_SH_SH_EESK_S10_SL_SM_SN_EUlS10_E0_NS1_11comp_targetILNS1_3genE4ELNS1_11target_archE910ELNS1_3gpuE8ELNS1_3repE0EEENS1_38merge_mergepath_config_static_selectorELNS0_4arch9wavefront6targetE0EEEvSM_, .Lfunc_end668-_ZN7rocprim17ROCPRIM_400000_NS6detail17trampoline_kernelINS0_14default_configENS1_38merge_sort_block_merge_config_selectorIN6thrust23THRUST_200600_302600_NS4pairIiiEENS0_10empty_typeEEEZZNS1_27merge_sort_block_merge_implIS3_NS6_6detail15normal_iteratorINS6_10device_ptrIS8_EEEEPS9_mNS6_4lessIS8_EEEE10hipError_tT0_T1_T2_jT3_P12ihipStream_tbPNSt15iterator_traitsISL_E10value_typeEPNSR_ISM_E10value_typeEPSN_NS1_7vsmem_tEENKUlT_SL_SM_SN_E_clISG_PS8_SH_SH_EESK_S10_SL_SM_SN_EUlS10_E0_NS1_11comp_targetILNS1_3genE4ELNS1_11target_archE910ELNS1_3gpuE8ELNS1_3repE0EEENS1_38merge_mergepath_config_static_selectorELNS0_4arch9wavefront6targetE0EEEvSM_
                                        ; -- End function
	.set _ZN7rocprim17ROCPRIM_400000_NS6detail17trampoline_kernelINS0_14default_configENS1_38merge_sort_block_merge_config_selectorIN6thrust23THRUST_200600_302600_NS4pairIiiEENS0_10empty_typeEEEZZNS1_27merge_sort_block_merge_implIS3_NS6_6detail15normal_iteratorINS6_10device_ptrIS8_EEEEPS9_mNS6_4lessIS8_EEEE10hipError_tT0_T1_T2_jT3_P12ihipStream_tbPNSt15iterator_traitsISL_E10value_typeEPNSR_ISM_E10value_typeEPSN_NS1_7vsmem_tEENKUlT_SL_SM_SN_E_clISG_PS8_SH_SH_EESK_S10_SL_SM_SN_EUlS10_E0_NS1_11comp_targetILNS1_3genE4ELNS1_11target_archE910ELNS1_3gpuE8ELNS1_3repE0EEENS1_38merge_mergepath_config_static_selectorELNS0_4arch9wavefront6targetE0EEEvSM_.num_vgpr, 0
	.set _ZN7rocprim17ROCPRIM_400000_NS6detail17trampoline_kernelINS0_14default_configENS1_38merge_sort_block_merge_config_selectorIN6thrust23THRUST_200600_302600_NS4pairIiiEENS0_10empty_typeEEEZZNS1_27merge_sort_block_merge_implIS3_NS6_6detail15normal_iteratorINS6_10device_ptrIS8_EEEEPS9_mNS6_4lessIS8_EEEE10hipError_tT0_T1_T2_jT3_P12ihipStream_tbPNSt15iterator_traitsISL_E10value_typeEPNSR_ISM_E10value_typeEPSN_NS1_7vsmem_tEENKUlT_SL_SM_SN_E_clISG_PS8_SH_SH_EESK_S10_SL_SM_SN_EUlS10_E0_NS1_11comp_targetILNS1_3genE4ELNS1_11target_archE910ELNS1_3gpuE8ELNS1_3repE0EEENS1_38merge_mergepath_config_static_selectorELNS0_4arch9wavefront6targetE0EEEvSM_.num_agpr, 0
	.set _ZN7rocprim17ROCPRIM_400000_NS6detail17trampoline_kernelINS0_14default_configENS1_38merge_sort_block_merge_config_selectorIN6thrust23THRUST_200600_302600_NS4pairIiiEENS0_10empty_typeEEEZZNS1_27merge_sort_block_merge_implIS3_NS6_6detail15normal_iteratorINS6_10device_ptrIS8_EEEEPS9_mNS6_4lessIS8_EEEE10hipError_tT0_T1_T2_jT3_P12ihipStream_tbPNSt15iterator_traitsISL_E10value_typeEPNSR_ISM_E10value_typeEPSN_NS1_7vsmem_tEENKUlT_SL_SM_SN_E_clISG_PS8_SH_SH_EESK_S10_SL_SM_SN_EUlS10_E0_NS1_11comp_targetILNS1_3genE4ELNS1_11target_archE910ELNS1_3gpuE8ELNS1_3repE0EEENS1_38merge_mergepath_config_static_selectorELNS0_4arch9wavefront6targetE0EEEvSM_.numbered_sgpr, 0
	.set _ZN7rocprim17ROCPRIM_400000_NS6detail17trampoline_kernelINS0_14default_configENS1_38merge_sort_block_merge_config_selectorIN6thrust23THRUST_200600_302600_NS4pairIiiEENS0_10empty_typeEEEZZNS1_27merge_sort_block_merge_implIS3_NS6_6detail15normal_iteratorINS6_10device_ptrIS8_EEEEPS9_mNS6_4lessIS8_EEEE10hipError_tT0_T1_T2_jT3_P12ihipStream_tbPNSt15iterator_traitsISL_E10value_typeEPNSR_ISM_E10value_typeEPSN_NS1_7vsmem_tEENKUlT_SL_SM_SN_E_clISG_PS8_SH_SH_EESK_S10_SL_SM_SN_EUlS10_E0_NS1_11comp_targetILNS1_3genE4ELNS1_11target_archE910ELNS1_3gpuE8ELNS1_3repE0EEENS1_38merge_mergepath_config_static_selectorELNS0_4arch9wavefront6targetE0EEEvSM_.num_named_barrier, 0
	.set _ZN7rocprim17ROCPRIM_400000_NS6detail17trampoline_kernelINS0_14default_configENS1_38merge_sort_block_merge_config_selectorIN6thrust23THRUST_200600_302600_NS4pairIiiEENS0_10empty_typeEEEZZNS1_27merge_sort_block_merge_implIS3_NS6_6detail15normal_iteratorINS6_10device_ptrIS8_EEEEPS9_mNS6_4lessIS8_EEEE10hipError_tT0_T1_T2_jT3_P12ihipStream_tbPNSt15iterator_traitsISL_E10value_typeEPNSR_ISM_E10value_typeEPSN_NS1_7vsmem_tEENKUlT_SL_SM_SN_E_clISG_PS8_SH_SH_EESK_S10_SL_SM_SN_EUlS10_E0_NS1_11comp_targetILNS1_3genE4ELNS1_11target_archE910ELNS1_3gpuE8ELNS1_3repE0EEENS1_38merge_mergepath_config_static_selectorELNS0_4arch9wavefront6targetE0EEEvSM_.private_seg_size, 0
	.set _ZN7rocprim17ROCPRIM_400000_NS6detail17trampoline_kernelINS0_14default_configENS1_38merge_sort_block_merge_config_selectorIN6thrust23THRUST_200600_302600_NS4pairIiiEENS0_10empty_typeEEEZZNS1_27merge_sort_block_merge_implIS3_NS6_6detail15normal_iteratorINS6_10device_ptrIS8_EEEEPS9_mNS6_4lessIS8_EEEE10hipError_tT0_T1_T2_jT3_P12ihipStream_tbPNSt15iterator_traitsISL_E10value_typeEPNSR_ISM_E10value_typeEPSN_NS1_7vsmem_tEENKUlT_SL_SM_SN_E_clISG_PS8_SH_SH_EESK_S10_SL_SM_SN_EUlS10_E0_NS1_11comp_targetILNS1_3genE4ELNS1_11target_archE910ELNS1_3gpuE8ELNS1_3repE0EEENS1_38merge_mergepath_config_static_selectorELNS0_4arch9wavefront6targetE0EEEvSM_.uses_vcc, 0
	.set _ZN7rocprim17ROCPRIM_400000_NS6detail17trampoline_kernelINS0_14default_configENS1_38merge_sort_block_merge_config_selectorIN6thrust23THRUST_200600_302600_NS4pairIiiEENS0_10empty_typeEEEZZNS1_27merge_sort_block_merge_implIS3_NS6_6detail15normal_iteratorINS6_10device_ptrIS8_EEEEPS9_mNS6_4lessIS8_EEEE10hipError_tT0_T1_T2_jT3_P12ihipStream_tbPNSt15iterator_traitsISL_E10value_typeEPNSR_ISM_E10value_typeEPSN_NS1_7vsmem_tEENKUlT_SL_SM_SN_E_clISG_PS8_SH_SH_EESK_S10_SL_SM_SN_EUlS10_E0_NS1_11comp_targetILNS1_3genE4ELNS1_11target_archE910ELNS1_3gpuE8ELNS1_3repE0EEENS1_38merge_mergepath_config_static_selectorELNS0_4arch9wavefront6targetE0EEEvSM_.uses_flat_scratch, 0
	.set _ZN7rocprim17ROCPRIM_400000_NS6detail17trampoline_kernelINS0_14default_configENS1_38merge_sort_block_merge_config_selectorIN6thrust23THRUST_200600_302600_NS4pairIiiEENS0_10empty_typeEEEZZNS1_27merge_sort_block_merge_implIS3_NS6_6detail15normal_iteratorINS6_10device_ptrIS8_EEEEPS9_mNS6_4lessIS8_EEEE10hipError_tT0_T1_T2_jT3_P12ihipStream_tbPNSt15iterator_traitsISL_E10value_typeEPNSR_ISM_E10value_typeEPSN_NS1_7vsmem_tEENKUlT_SL_SM_SN_E_clISG_PS8_SH_SH_EESK_S10_SL_SM_SN_EUlS10_E0_NS1_11comp_targetILNS1_3genE4ELNS1_11target_archE910ELNS1_3gpuE8ELNS1_3repE0EEENS1_38merge_mergepath_config_static_selectorELNS0_4arch9wavefront6targetE0EEEvSM_.has_dyn_sized_stack, 0
	.set _ZN7rocprim17ROCPRIM_400000_NS6detail17trampoline_kernelINS0_14default_configENS1_38merge_sort_block_merge_config_selectorIN6thrust23THRUST_200600_302600_NS4pairIiiEENS0_10empty_typeEEEZZNS1_27merge_sort_block_merge_implIS3_NS6_6detail15normal_iteratorINS6_10device_ptrIS8_EEEEPS9_mNS6_4lessIS8_EEEE10hipError_tT0_T1_T2_jT3_P12ihipStream_tbPNSt15iterator_traitsISL_E10value_typeEPNSR_ISM_E10value_typeEPSN_NS1_7vsmem_tEENKUlT_SL_SM_SN_E_clISG_PS8_SH_SH_EESK_S10_SL_SM_SN_EUlS10_E0_NS1_11comp_targetILNS1_3genE4ELNS1_11target_archE910ELNS1_3gpuE8ELNS1_3repE0EEENS1_38merge_mergepath_config_static_selectorELNS0_4arch9wavefront6targetE0EEEvSM_.has_recursion, 0
	.set _ZN7rocprim17ROCPRIM_400000_NS6detail17trampoline_kernelINS0_14default_configENS1_38merge_sort_block_merge_config_selectorIN6thrust23THRUST_200600_302600_NS4pairIiiEENS0_10empty_typeEEEZZNS1_27merge_sort_block_merge_implIS3_NS6_6detail15normal_iteratorINS6_10device_ptrIS8_EEEEPS9_mNS6_4lessIS8_EEEE10hipError_tT0_T1_T2_jT3_P12ihipStream_tbPNSt15iterator_traitsISL_E10value_typeEPNSR_ISM_E10value_typeEPSN_NS1_7vsmem_tEENKUlT_SL_SM_SN_E_clISG_PS8_SH_SH_EESK_S10_SL_SM_SN_EUlS10_E0_NS1_11comp_targetILNS1_3genE4ELNS1_11target_archE910ELNS1_3gpuE8ELNS1_3repE0EEENS1_38merge_mergepath_config_static_selectorELNS0_4arch9wavefront6targetE0EEEvSM_.has_indirect_call, 0
	.section	.AMDGPU.csdata,"",@progbits
; Kernel info:
; codeLenInByte = 0
; TotalNumSgprs: 0
; NumVgprs: 0
; ScratchSize: 0
; MemoryBound: 0
; FloatMode: 240
; IeeeMode: 1
; LDSByteSize: 0 bytes/workgroup (compile time only)
; SGPRBlocks: 0
; VGPRBlocks: 0
; NumSGPRsForWavesPerEU: 1
; NumVGPRsForWavesPerEU: 1
; Occupancy: 16
; WaveLimiterHint : 0
; COMPUTE_PGM_RSRC2:SCRATCH_EN: 0
; COMPUTE_PGM_RSRC2:USER_SGPR: 6
; COMPUTE_PGM_RSRC2:TRAP_HANDLER: 0
; COMPUTE_PGM_RSRC2:TGID_X_EN: 1
; COMPUTE_PGM_RSRC2:TGID_Y_EN: 0
; COMPUTE_PGM_RSRC2:TGID_Z_EN: 0
; COMPUTE_PGM_RSRC2:TIDIG_COMP_CNT: 0
	.section	.text._ZN7rocprim17ROCPRIM_400000_NS6detail17trampoline_kernelINS0_14default_configENS1_38merge_sort_block_merge_config_selectorIN6thrust23THRUST_200600_302600_NS4pairIiiEENS0_10empty_typeEEEZZNS1_27merge_sort_block_merge_implIS3_NS6_6detail15normal_iteratorINS6_10device_ptrIS8_EEEEPS9_mNS6_4lessIS8_EEEE10hipError_tT0_T1_T2_jT3_P12ihipStream_tbPNSt15iterator_traitsISL_E10value_typeEPNSR_ISM_E10value_typeEPSN_NS1_7vsmem_tEENKUlT_SL_SM_SN_E_clISG_PS8_SH_SH_EESK_S10_SL_SM_SN_EUlS10_E0_NS1_11comp_targetILNS1_3genE3ELNS1_11target_archE908ELNS1_3gpuE7ELNS1_3repE0EEENS1_38merge_mergepath_config_static_selectorELNS0_4arch9wavefront6targetE0EEEvSM_,"axG",@progbits,_ZN7rocprim17ROCPRIM_400000_NS6detail17trampoline_kernelINS0_14default_configENS1_38merge_sort_block_merge_config_selectorIN6thrust23THRUST_200600_302600_NS4pairIiiEENS0_10empty_typeEEEZZNS1_27merge_sort_block_merge_implIS3_NS6_6detail15normal_iteratorINS6_10device_ptrIS8_EEEEPS9_mNS6_4lessIS8_EEEE10hipError_tT0_T1_T2_jT3_P12ihipStream_tbPNSt15iterator_traitsISL_E10value_typeEPNSR_ISM_E10value_typeEPSN_NS1_7vsmem_tEENKUlT_SL_SM_SN_E_clISG_PS8_SH_SH_EESK_S10_SL_SM_SN_EUlS10_E0_NS1_11comp_targetILNS1_3genE3ELNS1_11target_archE908ELNS1_3gpuE7ELNS1_3repE0EEENS1_38merge_mergepath_config_static_selectorELNS0_4arch9wavefront6targetE0EEEvSM_,comdat
	.protected	_ZN7rocprim17ROCPRIM_400000_NS6detail17trampoline_kernelINS0_14default_configENS1_38merge_sort_block_merge_config_selectorIN6thrust23THRUST_200600_302600_NS4pairIiiEENS0_10empty_typeEEEZZNS1_27merge_sort_block_merge_implIS3_NS6_6detail15normal_iteratorINS6_10device_ptrIS8_EEEEPS9_mNS6_4lessIS8_EEEE10hipError_tT0_T1_T2_jT3_P12ihipStream_tbPNSt15iterator_traitsISL_E10value_typeEPNSR_ISM_E10value_typeEPSN_NS1_7vsmem_tEENKUlT_SL_SM_SN_E_clISG_PS8_SH_SH_EESK_S10_SL_SM_SN_EUlS10_E0_NS1_11comp_targetILNS1_3genE3ELNS1_11target_archE908ELNS1_3gpuE7ELNS1_3repE0EEENS1_38merge_mergepath_config_static_selectorELNS0_4arch9wavefront6targetE0EEEvSM_ ; -- Begin function _ZN7rocprim17ROCPRIM_400000_NS6detail17trampoline_kernelINS0_14default_configENS1_38merge_sort_block_merge_config_selectorIN6thrust23THRUST_200600_302600_NS4pairIiiEENS0_10empty_typeEEEZZNS1_27merge_sort_block_merge_implIS3_NS6_6detail15normal_iteratorINS6_10device_ptrIS8_EEEEPS9_mNS6_4lessIS8_EEEE10hipError_tT0_T1_T2_jT3_P12ihipStream_tbPNSt15iterator_traitsISL_E10value_typeEPNSR_ISM_E10value_typeEPSN_NS1_7vsmem_tEENKUlT_SL_SM_SN_E_clISG_PS8_SH_SH_EESK_S10_SL_SM_SN_EUlS10_E0_NS1_11comp_targetILNS1_3genE3ELNS1_11target_archE908ELNS1_3gpuE7ELNS1_3repE0EEENS1_38merge_mergepath_config_static_selectorELNS0_4arch9wavefront6targetE0EEEvSM_
	.globl	_ZN7rocprim17ROCPRIM_400000_NS6detail17trampoline_kernelINS0_14default_configENS1_38merge_sort_block_merge_config_selectorIN6thrust23THRUST_200600_302600_NS4pairIiiEENS0_10empty_typeEEEZZNS1_27merge_sort_block_merge_implIS3_NS6_6detail15normal_iteratorINS6_10device_ptrIS8_EEEEPS9_mNS6_4lessIS8_EEEE10hipError_tT0_T1_T2_jT3_P12ihipStream_tbPNSt15iterator_traitsISL_E10value_typeEPNSR_ISM_E10value_typeEPSN_NS1_7vsmem_tEENKUlT_SL_SM_SN_E_clISG_PS8_SH_SH_EESK_S10_SL_SM_SN_EUlS10_E0_NS1_11comp_targetILNS1_3genE3ELNS1_11target_archE908ELNS1_3gpuE7ELNS1_3repE0EEENS1_38merge_mergepath_config_static_selectorELNS0_4arch9wavefront6targetE0EEEvSM_
	.p2align	8
	.type	_ZN7rocprim17ROCPRIM_400000_NS6detail17trampoline_kernelINS0_14default_configENS1_38merge_sort_block_merge_config_selectorIN6thrust23THRUST_200600_302600_NS4pairIiiEENS0_10empty_typeEEEZZNS1_27merge_sort_block_merge_implIS3_NS6_6detail15normal_iteratorINS6_10device_ptrIS8_EEEEPS9_mNS6_4lessIS8_EEEE10hipError_tT0_T1_T2_jT3_P12ihipStream_tbPNSt15iterator_traitsISL_E10value_typeEPNSR_ISM_E10value_typeEPSN_NS1_7vsmem_tEENKUlT_SL_SM_SN_E_clISG_PS8_SH_SH_EESK_S10_SL_SM_SN_EUlS10_E0_NS1_11comp_targetILNS1_3genE3ELNS1_11target_archE908ELNS1_3gpuE7ELNS1_3repE0EEENS1_38merge_mergepath_config_static_selectorELNS0_4arch9wavefront6targetE0EEEvSM_,@function
_ZN7rocprim17ROCPRIM_400000_NS6detail17trampoline_kernelINS0_14default_configENS1_38merge_sort_block_merge_config_selectorIN6thrust23THRUST_200600_302600_NS4pairIiiEENS0_10empty_typeEEEZZNS1_27merge_sort_block_merge_implIS3_NS6_6detail15normal_iteratorINS6_10device_ptrIS8_EEEEPS9_mNS6_4lessIS8_EEEE10hipError_tT0_T1_T2_jT3_P12ihipStream_tbPNSt15iterator_traitsISL_E10value_typeEPNSR_ISM_E10value_typeEPSN_NS1_7vsmem_tEENKUlT_SL_SM_SN_E_clISG_PS8_SH_SH_EESK_S10_SL_SM_SN_EUlS10_E0_NS1_11comp_targetILNS1_3genE3ELNS1_11target_archE908ELNS1_3gpuE7ELNS1_3repE0EEENS1_38merge_mergepath_config_static_selectorELNS0_4arch9wavefront6targetE0EEEvSM_: ; @_ZN7rocprim17ROCPRIM_400000_NS6detail17trampoline_kernelINS0_14default_configENS1_38merge_sort_block_merge_config_selectorIN6thrust23THRUST_200600_302600_NS4pairIiiEENS0_10empty_typeEEEZZNS1_27merge_sort_block_merge_implIS3_NS6_6detail15normal_iteratorINS6_10device_ptrIS8_EEEEPS9_mNS6_4lessIS8_EEEE10hipError_tT0_T1_T2_jT3_P12ihipStream_tbPNSt15iterator_traitsISL_E10value_typeEPNSR_ISM_E10value_typeEPSN_NS1_7vsmem_tEENKUlT_SL_SM_SN_E_clISG_PS8_SH_SH_EESK_S10_SL_SM_SN_EUlS10_E0_NS1_11comp_targetILNS1_3genE3ELNS1_11target_archE908ELNS1_3gpuE7ELNS1_3repE0EEENS1_38merge_mergepath_config_static_selectorELNS0_4arch9wavefront6targetE0EEEvSM_
; %bb.0:
	.section	.rodata,"a",@progbits
	.p2align	6, 0x0
	.amdhsa_kernel _ZN7rocprim17ROCPRIM_400000_NS6detail17trampoline_kernelINS0_14default_configENS1_38merge_sort_block_merge_config_selectorIN6thrust23THRUST_200600_302600_NS4pairIiiEENS0_10empty_typeEEEZZNS1_27merge_sort_block_merge_implIS3_NS6_6detail15normal_iteratorINS6_10device_ptrIS8_EEEEPS9_mNS6_4lessIS8_EEEE10hipError_tT0_T1_T2_jT3_P12ihipStream_tbPNSt15iterator_traitsISL_E10value_typeEPNSR_ISM_E10value_typeEPSN_NS1_7vsmem_tEENKUlT_SL_SM_SN_E_clISG_PS8_SH_SH_EESK_S10_SL_SM_SN_EUlS10_E0_NS1_11comp_targetILNS1_3genE3ELNS1_11target_archE908ELNS1_3gpuE7ELNS1_3repE0EEENS1_38merge_mergepath_config_static_selectorELNS0_4arch9wavefront6targetE0EEEvSM_
		.amdhsa_group_segment_fixed_size 0
		.amdhsa_private_segment_fixed_size 0
		.amdhsa_kernarg_size 72
		.amdhsa_user_sgpr_count 6
		.amdhsa_user_sgpr_private_segment_buffer 1
		.amdhsa_user_sgpr_dispatch_ptr 0
		.amdhsa_user_sgpr_queue_ptr 0
		.amdhsa_user_sgpr_kernarg_segment_ptr 1
		.amdhsa_user_sgpr_dispatch_id 0
		.amdhsa_user_sgpr_flat_scratch_init 0
		.amdhsa_user_sgpr_private_segment_size 0
		.amdhsa_wavefront_size32 1
		.amdhsa_uses_dynamic_stack 0
		.amdhsa_system_sgpr_private_segment_wavefront_offset 0
		.amdhsa_system_sgpr_workgroup_id_x 1
		.amdhsa_system_sgpr_workgroup_id_y 0
		.amdhsa_system_sgpr_workgroup_id_z 0
		.amdhsa_system_sgpr_workgroup_info 0
		.amdhsa_system_vgpr_workitem_id 0
		.amdhsa_next_free_vgpr 1
		.amdhsa_next_free_sgpr 1
		.amdhsa_reserve_vcc 0
		.amdhsa_reserve_flat_scratch 0
		.amdhsa_float_round_mode_32 0
		.amdhsa_float_round_mode_16_64 0
		.amdhsa_float_denorm_mode_32 3
		.amdhsa_float_denorm_mode_16_64 3
		.amdhsa_dx10_clamp 1
		.amdhsa_ieee_mode 1
		.amdhsa_fp16_overflow 0
		.amdhsa_workgroup_processor_mode 1
		.amdhsa_memory_ordered 1
		.amdhsa_forward_progress 1
		.amdhsa_shared_vgpr_count 0
		.amdhsa_exception_fp_ieee_invalid_op 0
		.amdhsa_exception_fp_denorm_src 0
		.amdhsa_exception_fp_ieee_div_zero 0
		.amdhsa_exception_fp_ieee_overflow 0
		.amdhsa_exception_fp_ieee_underflow 0
		.amdhsa_exception_fp_ieee_inexact 0
		.amdhsa_exception_int_div_zero 0
	.end_amdhsa_kernel
	.section	.text._ZN7rocprim17ROCPRIM_400000_NS6detail17trampoline_kernelINS0_14default_configENS1_38merge_sort_block_merge_config_selectorIN6thrust23THRUST_200600_302600_NS4pairIiiEENS0_10empty_typeEEEZZNS1_27merge_sort_block_merge_implIS3_NS6_6detail15normal_iteratorINS6_10device_ptrIS8_EEEEPS9_mNS6_4lessIS8_EEEE10hipError_tT0_T1_T2_jT3_P12ihipStream_tbPNSt15iterator_traitsISL_E10value_typeEPNSR_ISM_E10value_typeEPSN_NS1_7vsmem_tEENKUlT_SL_SM_SN_E_clISG_PS8_SH_SH_EESK_S10_SL_SM_SN_EUlS10_E0_NS1_11comp_targetILNS1_3genE3ELNS1_11target_archE908ELNS1_3gpuE7ELNS1_3repE0EEENS1_38merge_mergepath_config_static_selectorELNS0_4arch9wavefront6targetE0EEEvSM_,"axG",@progbits,_ZN7rocprim17ROCPRIM_400000_NS6detail17trampoline_kernelINS0_14default_configENS1_38merge_sort_block_merge_config_selectorIN6thrust23THRUST_200600_302600_NS4pairIiiEENS0_10empty_typeEEEZZNS1_27merge_sort_block_merge_implIS3_NS6_6detail15normal_iteratorINS6_10device_ptrIS8_EEEEPS9_mNS6_4lessIS8_EEEE10hipError_tT0_T1_T2_jT3_P12ihipStream_tbPNSt15iterator_traitsISL_E10value_typeEPNSR_ISM_E10value_typeEPSN_NS1_7vsmem_tEENKUlT_SL_SM_SN_E_clISG_PS8_SH_SH_EESK_S10_SL_SM_SN_EUlS10_E0_NS1_11comp_targetILNS1_3genE3ELNS1_11target_archE908ELNS1_3gpuE7ELNS1_3repE0EEENS1_38merge_mergepath_config_static_selectorELNS0_4arch9wavefront6targetE0EEEvSM_,comdat
.Lfunc_end669:
	.size	_ZN7rocprim17ROCPRIM_400000_NS6detail17trampoline_kernelINS0_14default_configENS1_38merge_sort_block_merge_config_selectorIN6thrust23THRUST_200600_302600_NS4pairIiiEENS0_10empty_typeEEEZZNS1_27merge_sort_block_merge_implIS3_NS6_6detail15normal_iteratorINS6_10device_ptrIS8_EEEEPS9_mNS6_4lessIS8_EEEE10hipError_tT0_T1_T2_jT3_P12ihipStream_tbPNSt15iterator_traitsISL_E10value_typeEPNSR_ISM_E10value_typeEPSN_NS1_7vsmem_tEENKUlT_SL_SM_SN_E_clISG_PS8_SH_SH_EESK_S10_SL_SM_SN_EUlS10_E0_NS1_11comp_targetILNS1_3genE3ELNS1_11target_archE908ELNS1_3gpuE7ELNS1_3repE0EEENS1_38merge_mergepath_config_static_selectorELNS0_4arch9wavefront6targetE0EEEvSM_, .Lfunc_end669-_ZN7rocprim17ROCPRIM_400000_NS6detail17trampoline_kernelINS0_14default_configENS1_38merge_sort_block_merge_config_selectorIN6thrust23THRUST_200600_302600_NS4pairIiiEENS0_10empty_typeEEEZZNS1_27merge_sort_block_merge_implIS3_NS6_6detail15normal_iteratorINS6_10device_ptrIS8_EEEEPS9_mNS6_4lessIS8_EEEE10hipError_tT0_T1_T2_jT3_P12ihipStream_tbPNSt15iterator_traitsISL_E10value_typeEPNSR_ISM_E10value_typeEPSN_NS1_7vsmem_tEENKUlT_SL_SM_SN_E_clISG_PS8_SH_SH_EESK_S10_SL_SM_SN_EUlS10_E0_NS1_11comp_targetILNS1_3genE3ELNS1_11target_archE908ELNS1_3gpuE7ELNS1_3repE0EEENS1_38merge_mergepath_config_static_selectorELNS0_4arch9wavefront6targetE0EEEvSM_
                                        ; -- End function
	.set _ZN7rocprim17ROCPRIM_400000_NS6detail17trampoline_kernelINS0_14default_configENS1_38merge_sort_block_merge_config_selectorIN6thrust23THRUST_200600_302600_NS4pairIiiEENS0_10empty_typeEEEZZNS1_27merge_sort_block_merge_implIS3_NS6_6detail15normal_iteratorINS6_10device_ptrIS8_EEEEPS9_mNS6_4lessIS8_EEEE10hipError_tT0_T1_T2_jT3_P12ihipStream_tbPNSt15iterator_traitsISL_E10value_typeEPNSR_ISM_E10value_typeEPSN_NS1_7vsmem_tEENKUlT_SL_SM_SN_E_clISG_PS8_SH_SH_EESK_S10_SL_SM_SN_EUlS10_E0_NS1_11comp_targetILNS1_3genE3ELNS1_11target_archE908ELNS1_3gpuE7ELNS1_3repE0EEENS1_38merge_mergepath_config_static_selectorELNS0_4arch9wavefront6targetE0EEEvSM_.num_vgpr, 0
	.set _ZN7rocprim17ROCPRIM_400000_NS6detail17trampoline_kernelINS0_14default_configENS1_38merge_sort_block_merge_config_selectorIN6thrust23THRUST_200600_302600_NS4pairIiiEENS0_10empty_typeEEEZZNS1_27merge_sort_block_merge_implIS3_NS6_6detail15normal_iteratorINS6_10device_ptrIS8_EEEEPS9_mNS6_4lessIS8_EEEE10hipError_tT0_T1_T2_jT3_P12ihipStream_tbPNSt15iterator_traitsISL_E10value_typeEPNSR_ISM_E10value_typeEPSN_NS1_7vsmem_tEENKUlT_SL_SM_SN_E_clISG_PS8_SH_SH_EESK_S10_SL_SM_SN_EUlS10_E0_NS1_11comp_targetILNS1_3genE3ELNS1_11target_archE908ELNS1_3gpuE7ELNS1_3repE0EEENS1_38merge_mergepath_config_static_selectorELNS0_4arch9wavefront6targetE0EEEvSM_.num_agpr, 0
	.set _ZN7rocprim17ROCPRIM_400000_NS6detail17trampoline_kernelINS0_14default_configENS1_38merge_sort_block_merge_config_selectorIN6thrust23THRUST_200600_302600_NS4pairIiiEENS0_10empty_typeEEEZZNS1_27merge_sort_block_merge_implIS3_NS6_6detail15normal_iteratorINS6_10device_ptrIS8_EEEEPS9_mNS6_4lessIS8_EEEE10hipError_tT0_T1_T2_jT3_P12ihipStream_tbPNSt15iterator_traitsISL_E10value_typeEPNSR_ISM_E10value_typeEPSN_NS1_7vsmem_tEENKUlT_SL_SM_SN_E_clISG_PS8_SH_SH_EESK_S10_SL_SM_SN_EUlS10_E0_NS1_11comp_targetILNS1_3genE3ELNS1_11target_archE908ELNS1_3gpuE7ELNS1_3repE0EEENS1_38merge_mergepath_config_static_selectorELNS0_4arch9wavefront6targetE0EEEvSM_.numbered_sgpr, 0
	.set _ZN7rocprim17ROCPRIM_400000_NS6detail17trampoline_kernelINS0_14default_configENS1_38merge_sort_block_merge_config_selectorIN6thrust23THRUST_200600_302600_NS4pairIiiEENS0_10empty_typeEEEZZNS1_27merge_sort_block_merge_implIS3_NS6_6detail15normal_iteratorINS6_10device_ptrIS8_EEEEPS9_mNS6_4lessIS8_EEEE10hipError_tT0_T1_T2_jT3_P12ihipStream_tbPNSt15iterator_traitsISL_E10value_typeEPNSR_ISM_E10value_typeEPSN_NS1_7vsmem_tEENKUlT_SL_SM_SN_E_clISG_PS8_SH_SH_EESK_S10_SL_SM_SN_EUlS10_E0_NS1_11comp_targetILNS1_3genE3ELNS1_11target_archE908ELNS1_3gpuE7ELNS1_3repE0EEENS1_38merge_mergepath_config_static_selectorELNS0_4arch9wavefront6targetE0EEEvSM_.num_named_barrier, 0
	.set _ZN7rocprim17ROCPRIM_400000_NS6detail17trampoline_kernelINS0_14default_configENS1_38merge_sort_block_merge_config_selectorIN6thrust23THRUST_200600_302600_NS4pairIiiEENS0_10empty_typeEEEZZNS1_27merge_sort_block_merge_implIS3_NS6_6detail15normal_iteratorINS6_10device_ptrIS8_EEEEPS9_mNS6_4lessIS8_EEEE10hipError_tT0_T1_T2_jT3_P12ihipStream_tbPNSt15iterator_traitsISL_E10value_typeEPNSR_ISM_E10value_typeEPSN_NS1_7vsmem_tEENKUlT_SL_SM_SN_E_clISG_PS8_SH_SH_EESK_S10_SL_SM_SN_EUlS10_E0_NS1_11comp_targetILNS1_3genE3ELNS1_11target_archE908ELNS1_3gpuE7ELNS1_3repE0EEENS1_38merge_mergepath_config_static_selectorELNS0_4arch9wavefront6targetE0EEEvSM_.private_seg_size, 0
	.set _ZN7rocprim17ROCPRIM_400000_NS6detail17trampoline_kernelINS0_14default_configENS1_38merge_sort_block_merge_config_selectorIN6thrust23THRUST_200600_302600_NS4pairIiiEENS0_10empty_typeEEEZZNS1_27merge_sort_block_merge_implIS3_NS6_6detail15normal_iteratorINS6_10device_ptrIS8_EEEEPS9_mNS6_4lessIS8_EEEE10hipError_tT0_T1_T2_jT3_P12ihipStream_tbPNSt15iterator_traitsISL_E10value_typeEPNSR_ISM_E10value_typeEPSN_NS1_7vsmem_tEENKUlT_SL_SM_SN_E_clISG_PS8_SH_SH_EESK_S10_SL_SM_SN_EUlS10_E0_NS1_11comp_targetILNS1_3genE3ELNS1_11target_archE908ELNS1_3gpuE7ELNS1_3repE0EEENS1_38merge_mergepath_config_static_selectorELNS0_4arch9wavefront6targetE0EEEvSM_.uses_vcc, 0
	.set _ZN7rocprim17ROCPRIM_400000_NS6detail17trampoline_kernelINS0_14default_configENS1_38merge_sort_block_merge_config_selectorIN6thrust23THRUST_200600_302600_NS4pairIiiEENS0_10empty_typeEEEZZNS1_27merge_sort_block_merge_implIS3_NS6_6detail15normal_iteratorINS6_10device_ptrIS8_EEEEPS9_mNS6_4lessIS8_EEEE10hipError_tT0_T1_T2_jT3_P12ihipStream_tbPNSt15iterator_traitsISL_E10value_typeEPNSR_ISM_E10value_typeEPSN_NS1_7vsmem_tEENKUlT_SL_SM_SN_E_clISG_PS8_SH_SH_EESK_S10_SL_SM_SN_EUlS10_E0_NS1_11comp_targetILNS1_3genE3ELNS1_11target_archE908ELNS1_3gpuE7ELNS1_3repE0EEENS1_38merge_mergepath_config_static_selectorELNS0_4arch9wavefront6targetE0EEEvSM_.uses_flat_scratch, 0
	.set _ZN7rocprim17ROCPRIM_400000_NS6detail17trampoline_kernelINS0_14default_configENS1_38merge_sort_block_merge_config_selectorIN6thrust23THRUST_200600_302600_NS4pairIiiEENS0_10empty_typeEEEZZNS1_27merge_sort_block_merge_implIS3_NS6_6detail15normal_iteratorINS6_10device_ptrIS8_EEEEPS9_mNS6_4lessIS8_EEEE10hipError_tT0_T1_T2_jT3_P12ihipStream_tbPNSt15iterator_traitsISL_E10value_typeEPNSR_ISM_E10value_typeEPSN_NS1_7vsmem_tEENKUlT_SL_SM_SN_E_clISG_PS8_SH_SH_EESK_S10_SL_SM_SN_EUlS10_E0_NS1_11comp_targetILNS1_3genE3ELNS1_11target_archE908ELNS1_3gpuE7ELNS1_3repE0EEENS1_38merge_mergepath_config_static_selectorELNS0_4arch9wavefront6targetE0EEEvSM_.has_dyn_sized_stack, 0
	.set _ZN7rocprim17ROCPRIM_400000_NS6detail17trampoline_kernelINS0_14default_configENS1_38merge_sort_block_merge_config_selectorIN6thrust23THRUST_200600_302600_NS4pairIiiEENS0_10empty_typeEEEZZNS1_27merge_sort_block_merge_implIS3_NS6_6detail15normal_iteratorINS6_10device_ptrIS8_EEEEPS9_mNS6_4lessIS8_EEEE10hipError_tT0_T1_T2_jT3_P12ihipStream_tbPNSt15iterator_traitsISL_E10value_typeEPNSR_ISM_E10value_typeEPSN_NS1_7vsmem_tEENKUlT_SL_SM_SN_E_clISG_PS8_SH_SH_EESK_S10_SL_SM_SN_EUlS10_E0_NS1_11comp_targetILNS1_3genE3ELNS1_11target_archE908ELNS1_3gpuE7ELNS1_3repE0EEENS1_38merge_mergepath_config_static_selectorELNS0_4arch9wavefront6targetE0EEEvSM_.has_recursion, 0
	.set _ZN7rocprim17ROCPRIM_400000_NS6detail17trampoline_kernelINS0_14default_configENS1_38merge_sort_block_merge_config_selectorIN6thrust23THRUST_200600_302600_NS4pairIiiEENS0_10empty_typeEEEZZNS1_27merge_sort_block_merge_implIS3_NS6_6detail15normal_iteratorINS6_10device_ptrIS8_EEEEPS9_mNS6_4lessIS8_EEEE10hipError_tT0_T1_T2_jT3_P12ihipStream_tbPNSt15iterator_traitsISL_E10value_typeEPNSR_ISM_E10value_typeEPSN_NS1_7vsmem_tEENKUlT_SL_SM_SN_E_clISG_PS8_SH_SH_EESK_S10_SL_SM_SN_EUlS10_E0_NS1_11comp_targetILNS1_3genE3ELNS1_11target_archE908ELNS1_3gpuE7ELNS1_3repE0EEENS1_38merge_mergepath_config_static_selectorELNS0_4arch9wavefront6targetE0EEEvSM_.has_indirect_call, 0
	.section	.AMDGPU.csdata,"",@progbits
; Kernel info:
; codeLenInByte = 0
; TotalNumSgprs: 0
; NumVgprs: 0
; ScratchSize: 0
; MemoryBound: 0
; FloatMode: 240
; IeeeMode: 1
; LDSByteSize: 0 bytes/workgroup (compile time only)
; SGPRBlocks: 0
; VGPRBlocks: 0
; NumSGPRsForWavesPerEU: 1
; NumVGPRsForWavesPerEU: 1
; Occupancy: 16
; WaveLimiterHint : 0
; COMPUTE_PGM_RSRC2:SCRATCH_EN: 0
; COMPUTE_PGM_RSRC2:USER_SGPR: 6
; COMPUTE_PGM_RSRC2:TRAP_HANDLER: 0
; COMPUTE_PGM_RSRC2:TGID_X_EN: 1
; COMPUTE_PGM_RSRC2:TGID_Y_EN: 0
; COMPUTE_PGM_RSRC2:TGID_Z_EN: 0
; COMPUTE_PGM_RSRC2:TIDIG_COMP_CNT: 0
	.section	.text._ZN7rocprim17ROCPRIM_400000_NS6detail17trampoline_kernelINS0_14default_configENS1_38merge_sort_block_merge_config_selectorIN6thrust23THRUST_200600_302600_NS4pairIiiEENS0_10empty_typeEEEZZNS1_27merge_sort_block_merge_implIS3_NS6_6detail15normal_iteratorINS6_10device_ptrIS8_EEEEPS9_mNS6_4lessIS8_EEEE10hipError_tT0_T1_T2_jT3_P12ihipStream_tbPNSt15iterator_traitsISL_E10value_typeEPNSR_ISM_E10value_typeEPSN_NS1_7vsmem_tEENKUlT_SL_SM_SN_E_clISG_PS8_SH_SH_EESK_S10_SL_SM_SN_EUlS10_E0_NS1_11comp_targetILNS1_3genE2ELNS1_11target_archE906ELNS1_3gpuE6ELNS1_3repE0EEENS1_38merge_mergepath_config_static_selectorELNS0_4arch9wavefront6targetE0EEEvSM_,"axG",@progbits,_ZN7rocprim17ROCPRIM_400000_NS6detail17trampoline_kernelINS0_14default_configENS1_38merge_sort_block_merge_config_selectorIN6thrust23THRUST_200600_302600_NS4pairIiiEENS0_10empty_typeEEEZZNS1_27merge_sort_block_merge_implIS3_NS6_6detail15normal_iteratorINS6_10device_ptrIS8_EEEEPS9_mNS6_4lessIS8_EEEE10hipError_tT0_T1_T2_jT3_P12ihipStream_tbPNSt15iterator_traitsISL_E10value_typeEPNSR_ISM_E10value_typeEPSN_NS1_7vsmem_tEENKUlT_SL_SM_SN_E_clISG_PS8_SH_SH_EESK_S10_SL_SM_SN_EUlS10_E0_NS1_11comp_targetILNS1_3genE2ELNS1_11target_archE906ELNS1_3gpuE6ELNS1_3repE0EEENS1_38merge_mergepath_config_static_selectorELNS0_4arch9wavefront6targetE0EEEvSM_,comdat
	.protected	_ZN7rocprim17ROCPRIM_400000_NS6detail17trampoline_kernelINS0_14default_configENS1_38merge_sort_block_merge_config_selectorIN6thrust23THRUST_200600_302600_NS4pairIiiEENS0_10empty_typeEEEZZNS1_27merge_sort_block_merge_implIS3_NS6_6detail15normal_iteratorINS6_10device_ptrIS8_EEEEPS9_mNS6_4lessIS8_EEEE10hipError_tT0_T1_T2_jT3_P12ihipStream_tbPNSt15iterator_traitsISL_E10value_typeEPNSR_ISM_E10value_typeEPSN_NS1_7vsmem_tEENKUlT_SL_SM_SN_E_clISG_PS8_SH_SH_EESK_S10_SL_SM_SN_EUlS10_E0_NS1_11comp_targetILNS1_3genE2ELNS1_11target_archE906ELNS1_3gpuE6ELNS1_3repE0EEENS1_38merge_mergepath_config_static_selectorELNS0_4arch9wavefront6targetE0EEEvSM_ ; -- Begin function _ZN7rocprim17ROCPRIM_400000_NS6detail17trampoline_kernelINS0_14default_configENS1_38merge_sort_block_merge_config_selectorIN6thrust23THRUST_200600_302600_NS4pairIiiEENS0_10empty_typeEEEZZNS1_27merge_sort_block_merge_implIS3_NS6_6detail15normal_iteratorINS6_10device_ptrIS8_EEEEPS9_mNS6_4lessIS8_EEEE10hipError_tT0_T1_T2_jT3_P12ihipStream_tbPNSt15iterator_traitsISL_E10value_typeEPNSR_ISM_E10value_typeEPSN_NS1_7vsmem_tEENKUlT_SL_SM_SN_E_clISG_PS8_SH_SH_EESK_S10_SL_SM_SN_EUlS10_E0_NS1_11comp_targetILNS1_3genE2ELNS1_11target_archE906ELNS1_3gpuE6ELNS1_3repE0EEENS1_38merge_mergepath_config_static_selectorELNS0_4arch9wavefront6targetE0EEEvSM_
	.globl	_ZN7rocprim17ROCPRIM_400000_NS6detail17trampoline_kernelINS0_14default_configENS1_38merge_sort_block_merge_config_selectorIN6thrust23THRUST_200600_302600_NS4pairIiiEENS0_10empty_typeEEEZZNS1_27merge_sort_block_merge_implIS3_NS6_6detail15normal_iteratorINS6_10device_ptrIS8_EEEEPS9_mNS6_4lessIS8_EEEE10hipError_tT0_T1_T2_jT3_P12ihipStream_tbPNSt15iterator_traitsISL_E10value_typeEPNSR_ISM_E10value_typeEPSN_NS1_7vsmem_tEENKUlT_SL_SM_SN_E_clISG_PS8_SH_SH_EESK_S10_SL_SM_SN_EUlS10_E0_NS1_11comp_targetILNS1_3genE2ELNS1_11target_archE906ELNS1_3gpuE6ELNS1_3repE0EEENS1_38merge_mergepath_config_static_selectorELNS0_4arch9wavefront6targetE0EEEvSM_
	.p2align	8
	.type	_ZN7rocprim17ROCPRIM_400000_NS6detail17trampoline_kernelINS0_14default_configENS1_38merge_sort_block_merge_config_selectorIN6thrust23THRUST_200600_302600_NS4pairIiiEENS0_10empty_typeEEEZZNS1_27merge_sort_block_merge_implIS3_NS6_6detail15normal_iteratorINS6_10device_ptrIS8_EEEEPS9_mNS6_4lessIS8_EEEE10hipError_tT0_T1_T2_jT3_P12ihipStream_tbPNSt15iterator_traitsISL_E10value_typeEPNSR_ISM_E10value_typeEPSN_NS1_7vsmem_tEENKUlT_SL_SM_SN_E_clISG_PS8_SH_SH_EESK_S10_SL_SM_SN_EUlS10_E0_NS1_11comp_targetILNS1_3genE2ELNS1_11target_archE906ELNS1_3gpuE6ELNS1_3repE0EEENS1_38merge_mergepath_config_static_selectorELNS0_4arch9wavefront6targetE0EEEvSM_,@function
_ZN7rocprim17ROCPRIM_400000_NS6detail17trampoline_kernelINS0_14default_configENS1_38merge_sort_block_merge_config_selectorIN6thrust23THRUST_200600_302600_NS4pairIiiEENS0_10empty_typeEEEZZNS1_27merge_sort_block_merge_implIS3_NS6_6detail15normal_iteratorINS6_10device_ptrIS8_EEEEPS9_mNS6_4lessIS8_EEEE10hipError_tT0_T1_T2_jT3_P12ihipStream_tbPNSt15iterator_traitsISL_E10value_typeEPNSR_ISM_E10value_typeEPSN_NS1_7vsmem_tEENKUlT_SL_SM_SN_E_clISG_PS8_SH_SH_EESK_S10_SL_SM_SN_EUlS10_E0_NS1_11comp_targetILNS1_3genE2ELNS1_11target_archE906ELNS1_3gpuE6ELNS1_3repE0EEENS1_38merge_mergepath_config_static_selectorELNS0_4arch9wavefront6targetE0EEEvSM_: ; @_ZN7rocprim17ROCPRIM_400000_NS6detail17trampoline_kernelINS0_14default_configENS1_38merge_sort_block_merge_config_selectorIN6thrust23THRUST_200600_302600_NS4pairIiiEENS0_10empty_typeEEEZZNS1_27merge_sort_block_merge_implIS3_NS6_6detail15normal_iteratorINS6_10device_ptrIS8_EEEEPS9_mNS6_4lessIS8_EEEE10hipError_tT0_T1_T2_jT3_P12ihipStream_tbPNSt15iterator_traitsISL_E10value_typeEPNSR_ISM_E10value_typeEPSN_NS1_7vsmem_tEENKUlT_SL_SM_SN_E_clISG_PS8_SH_SH_EESK_S10_SL_SM_SN_EUlS10_E0_NS1_11comp_targetILNS1_3genE2ELNS1_11target_archE906ELNS1_3gpuE6ELNS1_3repE0EEENS1_38merge_mergepath_config_static_selectorELNS0_4arch9wavefront6targetE0EEEvSM_
; %bb.0:
	.section	.rodata,"a",@progbits
	.p2align	6, 0x0
	.amdhsa_kernel _ZN7rocprim17ROCPRIM_400000_NS6detail17trampoline_kernelINS0_14default_configENS1_38merge_sort_block_merge_config_selectorIN6thrust23THRUST_200600_302600_NS4pairIiiEENS0_10empty_typeEEEZZNS1_27merge_sort_block_merge_implIS3_NS6_6detail15normal_iteratorINS6_10device_ptrIS8_EEEEPS9_mNS6_4lessIS8_EEEE10hipError_tT0_T1_T2_jT3_P12ihipStream_tbPNSt15iterator_traitsISL_E10value_typeEPNSR_ISM_E10value_typeEPSN_NS1_7vsmem_tEENKUlT_SL_SM_SN_E_clISG_PS8_SH_SH_EESK_S10_SL_SM_SN_EUlS10_E0_NS1_11comp_targetILNS1_3genE2ELNS1_11target_archE906ELNS1_3gpuE6ELNS1_3repE0EEENS1_38merge_mergepath_config_static_selectorELNS0_4arch9wavefront6targetE0EEEvSM_
		.amdhsa_group_segment_fixed_size 0
		.amdhsa_private_segment_fixed_size 0
		.amdhsa_kernarg_size 72
		.amdhsa_user_sgpr_count 6
		.amdhsa_user_sgpr_private_segment_buffer 1
		.amdhsa_user_sgpr_dispatch_ptr 0
		.amdhsa_user_sgpr_queue_ptr 0
		.amdhsa_user_sgpr_kernarg_segment_ptr 1
		.amdhsa_user_sgpr_dispatch_id 0
		.amdhsa_user_sgpr_flat_scratch_init 0
		.amdhsa_user_sgpr_private_segment_size 0
		.amdhsa_wavefront_size32 1
		.amdhsa_uses_dynamic_stack 0
		.amdhsa_system_sgpr_private_segment_wavefront_offset 0
		.amdhsa_system_sgpr_workgroup_id_x 1
		.amdhsa_system_sgpr_workgroup_id_y 0
		.amdhsa_system_sgpr_workgroup_id_z 0
		.amdhsa_system_sgpr_workgroup_info 0
		.amdhsa_system_vgpr_workitem_id 0
		.amdhsa_next_free_vgpr 1
		.amdhsa_next_free_sgpr 1
		.amdhsa_reserve_vcc 0
		.amdhsa_reserve_flat_scratch 0
		.amdhsa_float_round_mode_32 0
		.amdhsa_float_round_mode_16_64 0
		.amdhsa_float_denorm_mode_32 3
		.amdhsa_float_denorm_mode_16_64 3
		.amdhsa_dx10_clamp 1
		.amdhsa_ieee_mode 1
		.amdhsa_fp16_overflow 0
		.amdhsa_workgroup_processor_mode 1
		.amdhsa_memory_ordered 1
		.amdhsa_forward_progress 1
		.amdhsa_shared_vgpr_count 0
		.amdhsa_exception_fp_ieee_invalid_op 0
		.amdhsa_exception_fp_denorm_src 0
		.amdhsa_exception_fp_ieee_div_zero 0
		.amdhsa_exception_fp_ieee_overflow 0
		.amdhsa_exception_fp_ieee_underflow 0
		.amdhsa_exception_fp_ieee_inexact 0
		.amdhsa_exception_int_div_zero 0
	.end_amdhsa_kernel
	.section	.text._ZN7rocprim17ROCPRIM_400000_NS6detail17trampoline_kernelINS0_14default_configENS1_38merge_sort_block_merge_config_selectorIN6thrust23THRUST_200600_302600_NS4pairIiiEENS0_10empty_typeEEEZZNS1_27merge_sort_block_merge_implIS3_NS6_6detail15normal_iteratorINS6_10device_ptrIS8_EEEEPS9_mNS6_4lessIS8_EEEE10hipError_tT0_T1_T2_jT3_P12ihipStream_tbPNSt15iterator_traitsISL_E10value_typeEPNSR_ISM_E10value_typeEPSN_NS1_7vsmem_tEENKUlT_SL_SM_SN_E_clISG_PS8_SH_SH_EESK_S10_SL_SM_SN_EUlS10_E0_NS1_11comp_targetILNS1_3genE2ELNS1_11target_archE906ELNS1_3gpuE6ELNS1_3repE0EEENS1_38merge_mergepath_config_static_selectorELNS0_4arch9wavefront6targetE0EEEvSM_,"axG",@progbits,_ZN7rocprim17ROCPRIM_400000_NS6detail17trampoline_kernelINS0_14default_configENS1_38merge_sort_block_merge_config_selectorIN6thrust23THRUST_200600_302600_NS4pairIiiEENS0_10empty_typeEEEZZNS1_27merge_sort_block_merge_implIS3_NS6_6detail15normal_iteratorINS6_10device_ptrIS8_EEEEPS9_mNS6_4lessIS8_EEEE10hipError_tT0_T1_T2_jT3_P12ihipStream_tbPNSt15iterator_traitsISL_E10value_typeEPNSR_ISM_E10value_typeEPSN_NS1_7vsmem_tEENKUlT_SL_SM_SN_E_clISG_PS8_SH_SH_EESK_S10_SL_SM_SN_EUlS10_E0_NS1_11comp_targetILNS1_3genE2ELNS1_11target_archE906ELNS1_3gpuE6ELNS1_3repE0EEENS1_38merge_mergepath_config_static_selectorELNS0_4arch9wavefront6targetE0EEEvSM_,comdat
.Lfunc_end670:
	.size	_ZN7rocprim17ROCPRIM_400000_NS6detail17trampoline_kernelINS0_14default_configENS1_38merge_sort_block_merge_config_selectorIN6thrust23THRUST_200600_302600_NS4pairIiiEENS0_10empty_typeEEEZZNS1_27merge_sort_block_merge_implIS3_NS6_6detail15normal_iteratorINS6_10device_ptrIS8_EEEEPS9_mNS6_4lessIS8_EEEE10hipError_tT0_T1_T2_jT3_P12ihipStream_tbPNSt15iterator_traitsISL_E10value_typeEPNSR_ISM_E10value_typeEPSN_NS1_7vsmem_tEENKUlT_SL_SM_SN_E_clISG_PS8_SH_SH_EESK_S10_SL_SM_SN_EUlS10_E0_NS1_11comp_targetILNS1_3genE2ELNS1_11target_archE906ELNS1_3gpuE6ELNS1_3repE0EEENS1_38merge_mergepath_config_static_selectorELNS0_4arch9wavefront6targetE0EEEvSM_, .Lfunc_end670-_ZN7rocprim17ROCPRIM_400000_NS6detail17trampoline_kernelINS0_14default_configENS1_38merge_sort_block_merge_config_selectorIN6thrust23THRUST_200600_302600_NS4pairIiiEENS0_10empty_typeEEEZZNS1_27merge_sort_block_merge_implIS3_NS6_6detail15normal_iteratorINS6_10device_ptrIS8_EEEEPS9_mNS6_4lessIS8_EEEE10hipError_tT0_T1_T2_jT3_P12ihipStream_tbPNSt15iterator_traitsISL_E10value_typeEPNSR_ISM_E10value_typeEPSN_NS1_7vsmem_tEENKUlT_SL_SM_SN_E_clISG_PS8_SH_SH_EESK_S10_SL_SM_SN_EUlS10_E0_NS1_11comp_targetILNS1_3genE2ELNS1_11target_archE906ELNS1_3gpuE6ELNS1_3repE0EEENS1_38merge_mergepath_config_static_selectorELNS0_4arch9wavefront6targetE0EEEvSM_
                                        ; -- End function
	.set _ZN7rocprim17ROCPRIM_400000_NS6detail17trampoline_kernelINS0_14default_configENS1_38merge_sort_block_merge_config_selectorIN6thrust23THRUST_200600_302600_NS4pairIiiEENS0_10empty_typeEEEZZNS1_27merge_sort_block_merge_implIS3_NS6_6detail15normal_iteratorINS6_10device_ptrIS8_EEEEPS9_mNS6_4lessIS8_EEEE10hipError_tT0_T1_T2_jT3_P12ihipStream_tbPNSt15iterator_traitsISL_E10value_typeEPNSR_ISM_E10value_typeEPSN_NS1_7vsmem_tEENKUlT_SL_SM_SN_E_clISG_PS8_SH_SH_EESK_S10_SL_SM_SN_EUlS10_E0_NS1_11comp_targetILNS1_3genE2ELNS1_11target_archE906ELNS1_3gpuE6ELNS1_3repE0EEENS1_38merge_mergepath_config_static_selectorELNS0_4arch9wavefront6targetE0EEEvSM_.num_vgpr, 0
	.set _ZN7rocprim17ROCPRIM_400000_NS6detail17trampoline_kernelINS0_14default_configENS1_38merge_sort_block_merge_config_selectorIN6thrust23THRUST_200600_302600_NS4pairIiiEENS0_10empty_typeEEEZZNS1_27merge_sort_block_merge_implIS3_NS6_6detail15normal_iteratorINS6_10device_ptrIS8_EEEEPS9_mNS6_4lessIS8_EEEE10hipError_tT0_T1_T2_jT3_P12ihipStream_tbPNSt15iterator_traitsISL_E10value_typeEPNSR_ISM_E10value_typeEPSN_NS1_7vsmem_tEENKUlT_SL_SM_SN_E_clISG_PS8_SH_SH_EESK_S10_SL_SM_SN_EUlS10_E0_NS1_11comp_targetILNS1_3genE2ELNS1_11target_archE906ELNS1_3gpuE6ELNS1_3repE0EEENS1_38merge_mergepath_config_static_selectorELNS0_4arch9wavefront6targetE0EEEvSM_.num_agpr, 0
	.set _ZN7rocprim17ROCPRIM_400000_NS6detail17trampoline_kernelINS0_14default_configENS1_38merge_sort_block_merge_config_selectorIN6thrust23THRUST_200600_302600_NS4pairIiiEENS0_10empty_typeEEEZZNS1_27merge_sort_block_merge_implIS3_NS6_6detail15normal_iteratorINS6_10device_ptrIS8_EEEEPS9_mNS6_4lessIS8_EEEE10hipError_tT0_T1_T2_jT3_P12ihipStream_tbPNSt15iterator_traitsISL_E10value_typeEPNSR_ISM_E10value_typeEPSN_NS1_7vsmem_tEENKUlT_SL_SM_SN_E_clISG_PS8_SH_SH_EESK_S10_SL_SM_SN_EUlS10_E0_NS1_11comp_targetILNS1_3genE2ELNS1_11target_archE906ELNS1_3gpuE6ELNS1_3repE0EEENS1_38merge_mergepath_config_static_selectorELNS0_4arch9wavefront6targetE0EEEvSM_.numbered_sgpr, 0
	.set _ZN7rocprim17ROCPRIM_400000_NS6detail17trampoline_kernelINS0_14default_configENS1_38merge_sort_block_merge_config_selectorIN6thrust23THRUST_200600_302600_NS4pairIiiEENS0_10empty_typeEEEZZNS1_27merge_sort_block_merge_implIS3_NS6_6detail15normal_iteratorINS6_10device_ptrIS8_EEEEPS9_mNS6_4lessIS8_EEEE10hipError_tT0_T1_T2_jT3_P12ihipStream_tbPNSt15iterator_traitsISL_E10value_typeEPNSR_ISM_E10value_typeEPSN_NS1_7vsmem_tEENKUlT_SL_SM_SN_E_clISG_PS8_SH_SH_EESK_S10_SL_SM_SN_EUlS10_E0_NS1_11comp_targetILNS1_3genE2ELNS1_11target_archE906ELNS1_3gpuE6ELNS1_3repE0EEENS1_38merge_mergepath_config_static_selectorELNS0_4arch9wavefront6targetE0EEEvSM_.num_named_barrier, 0
	.set _ZN7rocprim17ROCPRIM_400000_NS6detail17trampoline_kernelINS0_14default_configENS1_38merge_sort_block_merge_config_selectorIN6thrust23THRUST_200600_302600_NS4pairIiiEENS0_10empty_typeEEEZZNS1_27merge_sort_block_merge_implIS3_NS6_6detail15normal_iteratorINS6_10device_ptrIS8_EEEEPS9_mNS6_4lessIS8_EEEE10hipError_tT0_T1_T2_jT3_P12ihipStream_tbPNSt15iterator_traitsISL_E10value_typeEPNSR_ISM_E10value_typeEPSN_NS1_7vsmem_tEENKUlT_SL_SM_SN_E_clISG_PS8_SH_SH_EESK_S10_SL_SM_SN_EUlS10_E0_NS1_11comp_targetILNS1_3genE2ELNS1_11target_archE906ELNS1_3gpuE6ELNS1_3repE0EEENS1_38merge_mergepath_config_static_selectorELNS0_4arch9wavefront6targetE0EEEvSM_.private_seg_size, 0
	.set _ZN7rocprim17ROCPRIM_400000_NS6detail17trampoline_kernelINS0_14default_configENS1_38merge_sort_block_merge_config_selectorIN6thrust23THRUST_200600_302600_NS4pairIiiEENS0_10empty_typeEEEZZNS1_27merge_sort_block_merge_implIS3_NS6_6detail15normal_iteratorINS6_10device_ptrIS8_EEEEPS9_mNS6_4lessIS8_EEEE10hipError_tT0_T1_T2_jT3_P12ihipStream_tbPNSt15iterator_traitsISL_E10value_typeEPNSR_ISM_E10value_typeEPSN_NS1_7vsmem_tEENKUlT_SL_SM_SN_E_clISG_PS8_SH_SH_EESK_S10_SL_SM_SN_EUlS10_E0_NS1_11comp_targetILNS1_3genE2ELNS1_11target_archE906ELNS1_3gpuE6ELNS1_3repE0EEENS1_38merge_mergepath_config_static_selectorELNS0_4arch9wavefront6targetE0EEEvSM_.uses_vcc, 0
	.set _ZN7rocprim17ROCPRIM_400000_NS6detail17trampoline_kernelINS0_14default_configENS1_38merge_sort_block_merge_config_selectorIN6thrust23THRUST_200600_302600_NS4pairIiiEENS0_10empty_typeEEEZZNS1_27merge_sort_block_merge_implIS3_NS6_6detail15normal_iteratorINS6_10device_ptrIS8_EEEEPS9_mNS6_4lessIS8_EEEE10hipError_tT0_T1_T2_jT3_P12ihipStream_tbPNSt15iterator_traitsISL_E10value_typeEPNSR_ISM_E10value_typeEPSN_NS1_7vsmem_tEENKUlT_SL_SM_SN_E_clISG_PS8_SH_SH_EESK_S10_SL_SM_SN_EUlS10_E0_NS1_11comp_targetILNS1_3genE2ELNS1_11target_archE906ELNS1_3gpuE6ELNS1_3repE0EEENS1_38merge_mergepath_config_static_selectorELNS0_4arch9wavefront6targetE0EEEvSM_.uses_flat_scratch, 0
	.set _ZN7rocprim17ROCPRIM_400000_NS6detail17trampoline_kernelINS0_14default_configENS1_38merge_sort_block_merge_config_selectorIN6thrust23THRUST_200600_302600_NS4pairIiiEENS0_10empty_typeEEEZZNS1_27merge_sort_block_merge_implIS3_NS6_6detail15normal_iteratorINS6_10device_ptrIS8_EEEEPS9_mNS6_4lessIS8_EEEE10hipError_tT0_T1_T2_jT3_P12ihipStream_tbPNSt15iterator_traitsISL_E10value_typeEPNSR_ISM_E10value_typeEPSN_NS1_7vsmem_tEENKUlT_SL_SM_SN_E_clISG_PS8_SH_SH_EESK_S10_SL_SM_SN_EUlS10_E0_NS1_11comp_targetILNS1_3genE2ELNS1_11target_archE906ELNS1_3gpuE6ELNS1_3repE0EEENS1_38merge_mergepath_config_static_selectorELNS0_4arch9wavefront6targetE0EEEvSM_.has_dyn_sized_stack, 0
	.set _ZN7rocprim17ROCPRIM_400000_NS6detail17trampoline_kernelINS0_14default_configENS1_38merge_sort_block_merge_config_selectorIN6thrust23THRUST_200600_302600_NS4pairIiiEENS0_10empty_typeEEEZZNS1_27merge_sort_block_merge_implIS3_NS6_6detail15normal_iteratorINS6_10device_ptrIS8_EEEEPS9_mNS6_4lessIS8_EEEE10hipError_tT0_T1_T2_jT3_P12ihipStream_tbPNSt15iterator_traitsISL_E10value_typeEPNSR_ISM_E10value_typeEPSN_NS1_7vsmem_tEENKUlT_SL_SM_SN_E_clISG_PS8_SH_SH_EESK_S10_SL_SM_SN_EUlS10_E0_NS1_11comp_targetILNS1_3genE2ELNS1_11target_archE906ELNS1_3gpuE6ELNS1_3repE0EEENS1_38merge_mergepath_config_static_selectorELNS0_4arch9wavefront6targetE0EEEvSM_.has_recursion, 0
	.set _ZN7rocprim17ROCPRIM_400000_NS6detail17trampoline_kernelINS0_14default_configENS1_38merge_sort_block_merge_config_selectorIN6thrust23THRUST_200600_302600_NS4pairIiiEENS0_10empty_typeEEEZZNS1_27merge_sort_block_merge_implIS3_NS6_6detail15normal_iteratorINS6_10device_ptrIS8_EEEEPS9_mNS6_4lessIS8_EEEE10hipError_tT0_T1_T2_jT3_P12ihipStream_tbPNSt15iterator_traitsISL_E10value_typeEPNSR_ISM_E10value_typeEPSN_NS1_7vsmem_tEENKUlT_SL_SM_SN_E_clISG_PS8_SH_SH_EESK_S10_SL_SM_SN_EUlS10_E0_NS1_11comp_targetILNS1_3genE2ELNS1_11target_archE906ELNS1_3gpuE6ELNS1_3repE0EEENS1_38merge_mergepath_config_static_selectorELNS0_4arch9wavefront6targetE0EEEvSM_.has_indirect_call, 0
	.section	.AMDGPU.csdata,"",@progbits
; Kernel info:
; codeLenInByte = 0
; TotalNumSgprs: 0
; NumVgprs: 0
; ScratchSize: 0
; MemoryBound: 0
; FloatMode: 240
; IeeeMode: 1
; LDSByteSize: 0 bytes/workgroup (compile time only)
; SGPRBlocks: 0
; VGPRBlocks: 0
; NumSGPRsForWavesPerEU: 1
; NumVGPRsForWavesPerEU: 1
; Occupancy: 16
; WaveLimiterHint : 0
; COMPUTE_PGM_RSRC2:SCRATCH_EN: 0
; COMPUTE_PGM_RSRC2:USER_SGPR: 6
; COMPUTE_PGM_RSRC2:TRAP_HANDLER: 0
; COMPUTE_PGM_RSRC2:TGID_X_EN: 1
; COMPUTE_PGM_RSRC2:TGID_Y_EN: 0
; COMPUTE_PGM_RSRC2:TGID_Z_EN: 0
; COMPUTE_PGM_RSRC2:TIDIG_COMP_CNT: 0
	.section	.text._ZN7rocprim17ROCPRIM_400000_NS6detail17trampoline_kernelINS0_14default_configENS1_38merge_sort_block_merge_config_selectorIN6thrust23THRUST_200600_302600_NS4pairIiiEENS0_10empty_typeEEEZZNS1_27merge_sort_block_merge_implIS3_NS6_6detail15normal_iteratorINS6_10device_ptrIS8_EEEEPS9_mNS6_4lessIS8_EEEE10hipError_tT0_T1_T2_jT3_P12ihipStream_tbPNSt15iterator_traitsISL_E10value_typeEPNSR_ISM_E10value_typeEPSN_NS1_7vsmem_tEENKUlT_SL_SM_SN_E_clISG_PS8_SH_SH_EESK_S10_SL_SM_SN_EUlS10_E0_NS1_11comp_targetILNS1_3genE9ELNS1_11target_archE1100ELNS1_3gpuE3ELNS1_3repE0EEENS1_38merge_mergepath_config_static_selectorELNS0_4arch9wavefront6targetE0EEEvSM_,"axG",@progbits,_ZN7rocprim17ROCPRIM_400000_NS6detail17trampoline_kernelINS0_14default_configENS1_38merge_sort_block_merge_config_selectorIN6thrust23THRUST_200600_302600_NS4pairIiiEENS0_10empty_typeEEEZZNS1_27merge_sort_block_merge_implIS3_NS6_6detail15normal_iteratorINS6_10device_ptrIS8_EEEEPS9_mNS6_4lessIS8_EEEE10hipError_tT0_T1_T2_jT3_P12ihipStream_tbPNSt15iterator_traitsISL_E10value_typeEPNSR_ISM_E10value_typeEPSN_NS1_7vsmem_tEENKUlT_SL_SM_SN_E_clISG_PS8_SH_SH_EESK_S10_SL_SM_SN_EUlS10_E0_NS1_11comp_targetILNS1_3genE9ELNS1_11target_archE1100ELNS1_3gpuE3ELNS1_3repE0EEENS1_38merge_mergepath_config_static_selectorELNS0_4arch9wavefront6targetE0EEEvSM_,comdat
	.protected	_ZN7rocprim17ROCPRIM_400000_NS6detail17trampoline_kernelINS0_14default_configENS1_38merge_sort_block_merge_config_selectorIN6thrust23THRUST_200600_302600_NS4pairIiiEENS0_10empty_typeEEEZZNS1_27merge_sort_block_merge_implIS3_NS6_6detail15normal_iteratorINS6_10device_ptrIS8_EEEEPS9_mNS6_4lessIS8_EEEE10hipError_tT0_T1_T2_jT3_P12ihipStream_tbPNSt15iterator_traitsISL_E10value_typeEPNSR_ISM_E10value_typeEPSN_NS1_7vsmem_tEENKUlT_SL_SM_SN_E_clISG_PS8_SH_SH_EESK_S10_SL_SM_SN_EUlS10_E0_NS1_11comp_targetILNS1_3genE9ELNS1_11target_archE1100ELNS1_3gpuE3ELNS1_3repE0EEENS1_38merge_mergepath_config_static_selectorELNS0_4arch9wavefront6targetE0EEEvSM_ ; -- Begin function _ZN7rocprim17ROCPRIM_400000_NS6detail17trampoline_kernelINS0_14default_configENS1_38merge_sort_block_merge_config_selectorIN6thrust23THRUST_200600_302600_NS4pairIiiEENS0_10empty_typeEEEZZNS1_27merge_sort_block_merge_implIS3_NS6_6detail15normal_iteratorINS6_10device_ptrIS8_EEEEPS9_mNS6_4lessIS8_EEEE10hipError_tT0_T1_T2_jT3_P12ihipStream_tbPNSt15iterator_traitsISL_E10value_typeEPNSR_ISM_E10value_typeEPSN_NS1_7vsmem_tEENKUlT_SL_SM_SN_E_clISG_PS8_SH_SH_EESK_S10_SL_SM_SN_EUlS10_E0_NS1_11comp_targetILNS1_3genE9ELNS1_11target_archE1100ELNS1_3gpuE3ELNS1_3repE0EEENS1_38merge_mergepath_config_static_selectorELNS0_4arch9wavefront6targetE0EEEvSM_
	.globl	_ZN7rocprim17ROCPRIM_400000_NS6detail17trampoline_kernelINS0_14default_configENS1_38merge_sort_block_merge_config_selectorIN6thrust23THRUST_200600_302600_NS4pairIiiEENS0_10empty_typeEEEZZNS1_27merge_sort_block_merge_implIS3_NS6_6detail15normal_iteratorINS6_10device_ptrIS8_EEEEPS9_mNS6_4lessIS8_EEEE10hipError_tT0_T1_T2_jT3_P12ihipStream_tbPNSt15iterator_traitsISL_E10value_typeEPNSR_ISM_E10value_typeEPSN_NS1_7vsmem_tEENKUlT_SL_SM_SN_E_clISG_PS8_SH_SH_EESK_S10_SL_SM_SN_EUlS10_E0_NS1_11comp_targetILNS1_3genE9ELNS1_11target_archE1100ELNS1_3gpuE3ELNS1_3repE0EEENS1_38merge_mergepath_config_static_selectorELNS0_4arch9wavefront6targetE0EEEvSM_
	.p2align	8
	.type	_ZN7rocprim17ROCPRIM_400000_NS6detail17trampoline_kernelINS0_14default_configENS1_38merge_sort_block_merge_config_selectorIN6thrust23THRUST_200600_302600_NS4pairIiiEENS0_10empty_typeEEEZZNS1_27merge_sort_block_merge_implIS3_NS6_6detail15normal_iteratorINS6_10device_ptrIS8_EEEEPS9_mNS6_4lessIS8_EEEE10hipError_tT0_T1_T2_jT3_P12ihipStream_tbPNSt15iterator_traitsISL_E10value_typeEPNSR_ISM_E10value_typeEPSN_NS1_7vsmem_tEENKUlT_SL_SM_SN_E_clISG_PS8_SH_SH_EESK_S10_SL_SM_SN_EUlS10_E0_NS1_11comp_targetILNS1_3genE9ELNS1_11target_archE1100ELNS1_3gpuE3ELNS1_3repE0EEENS1_38merge_mergepath_config_static_selectorELNS0_4arch9wavefront6targetE0EEEvSM_,@function
_ZN7rocprim17ROCPRIM_400000_NS6detail17trampoline_kernelINS0_14default_configENS1_38merge_sort_block_merge_config_selectorIN6thrust23THRUST_200600_302600_NS4pairIiiEENS0_10empty_typeEEEZZNS1_27merge_sort_block_merge_implIS3_NS6_6detail15normal_iteratorINS6_10device_ptrIS8_EEEEPS9_mNS6_4lessIS8_EEEE10hipError_tT0_T1_T2_jT3_P12ihipStream_tbPNSt15iterator_traitsISL_E10value_typeEPNSR_ISM_E10value_typeEPSN_NS1_7vsmem_tEENKUlT_SL_SM_SN_E_clISG_PS8_SH_SH_EESK_S10_SL_SM_SN_EUlS10_E0_NS1_11comp_targetILNS1_3genE9ELNS1_11target_archE1100ELNS1_3gpuE3ELNS1_3repE0EEENS1_38merge_mergepath_config_static_selectorELNS0_4arch9wavefront6targetE0EEEvSM_: ; @_ZN7rocprim17ROCPRIM_400000_NS6detail17trampoline_kernelINS0_14default_configENS1_38merge_sort_block_merge_config_selectorIN6thrust23THRUST_200600_302600_NS4pairIiiEENS0_10empty_typeEEEZZNS1_27merge_sort_block_merge_implIS3_NS6_6detail15normal_iteratorINS6_10device_ptrIS8_EEEEPS9_mNS6_4lessIS8_EEEE10hipError_tT0_T1_T2_jT3_P12ihipStream_tbPNSt15iterator_traitsISL_E10value_typeEPNSR_ISM_E10value_typeEPSN_NS1_7vsmem_tEENKUlT_SL_SM_SN_E_clISG_PS8_SH_SH_EESK_S10_SL_SM_SN_EUlS10_E0_NS1_11comp_targetILNS1_3genE9ELNS1_11target_archE1100ELNS1_3gpuE3ELNS1_3repE0EEENS1_38merge_mergepath_config_static_selectorELNS0_4arch9wavefront6targetE0EEEvSM_
; %bb.0:
	.section	.rodata,"a",@progbits
	.p2align	6, 0x0
	.amdhsa_kernel _ZN7rocprim17ROCPRIM_400000_NS6detail17trampoline_kernelINS0_14default_configENS1_38merge_sort_block_merge_config_selectorIN6thrust23THRUST_200600_302600_NS4pairIiiEENS0_10empty_typeEEEZZNS1_27merge_sort_block_merge_implIS3_NS6_6detail15normal_iteratorINS6_10device_ptrIS8_EEEEPS9_mNS6_4lessIS8_EEEE10hipError_tT0_T1_T2_jT3_P12ihipStream_tbPNSt15iterator_traitsISL_E10value_typeEPNSR_ISM_E10value_typeEPSN_NS1_7vsmem_tEENKUlT_SL_SM_SN_E_clISG_PS8_SH_SH_EESK_S10_SL_SM_SN_EUlS10_E0_NS1_11comp_targetILNS1_3genE9ELNS1_11target_archE1100ELNS1_3gpuE3ELNS1_3repE0EEENS1_38merge_mergepath_config_static_selectorELNS0_4arch9wavefront6targetE0EEEvSM_
		.amdhsa_group_segment_fixed_size 0
		.amdhsa_private_segment_fixed_size 0
		.amdhsa_kernarg_size 72
		.amdhsa_user_sgpr_count 6
		.amdhsa_user_sgpr_private_segment_buffer 1
		.amdhsa_user_sgpr_dispatch_ptr 0
		.amdhsa_user_sgpr_queue_ptr 0
		.amdhsa_user_sgpr_kernarg_segment_ptr 1
		.amdhsa_user_sgpr_dispatch_id 0
		.amdhsa_user_sgpr_flat_scratch_init 0
		.amdhsa_user_sgpr_private_segment_size 0
		.amdhsa_wavefront_size32 1
		.amdhsa_uses_dynamic_stack 0
		.amdhsa_system_sgpr_private_segment_wavefront_offset 0
		.amdhsa_system_sgpr_workgroup_id_x 1
		.amdhsa_system_sgpr_workgroup_id_y 0
		.amdhsa_system_sgpr_workgroup_id_z 0
		.amdhsa_system_sgpr_workgroup_info 0
		.amdhsa_system_vgpr_workitem_id 0
		.amdhsa_next_free_vgpr 1
		.amdhsa_next_free_sgpr 1
		.amdhsa_reserve_vcc 0
		.amdhsa_reserve_flat_scratch 0
		.amdhsa_float_round_mode_32 0
		.amdhsa_float_round_mode_16_64 0
		.amdhsa_float_denorm_mode_32 3
		.amdhsa_float_denorm_mode_16_64 3
		.amdhsa_dx10_clamp 1
		.amdhsa_ieee_mode 1
		.amdhsa_fp16_overflow 0
		.amdhsa_workgroup_processor_mode 1
		.amdhsa_memory_ordered 1
		.amdhsa_forward_progress 1
		.amdhsa_shared_vgpr_count 0
		.amdhsa_exception_fp_ieee_invalid_op 0
		.amdhsa_exception_fp_denorm_src 0
		.amdhsa_exception_fp_ieee_div_zero 0
		.amdhsa_exception_fp_ieee_overflow 0
		.amdhsa_exception_fp_ieee_underflow 0
		.amdhsa_exception_fp_ieee_inexact 0
		.amdhsa_exception_int_div_zero 0
	.end_amdhsa_kernel
	.section	.text._ZN7rocprim17ROCPRIM_400000_NS6detail17trampoline_kernelINS0_14default_configENS1_38merge_sort_block_merge_config_selectorIN6thrust23THRUST_200600_302600_NS4pairIiiEENS0_10empty_typeEEEZZNS1_27merge_sort_block_merge_implIS3_NS6_6detail15normal_iteratorINS6_10device_ptrIS8_EEEEPS9_mNS6_4lessIS8_EEEE10hipError_tT0_T1_T2_jT3_P12ihipStream_tbPNSt15iterator_traitsISL_E10value_typeEPNSR_ISM_E10value_typeEPSN_NS1_7vsmem_tEENKUlT_SL_SM_SN_E_clISG_PS8_SH_SH_EESK_S10_SL_SM_SN_EUlS10_E0_NS1_11comp_targetILNS1_3genE9ELNS1_11target_archE1100ELNS1_3gpuE3ELNS1_3repE0EEENS1_38merge_mergepath_config_static_selectorELNS0_4arch9wavefront6targetE0EEEvSM_,"axG",@progbits,_ZN7rocprim17ROCPRIM_400000_NS6detail17trampoline_kernelINS0_14default_configENS1_38merge_sort_block_merge_config_selectorIN6thrust23THRUST_200600_302600_NS4pairIiiEENS0_10empty_typeEEEZZNS1_27merge_sort_block_merge_implIS3_NS6_6detail15normal_iteratorINS6_10device_ptrIS8_EEEEPS9_mNS6_4lessIS8_EEEE10hipError_tT0_T1_T2_jT3_P12ihipStream_tbPNSt15iterator_traitsISL_E10value_typeEPNSR_ISM_E10value_typeEPSN_NS1_7vsmem_tEENKUlT_SL_SM_SN_E_clISG_PS8_SH_SH_EESK_S10_SL_SM_SN_EUlS10_E0_NS1_11comp_targetILNS1_3genE9ELNS1_11target_archE1100ELNS1_3gpuE3ELNS1_3repE0EEENS1_38merge_mergepath_config_static_selectorELNS0_4arch9wavefront6targetE0EEEvSM_,comdat
.Lfunc_end671:
	.size	_ZN7rocprim17ROCPRIM_400000_NS6detail17trampoline_kernelINS0_14default_configENS1_38merge_sort_block_merge_config_selectorIN6thrust23THRUST_200600_302600_NS4pairIiiEENS0_10empty_typeEEEZZNS1_27merge_sort_block_merge_implIS3_NS6_6detail15normal_iteratorINS6_10device_ptrIS8_EEEEPS9_mNS6_4lessIS8_EEEE10hipError_tT0_T1_T2_jT3_P12ihipStream_tbPNSt15iterator_traitsISL_E10value_typeEPNSR_ISM_E10value_typeEPSN_NS1_7vsmem_tEENKUlT_SL_SM_SN_E_clISG_PS8_SH_SH_EESK_S10_SL_SM_SN_EUlS10_E0_NS1_11comp_targetILNS1_3genE9ELNS1_11target_archE1100ELNS1_3gpuE3ELNS1_3repE0EEENS1_38merge_mergepath_config_static_selectorELNS0_4arch9wavefront6targetE0EEEvSM_, .Lfunc_end671-_ZN7rocprim17ROCPRIM_400000_NS6detail17trampoline_kernelINS0_14default_configENS1_38merge_sort_block_merge_config_selectorIN6thrust23THRUST_200600_302600_NS4pairIiiEENS0_10empty_typeEEEZZNS1_27merge_sort_block_merge_implIS3_NS6_6detail15normal_iteratorINS6_10device_ptrIS8_EEEEPS9_mNS6_4lessIS8_EEEE10hipError_tT0_T1_T2_jT3_P12ihipStream_tbPNSt15iterator_traitsISL_E10value_typeEPNSR_ISM_E10value_typeEPSN_NS1_7vsmem_tEENKUlT_SL_SM_SN_E_clISG_PS8_SH_SH_EESK_S10_SL_SM_SN_EUlS10_E0_NS1_11comp_targetILNS1_3genE9ELNS1_11target_archE1100ELNS1_3gpuE3ELNS1_3repE0EEENS1_38merge_mergepath_config_static_selectorELNS0_4arch9wavefront6targetE0EEEvSM_
                                        ; -- End function
	.set _ZN7rocprim17ROCPRIM_400000_NS6detail17trampoline_kernelINS0_14default_configENS1_38merge_sort_block_merge_config_selectorIN6thrust23THRUST_200600_302600_NS4pairIiiEENS0_10empty_typeEEEZZNS1_27merge_sort_block_merge_implIS3_NS6_6detail15normal_iteratorINS6_10device_ptrIS8_EEEEPS9_mNS6_4lessIS8_EEEE10hipError_tT0_T1_T2_jT3_P12ihipStream_tbPNSt15iterator_traitsISL_E10value_typeEPNSR_ISM_E10value_typeEPSN_NS1_7vsmem_tEENKUlT_SL_SM_SN_E_clISG_PS8_SH_SH_EESK_S10_SL_SM_SN_EUlS10_E0_NS1_11comp_targetILNS1_3genE9ELNS1_11target_archE1100ELNS1_3gpuE3ELNS1_3repE0EEENS1_38merge_mergepath_config_static_selectorELNS0_4arch9wavefront6targetE0EEEvSM_.num_vgpr, 0
	.set _ZN7rocprim17ROCPRIM_400000_NS6detail17trampoline_kernelINS0_14default_configENS1_38merge_sort_block_merge_config_selectorIN6thrust23THRUST_200600_302600_NS4pairIiiEENS0_10empty_typeEEEZZNS1_27merge_sort_block_merge_implIS3_NS6_6detail15normal_iteratorINS6_10device_ptrIS8_EEEEPS9_mNS6_4lessIS8_EEEE10hipError_tT0_T1_T2_jT3_P12ihipStream_tbPNSt15iterator_traitsISL_E10value_typeEPNSR_ISM_E10value_typeEPSN_NS1_7vsmem_tEENKUlT_SL_SM_SN_E_clISG_PS8_SH_SH_EESK_S10_SL_SM_SN_EUlS10_E0_NS1_11comp_targetILNS1_3genE9ELNS1_11target_archE1100ELNS1_3gpuE3ELNS1_3repE0EEENS1_38merge_mergepath_config_static_selectorELNS0_4arch9wavefront6targetE0EEEvSM_.num_agpr, 0
	.set _ZN7rocprim17ROCPRIM_400000_NS6detail17trampoline_kernelINS0_14default_configENS1_38merge_sort_block_merge_config_selectorIN6thrust23THRUST_200600_302600_NS4pairIiiEENS0_10empty_typeEEEZZNS1_27merge_sort_block_merge_implIS3_NS6_6detail15normal_iteratorINS6_10device_ptrIS8_EEEEPS9_mNS6_4lessIS8_EEEE10hipError_tT0_T1_T2_jT3_P12ihipStream_tbPNSt15iterator_traitsISL_E10value_typeEPNSR_ISM_E10value_typeEPSN_NS1_7vsmem_tEENKUlT_SL_SM_SN_E_clISG_PS8_SH_SH_EESK_S10_SL_SM_SN_EUlS10_E0_NS1_11comp_targetILNS1_3genE9ELNS1_11target_archE1100ELNS1_3gpuE3ELNS1_3repE0EEENS1_38merge_mergepath_config_static_selectorELNS0_4arch9wavefront6targetE0EEEvSM_.numbered_sgpr, 0
	.set _ZN7rocprim17ROCPRIM_400000_NS6detail17trampoline_kernelINS0_14default_configENS1_38merge_sort_block_merge_config_selectorIN6thrust23THRUST_200600_302600_NS4pairIiiEENS0_10empty_typeEEEZZNS1_27merge_sort_block_merge_implIS3_NS6_6detail15normal_iteratorINS6_10device_ptrIS8_EEEEPS9_mNS6_4lessIS8_EEEE10hipError_tT0_T1_T2_jT3_P12ihipStream_tbPNSt15iterator_traitsISL_E10value_typeEPNSR_ISM_E10value_typeEPSN_NS1_7vsmem_tEENKUlT_SL_SM_SN_E_clISG_PS8_SH_SH_EESK_S10_SL_SM_SN_EUlS10_E0_NS1_11comp_targetILNS1_3genE9ELNS1_11target_archE1100ELNS1_3gpuE3ELNS1_3repE0EEENS1_38merge_mergepath_config_static_selectorELNS0_4arch9wavefront6targetE0EEEvSM_.num_named_barrier, 0
	.set _ZN7rocprim17ROCPRIM_400000_NS6detail17trampoline_kernelINS0_14default_configENS1_38merge_sort_block_merge_config_selectorIN6thrust23THRUST_200600_302600_NS4pairIiiEENS0_10empty_typeEEEZZNS1_27merge_sort_block_merge_implIS3_NS6_6detail15normal_iteratorINS6_10device_ptrIS8_EEEEPS9_mNS6_4lessIS8_EEEE10hipError_tT0_T1_T2_jT3_P12ihipStream_tbPNSt15iterator_traitsISL_E10value_typeEPNSR_ISM_E10value_typeEPSN_NS1_7vsmem_tEENKUlT_SL_SM_SN_E_clISG_PS8_SH_SH_EESK_S10_SL_SM_SN_EUlS10_E0_NS1_11comp_targetILNS1_3genE9ELNS1_11target_archE1100ELNS1_3gpuE3ELNS1_3repE0EEENS1_38merge_mergepath_config_static_selectorELNS0_4arch9wavefront6targetE0EEEvSM_.private_seg_size, 0
	.set _ZN7rocprim17ROCPRIM_400000_NS6detail17trampoline_kernelINS0_14default_configENS1_38merge_sort_block_merge_config_selectorIN6thrust23THRUST_200600_302600_NS4pairIiiEENS0_10empty_typeEEEZZNS1_27merge_sort_block_merge_implIS3_NS6_6detail15normal_iteratorINS6_10device_ptrIS8_EEEEPS9_mNS6_4lessIS8_EEEE10hipError_tT0_T1_T2_jT3_P12ihipStream_tbPNSt15iterator_traitsISL_E10value_typeEPNSR_ISM_E10value_typeEPSN_NS1_7vsmem_tEENKUlT_SL_SM_SN_E_clISG_PS8_SH_SH_EESK_S10_SL_SM_SN_EUlS10_E0_NS1_11comp_targetILNS1_3genE9ELNS1_11target_archE1100ELNS1_3gpuE3ELNS1_3repE0EEENS1_38merge_mergepath_config_static_selectorELNS0_4arch9wavefront6targetE0EEEvSM_.uses_vcc, 0
	.set _ZN7rocprim17ROCPRIM_400000_NS6detail17trampoline_kernelINS0_14default_configENS1_38merge_sort_block_merge_config_selectorIN6thrust23THRUST_200600_302600_NS4pairIiiEENS0_10empty_typeEEEZZNS1_27merge_sort_block_merge_implIS3_NS6_6detail15normal_iteratorINS6_10device_ptrIS8_EEEEPS9_mNS6_4lessIS8_EEEE10hipError_tT0_T1_T2_jT3_P12ihipStream_tbPNSt15iterator_traitsISL_E10value_typeEPNSR_ISM_E10value_typeEPSN_NS1_7vsmem_tEENKUlT_SL_SM_SN_E_clISG_PS8_SH_SH_EESK_S10_SL_SM_SN_EUlS10_E0_NS1_11comp_targetILNS1_3genE9ELNS1_11target_archE1100ELNS1_3gpuE3ELNS1_3repE0EEENS1_38merge_mergepath_config_static_selectorELNS0_4arch9wavefront6targetE0EEEvSM_.uses_flat_scratch, 0
	.set _ZN7rocprim17ROCPRIM_400000_NS6detail17trampoline_kernelINS0_14default_configENS1_38merge_sort_block_merge_config_selectorIN6thrust23THRUST_200600_302600_NS4pairIiiEENS0_10empty_typeEEEZZNS1_27merge_sort_block_merge_implIS3_NS6_6detail15normal_iteratorINS6_10device_ptrIS8_EEEEPS9_mNS6_4lessIS8_EEEE10hipError_tT0_T1_T2_jT3_P12ihipStream_tbPNSt15iterator_traitsISL_E10value_typeEPNSR_ISM_E10value_typeEPSN_NS1_7vsmem_tEENKUlT_SL_SM_SN_E_clISG_PS8_SH_SH_EESK_S10_SL_SM_SN_EUlS10_E0_NS1_11comp_targetILNS1_3genE9ELNS1_11target_archE1100ELNS1_3gpuE3ELNS1_3repE0EEENS1_38merge_mergepath_config_static_selectorELNS0_4arch9wavefront6targetE0EEEvSM_.has_dyn_sized_stack, 0
	.set _ZN7rocprim17ROCPRIM_400000_NS6detail17trampoline_kernelINS0_14default_configENS1_38merge_sort_block_merge_config_selectorIN6thrust23THRUST_200600_302600_NS4pairIiiEENS0_10empty_typeEEEZZNS1_27merge_sort_block_merge_implIS3_NS6_6detail15normal_iteratorINS6_10device_ptrIS8_EEEEPS9_mNS6_4lessIS8_EEEE10hipError_tT0_T1_T2_jT3_P12ihipStream_tbPNSt15iterator_traitsISL_E10value_typeEPNSR_ISM_E10value_typeEPSN_NS1_7vsmem_tEENKUlT_SL_SM_SN_E_clISG_PS8_SH_SH_EESK_S10_SL_SM_SN_EUlS10_E0_NS1_11comp_targetILNS1_3genE9ELNS1_11target_archE1100ELNS1_3gpuE3ELNS1_3repE0EEENS1_38merge_mergepath_config_static_selectorELNS0_4arch9wavefront6targetE0EEEvSM_.has_recursion, 0
	.set _ZN7rocprim17ROCPRIM_400000_NS6detail17trampoline_kernelINS0_14default_configENS1_38merge_sort_block_merge_config_selectorIN6thrust23THRUST_200600_302600_NS4pairIiiEENS0_10empty_typeEEEZZNS1_27merge_sort_block_merge_implIS3_NS6_6detail15normal_iteratorINS6_10device_ptrIS8_EEEEPS9_mNS6_4lessIS8_EEEE10hipError_tT0_T1_T2_jT3_P12ihipStream_tbPNSt15iterator_traitsISL_E10value_typeEPNSR_ISM_E10value_typeEPSN_NS1_7vsmem_tEENKUlT_SL_SM_SN_E_clISG_PS8_SH_SH_EESK_S10_SL_SM_SN_EUlS10_E0_NS1_11comp_targetILNS1_3genE9ELNS1_11target_archE1100ELNS1_3gpuE3ELNS1_3repE0EEENS1_38merge_mergepath_config_static_selectorELNS0_4arch9wavefront6targetE0EEEvSM_.has_indirect_call, 0
	.section	.AMDGPU.csdata,"",@progbits
; Kernel info:
; codeLenInByte = 0
; TotalNumSgprs: 0
; NumVgprs: 0
; ScratchSize: 0
; MemoryBound: 0
; FloatMode: 240
; IeeeMode: 1
; LDSByteSize: 0 bytes/workgroup (compile time only)
; SGPRBlocks: 0
; VGPRBlocks: 0
; NumSGPRsForWavesPerEU: 1
; NumVGPRsForWavesPerEU: 1
; Occupancy: 16
; WaveLimiterHint : 0
; COMPUTE_PGM_RSRC2:SCRATCH_EN: 0
; COMPUTE_PGM_RSRC2:USER_SGPR: 6
; COMPUTE_PGM_RSRC2:TRAP_HANDLER: 0
; COMPUTE_PGM_RSRC2:TGID_X_EN: 1
; COMPUTE_PGM_RSRC2:TGID_Y_EN: 0
; COMPUTE_PGM_RSRC2:TGID_Z_EN: 0
; COMPUTE_PGM_RSRC2:TIDIG_COMP_CNT: 0
	.section	.text._ZN7rocprim17ROCPRIM_400000_NS6detail17trampoline_kernelINS0_14default_configENS1_38merge_sort_block_merge_config_selectorIN6thrust23THRUST_200600_302600_NS4pairIiiEENS0_10empty_typeEEEZZNS1_27merge_sort_block_merge_implIS3_NS6_6detail15normal_iteratorINS6_10device_ptrIS8_EEEEPS9_mNS6_4lessIS8_EEEE10hipError_tT0_T1_T2_jT3_P12ihipStream_tbPNSt15iterator_traitsISL_E10value_typeEPNSR_ISM_E10value_typeEPSN_NS1_7vsmem_tEENKUlT_SL_SM_SN_E_clISG_PS8_SH_SH_EESK_S10_SL_SM_SN_EUlS10_E0_NS1_11comp_targetILNS1_3genE8ELNS1_11target_archE1030ELNS1_3gpuE2ELNS1_3repE0EEENS1_38merge_mergepath_config_static_selectorELNS0_4arch9wavefront6targetE0EEEvSM_,"axG",@progbits,_ZN7rocprim17ROCPRIM_400000_NS6detail17trampoline_kernelINS0_14default_configENS1_38merge_sort_block_merge_config_selectorIN6thrust23THRUST_200600_302600_NS4pairIiiEENS0_10empty_typeEEEZZNS1_27merge_sort_block_merge_implIS3_NS6_6detail15normal_iteratorINS6_10device_ptrIS8_EEEEPS9_mNS6_4lessIS8_EEEE10hipError_tT0_T1_T2_jT3_P12ihipStream_tbPNSt15iterator_traitsISL_E10value_typeEPNSR_ISM_E10value_typeEPSN_NS1_7vsmem_tEENKUlT_SL_SM_SN_E_clISG_PS8_SH_SH_EESK_S10_SL_SM_SN_EUlS10_E0_NS1_11comp_targetILNS1_3genE8ELNS1_11target_archE1030ELNS1_3gpuE2ELNS1_3repE0EEENS1_38merge_mergepath_config_static_selectorELNS0_4arch9wavefront6targetE0EEEvSM_,comdat
	.protected	_ZN7rocprim17ROCPRIM_400000_NS6detail17trampoline_kernelINS0_14default_configENS1_38merge_sort_block_merge_config_selectorIN6thrust23THRUST_200600_302600_NS4pairIiiEENS0_10empty_typeEEEZZNS1_27merge_sort_block_merge_implIS3_NS6_6detail15normal_iteratorINS6_10device_ptrIS8_EEEEPS9_mNS6_4lessIS8_EEEE10hipError_tT0_T1_T2_jT3_P12ihipStream_tbPNSt15iterator_traitsISL_E10value_typeEPNSR_ISM_E10value_typeEPSN_NS1_7vsmem_tEENKUlT_SL_SM_SN_E_clISG_PS8_SH_SH_EESK_S10_SL_SM_SN_EUlS10_E0_NS1_11comp_targetILNS1_3genE8ELNS1_11target_archE1030ELNS1_3gpuE2ELNS1_3repE0EEENS1_38merge_mergepath_config_static_selectorELNS0_4arch9wavefront6targetE0EEEvSM_ ; -- Begin function _ZN7rocprim17ROCPRIM_400000_NS6detail17trampoline_kernelINS0_14default_configENS1_38merge_sort_block_merge_config_selectorIN6thrust23THRUST_200600_302600_NS4pairIiiEENS0_10empty_typeEEEZZNS1_27merge_sort_block_merge_implIS3_NS6_6detail15normal_iteratorINS6_10device_ptrIS8_EEEEPS9_mNS6_4lessIS8_EEEE10hipError_tT0_T1_T2_jT3_P12ihipStream_tbPNSt15iterator_traitsISL_E10value_typeEPNSR_ISM_E10value_typeEPSN_NS1_7vsmem_tEENKUlT_SL_SM_SN_E_clISG_PS8_SH_SH_EESK_S10_SL_SM_SN_EUlS10_E0_NS1_11comp_targetILNS1_3genE8ELNS1_11target_archE1030ELNS1_3gpuE2ELNS1_3repE0EEENS1_38merge_mergepath_config_static_selectorELNS0_4arch9wavefront6targetE0EEEvSM_
	.globl	_ZN7rocprim17ROCPRIM_400000_NS6detail17trampoline_kernelINS0_14default_configENS1_38merge_sort_block_merge_config_selectorIN6thrust23THRUST_200600_302600_NS4pairIiiEENS0_10empty_typeEEEZZNS1_27merge_sort_block_merge_implIS3_NS6_6detail15normal_iteratorINS6_10device_ptrIS8_EEEEPS9_mNS6_4lessIS8_EEEE10hipError_tT0_T1_T2_jT3_P12ihipStream_tbPNSt15iterator_traitsISL_E10value_typeEPNSR_ISM_E10value_typeEPSN_NS1_7vsmem_tEENKUlT_SL_SM_SN_E_clISG_PS8_SH_SH_EESK_S10_SL_SM_SN_EUlS10_E0_NS1_11comp_targetILNS1_3genE8ELNS1_11target_archE1030ELNS1_3gpuE2ELNS1_3repE0EEENS1_38merge_mergepath_config_static_selectorELNS0_4arch9wavefront6targetE0EEEvSM_
	.p2align	8
	.type	_ZN7rocprim17ROCPRIM_400000_NS6detail17trampoline_kernelINS0_14default_configENS1_38merge_sort_block_merge_config_selectorIN6thrust23THRUST_200600_302600_NS4pairIiiEENS0_10empty_typeEEEZZNS1_27merge_sort_block_merge_implIS3_NS6_6detail15normal_iteratorINS6_10device_ptrIS8_EEEEPS9_mNS6_4lessIS8_EEEE10hipError_tT0_T1_T2_jT3_P12ihipStream_tbPNSt15iterator_traitsISL_E10value_typeEPNSR_ISM_E10value_typeEPSN_NS1_7vsmem_tEENKUlT_SL_SM_SN_E_clISG_PS8_SH_SH_EESK_S10_SL_SM_SN_EUlS10_E0_NS1_11comp_targetILNS1_3genE8ELNS1_11target_archE1030ELNS1_3gpuE2ELNS1_3repE0EEENS1_38merge_mergepath_config_static_selectorELNS0_4arch9wavefront6targetE0EEEvSM_,@function
_ZN7rocprim17ROCPRIM_400000_NS6detail17trampoline_kernelINS0_14default_configENS1_38merge_sort_block_merge_config_selectorIN6thrust23THRUST_200600_302600_NS4pairIiiEENS0_10empty_typeEEEZZNS1_27merge_sort_block_merge_implIS3_NS6_6detail15normal_iteratorINS6_10device_ptrIS8_EEEEPS9_mNS6_4lessIS8_EEEE10hipError_tT0_T1_T2_jT3_P12ihipStream_tbPNSt15iterator_traitsISL_E10value_typeEPNSR_ISM_E10value_typeEPSN_NS1_7vsmem_tEENKUlT_SL_SM_SN_E_clISG_PS8_SH_SH_EESK_S10_SL_SM_SN_EUlS10_E0_NS1_11comp_targetILNS1_3genE8ELNS1_11target_archE1030ELNS1_3gpuE2ELNS1_3repE0EEENS1_38merge_mergepath_config_static_selectorELNS0_4arch9wavefront6targetE0EEEvSM_: ; @_ZN7rocprim17ROCPRIM_400000_NS6detail17trampoline_kernelINS0_14default_configENS1_38merge_sort_block_merge_config_selectorIN6thrust23THRUST_200600_302600_NS4pairIiiEENS0_10empty_typeEEEZZNS1_27merge_sort_block_merge_implIS3_NS6_6detail15normal_iteratorINS6_10device_ptrIS8_EEEEPS9_mNS6_4lessIS8_EEEE10hipError_tT0_T1_T2_jT3_P12ihipStream_tbPNSt15iterator_traitsISL_E10value_typeEPNSR_ISM_E10value_typeEPSN_NS1_7vsmem_tEENKUlT_SL_SM_SN_E_clISG_PS8_SH_SH_EESK_S10_SL_SM_SN_EUlS10_E0_NS1_11comp_targetILNS1_3genE8ELNS1_11target_archE1030ELNS1_3gpuE2ELNS1_3repE0EEENS1_38merge_mergepath_config_static_selectorELNS0_4arch9wavefront6targetE0EEEvSM_
; %bb.0:
	s_clause 0x1
	s_load_dwordx2 s[0:1], s[4:5], 0x48
	s_load_dword s2, s[4:5], 0x38
	s_waitcnt lgkmcnt(0)
	s_mul_i32 s1, s1, s8
	s_add_i32 s1, s1, s7
	s_mul_i32 s0, s1, s0
	s_add_i32 s14, s0, s6
	s_cmp_ge_u32 s14, s2
	s_cbranch_scc1 .LBB672_27
; %bb.1:
	s_clause 0x1
	s_load_dwordx2 s[0:1], s[4:5], 0x40
	s_load_dwordx4 s[8:11], s[4:5], 0x28
	s_mov_b32 s15, 0
	s_lshl_b64 s[2:3], s[14:15], 3
	s_waitcnt lgkmcnt(0)
	s_add_u32 s0, s0, s2
	s_addc_u32 s1, s1, s3
	s_lshr_b64 s[6:7], s[10:11], 9
	s_load_dwordx4 s[0:3], s[0:1], 0x0
	s_and_b32 s6, s6, -2
	s_mov_b32 s7, s15
	s_sub_i32 s23, 0, s6
	s_lshl_b64 s[12:13], s[14:15], 10
	s_and_b32 s6, s14, s23
	s_lshl_b64 s[16:17], s[6:7], 10
	s_sub_u32 s20, s12, s16
	s_subb_u32 s24, s13, s17
	s_lshl_b64 s[18:19], s[6:7], 11
	s_load_dwordx4 s[4:7], s[4:5], 0x8
	s_add_u32 s21, s18, s10
	s_addc_u32 s22, s19, s11
	s_add_u32 s19, s21, s20
	s_addc_u32 s20, s22, s24
	s_waitcnt lgkmcnt(0)
	s_sub_u32 s18, s19, s2
	s_subb_u32 s3, s20, s3
	s_add_u32 s24, s18, 0x400
	s_addc_u32 s25, s3, 0
	v_cmp_lt_u64_e64 s3, s[8:9], s[24:25]
	s_and_b32 s3, s3, exec_lo
	s_cselect_b32 s3, s8, s24
	s_or_b32 s18, s14, s23
	s_cmp_lg_u32 s18, -1
	s_mov_b32 s18, -1
	s_cbranch_scc1 .LBB672_3
; %bb.2:
	s_sub_u32 s16, s21, s16
	s_subb_u32 s17, s22, s17
	v_cmp_lt_u64_e64 s2, s[8:9], s[16:17]
	s_and_b32 s2, s2, exec_lo
	s_cselect_b32 s2, s8, s16
	s_add_u32 s10, s16, s10
	s_addc_u32 s11, s17, s11
	v_cmp_lt_u64_e64 s3, s[8:9], s[10:11]
	s_and_b32 s3, s3, exec_lo
	s_cselect_b32 s3, s8, s10
.LBB672_3:
	s_lshr_b64 s[16:17], s[8:9], 10
	s_cmp_lg_u64 s[16:17], s[14:15]
	s_cselect_b32 s10, -1, 0
	s_sub_u32 s22, s19, s0
	s_subb_u32 s23, s20, s1
	v_cmp_lt_u64_e64 s11, s[8:9], s[22:23]
	s_and_b32 s11, s11, exec_lo
	s_cselect_b32 s20, s8, s22
	s_cselect_b32 s21, s9, s23
	s_lshl_b64 s[22:23], s[0:1], 3
	s_sub_i32 s2, s2, s0
	s_sub_i32 s1, s3, s20
	s_add_u32 s9, s4, s22
	s_addc_u32 s11, s5, s23
	s_lshl_b64 s[20:21], s[20:21], 3
	s_add_u32 s3, s4, s20
	s_addc_u32 s4, s5, s21
	s_cmp_eq_u64 s[16:17], s[14:15]
	s_cbranch_scc1 .LBB672_5
; %bb.4:
	v_lshlrev_b32_e32 v1, 3, v0
	v_mov_b32_e32 v2, 0
	v_add_co_u32 v5, s0, s9, v1
	v_sub_co_u32 v1, vcc_lo, v0, s2
	v_add_co_ci_u32_e64 v6, null, s11, 0, s0
	v_lshlrev_b64 v[3:4], 3, v[1:2]
	v_add_co_u32 v1, s0, s3, v3
	v_add_co_ci_u32_e64 v3, null, s4, v4, s0
	s_add_i32 s0, s2, s1
	v_mov_b32_e32 v8, s0
	v_cndmask_b32_e32 v4, v3, v6, vcc_lo
	v_cndmask_b32_e32 v3, v1, v5, vcc_lo
	v_mov_b32_e32 v1, v2
	global_load_dwordx2 v[4:5], v[3:4], off
	v_mov_b32_e32 v3, v1
	v_mov_b32_e32 v2, v0
	s_cbranch_execz .LBB672_6
	s_branch .LBB672_11
.LBB672_5:
                                        ; implicit-def: $vgpr4
                                        ; implicit-def: $vgpr8
                                        ; implicit-def: $vgpr2_vgpr3
	s_andn2_b32 vcc_lo, exec_lo, s18
	s_cbranch_vccnz .LBB672_11
.LBB672_6:
	v_mov_b32_e32 v1, 0
	s_add_i32 s5, s2, s1
	s_mov_b32 s0, exec_lo
	v_mov_b32_e32 v3, v1
	v_mov_b32_e32 v2, v0
	v_cmpx_le_u32_e64 s5, v0
	s_xor_b32 s0, exec_lo, s0
; %bb.7:
	v_mov_b32_e32 v3, 0
	v_mov_b32_e32 v2, v0
; %bb.8:
	s_or_saveexec_b32 s14, s0
	s_waitcnt vmcnt(0)
	v_mov_b32_e32 v5, 0
	s_xor_b32 exec_lo, exec_lo, s14
	s_cbranch_execz .LBB672_10
; %bb.9:
	v_mov_b32_e32 v5, 0
	v_sub_co_u32 v4, vcc_lo, v0, s2
	v_lshlrev_b32_e32 v1, 3, v0
	v_lshlrev_b64 v[4:5], 3, v[4:5]
	v_add_co_u32 v1, s0, s9, v1
	v_add_co_ci_u32_e64 v6, null, s11, 0, s0
	v_add_co_u32 v4, s0, s3, v4
	v_add_co_ci_u32_e64 v5, null, s4, v5, s0
	v_cndmask_b32_e32 v4, v4, v1, vcc_lo
	v_cndmask_b32_e32 v5, v5, v6, vcc_lo
	global_load_dwordx2 v[4:5], v[4:5], off
	s_waitcnt vmcnt(0)
	v_mov_b32_e32 v1, v4
.LBB672_10:
	s_or_b32 exec_lo, exec_lo, s14
	v_mov_b32_e32 v8, s5
	v_mov_b32_e32 v4, v1
.LBB672_11:
	v_min_u32_e32 v6, v8, v0
	v_lshlrev_b32_e32 v1, 3, v2
	s_mov_b32 s3, exec_lo
	v_sub_nc_u32_e64 v9, v6, s1 clamp
	v_min_u32_e32 v7, s2, v6
	s_waitcnt vmcnt(0)
	ds_write_b64 v1, v[4:5]
	s_waitcnt lgkmcnt(0)
	s_barrier
	buffer_gl0_inv
	v_cmpx_lt_u32_e64 v9, v7
	s_cbranch_execz .LBB672_15
; %bb.12:
	v_lshlrev_b32_e32 v10, 3, v6
	s_mov_b32 s4, 0
	v_lshl_add_u32 v10, s2, 3, v10
	.p2align	6
.LBB672_13:                             ; =>This Inner Loop Header: Depth=1
	v_add_nc_u32_e32 v11, v7, v9
	v_lshrrev_b32_e32 v15, 1, v11
	v_not_b32_e32 v11, v15
	v_lshlrev_b32_e32 v12, 3, v15
	v_lshl_add_u32 v13, v11, 3, v10
	ds_read_b64 v[11:12], v12
	ds_read_b64 v[13:14], v13
	s_waitcnt lgkmcnt(0)
	v_cmp_ge_i32_e32 vcc_lo, v11, v13
	v_cmp_lt_i32_e64 s0, v14, v12
	v_cmp_lt_i32_e64 s1, v13, v11
	v_add_nc_u32_e32 v11, 1, v15
	s_and_b32 s0, vcc_lo, s0
	s_or_b32 vcc_lo, s1, s0
	v_cndmask_b32_e32 v7, v7, v15, vcc_lo
	v_cndmask_b32_e32 v9, v11, v9, vcc_lo
	v_cmp_ge_u32_e32 vcc_lo, v9, v7
	s_or_b32 s4, vcc_lo, s4
	s_andn2_b32 exec_lo, exec_lo, s4
	s_cbranch_execnz .LBB672_13
; %bb.14:
	s_or_b32 exec_lo, exec_lo, s4
.LBB672_15:
	s_or_b32 exec_lo, exec_lo, s3
	v_sub_nc_u32_e32 v6, v6, v9
	v_cmp_ge_u32_e32 vcc_lo, s2, v9
	v_add_nc_u32_e32 v10, s2, v6
	v_cmp_le_u32_e64 s0, v10, v8
	s_or_b32 s0, vcc_lo, s0
	s_and_saveexec_b32 s4, s0
	s_cbranch_execz .LBB672_21
; %bb.16:
	v_cmp_gt_u32_e32 vcc_lo, s2, v9
	v_mov_b32_e32 v4, 0
	v_mov_b32_e32 v6, 0
	v_mov_b32_e32 v7, 0
	s_and_saveexec_b32 s0, vcc_lo
; %bb.17:
	v_lshlrev_b32_e32 v5, 3, v9
	ds_read_b64 v[6:7], v5
; %bb.18:
	s_or_b32 exec_lo, exec_lo, s0
	v_cmp_ge_u32_e64 s0, v10, v8
	v_mov_b32_e32 v5, 0
	s_mov_b32 s2, exec_lo
	v_cmpx_lt_u32_e64 v10, v8
; %bb.19:
	v_lshlrev_b32_e32 v4, 3, v10
	ds_read_b64 v[4:5], v4
; %bb.20:
	s_or_b32 exec_lo, exec_lo, s2
	s_waitcnt lgkmcnt(0)
	v_cmp_lt_i32_e64 s1, v6, v4
	v_cmp_ge_i32_e64 s2, v5, v7
	v_cmp_ge_i32_e64 s3, v4, v6
	s_or_b32 s1, s1, s2
	s_and_b32 s2, vcc_lo, s3
	s_and_b32 s1, s2, s1
	s_or_b32 vcc_lo, s0, s1
	v_cndmask_b32_e32 v4, v4, v6, vcc_lo
	v_cndmask_b32_e32 v5, v5, v7, vcc_lo
.LBB672_21:
	s_or_b32 exec_lo, exec_lo, s4
	s_and_b32 vcc_lo, exec_lo, s10
	s_barrier
	buffer_gl0_inv
	s_barrier
	buffer_gl0_inv
	s_cbranch_vccz .LBB672_23
; %bb.22:
	ds_write_b64 v1, v[4:5]
	s_waitcnt lgkmcnt(0)
	s_barrier
	s_mov_b32 s0, -1
	buffer_gl0_inv
	s_cbranch_execz .LBB672_24
	s_branch .LBB672_25
.LBB672_23:
	s_mov_b32 s0, 0
.LBB672_24:
	s_sub_i32 s1, s8, s12
	s_andn2_b32 s0, s0, exec_lo
	v_cmp_gt_u32_e32 vcc_lo, s1, v0
	ds_write_b64 v1, v[4:5]
	s_waitcnt lgkmcnt(0)
	s_barrier
	buffer_gl0_inv
	s_and_b32 s1, vcc_lo, exec_lo
	s_or_b32 s0, s0, s1
.LBB672_25:
	s_and_saveexec_b32 s1, s0
	s_cbranch_execz .LBB672_27
; %bb.26:
	ds_read_b64 v[0:1], v1
	v_lshlrev_b64 v[2:3], 3, v[2:3]
	s_lshl_b64 s[0:1], s[12:13], 3
	s_add_u32 s0, s6, s0
	s_addc_u32 s1, s7, s1
	v_add_co_u32 v2, vcc_lo, s0, v2
	v_add_co_ci_u32_e64 v3, null, s1, v3, vcc_lo
	s_waitcnt lgkmcnt(0)
	global_store_dwordx2 v[2:3], v[0:1], off
.LBB672_27:
	s_endpgm
	.section	.rodata,"a",@progbits
	.p2align	6, 0x0
	.amdhsa_kernel _ZN7rocprim17ROCPRIM_400000_NS6detail17trampoline_kernelINS0_14default_configENS1_38merge_sort_block_merge_config_selectorIN6thrust23THRUST_200600_302600_NS4pairIiiEENS0_10empty_typeEEEZZNS1_27merge_sort_block_merge_implIS3_NS6_6detail15normal_iteratorINS6_10device_ptrIS8_EEEEPS9_mNS6_4lessIS8_EEEE10hipError_tT0_T1_T2_jT3_P12ihipStream_tbPNSt15iterator_traitsISL_E10value_typeEPNSR_ISM_E10value_typeEPSN_NS1_7vsmem_tEENKUlT_SL_SM_SN_E_clISG_PS8_SH_SH_EESK_S10_SL_SM_SN_EUlS10_E0_NS1_11comp_targetILNS1_3genE8ELNS1_11target_archE1030ELNS1_3gpuE2ELNS1_3repE0EEENS1_38merge_mergepath_config_static_selectorELNS0_4arch9wavefront6targetE0EEEvSM_
		.amdhsa_group_segment_fixed_size 8208
		.amdhsa_private_segment_fixed_size 0
		.amdhsa_kernarg_size 328
		.amdhsa_user_sgpr_count 6
		.amdhsa_user_sgpr_private_segment_buffer 1
		.amdhsa_user_sgpr_dispatch_ptr 0
		.amdhsa_user_sgpr_queue_ptr 0
		.amdhsa_user_sgpr_kernarg_segment_ptr 1
		.amdhsa_user_sgpr_dispatch_id 0
		.amdhsa_user_sgpr_flat_scratch_init 0
		.amdhsa_user_sgpr_private_segment_size 0
		.amdhsa_wavefront_size32 1
		.amdhsa_uses_dynamic_stack 0
		.amdhsa_system_sgpr_private_segment_wavefront_offset 0
		.amdhsa_system_sgpr_workgroup_id_x 1
		.amdhsa_system_sgpr_workgroup_id_y 1
		.amdhsa_system_sgpr_workgroup_id_z 1
		.amdhsa_system_sgpr_workgroup_info 0
		.amdhsa_system_vgpr_workitem_id 0
		.amdhsa_next_free_vgpr 16
		.amdhsa_next_free_sgpr 26
		.amdhsa_reserve_vcc 1
		.amdhsa_reserve_flat_scratch 0
		.amdhsa_float_round_mode_32 0
		.amdhsa_float_round_mode_16_64 0
		.amdhsa_float_denorm_mode_32 3
		.amdhsa_float_denorm_mode_16_64 3
		.amdhsa_dx10_clamp 1
		.amdhsa_ieee_mode 1
		.amdhsa_fp16_overflow 0
		.amdhsa_workgroup_processor_mode 1
		.amdhsa_memory_ordered 1
		.amdhsa_forward_progress 1
		.amdhsa_shared_vgpr_count 0
		.amdhsa_exception_fp_ieee_invalid_op 0
		.amdhsa_exception_fp_denorm_src 0
		.amdhsa_exception_fp_ieee_div_zero 0
		.amdhsa_exception_fp_ieee_overflow 0
		.amdhsa_exception_fp_ieee_underflow 0
		.amdhsa_exception_fp_ieee_inexact 0
		.amdhsa_exception_int_div_zero 0
	.end_amdhsa_kernel
	.section	.text._ZN7rocprim17ROCPRIM_400000_NS6detail17trampoline_kernelINS0_14default_configENS1_38merge_sort_block_merge_config_selectorIN6thrust23THRUST_200600_302600_NS4pairIiiEENS0_10empty_typeEEEZZNS1_27merge_sort_block_merge_implIS3_NS6_6detail15normal_iteratorINS6_10device_ptrIS8_EEEEPS9_mNS6_4lessIS8_EEEE10hipError_tT0_T1_T2_jT3_P12ihipStream_tbPNSt15iterator_traitsISL_E10value_typeEPNSR_ISM_E10value_typeEPSN_NS1_7vsmem_tEENKUlT_SL_SM_SN_E_clISG_PS8_SH_SH_EESK_S10_SL_SM_SN_EUlS10_E0_NS1_11comp_targetILNS1_3genE8ELNS1_11target_archE1030ELNS1_3gpuE2ELNS1_3repE0EEENS1_38merge_mergepath_config_static_selectorELNS0_4arch9wavefront6targetE0EEEvSM_,"axG",@progbits,_ZN7rocprim17ROCPRIM_400000_NS6detail17trampoline_kernelINS0_14default_configENS1_38merge_sort_block_merge_config_selectorIN6thrust23THRUST_200600_302600_NS4pairIiiEENS0_10empty_typeEEEZZNS1_27merge_sort_block_merge_implIS3_NS6_6detail15normal_iteratorINS6_10device_ptrIS8_EEEEPS9_mNS6_4lessIS8_EEEE10hipError_tT0_T1_T2_jT3_P12ihipStream_tbPNSt15iterator_traitsISL_E10value_typeEPNSR_ISM_E10value_typeEPSN_NS1_7vsmem_tEENKUlT_SL_SM_SN_E_clISG_PS8_SH_SH_EESK_S10_SL_SM_SN_EUlS10_E0_NS1_11comp_targetILNS1_3genE8ELNS1_11target_archE1030ELNS1_3gpuE2ELNS1_3repE0EEENS1_38merge_mergepath_config_static_selectorELNS0_4arch9wavefront6targetE0EEEvSM_,comdat
.Lfunc_end672:
	.size	_ZN7rocprim17ROCPRIM_400000_NS6detail17trampoline_kernelINS0_14default_configENS1_38merge_sort_block_merge_config_selectorIN6thrust23THRUST_200600_302600_NS4pairIiiEENS0_10empty_typeEEEZZNS1_27merge_sort_block_merge_implIS3_NS6_6detail15normal_iteratorINS6_10device_ptrIS8_EEEEPS9_mNS6_4lessIS8_EEEE10hipError_tT0_T1_T2_jT3_P12ihipStream_tbPNSt15iterator_traitsISL_E10value_typeEPNSR_ISM_E10value_typeEPSN_NS1_7vsmem_tEENKUlT_SL_SM_SN_E_clISG_PS8_SH_SH_EESK_S10_SL_SM_SN_EUlS10_E0_NS1_11comp_targetILNS1_3genE8ELNS1_11target_archE1030ELNS1_3gpuE2ELNS1_3repE0EEENS1_38merge_mergepath_config_static_selectorELNS0_4arch9wavefront6targetE0EEEvSM_, .Lfunc_end672-_ZN7rocprim17ROCPRIM_400000_NS6detail17trampoline_kernelINS0_14default_configENS1_38merge_sort_block_merge_config_selectorIN6thrust23THRUST_200600_302600_NS4pairIiiEENS0_10empty_typeEEEZZNS1_27merge_sort_block_merge_implIS3_NS6_6detail15normal_iteratorINS6_10device_ptrIS8_EEEEPS9_mNS6_4lessIS8_EEEE10hipError_tT0_T1_T2_jT3_P12ihipStream_tbPNSt15iterator_traitsISL_E10value_typeEPNSR_ISM_E10value_typeEPSN_NS1_7vsmem_tEENKUlT_SL_SM_SN_E_clISG_PS8_SH_SH_EESK_S10_SL_SM_SN_EUlS10_E0_NS1_11comp_targetILNS1_3genE8ELNS1_11target_archE1030ELNS1_3gpuE2ELNS1_3repE0EEENS1_38merge_mergepath_config_static_selectorELNS0_4arch9wavefront6targetE0EEEvSM_
                                        ; -- End function
	.set _ZN7rocprim17ROCPRIM_400000_NS6detail17trampoline_kernelINS0_14default_configENS1_38merge_sort_block_merge_config_selectorIN6thrust23THRUST_200600_302600_NS4pairIiiEENS0_10empty_typeEEEZZNS1_27merge_sort_block_merge_implIS3_NS6_6detail15normal_iteratorINS6_10device_ptrIS8_EEEEPS9_mNS6_4lessIS8_EEEE10hipError_tT0_T1_T2_jT3_P12ihipStream_tbPNSt15iterator_traitsISL_E10value_typeEPNSR_ISM_E10value_typeEPSN_NS1_7vsmem_tEENKUlT_SL_SM_SN_E_clISG_PS8_SH_SH_EESK_S10_SL_SM_SN_EUlS10_E0_NS1_11comp_targetILNS1_3genE8ELNS1_11target_archE1030ELNS1_3gpuE2ELNS1_3repE0EEENS1_38merge_mergepath_config_static_selectorELNS0_4arch9wavefront6targetE0EEEvSM_.num_vgpr, 16
	.set _ZN7rocprim17ROCPRIM_400000_NS6detail17trampoline_kernelINS0_14default_configENS1_38merge_sort_block_merge_config_selectorIN6thrust23THRUST_200600_302600_NS4pairIiiEENS0_10empty_typeEEEZZNS1_27merge_sort_block_merge_implIS3_NS6_6detail15normal_iteratorINS6_10device_ptrIS8_EEEEPS9_mNS6_4lessIS8_EEEE10hipError_tT0_T1_T2_jT3_P12ihipStream_tbPNSt15iterator_traitsISL_E10value_typeEPNSR_ISM_E10value_typeEPSN_NS1_7vsmem_tEENKUlT_SL_SM_SN_E_clISG_PS8_SH_SH_EESK_S10_SL_SM_SN_EUlS10_E0_NS1_11comp_targetILNS1_3genE8ELNS1_11target_archE1030ELNS1_3gpuE2ELNS1_3repE0EEENS1_38merge_mergepath_config_static_selectorELNS0_4arch9wavefront6targetE0EEEvSM_.num_agpr, 0
	.set _ZN7rocprim17ROCPRIM_400000_NS6detail17trampoline_kernelINS0_14default_configENS1_38merge_sort_block_merge_config_selectorIN6thrust23THRUST_200600_302600_NS4pairIiiEENS0_10empty_typeEEEZZNS1_27merge_sort_block_merge_implIS3_NS6_6detail15normal_iteratorINS6_10device_ptrIS8_EEEEPS9_mNS6_4lessIS8_EEEE10hipError_tT0_T1_T2_jT3_P12ihipStream_tbPNSt15iterator_traitsISL_E10value_typeEPNSR_ISM_E10value_typeEPSN_NS1_7vsmem_tEENKUlT_SL_SM_SN_E_clISG_PS8_SH_SH_EESK_S10_SL_SM_SN_EUlS10_E0_NS1_11comp_targetILNS1_3genE8ELNS1_11target_archE1030ELNS1_3gpuE2ELNS1_3repE0EEENS1_38merge_mergepath_config_static_selectorELNS0_4arch9wavefront6targetE0EEEvSM_.numbered_sgpr, 26
	.set _ZN7rocprim17ROCPRIM_400000_NS6detail17trampoline_kernelINS0_14default_configENS1_38merge_sort_block_merge_config_selectorIN6thrust23THRUST_200600_302600_NS4pairIiiEENS0_10empty_typeEEEZZNS1_27merge_sort_block_merge_implIS3_NS6_6detail15normal_iteratorINS6_10device_ptrIS8_EEEEPS9_mNS6_4lessIS8_EEEE10hipError_tT0_T1_T2_jT3_P12ihipStream_tbPNSt15iterator_traitsISL_E10value_typeEPNSR_ISM_E10value_typeEPSN_NS1_7vsmem_tEENKUlT_SL_SM_SN_E_clISG_PS8_SH_SH_EESK_S10_SL_SM_SN_EUlS10_E0_NS1_11comp_targetILNS1_3genE8ELNS1_11target_archE1030ELNS1_3gpuE2ELNS1_3repE0EEENS1_38merge_mergepath_config_static_selectorELNS0_4arch9wavefront6targetE0EEEvSM_.num_named_barrier, 0
	.set _ZN7rocprim17ROCPRIM_400000_NS6detail17trampoline_kernelINS0_14default_configENS1_38merge_sort_block_merge_config_selectorIN6thrust23THRUST_200600_302600_NS4pairIiiEENS0_10empty_typeEEEZZNS1_27merge_sort_block_merge_implIS3_NS6_6detail15normal_iteratorINS6_10device_ptrIS8_EEEEPS9_mNS6_4lessIS8_EEEE10hipError_tT0_T1_T2_jT3_P12ihipStream_tbPNSt15iterator_traitsISL_E10value_typeEPNSR_ISM_E10value_typeEPSN_NS1_7vsmem_tEENKUlT_SL_SM_SN_E_clISG_PS8_SH_SH_EESK_S10_SL_SM_SN_EUlS10_E0_NS1_11comp_targetILNS1_3genE8ELNS1_11target_archE1030ELNS1_3gpuE2ELNS1_3repE0EEENS1_38merge_mergepath_config_static_selectorELNS0_4arch9wavefront6targetE0EEEvSM_.private_seg_size, 0
	.set _ZN7rocprim17ROCPRIM_400000_NS6detail17trampoline_kernelINS0_14default_configENS1_38merge_sort_block_merge_config_selectorIN6thrust23THRUST_200600_302600_NS4pairIiiEENS0_10empty_typeEEEZZNS1_27merge_sort_block_merge_implIS3_NS6_6detail15normal_iteratorINS6_10device_ptrIS8_EEEEPS9_mNS6_4lessIS8_EEEE10hipError_tT0_T1_T2_jT3_P12ihipStream_tbPNSt15iterator_traitsISL_E10value_typeEPNSR_ISM_E10value_typeEPSN_NS1_7vsmem_tEENKUlT_SL_SM_SN_E_clISG_PS8_SH_SH_EESK_S10_SL_SM_SN_EUlS10_E0_NS1_11comp_targetILNS1_3genE8ELNS1_11target_archE1030ELNS1_3gpuE2ELNS1_3repE0EEENS1_38merge_mergepath_config_static_selectorELNS0_4arch9wavefront6targetE0EEEvSM_.uses_vcc, 1
	.set _ZN7rocprim17ROCPRIM_400000_NS6detail17trampoline_kernelINS0_14default_configENS1_38merge_sort_block_merge_config_selectorIN6thrust23THRUST_200600_302600_NS4pairIiiEENS0_10empty_typeEEEZZNS1_27merge_sort_block_merge_implIS3_NS6_6detail15normal_iteratorINS6_10device_ptrIS8_EEEEPS9_mNS6_4lessIS8_EEEE10hipError_tT0_T1_T2_jT3_P12ihipStream_tbPNSt15iterator_traitsISL_E10value_typeEPNSR_ISM_E10value_typeEPSN_NS1_7vsmem_tEENKUlT_SL_SM_SN_E_clISG_PS8_SH_SH_EESK_S10_SL_SM_SN_EUlS10_E0_NS1_11comp_targetILNS1_3genE8ELNS1_11target_archE1030ELNS1_3gpuE2ELNS1_3repE0EEENS1_38merge_mergepath_config_static_selectorELNS0_4arch9wavefront6targetE0EEEvSM_.uses_flat_scratch, 0
	.set _ZN7rocprim17ROCPRIM_400000_NS6detail17trampoline_kernelINS0_14default_configENS1_38merge_sort_block_merge_config_selectorIN6thrust23THRUST_200600_302600_NS4pairIiiEENS0_10empty_typeEEEZZNS1_27merge_sort_block_merge_implIS3_NS6_6detail15normal_iteratorINS6_10device_ptrIS8_EEEEPS9_mNS6_4lessIS8_EEEE10hipError_tT0_T1_T2_jT3_P12ihipStream_tbPNSt15iterator_traitsISL_E10value_typeEPNSR_ISM_E10value_typeEPSN_NS1_7vsmem_tEENKUlT_SL_SM_SN_E_clISG_PS8_SH_SH_EESK_S10_SL_SM_SN_EUlS10_E0_NS1_11comp_targetILNS1_3genE8ELNS1_11target_archE1030ELNS1_3gpuE2ELNS1_3repE0EEENS1_38merge_mergepath_config_static_selectorELNS0_4arch9wavefront6targetE0EEEvSM_.has_dyn_sized_stack, 0
	.set _ZN7rocprim17ROCPRIM_400000_NS6detail17trampoline_kernelINS0_14default_configENS1_38merge_sort_block_merge_config_selectorIN6thrust23THRUST_200600_302600_NS4pairIiiEENS0_10empty_typeEEEZZNS1_27merge_sort_block_merge_implIS3_NS6_6detail15normal_iteratorINS6_10device_ptrIS8_EEEEPS9_mNS6_4lessIS8_EEEE10hipError_tT0_T1_T2_jT3_P12ihipStream_tbPNSt15iterator_traitsISL_E10value_typeEPNSR_ISM_E10value_typeEPSN_NS1_7vsmem_tEENKUlT_SL_SM_SN_E_clISG_PS8_SH_SH_EESK_S10_SL_SM_SN_EUlS10_E0_NS1_11comp_targetILNS1_3genE8ELNS1_11target_archE1030ELNS1_3gpuE2ELNS1_3repE0EEENS1_38merge_mergepath_config_static_selectorELNS0_4arch9wavefront6targetE0EEEvSM_.has_recursion, 0
	.set _ZN7rocprim17ROCPRIM_400000_NS6detail17trampoline_kernelINS0_14default_configENS1_38merge_sort_block_merge_config_selectorIN6thrust23THRUST_200600_302600_NS4pairIiiEENS0_10empty_typeEEEZZNS1_27merge_sort_block_merge_implIS3_NS6_6detail15normal_iteratorINS6_10device_ptrIS8_EEEEPS9_mNS6_4lessIS8_EEEE10hipError_tT0_T1_T2_jT3_P12ihipStream_tbPNSt15iterator_traitsISL_E10value_typeEPNSR_ISM_E10value_typeEPSN_NS1_7vsmem_tEENKUlT_SL_SM_SN_E_clISG_PS8_SH_SH_EESK_S10_SL_SM_SN_EUlS10_E0_NS1_11comp_targetILNS1_3genE8ELNS1_11target_archE1030ELNS1_3gpuE2ELNS1_3repE0EEENS1_38merge_mergepath_config_static_selectorELNS0_4arch9wavefront6targetE0EEEvSM_.has_indirect_call, 0
	.section	.AMDGPU.csdata,"",@progbits
; Kernel info:
; codeLenInByte = 1160
; TotalNumSgprs: 28
; NumVgprs: 16
; ScratchSize: 0
; MemoryBound: 0
; FloatMode: 240
; IeeeMode: 1
; LDSByteSize: 8208 bytes/workgroup (compile time only)
; SGPRBlocks: 0
; VGPRBlocks: 1
; NumSGPRsForWavesPerEU: 28
; NumVGPRsForWavesPerEU: 16
; Occupancy: 16
; WaveLimiterHint : 1
; COMPUTE_PGM_RSRC2:SCRATCH_EN: 0
; COMPUTE_PGM_RSRC2:USER_SGPR: 6
; COMPUTE_PGM_RSRC2:TRAP_HANDLER: 0
; COMPUTE_PGM_RSRC2:TGID_X_EN: 1
; COMPUTE_PGM_RSRC2:TGID_Y_EN: 1
; COMPUTE_PGM_RSRC2:TGID_Z_EN: 1
; COMPUTE_PGM_RSRC2:TIDIG_COMP_CNT: 0
	.section	.text._ZN7rocprim17ROCPRIM_400000_NS6detail17trampoline_kernelINS0_14default_configENS1_38merge_sort_block_merge_config_selectorIN6thrust23THRUST_200600_302600_NS4pairIiiEENS0_10empty_typeEEEZZNS1_27merge_sort_block_merge_implIS3_NS6_6detail15normal_iteratorINS6_10device_ptrIS8_EEEEPS9_mNS6_4lessIS8_EEEE10hipError_tT0_T1_T2_jT3_P12ihipStream_tbPNSt15iterator_traitsISL_E10value_typeEPNSR_ISM_E10value_typeEPSN_NS1_7vsmem_tEENKUlT_SL_SM_SN_E_clISG_PS8_SH_SH_EESK_S10_SL_SM_SN_EUlS10_E1_NS1_11comp_targetILNS1_3genE0ELNS1_11target_archE4294967295ELNS1_3gpuE0ELNS1_3repE0EEENS1_36merge_oddeven_config_static_selectorELNS0_4arch9wavefront6targetE0EEEvSM_,"axG",@progbits,_ZN7rocprim17ROCPRIM_400000_NS6detail17trampoline_kernelINS0_14default_configENS1_38merge_sort_block_merge_config_selectorIN6thrust23THRUST_200600_302600_NS4pairIiiEENS0_10empty_typeEEEZZNS1_27merge_sort_block_merge_implIS3_NS6_6detail15normal_iteratorINS6_10device_ptrIS8_EEEEPS9_mNS6_4lessIS8_EEEE10hipError_tT0_T1_T2_jT3_P12ihipStream_tbPNSt15iterator_traitsISL_E10value_typeEPNSR_ISM_E10value_typeEPSN_NS1_7vsmem_tEENKUlT_SL_SM_SN_E_clISG_PS8_SH_SH_EESK_S10_SL_SM_SN_EUlS10_E1_NS1_11comp_targetILNS1_3genE0ELNS1_11target_archE4294967295ELNS1_3gpuE0ELNS1_3repE0EEENS1_36merge_oddeven_config_static_selectorELNS0_4arch9wavefront6targetE0EEEvSM_,comdat
	.protected	_ZN7rocprim17ROCPRIM_400000_NS6detail17trampoline_kernelINS0_14default_configENS1_38merge_sort_block_merge_config_selectorIN6thrust23THRUST_200600_302600_NS4pairIiiEENS0_10empty_typeEEEZZNS1_27merge_sort_block_merge_implIS3_NS6_6detail15normal_iteratorINS6_10device_ptrIS8_EEEEPS9_mNS6_4lessIS8_EEEE10hipError_tT0_T1_T2_jT3_P12ihipStream_tbPNSt15iterator_traitsISL_E10value_typeEPNSR_ISM_E10value_typeEPSN_NS1_7vsmem_tEENKUlT_SL_SM_SN_E_clISG_PS8_SH_SH_EESK_S10_SL_SM_SN_EUlS10_E1_NS1_11comp_targetILNS1_3genE0ELNS1_11target_archE4294967295ELNS1_3gpuE0ELNS1_3repE0EEENS1_36merge_oddeven_config_static_selectorELNS0_4arch9wavefront6targetE0EEEvSM_ ; -- Begin function _ZN7rocprim17ROCPRIM_400000_NS6detail17trampoline_kernelINS0_14default_configENS1_38merge_sort_block_merge_config_selectorIN6thrust23THRUST_200600_302600_NS4pairIiiEENS0_10empty_typeEEEZZNS1_27merge_sort_block_merge_implIS3_NS6_6detail15normal_iteratorINS6_10device_ptrIS8_EEEEPS9_mNS6_4lessIS8_EEEE10hipError_tT0_T1_T2_jT3_P12ihipStream_tbPNSt15iterator_traitsISL_E10value_typeEPNSR_ISM_E10value_typeEPSN_NS1_7vsmem_tEENKUlT_SL_SM_SN_E_clISG_PS8_SH_SH_EESK_S10_SL_SM_SN_EUlS10_E1_NS1_11comp_targetILNS1_3genE0ELNS1_11target_archE4294967295ELNS1_3gpuE0ELNS1_3repE0EEENS1_36merge_oddeven_config_static_selectorELNS0_4arch9wavefront6targetE0EEEvSM_
	.globl	_ZN7rocprim17ROCPRIM_400000_NS6detail17trampoline_kernelINS0_14default_configENS1_38merge_sort_block_merge_config_selectorIN6thrust23THRUST_200600_302600_NS4pairIiiEENS0_10empty_typeEEEZZNS1_27merge_sort_block_merge_implIS3_NS6_6detail15normal_iteratorINS6_10device_ptrIS8_EEEEPS9_mNS6_4lessIS8_EEEE10hipError_tT0_T1_T2_jT3_P12ihipStream_tbPNSt15iterator_traitsISL_E10value_typeEPNSR_ISM_E10value_typeEPSN_NS1_7vsmem_tEENKUlT_SL_SM_SN_E_clISG_PS8_SH_SH_EESK_S10_SL_SM_SN_EUlS10_E1_NS1_11comp_targetILNS1_3genE0ELNS1_11target_archE4294967295ELNS1_3gpuE0ELNS1_3repE0EEENS1_36merge_oddeven_config_static_selectorELNS0_4arch9wavefront6targetE0EEEvSM_
	.p2align	8
	.type	_ZN7rocprim17ROCPRIM_400000_NS6detail17trampoline_kernelINS0_14default_configENS1_38merge_sort_block_merge_config_selectorIN6thrust23THRUST_200600_302600_NS4pairIiiEENS0_10empty_typeEEEZZNS1_27merge_sort_block_merge_implIS3_NS6_6detail15normal_iteratorINS6_10device_ptrIS8_EEEEPS9_mNS6_4lessIS8_EEEE10hipError_tT0_T1_T2_jT3_P12ihipStream_tbPNSt15iterator_traitsISL_E10value_typeEPNSR_ISM_E10value_typeEPSN_NS1_7vsmem_tEENKUlT_SL_SM_SN_E_clISG_PS8_SH_SH_EESK_S10_SL_SM_SN_EUlS10_E1_NS1_11comp_targetILNS1_3genE0ELNS1_11target_archE4294967295ELNS1_3gpuE0ELNS1_3repE0EEENS1_36merge_oddeven_config_static_selectorELNS0_4arch9wavefront6targetE0EEEvSM_,@function
_ZN7rocprim17ROCPRIM_400000_NS6detail17trampoline_kernelINS0_14default_configENS1_38merge_sort_block_merge_config_selectorIN6thrust23THRUST_200600_302600_NS4pairIiiEENS0_10empty_typeEEEZZNS1_27merge_sort_block_merge_implIS3_NS6_6detail15normal_iteratorINS6_10device_ptrIS8_EEEEPS9_mNS6_4lessIS8_EEEE10hipError_tT0_T1_T2_jT3_P12ihipStream_tbPNSt15iterator_traitsISL_E10value_typeEPNSR_ISM_E10value_typeEPSN_NS1_7vsmem_tEENKUlT_SL_SM_SN_E_clISG_PS8_SH_SH_EESK_S10_SL_SM_SN_EUlS10_E1_NS1_11comp_targetILNS1_3genE0ELNS1_11target_archE4294967295ELNS1_3gpuE0ELNS1_3repE0EEENS1_36merge_oddeven_config_static_selectorELNS0_4arch9wavefront6targetE0EEEvSM_: ; @_ZN7rocprim17ROCPRIM_400000_NS6detail17trampoline_kernelINS0_14default_configENS1_38merge_sort_block_merge_config_selectorIN6thrust23THRUST_200600_302600_NS4pairIiiEENS0_10empty_typeEEEZZNS1_27merge_sort_block_merge_implIS3_NS6_6detail15normal_iteratorINS6_10device_ptrIS8_EEEEPS9_mNS6_4lessIS8_EEEE10hipError_tT0_T1_T2_jT3_P12ihipStream_tbPNSt15iterator_traitsISL_E10value_typeEPNSR_ISM_E10value_typeEPSN_NS1_7vsmem_tEENKUlT_SL_SM_SN_E_clISG_PS8_SH_SH_EESK_S10_SL_SM_SN_EUlS10_E1_NS1_11comp_targetILNS1_3genE0ELNS1_11target_archE4294967295ELNS1_3gpuE0ELNS1_3repE0EEENS1_36merge_oddeven_config_static_selectorELNS0_4arch9wavefront6targetE0EEEvSM_
; %bb.0:
	.section	.rodata,"a",@progbits
	.p2align	6, 0x0
	.amdhsa_kernel _ZN7rocprim17ROCPRIM_400000_NS6detail17trampoline_kernelINS0_14default_configENS1_38merge_sort_block_merge_config_selectorIN6thrust23THRUST_200600_302600_NS4pairIiiEENS0_10empty_typeEEEZZNS1_27merge_sort_block_merge_implIS3_NS6_6detail15normal_iteratorINS6_10device_ptrIS8_EEEEPS9_mNS6_4lessIS8_EEEE10hipError_tT0_T1_T2_jT3_P12ihipStream_tbPNSt15iterator_traitsISL_E10value_typeEPNSR_ISM_E10value_typeEPSN_NS1_7vsmem_tEENKUlT_SL_SM_SN_E_clISG_PS8_SH_SH_EESK_S10_SL_SM_SN_EUlS10_E1_NS1_11comp_targetILNS1_3genE0ELNS1_11target_archE4294967295ELNS1_3gpuE0ELNS1_3repE0EEENS1_36merge_oddeven_config_static_selectorELNS0_4arch9wavefront6targetE0EEEvSM_
		.amdhsa_group_segment_fixed_size 0
		.amdhsa_private_segment_fixed_size 0
		.amdhsa_kernarg_size 56
		.amdhsa_user_sgpr_count 6
		.amdhsa_user_sgpr_private_segment_buffer 1
		.amdhsa_user_sgpr_dispatch_ptr 0
		.amdhsa_user_sgpr_queue_ptr 0
		.amdhsa_user_sgpr_kernarg_segment_ptr 1
		.amdhsa_user_sgpr_dispatch_id 0
		.amdhsa_user_sgpr_flat_scratch_init 0
		.amdhsa_user_sgpr_private_segment_size 0
		.amdhsa_wavefront_size32 1
		.amdhsa_uses_dynamic_stack 0
		.amdhsa_system_sgpr_private_segment_wavefront_offset 0
		.amdhsa_system_sgpr_workgroup_id_x 1
		.amdhsa_system_sgpr_workgroup_id_y 0
		.amdhsa_system_sgpr_workgroup_id_z 0
		.amdhsa_system_sgpr_workgroup_info 0
		.amdhsa_system_vgpr_workitem_id 0
		.amdhsa_next_free_vgpr 1
		.amdhsa_next_free_sgpr 1
		.amdhsa_reserve_vcc 0
		.amdhsa_reserve_flat_scratch 0
		.amdhsa_float_round_mode_32 0
		.amdhsa_float_round_mode_16_64 0
		.amdhsa_float_denorm_mode_32 3
		.amdhsa_float_denorm_mode_16_64 3
		.amdhsa_dx10_clamp 1
		.amdhsa_ieee_mode 1
		.amdhsa_fp16_overflow 0
		.amdhsa_workgroup_processor_mode 1
		.amdhsa_memory_ordered 1
		.amdhsa_forward_progress 1
		.amdhsa_shared_vgpr_count 0
		.amdhsa_exception_fp_ieee_invalid_op 0
		.amdhsa_exception_fp_denorm_src 0
		.amdhsa_exception_fp_ieee_div_zero 0
		.amdhsa_exception_fp_ieee_overflow 0
		.amdhsa_exception_fp_ieee_underflow 0
		.amdhsa_exception_fp_ieee_inexact 0
		.amdhsa_exception_int_div_zero 0
	.end_amdhsa_kernel
	.section	.text._ZN7rocprim17ROCPRIM_400000_NS6detail17trampoline_kernelINS0_14default_configENS1_38merge_sort_block_merge_config_selectorIN6thrust23THRUST_200600_302600_NS4pairIiiEENS0_10empty_typeEEEZZNS1_27merge_sort_block_merge_implIS3_NS6_6detail15normal_iteratorINS6_10device_ptrIS8_EEEEPS9_mNS6_4lessIS8_EEEE10hipError_tT0_T1_T2_jT3_P12ihipStream_tbPNSt15iterator_traitsISL_E10value_typeEPNSR_ISM_E10value_typeEPSN_NS1_7vsmem_tEENKUlT_SL_SM_SN_E_clISG_PS8_SH_SH_EESK_S10_SL_SM_SN_EUlS10_E1_NS1_11comp_targetILNS1_3genE0ELNS1_11target_archE4294967295ELNS1_3gpuE0ELNS1_3repE0EEENS1_36merge_oddeven_config_static_selectorELNS0_4arch9wavefront6targetE0EEEvSM_,"axG",@progbits,_ZN7rocprim17ROCPRIM_400000_NS6detail17trampoline_kernelINS0_14default_configENS1_38merge_sort_block_merge_config_selectorIN6thrust23THRUST_200600_302600_NS4pairIiiEENS0_10empty_typeEEEZZNS1_27merge_sort_block_merge_implIS3_NS6_6detail15normal_iteratorINS6_10device_ptrIS8_EEEEPS9_mNS6_4lessIS8_EEEE10hipError_tT0_T1_T2_jT3_P12ihipStream_tbPNSt15iterator_traitsISL_E10value_typeEPNSR_ISM_E10value_typeEPSN_NS1_7vsmem_tEENKUlT_SL_SM_SN_E_clISG_PS8_SH_SH_EESK_S10_SL_SM_SN_EUlS10_E1_NS1_11comp_targetILNS1_3genE0ELNS1_11target_archE4294967295ELNS1_3gpuE0ELNS1_3repE0EEENS1_36merge_oddeven_config_static_selectorELNS0_4arch9wavefront6targetE0EEEvSM_,comdat
.Lfunc_end673:
	.size	_ZN7rocprim17ROCPRIM_400000_NS6detail17trampoline_kernelINS0_14default_configENS1_38merge_sort_block_merge_config_selectorIN6thrust23THRUST_200600_302600_NS4pairIiiEENS0_10empty_typeEEEZZNS1_27merge_sort_block_merge_implIS3_NS6_6detail15normal_iteratorINS6_10device_ptrIS8_EEEEPS9_mNS6_4lessIS8_EEEE10hipError_tT0_T1_T2_jT3_P12ihipStream_tbPNSt15iterator_traitsISL_E10value_typeEPNSR_ISM_E10value_typeEPSN_NS1_7vsmem_tEENKUlT_SL_SM_SN_E_clISG_PS8_SH_SH_EESK_S10_SL_SM_SN_EUlS10_E1_NS1_11comp_targetILNS1_3genE0ELNS1_11target_archE4294967295ELNS1_3gpuE0ELNS1_3repE0EEENS1_36merge_oddeven_config_static_selectorELNS0_4arch9wavefront6targetE0EEEvSM_, .Lfunc_end673-_ZN7rocprim17ROCPRIM_400000_NS6detail17trampoline_kernelINS0_14default_configENS1_38merge_sort_block_merge_config_selectorIN6thrust23THRUST_200600_302600_NS4pairIiiEENS0_10empty_typeEEEZZNS1_27merge_sort_block_merge_implIS3_NS6_6detail15normal_iteratorINS6_10device_ptrIS8_EEEEPS9_mNS6_4lessIS8_EEEE10hipError_tT0_T1_T2_jT3_P12ihipStream_tbPNSt15iterator_traitsISL_E10value_typeEPNSR_ISM_E10value_typeEPSN_NS1_7vsmem_tEENKUlT_SL_SM_SN_E_clISG_PS8_SH_SH_EESK_S10_SL_SM_SN_EUlS10_E1_NS1_11comp_targetILNS1_3genE0ELNS1_11target_archE4294967295ELNS1_3gpuE0ELNS1_3repE0EEENS1_36merge_oddeven_config_static_selectorELNS0_4arch9wavefront6targetE0EEEvSM_
                                        ; -- End function
	.set _ZN7rocprim17ROCPRIM_400000_NS6detail17trampoline_kernelINS0_14default_configENS1_38merge_sort_block_merge_config_selectorIN6thrust23THRUST_200600_302600_NS4pairIiiEENS0_10empty_typeEEEZZNS1_27merge_sort_block_merge_implIS3_NS6_6detail15normal_iteratorINS6_10device_ptrIS8_EEEEPS9_mNS6_4lessIS8_EEEE10hipError_tT0_T1_T2_jT3_P12ihipStream_tbPNSt15iterator_traitsISL_E10value_typeEPNSR_ISM_E10value_typeEPSN_NS1_7vsmem_tEENKUlT_SL_SM_SN_E_clISG_PS8_SH_SH_EESK_S10_SL_SM_SN_EUlS10_E1_NS1_11comp_targetILNS1_3genE0ELNS1_11target_archE4294967295ELNS1_3gpuE0ELNS1_3repE0EEENS1_36merge_oddeven_config_static_selectorELNS0_4arch9wavefront6targetE0EEEvSM_.num_vgpr, 0
	.set _ZN7rocprim17ROCPRIM_400000_NS6detail17trampoline_kernelINS0_14default_configENS1_38merge_sort_block_merge_config_selectorIN6thrust23THRUST_200600_302600_NS4pairIiiEENS0_10empty_typeEEEZZNS1_27merge_sort_block_merge_implIS3_NS6_6detail15normal_iteratorINS6_10device_ptrIS8_EEEEPS9_mNS6_4lessIS8_EEEE10hipError_tT0_T1_T2_jT3_P12ihipStream_tbPNSt15iterator_traitsISL_E10value_typeEPNSR_ISM_E10value_typeEPSN_NS1_7vsmem_tEENKUlT_SL_SM_SN_E_clISG_PS8_SH_SH_EESK_S10_SL_SM_SN_EUlS10_E1_NS1_11comp_targetILNS1_3genE0ELNS1_11target_archE4294967295ELNS1_3gpuE0ELNS1_3repE0EEENS1_36merge_oddeven_config_static_selectorELNS0_4arch9wavefront6targetE0EEEvSM_.num_agpr, 0
	.set _ZN7rocprim17ROCPRIM_400000_NS6detail17trampoline_kernelINS0_14default_configENS1_38merge_sort_block_merge_config_selectorIN6thrust23THRUST_200600_302600_NS4pairIiiEENS0_10empty_typeEEEZZNS1_27merge_sort_block_merge_implIS3_NS6_6detail15normal_iteratorINS6_10device_ptrIS8_EEEEPS9_mNS6_4lessIS8_EEEE10hipError_tT0_T1_T2_jT3_P12ihipStream_tbPNSt15iterator_traitsISL_E10value_typeEPNSR_ISM_E10value_typeEPSN_NS1_7vsmem_tEENKUlT_SL_SM_SN_E_clISG_PS8_SH_SH_EESK_S10_SL_SM_SN_EUlS10_E1_NS1_11comp_targetILNS1_3genE0ELNS1_11target_archE4294967295ELNS1_3gpuE0ELNS1_3repE0EEENS1_36merge_oddeven_config_static_selectorELNS0_4arch9wavefront6targetE0EEEvSM_.numbered_sgpr, 0
	.set _ZN7rocprim17ROCPRIM_400000_NS6detail17trampoline_kernelINS0_14default_configENS1_38merge_sort_block_merge_config_selectorIN6thrust23THRUST_200600_302600_NS4pairIiiEENS0_10empty_typeEEEZZNS1_27merge_sort_block_merge_implIS3_NS6_6detail15normal_iteratorINS6_10device_ptrIS8_EEEEPS9_mNS6_4lessIS8_EEEE10hipError_tT0_T1_T2_jT3_P12ihipStream_tbPNSt15iterator_traitsISL_E10value_typeEPNSR_ISM_E10value_typeEPSN_NS1_7vsmem_tEENKUlT_SL_SM_SN_E_clISG_PS8_SH_SH_EESK_S10_SL_SM_SN_EUlS10_E1_NS1_11comp_targetILNS1_3genE0ELNS1_11target_archE4294967295ELNS1_3gpuE0ELNS1_3repE0EEENS1_36merge_oddeven_config_static_selectorELNS0_4arch9wavefront6targetE0EEEvSM_.num_named_barrier, 0
	.set _ZN7rocprim17ROCPRIM_400000_NS6detail17trampoline_kernelINS0_14default_configENS1_38merge_sort_block_merge_config_selectorIN6thrust23THRUST_200600_302600_NS4pairIiiEENS0_10empty_typeEEEZZNS1_27merge_sort_block_merge_implIS3_NS6_6detail15normal_iteratorINS6_10device_ptrIS8_EEEEPS9_mNS6_4lessIS8_EEEE10hipError_tT0_T1_T2_jT3_P12ihipStream_tbPNSt15iterator_traitsISL_E10value_typeEPNSR_ISM_E10value_typeEPSN_NS1_7vsmem_tEENKUlT_SL_SM_SN_E_clISG_PS8_SH_SH_EESK_S10_SL_SM_SN_EUlS10_E1_NS1_11comp_targetILNS1_3genE0ELNS1_11target_archE4294967295ELNS1_3gpuE0ELNS1_3repE0EEENS1_36merge_oddeven_config_static_selectorELNS0_4arch9wavefront6targetE0EEEvSM_.private_seg_size, 0
	.set _ZN7rocprim17ROCPRIM_400000_NS6detail17trampoline_kernelINS0_14default_configENS1_38merge_sort_block_merge_config_selectorIN6thrust23THRUST_200600_302600_NS4pairIiiEENS0_10empty_typeEEEZZNS1_27merge_sort_block_merge_implIS3_NS6_6detail15normal_iteratorINS6_10device_ptrIS8_EEEEPS9_mNS6_4lessIS8_EEEE10hipError_tT0_T1_T2_jT3_P12ihipStream_tbPNSt15iterator_traitsISL_E10value_typeEPNSR_ISM_E10value_typeEPSN_NS1_7vsmem_tEENKUlT_SL_SM_SN_E_clISG_PS8_SH_SH_EESK_S10_SL_SM_SN_EUlS10_E1_NS1_11comp_targetILNS1_3genE0ELNS1_11target_archE4294967295ELNS1_3gpuE0ELNS1_3repE0EEENS1_36merge_oddeven_config_static_selectorELNS0_4arch9wavefront6targetE0EEEvSM_.uses_vcc, 0
	.set _ZN7rocprim17ROCPRIM_400000_NS6detail17trampoline_kernelINS0_14default_configENS1_38merge_sort_block_merge_config_selectorIN6thrust23THRUST_200600_302600_NS4pairIiiEENS0_10empty_typeEEEZZNS1_27merge_sort_block_merge_implIS3_NS6_6detail15normal_iteratorINS6_10device_ptrIS8_EEEEPS9_mNS6_4lessIS8_EEEE10hipError_tT0_T1_T2_jT3_P12ihipStream_tbPNSt15iterator_traitsISL_E10value_typeEPNSR_ISM_E10value_typeEPSN_NS1_7vsmem_tEENKUlT_SL_SM_SN_E_clISG_PS8_SH_SH_EESK_S10_SL_SM_SN_EUlS10_E1_NS1_11comp_targetILNS1_3genE0ELNS1_11target_archE4294967295ELNS1_3gpuE0ELNS1_3repE0EEENS1_36merge_oddeven_config_static_selectorELNS0_4arch9wavefront6targetE0EEEvSM_.uses_flat_scratch, 0
	.set _ZN7rocprim17ROCPRIM_400000_NS6detail17trampoline_kernelINS0_14default_configENS1_38merge_sort_block_merge_config_selectorIN6thrust23THRUST_200600_302600_NS4pairIiiEENS0_10empty_typeEEEZZNS1_27merge_sort_block_merge_implIS3_NS6_6detail15normal_iteratorINS6_10device_ptrIS8_EEEEPS9_mNS6_4lessIS8_EEEE10hipError_tT0_T1_T2_jT3_P12ihipStream_tbPNSt15iterator_traitsISL_E10value_typeEPNSR_ISM_E10value_typeEPSN_NS1_7vsmem_tEENKUlT_SL_SM_SN_E_clISG_PS8_SH_SH_EESK_S10_SL_SM_SN_EUlS10_E1_NS1_11comp_targetILNS1_3genE0ELNS1_11target_archE4294967295ELNS1_3gpuE0ELNS1_3repE0EEENS1_36merge_oddeven_config_static_selectorELNS0_4arch9wavefront6targetE0EEEvSM_.has_dyn_sized_stack, 0
	.set _ZN7rocprim17ROCPRIM_400000_NS6detail17trampoline_kernelINS0_14default_configENS1_38merge_sort_block_merge_config_selectorIN6thrust23THRUST_200600_302600_NS4pairIiiEENS0_10empty_typeEEEZZNS1_27merge_sort_block_merge_implIS3_NS6_6detail15normal_iteratorINS6_10device_ptrIS8_EEEEPS9_mNS6_4lessIS8_EEEE10hipError_tT0_T1_T2_jT3_P12ihipStream_tbPNSt15iterator_traitsISL_E10value_typeEPNSR_ISM_E10value_typeEPSN_NS1_7vsmem_tEENKUlT_SL_SM_SN_E_clISG_PS8_SH_SH_EESK_S10_SL_SM_SN_EUlS10_E1_NS1_11comp_targetILNS1_3genE0ELNS1_11target_archE4294967295ELNS1_3gpuE0ELNS1_3repE0EEENS1_36merge_oddeven_config_static_selectorELNS0_4arch9wavefront6targetE0EEEvSM_.has_recursion, 0
	.set _ZN7rocprim17ROCPRIM_400000_NS6detail17trampoline_kernelINS0_14default_configENS1_38merge_sort_block_merge_config_selectorIN6thrust23THRUST_200600_302600_NS4pairIiiEENS0_10empty_typeEEEZZNS1_27merge_sort_block_merge_implIS3_NS6_6detail15normal_iteratorINS6_10device_ptrIS8_EEEEPS9_mNS6_4lessIS8_EEEE10hipError_tT0_T1_T2_jT3_P12ihipStream_tbPNSt15iterator_traitsISL_E10value_typeEPNSR_ISM_E10value_typeEPSN_NS1_7vsmem_tEENKUlT_SL_SM_SN_E_clISG_PS8_SH_SH_EESK_S10_SL_SM_SN_EUlS10_E1_NS1_11comp_targetILNS1_3genE0ELNS1_11target_archE4294967295ELNS1_3gpuE0ELNS1_3repE0EEENS1_36merge_oddeven_config_static_selectorELNS0_4arch9wavefront6targetE0EEEvSM_.has_indirect_call, 0
	.section	.AMDGPU.csdata,"",@progbits
; Kernel info:
; codeLenInByte = 0
; TotalNumSgprs: 0
; NumVgprs: 0
; ScratchSize: 0
; MemoryBound: 0
; FloatMode: 240
; IeeeMode: 1
; LDSByteSize: 0 bytes/workgroup (compile time only)
; SGPRBlocks: 0
; VGPRBlocks: 0
; NumSGPRsForWavesPerEU: 1
; NumVGPRsForWavesPerEU: 1
; Occupancy: 16
; WaveLimiterHint : 0
; COMPUTE_PGM_RSRC2:SCRATCH_EN: 0
; COMPUTE_PGM_RSRC2:USER_SGPR: 6
; COMPUTE_PGM_RSRC2:TRAP_HANDLER: 0
; COMPUTE_PGM_RSRC2:TGID_X_EN: 1
; COMPUTE_PGM_RSRC2:TGID_Y_EN: 0
; COMPUTE_PGM_RSRC2:TGID_Z_EN: 0
; COMPUTE_PGM_RSRC2:TIDIG_COMP_CNT: 0
	.section	.text._ZN7rocprim17ROCPRIM_400000_NS6detail17trampoline_kernelINS0_14default_configENS1_38merge_sort_block_merge_config_selectorIN6thrust23THRUST_200600_302600_NS4pairIiiEENS0_10empty_typeEEEZZNS1_27merge_sort_block_merge_implIS3_NS6_6detail15normal_iteratorINS6_10device_ptrIS8_EEEEPS9_mNS6_4lessIS8_EEEE10hipError_tT0_T1_T2_jT3_P12ihipStream_tbPNSt15iterator_traitsISL_E10value_typeEPNSR_ISM_E10value_typeEPSN_NS1_7vsmem_tEENKUlT_SL_SM_SN_E_clISG_PS8_SH_SH_EESK_S10_SL_SM_SN_EUlS10_E1_NS1_11comp_targetILNS1_3genE10ELNS1_11target_archE1201ELNS1_3gpuE5ELNS1_3repE0EEENS1_36merge_oddeven_config_static_selectorELNS0_4arch9wavefront6targetE0EEEvSM_,"axG",@progbits,_ZN7rocprim17ROCPRIM_400000_NS6detail17trampoline_kernelINS0_14default_configENS1_38merge_sort_block_merge_config_selectorIN6thrust23THRUST_200600_302600_NS4pairIiiEENS0_10empty_typeEEEZZNS1_27merge_sort_block_merge_implIS3_NS6_6detail15normal_iteratorINS6_10device_ptrIS8_EEEEPS9_mNS6_4lessIS8_EEEE10hipError_tT0_T1_T2_jT3_P12ihipStream_tbPNSt15iterator_traitsISL_E10value_typeEPNSR_ISM_E10value_typeEPSN_NS1_7vsmem_tEENKUlT_SL_SM_SN_E_clISG_PS8_SH_SH_EESK_S10_SL_SM_SN_EUlS10_E1_NS1_11comp_targetILNS1_3genE10ELNS1_11target_archE1201ELNS1_3gpuE5ELNS1_3repE0EEENS1_36merge_oddeven_config_static_selectorELNS0_4arch9wavefront6targetE0EEEvSM_,comdat
	.protected	_ZN7rocprim17ROCPRIM_400000_NS6detail17trampoline_kernelINS0_14default_configENS1_38merge_sort_block_merge_config_selectorIN6thrust23THRUST_200600_302600_NS4pairIiiEENS0_10empty_typeEEEZZNS1_27merge_sort_block_merge_implIS3_NS6_6detail15normal_iteratorINS6_10device_ptrIS8_EEEEPS9_mNS6_4lessIS8_EEEE10hipError_tT0_T1_T2_jT3_P12ihipStream_tbPNSt15iterator_traitsISL_E10value_typeEPNSR_ISM_E10value_typeEPSN_NS1_7vsmem_tEENKUlT_SL_SM_SN_E_clISG_PS8_SH_SH_EESK_S10_SL_SM_SN_EUlS10_E1_NS1_11comp_targetILNS1_3genE10ELNS1_11target_archE1201ELNS1_3gpuE5ELNS1_3repE0EEENS1_36merge_oddeven_config_static_selectorELNS0_4arch9wavefront6targetE0EEEvSM_ ; -- Begin function _ZN7rocprim17ROCPRIM_400000_NS6detail17trampoline_kernelINS0_14default_configENS1_38merge_sort_block_merge_config_selectorIN6thrust23THRUST_200600_302600_NS4pairIiiEENS0_10empty_typeEEEZZNS1_27merge_sort_block_merge_implIS3_NS6_6detail15normal_iteratorINS6_10device_ptrIS8_EEEEPS9_mNS6_4lessIS8_EEEE10hipError_tT0_T1_T2_jT3_P12ihipStream_tbPNSt15iterator_traitsISL_E10value_typeEPNSR_ISM_E10value_typeEPSN_NS1_7vsmem_tEENKUlT_SL_SM_SN_E_clISG_PS8_SH_SH_EESK_S10_SL_SM_SN_EUlS10_E1_NS1_11comp_targetILNS1_3genE10ELNS1_11target_archE1201ELNS1_3gpuE5ELNS1_3repE0EEENS1_36merge_oddeven_config_static_selectorELNS0_4arch9wavefront6targetE0EEEvSM_
	.globl	_ZN7rocprim17ROCPRIM_400000_NS6detail17trampoline_kernelINS0_14default_configENS1_38merge_sort_block_merge_config_selectorIN6thrust23THRUST_200600_302600_NS4pairIiiEENS0_10empty_typeEEEZZNS1_27merge_sort_block_merge_implIS3_NS6_6detail15normal_iteratorINS6_10device_ptrIS8_EEEEPS9_mNS6_4lessIS8_EEEE10hipError_tT0_T1_T2_jT3_P12ihipStream_tbPNSt15iterator_traitsISL_E10value_typeEPNSR_ISM_E10value_typeEPSN_NS1_7vsmem_tEENKUlT_SL_SM_SN_E_clISG_PS8_SH_SH_EESK_S10_SL_SM_SN_EUlS10_E1_NS1_11comp_targetILNS1_3genE10ELNS1_11target_archE1201ELNS1_3gpuE5ELNS1_3repE0EEENS1_36merge_oddeven_config_static_selectorELNS0_4arch9wavefront6targetE0EEEvSM_
	.p2align	8
	.type	_ZN7rocprim17ROCPRIM_400000_NS6detail17trampoline_kernelINS0_14default_configENS1_38merge_sort_block_merge_config_selectorIN6thrust23THRUST_200600_302600_NS4pairIiiEENS0_10empty_typeEEEZZNS1_27merge_sort_block_merge_implIS3_NS6_6detail15normal_iteratorINS6_10device_ptrIS8_EEEEPS9_mNS6_4lessIS8_EEEE10hipError_tT0_T1_T2_jT3_P12ihipStream_tbPNSt15iterator_traitsISL_E10value_typeEPNSR_ISM_E10value_typeEPSN_NS1_7vsmem_tEENKUlT_SL_SM_SN_E_clISG_PS8_SH_SH_EESK_S10_SL_SM_SN_EUlS10_E1_NS1_11comp_targetILNS1_3genE10ELNS1_11target_archE1201ELNS1_3gpuE5ELNS1_3repE0EEENS1_36merge_oddeven_config_static_selectorELNS0_4arch9wavefront6targetE0EEEvSM_,@function
_ZN7rocprim17ROCPRIM_400000_NS6detail17trampoline_kernelINS0_14default_configENS1_38merge_sort_block_merge_config_selectorIN6thrust23THRUST_200600_302600_NS4pairIiiEENS0_10empty_typeEEEZZNS1_27merge_sort_block_merge_implIS3_NS6_6detail15normal_iteratorINS6_10device_ptrIS8_EEEEPS9_mNS6_4lessIS8_EEEE10hipError_tT0_T1_T2_jT3_P12ihipStream_tbPNSt15iterator_traitsISL_E10value_typeEPNSR_ISM_E10value_typeEPSN_NS1_7vsmem_tEENKUlT_SL_SM_SN_E_clISG_PS8_SH_SH_EESK_S10_SL_SM_SN_EUlS10_E1_NS1_11comp_targetILNS1_3genE10ELNS1_11target_archE1201ELNS1_3gpuE5ELNS1_3repE0EEENS1_36merge_oddeven_config_static_selectorELNS0_4arch9wavefront6targetE0EEEvSM_: ; @_ZN7rocprim17ROCPRIM_400000_NS6detail17trampoline_kernelINS0_14default_configENS1_38merge_sort_block_merge_config_selectorIN6thrust23THRUST_200600_302600_NS4pairIiiEENS0_10empty_typeEEEZZNS1_27merge_sort_block_merge_implIS3_NS6_6detail15normal_iteratorINS6_10device_ptrIS8_EEEEPS9_mNS6_4lessIS8_EEEE10hipError_tT0_T1_T2_jT3_P12ihipStream_tbPNSt15iterator_traitsISL_E10value_typeEPNSR_ISM_E10value_typeEPSN_NS1_7vsmem_tEENKUlT_SL_SM_SN_E_clISG_PS8_SH_SH_EESK_S10_SL_SM_SN_EUlS10_E1_NS1_11comp_targetILNS1_3genE10ELNS1_11target_archE1201ELNS1_3gpuE5ELNS1_3repE0EEENS1_36merge_oddeven_config_static_selectorELNS0_4arch9wavefront6targetE0EEEvSM_
; %bb.0:
	.section	.rodata,"a",@progbits
	.p2align	6, 0x0
	.amdhsa_kernel _ZN7rocprim17ROCPRIM_400000_NS6detail17trampoline_kernelINS0_14default_configENS1_38merge_sort_block_merge_config_selectorIN6thrust23THRUST_200600_302600_NS4pairIiiEENS0_10empty_typeEEEZZNS1_27merge_sort_block_merge_implIS3_NS6_6detail15normal_iteratorINS6_10device_ptrIS8_EEEEPS9_mNS6_4lessIS8_EEEE10hipError_tT0_T1_T2_jT3_P12ihipStream_tbPNSt15iterator_traitsISL_E10value_typeEPNSR_ISM_E10value_typeEPSN_NS1_7vsmem_tEENKUlT_SL_SM_SN_E_clISG_PS8_SH_SH_EESK_S10_SL_SM_SN_EUlS10_E1_NS1_11comp_targetILNS1_3genE10ELNS1_11target_archE1201ELNS1_3gpuE5ELNS1_3repE0EEENS1_36merge_oddeven_config_static_selectorELNS0_4arch9wavefront6targetE0EEEvSM_
		.amdhsa_group_segment_fixed_size 0
		.amdhsa_private_segment_fixed_size 0
		.amdhsa_kernarg_size 56
		.amdhsa_user_sgpr_count 6
		.amdhsa_user_sgpr_private_segment_buffer 1
		.amdhsa_user_sgpr_dispatch_ptr 0
		.amdhsa_user_sgpr_queue_ptr 0
		.amdhsa_user_sgpr_kernarg_segment_ptr 1
		.amdhsa_user_sgpr_dispatch_id 0
		.amdhsa_user_sgpr_flat_scratch_init 0
		.amdhsa_user_sgpr_private_segment_size 0
		.amdhsa_wavefront_size32 1
		.amdhsa_uses_dynamic_stack 0
		.amdhsa_system_sgpr_private_segment_wavefront_offset 0
		.amdhsa_system_sgpr_workgroup_id_x 1
		.amdhsa_system_sgpr_workgroup_id_y 0
		.amdhsa_system_sgpr_workgroup_id_z 0
		.amdhsa_system_sgpr_workgroup_info 0
		.amdhsa_system_vgpr_workitem_id 0
		.amdhsa_next_free_vgpr 1
		.amdhsa_next_free_sgpr 1
		.amdhsa_reserve_vcc 0
		.amdhsa_reserve_flat_scratch 0
		.amdhsa_float_round_mode_32 0
		.amdhsa_float_round_mode_16_64 0
		.amdhsa_float_denorm_mode_32 3
		.amdhsa_float_denorm_mode_16_64 3
		.amdhsa_dx10_clamp 1
		.amdhsa_ieee_mode 1
		.amdhsa_fp16_overflow 0
		.amdhsa_workgroup_processor_mode 1
		.amdhsa_memory_ordered 1
		.amdhsa_forward_progress 1
		.amdhsa_shared_vgpr_count 0
		.amdhsa_exception_fp_ieee_invalid_op 0
		.amdhsa_exception_fp_denorm_src 0
		.amdhsa_exception_fp_ieee_div_zero 0
		.amdhsa_exception_fp_ieee_overflow 0
		.amdhsa_exception_fp_ieee_underflow 0
		.amdhsa_exception_fp_ieee_inexact 0
		.amdhsa_exception_int_div_zero 0
	.end_amdhsa_kernel
	.section	.text._ZN7rocprim17ROCPRIM_400000_NS6detail17trampoline_kernelINS0_14default_configENS1_38merge_sort_block_merge_config_selectorIN6thrust23THRUST_200600_302600_NS4pairIiiEENS0_10empty_typeEEEZZNS1_27merge_sort_block_merge_implIS3_NS6_6detail15normal_iteratorINS6_10device_ptrIS8_EEEEPS9_mNS6_4lessIS8_EEEE10hipError_tT0_T1_T2_jT3_P12ihipStream_tbPNSt15iterator_traitsISL_E10value_typeEPNSR_ISM_E10value_typeEPSN_NS1_7vsmem_tEENKUlT_SL_SM_SN_E_clISG_PS8_SH_SH_EESK_S10_SL_SM_SN_EUlS10_E1_NS1_11comp_targetILNS1_3genE10ELNS1_11target_archE1201ELNS1_3gpuE5ELNS1_3repE0EEENS1_36merge_oddeven_config_static_selectorELNS0_4arch9wavefront6targetE0EEEvSM_,"axG",@progbits,_ZN7rocprim17ROCPRIM_400000_NS6detail17trampoline_kernelINS0_14default_configENS1_38merge_sort_block_merge_config_selectorIN6thrust23THRUST_200600_302600_NS4pairIiiEENS0_10empty_typeEEEZZNS1_27merge_sort_block_merge_implIS3_NS6_6detail15normal_iteratorINS6_10device_ptrIS8_EEEEPS9_mNS6_4lessIS8_EEEE10hipError_tT0_T1_T2_jT3_P12ihipStream_tbPNSt15iterator_traitsISL_E10value_typeEPNSR_ISM_E10value_typeEPSN_NS1_7vsmem_tEENKUlT_SL_SM_SN_E_clISG_PS8_SH_SH_EESK_S10_SL_SM_SN_EUlS10_E1_NS1_11comp_targetILNS1_3genE10ELNS1_11target_archE1201ELNS1_3gpuE5ELNS1_3repE0EEENS1_36merge_oddeven_config_static_selectorELNS0_4arch9wavefront6targetE0EEEvSM_,comdat
.Lfunc_end674:
	.size	_ZN7rocprim17ROCPRIM_400000_NS6detail17trampoline_kernelINS0_14default_configENS1_38merge_sort_block_merge_config_selectorIN6thrust23THRUST_200600_302600_NS4pairIiiEENS0_10empty_typeEEEZZNS1_27merge_sort_block_merge_implIS3_NS6_6detail15normal_iteratorINS6_10device_ptrIS8_EEEEPS9_mNS6_4lessIS8_EEEE10hipError_tT0_T1_T2_jT3_P12ihipStream_tbPNSt15iterator_traitsISL_E10value_typeEPNSR_ISM_E10value_typeEPSN_NS1_7vsmem_tEENKUlT_SL_SM_SN_E_clISG_PS8_SH_SH_EESK_S10_SL_SM_SN_EUlS10_E1_NS1_11comp_targetILNS1_3genE10ELNS1_11target_archE1201ELNS1_3gpuE5ELNS1_3repE0EEENS1_36merge_oddeven_config_static_selectorELNS0_4arch9wavefront6targetE0EEEvSM_, .Lfunc_end674-_ZN7rocprim17ROCPRIM_400000_NS6detail17trampoline_kernelINS0_14default_configENS1_38merge_sort_block_merge_config_selectorIN6thrust23THRUST_200600_302600_NS4pairIiiEENS0_10empty_typeEEEZZNS1_27merge_sort_block_merge_implIS3_NS6_6detail15normal_iteratorINS6_10device_ptrIS8_EEEEPS9_mNS6_4lessIS8_EEEE10hipError_tT0_T1_T2_jT3_P12ihipStream_tbPNSt15iterator_traitsISL_E10value_typeEPNSR_ISM_E10value_typeEPSN_NS1_7vsmem_tEENKUlT_SL_SM_SN_E_clISG_PS8_SH_SH_EESK_S10_SL_SM_SN_EUlS10_E1_NS1_11comp_targetILNS1_3genE10ELNS1_11target_archE1201ELNS1_3gpuE5ELNS1_3repE0EEENS1_36merge_oddeven_config_static_selectorELNS0_4arch9wavefront6targetE0EEEvSM_
                                        ; -- End function
	.set _ZN7rocprim17ROCPRIM_400000_NS6detail17trampoline_kernelINS0_14default_configENS1_38merge_sort_block_merge_config_selectorIN6thrust23THRUST_200600_302600_NS4pairIiiEENS0_10empty_typeEEEZZNS1_27merge_sort_block_merge_implIS3_NS6_6detail15normal_iteratorINS6_10device_ptrIS8_EEEEPS9_mNS6_4lessIS8_EEEE10hipError_tT0_T1_T2_jT3_P12ihipStream_tbPNSt15iterator_traitsISL_E10value_typeEPNSR_ISM_E10value_typeEPSN_NS1_7vsmem_tEENKUlT_SL_SM_SN_E_clISG_PS8_SH_SH_EESK_S10_SL_SM_SN_EUlS10_E1_NS1_11comp_targetILNS1_3genE10ELNS1_11target_archE1201ELNS1_3gpuE5ELNS1_3repE0EEENS1_36merge_oddeven_config_static_selectorELNS0_4arch9wavefront6targetE0EEEvSM_.num_vgpr, 0
	.set _ZN7rocprim17ROCPRIM_400000_NS6detail17trampoline_kernelINS0_14default_configENS1_38merge_sort_block_merge_config_selectorIN6thrust23THRUST_200600_302600_NS4pairIiiEENS0_10empty_typeEEEZZNS1_27merge_sort_block_merge_implIS3_NS6_6detail15normal_iteratorINS6_10device_ptrIS8_EEEEPS9_mNS6_4lessIS8_EEEE10hipError_tT0_T1_T2_jT3_P12ihipStream_tbPNSt15iterator_traitsISL_E10value_typeEPNSR_ISM_E10value_typeEPSN_NS1_7vsmem_tEENKUlT_SL_SM_SN_E_clISG_PS8_SH_SH_EESK_S10_SL_SM_SN_EUlS10_E1_NS1_11comp_targetILNS1_3genE10ELNS1_11target_archE1201ELNS1_3gpuE5ELNS1_3repE0EEENS1_36merge_oddeven_config_static_selectorELNS0_4arch9wavefront6targetE0EEEvSM_.num_agpr, 0
	.set _ZN7rocprim17ROCPRIM_400000_NS6detail17trampoline_kernelINS0_14default_configENS1_38merge_sort_block_merge_config_selectorIN6thrust23THRUST_200600_302600_NS4pairIiiEENS0_10empty_typeEEEZZNS1_27merge_sort_block_merge_implIS3_NS6_6detail15normal_iteratorINS6_10device_ptrIS8_EEEEPS9_mNS6_4lessIS8_EEEE10hipError_tT0_T1_T2_jT3_P12ihipStream_tbPNSt15iterator_traitsISL_E10value_typeEPNSR_ISM_E10value_typeEPSN_NS1_7vsmem_tEENKUlT_SL_SM_SN_E_clISG_PS8_SH_SH_EESK_S10_SL_SM_SN_EUlS10_E1_NS1_11comp_targetILNS1_3genE10ELNS1_11target_archE1201ELNS1_3gpuE5ELNS1_3repE0EEENS1_36merge_oddeven_config_static_selectorELNS0_4arch9wavefront6targetE0EEEvSM_.numbered_sgpr, 0
	.set _ZN7rocprim17ROCPRIM_400000_NS6detail17trampoline_kernelINS0_14default_configENS1_38merge_sort_block_merge_config_selectorIN6thrust23THRUST_200600_302600_NS4pairIiiEENS0_10empty_typeEEEZZNS1_27merge_sort_block_merge_implIS3_NS6_6detail15normal_iteratorINS6_10device_ptrIS8_EEEEPS9_mNS6_4lessIS8_EEEE10hipError_tT0_T1_T2_jT3_P12ihipStream_tbPNSt15iterator_traitsISL_E10value_typeEPNSR_ISM_E10value_typeEPSN_NS1_7vsmem_tEENKUlT_SL_SM_SN_E_clISG_PS8_SH_SH_EESK_S10_SL_SM_SN_EUlS10_E1_NS1_11comp_targetILNS1_3genE10ELNS1_11target_archE1201ELNS1_3gpuE5ELNS1_3repE0EEENS1_36merge_oddeven_config_static_selectorELNS0_4arch9wavefront6targetE0EEEvSM_.num_named_barrier, 0
	.set _ZN7rocprim17ROCPRIM_400000_NS6detail17trampoline_kernelINS0_14default_configENS1_38merge_sort_block_merge_config_selectorIN6thrust23THRUST_200600_302600_NS4pairIiiEENS0_10empty_typeEEEZZNS1_27merge_sort_block_merge_implIS3_NS6_6detail15normal_iteratorINS6_10device_ptrIS8_EEEEPS9_mNS6_4lessIS8_EEEE10hipError_tT0_T1_T2_jT3_P12ihipStream_tbPNSt15iterator_traitsISL_E10value_typeEPNSR_ISM_E10value_typeEPSN_NS1_7vsmem_tEENKUlT_SL_SM_SN_E_clISG_PS8_SH_SH_EESK_S10_SL_SM_SN_EUlS10_E1_NS1_11comp_targetILNS1_3genE10ELNS1_11target_archE1201ELNS1_3gpuE5ELNS1_3repE0EEENS1_36merge_oddeven_config_static_selectorELNS0_4arch9wavefront6targetE0EEEvSM_.private_seg_size, 0
	.set _ZN7rocprim17ROCPRIM_400000_NS6detail17trampoline_kernelINS0_14default_configENS1_38merge_sort_block_merge_config_selectorIN6thrust23THRUST_200600_302600_NS4pairIiiEENS0_10empty_typeEEEZZNS1_27merge_sort_block_merge_implIS3_NS6_6detail15normal_iteratorINS6_10device_ptrIS8_EEEEPS9_mNS6_4lessIS8_EEEE10hipError_tT0_T1_T2_jT3_P12ihipStream_tbPNSt15iterator_traitsISL_E10value_typeEPNSR_ISM_E10value_typeEPSN_NS1_7vsmem_tEENKUlT_SL_SM_SN_E_clISG_PS8_SH_SH_EESK_S10_SL_SM_SN_EUlS10_E1_NS1_11comp_targetILNS1_3genE10ELNS1_11target_archE1201ELNS1_3gpuE5ELNS1_3repE0EEENS1_36merge_oddeven_config_static_selectorELNS0_4arch9wavefront6targetE0EEEvSM_.uses_vcc, 0
	.set _ZN7rocprim17ROCPRIM_400000_NS6detail17trampoline_kernelINS0_14default_configENS1_38merge_sort_block_merge_config_selectorIN6thrust23THRUST_200600_302600_NS4pairIiiEENS0_10empty_typeEEEZZNS1_27merge_sort_block_merge_implIS3_NS6_6detail15normal_iteratorINS6_10device_ptrIS8_EEEEPS9_mNS6_4lessIS8_EEEE10hipError_tT0_T1_T2_jT3_P12ihipStream_tbPNSt15iterator_traitsISL_E10value_typeEPNSR_ISM_E10value_typeEPSN_NS1_7vsmem_tEENKUlT_SL_SM_SN_E_clISG_PS8_SH_SH_EESK_S10_SL_SM_SN_EUlS10_E1_NS1_11comp_targetILNS1_3genE10ELNS1_11target_archE1201ELNS1_3gpuE5ELNS1_3repE0EEENS1_36merge_oddeven_config_static_selectorELNS0_4arch9wavefront6targetE0EEEvSM_.uses_flat_scratch, 0
	.set _ZN7rocprim17ROCPRIM_400000_NS6detail17trampoline_kernelINS0_14default_configENS1_38merge_sort_block_merge_config_selectorIN6thrust23THRUST_200600_302600_NS4pairIiiEENS0_10empty_typeEEEZZNS1_27merge_sort_block_merge_implIS3_NS6_6detail15normal_iteratorINS6_10device_ptrIS8_EEEEPS9_mNS6_4lessIS8_EEEE10hipError_tT0_T1_T2_jT3_P12ihipStream_tbPNSt15iterator_traitsISL_E10value_typeEPNSR_ISM_E10value_typeEPSN_NS1_7vsmem_tEENKUlT_SL_SM_SN_E_clISG_PS8_SH_SH_EESK_S10_SL_SM_SN_EUlS10_E1_NS1_11comp_targetILNS1_3genE10ELNS1_11target_archE1201ELNS1_3gpuE5ELNS1_3repE0EEENS1_36merge_oddeven_config_static_selectorELNS0_4arch9wavefront6targetE0EEEvSM_.has_dyn_sized_stack, 0
	.set _ZN7rocprim17ROCPRIM_400000_NS6detail17trampoline_kernelINS0_14default_configENS1_38merge_sort_block_merge_config_selectorIN6thrust23THRUST_200600_302600_NS4pairIiiEENS0_10empty_typeEEEZZNS1_27merge_sort_block_merge_implIS3_NS6_6detail15normal_iteratorINS6_10device_ptrIS8_EEEEPS9_mNS6_4lessIS8_EEEE10hipError_tT0_T1_T2_jT3_P12ihipStream_tbPNSt15iterator_traitsISL_E10value_typeEPNSR_ISM_E10value_typeEPSN_NS1_7vsmem_tEENKUlT_SL_SM_SN_E_clISG_PS8_SH_SH_EESK_S10_SL_SM_SN_EUlS10_E1_NS1_11comp_targetILNS1_3genE10ELNS1_11target_archE1201ELNS1_3gpuE5ELNS1_3repE0EEENS1_36merge_oddeven_config_static_selectorELNS0_4arch9wavefront6targetE0EEEvSM_.has_recursion, 0
	.set _ZN7rocprim17ROCPRIM_400000_NS6detail17trampoline_kernelINS0_14default_configENS1_38merge_sort_block_merge_config_selectorIN6thrust23THRUST_200600_302600_NS4pairIiiEENS0_10empty_typeEEEZZNS1_27merge_sort_block_merge_implIS3_NS6_6detail15normal_iteratorINS6_10device_ptrIS8_EEEEPS9_mNS6_4lessIS8_EEEE10hipError_tT0_T1_T2_jT3_P12ihipStream_tbPNSt15iterator_traitsISL_E10value_typeEPNSR_ISM_E10value_typeEPSN_NS1_7vsmem_tEENKUlT_SL_SM_SN_E_clISG_PS8_SH_SH_EESK_S10_SL_SM_SN_EUlS10_E1_NS1_11comp_targetILNS1_3genE10ELNS1_11target_archE1201ELNS1_3gpuE5ELNS1_3repE0EEENS1_36merge_oddeven_config_static_selectorELNS0_4arch9wavefront6targetE0EEEvSM_.has_indirect_call, 0
	.section	.AMDGPU.csdata,"",@progbits
; Kernel info:
; codeLenInByte = 0
; TotalNumSgprs: 0
; NumVgprs: 0
; ScratchSize: 0
; MemoryBound: 0
; FloatMode: 240
; IeeeMode: 1
; LDSByteSize: 0 bytes/workgroup (compile time only)
; SGPRBlocks: 0
; VGPRBlocks: 0
; NumSGPRsForWavesPerEU: 1
; NumVGPRsForWavesPerEU: 1
; Occupancy: 16
; WaveLimiterHint : 0
; COMPUTE_PGM_RSRC2:SCRATCH_EN: 0
; COMPUTE_PGM_RSRC2:USER_SGPR: 6
; COMPUTE_PGM_RSRC2:TRAP_HANDLER: 0
; COMPUTE_PGM_RSRC2:TGID_X_EN: 1
; COMPUTE_PGM_RSRC2:TGID_Y_EN: 0
; COMPUTE_PGM_RSRC2:TGID_Z_EN: 0
; COMPUTE_PGM_RSRC2:TIDIG_COMP_CNT: 0
	.section	.text._ZN7rocprim17ROCPRIM_400000_NS6detail17trampoline_kernelINS0_14default_configENS1_38merge_sort_block_merge_config_selectorIN6thrust23THRUST_200600_302600_NS4pairIiiEENS0_10empty_typeEEEZZNS1_27merge_sort_block_merge_implIS3_NS6_6detail15normal_iteratorINS6_10device_ptrIS8_EEEEPS9_mNS6_4lessIS8_EEEE10hipError_tT0_T1_T2_jT3_P12ihipStream_tbPNSt15iterator_traitsISL_E10value_typeEPNSR_ISM_E10value_typeEPSN_NS1_7vsmem_tEENKUlT_SL_SM_SN_E_clISG_PS8_SH_SH_EESK_S10_SL_SM_SN_EUlS10_E1_NS1_11comp_targetILNS1_3genE5ELNS1_11target_archE942ELNS1_3gpuE9ELNS1_3repE0EEENS1_36merge_oddeven_config_static_selectorELNS0_4arch9wavefront6targetE0EEEvSM_,"axG",@progbits,_ZN7rocprim17ROCPRIM_400000_NS6detail17trampoline_kernelINS0_14default_configENS1_38merge_sort_block_merge_config_selectorIN6thrust23THRUST_200600_302600_NS4pairIiiEENS0_10empty_typeEEEZZNS1_27merge_sort_block_merge_implIS3_NS6_6detail15normal_iteratorINS6_10device_ptrIS8_EEEEPS9_mNS6_4lessIS8_EEEE10hipError_tT0_T1_T2_jT3_P12ihipStream_tbPNSt15iterator_traitsISL_E10value_typeEPNSR_ISM_E10value_typeEPSN_NS1_7vsmem_tEENKUlT_SL_SM_SN_E_clISG_PS8_SH_SH_EESK_S10_SL_SM_SN_EUlS10_E1_NS1_11comp_targetILNS1_3genE5ELNS1_11target_archE942ELNS1_3gpuE9ELNS1_3repE0EEENS1_36merge_oddeven_config_static_selectorELNS0_4arch9wavefront6targetE0EEEvSM_,comdat
	.protected	_ZN7rocprim17ROCPRIM_400000_NS6detail17trampoline_kernelINS0_14default_configENS1_38merge_sort_block_merge_config_selectorIN6thrust23THRUST_200600_302600_NS4pairIiiEENS0_10empty_typeEEEZZNS1_27merge_sort_block_merge_implIS3_NS6_6detail15normal_iteratorINS6_10device_ptrIS8_EEEEPS9_mNS6_4lessIS8_EEEE10hipError_tT0_T1_T2_jT3_P12ihipStream_tbPNSt15iterator_traitsISL_E10value_typeEPNSR_ISM_E10value_typeEPSN_NS1_7vsmem_tEENKUlT_SL_SM_SN_E_clISG_PS8_SH_SH_EESK_S10_SL_SM_SN_EUlS10_E1_NS1_11comp_targetILNS1_3genE5ELNS1_11target_archE942ELNS1_3gpuE9ELNS1_3repE0EEENS1_36merge_oddeven_config_static_selectorELNS0_4arch9wavefront6targetE0EEEvSM_ ; -- Begin function _ZN7rocprim17ROCPRIM_400000_NS6detail17trampoline_kernelINS0_14default_configENS1_38merge_sort_block_merge_config_selectorIN6thrust23THRUST_200600_302600_NS4pairIiiEENS0_10empty_typeEEEZZNS1_27merge_sort_block_merge_implIS3_NS6_6detail15normal_iteratorINS6_10device_ptrIS8_EEEEPS9_mNS6_4lessIS8_EEEE10hipError_tT0_T1_T2_jT3_P12ihipStream_tbPNSt15iterator_traitsISL_E10value_typeEPNSR_ISM_E10value_typeEPSN_NS1_7vsmem_tEENKUlT_SL_SM_SN_E_clISG_PS8_SH_SH_EESK_S10_SL_SM_SN_EUlS10_E1_NS1_11comp_targetILNS1_3genE5ELNS1_11target_archE942ELNS1_3gpuE9ELNS1_3repE0EEENS1_36merge_oddeven_config_static_selectorELNS0_4arch9wavefront6targetE0EEEvSM_
	.globl	_ZN7rocprim17ROCPRIM_400000_NS6detail17trampoline_kernelINS0_14default_configENS1_38merge_sort_block_merge_config_selectorIN6thrust23THRUST_200600_302600_NS4pairIiiEENS0_10empty_typeEEEZZNS1_27merge_sort_block_merge_implIS3_NS6_6detail15normal_iteratorINS6_10device_ptrIS8_EEEEPS9_mNS6_4lessIS8_EEEE10hipError_tT0_T1_T2_jT3_P12ihipStream_tbPNSt15iterator_traitsISL_E10value_typeEPNSR_ISM_E10value_typeEPSN_NS1_7vsmem_tEENKUlT_SL_SM_SN_E_clISG_PS8_SH_SH_EESK_S10_SL_SM_SN_EUlS10_E1_NS1_11comp_targetILNS1_3genE5ELNS1_11target_archE942ELNS1_3gpuE9ELNS1_3repE0EEENS1_36merge_oddeven_config_static_selectorELNS0_4arch9wavefront6targetE0EEEvSM_
	.p2align	8
	.type	_ZN7rocprim17ROCPRIM_400000_NS6detail17trampoline_kernelINS0_14default_configENS1_38merge_sort_block_merge_config_selectorIN6thrust23THRUST_200600_302600_NS4pairIiiEENS0_10empty_typeEEEZZNS1_27merge_sort_block_merge_implIS3_NS6_6detail15normal_iteratorINS6_10device_ptrIS8_EEEEPS9_mNS6_4lessIS8_EEEE10hipError_tT0_T1_T2_jT3_P12ihipStream_tbPNSt15iterator_traitsISL_E10value_typeEPNSR_ISM_E10value_typeEPSN_NS1_7vsmem_tEENKUlT_SL_SM_SN_E_clISG_PS8_SH_SH_EESK_S10_SL_SM_SN_EUlS10_E1_NS1_11comp_targetILNS1_3genE5ELNS1_11target_archE942ELNS1_3gpuE9ELNS1_3repE0EEENS1_36merge_oddeven_config_static_selectorELNS0_4arch9wavefront6targetE0EEEvSM_,@function
_ZN7rocprim17ROCPRIM_400000_NS6detail17trampoline_kernelINS0_14default_configENS1_38merge_sort_block_merge_config_selectorIN6thrust23THRUST_200600_302600_NS4pairIiiEENS0_10empty_typeEEEZZNS1_27merge_sort_block_merge_implIS3_NS6_6detail15normal_iteratorINS6_10device_ptrIS8_EEEEPS9_mNS6_4lessIS8_EEEE10hipError_tT0_T1_T2_jT3_P12ihipStream_tbPNSt15iterator_traitsISL_E10value_typeEPNSR_ISM_E10value_typeEPSN_NS1_7vsmem_tEENKUlT_SL_SM_SN_E_clISG_PS8_SH_SH_EESK_S10_SL_SM_SN_EUlS10_E1_NS1_11comp_targetILNS1_3genE5ELNS1_11target_archE942ELNS1_3gpuE9ELNS1_3repE0EEENS1_36merge_oddeven_config_static_selectorELNS0_4arch9wavefront6targetE0EEEvSM_: ; @_ZN7rocprim17ROCPRIM_400000_NS6detail17trampoline_kernelINS0_14default_configENS1_38merge_sort_block_merge_config_selectorIN6thrust23THRUST_200600_302600_NS4pairIiiEENS0_10empty_typeEEEZZNS1_27merge_sort_block_merge_implIS3_NS6_6detail15normal_iteratorINS6_10device_ptrIS8_EEEEPS9_mNS6_4lessIS8_EEEE10hipError_tT0_T1_T2_jT3_P12ihipStream_tbPNSt15iterator_traitsISL_E10value_typeEPNSR_ISM_E10value_typeEPSN_NS1_7vsmem_tEENKUlT_SL_SM_SN_E_clISG_PS8_SH_SH_EESK_S10_SL_SM_SN_EUlS10_E1_NS1_11comp_targetILNS1_3genE5ELNS1_11target_archE942ELNS1_3gpuE9ELNS1_3repE0EEENS1_36merge_oddeven_config_static_selectorELNS0_4arch9wavefront6targetE0EEEvSM_
; %bb.0:
	.section	.rodata,"a",@progbits
	.p2align	6, 0x0
	.amdhsa_kernel _ZN7rocprim17ROCPRIM_400000_NS6detail17trampoline_kernelINS0_14default_configENS1_38merge_sort_block_merge_config_selectorIN6thrust23THRUST_200600_302600_NS4pairIiiEENS0_10empty_typeEEEZZNS1_27merge_sort_block_merge_implIS3_NS6_6detail15normal_iteratorINS6_10device_ptrIS8_EEEEPS9_mNS6_4lessIS8_EEEE10hipError_tT0_T1_T2_jT3_P12ihipStream_tbPNSt15iterator_traitsISL_E10value_typeEPNSR_ISM_E10value_typeEPSN_NS1_7vsmem_tEENKUlT_SL_SM_SN_E_clISG_PS8_SH_SH_EESK_S10_SL_SM_SN_EUlS10_E1_NS1_11comp_targetILNS1_3genE5ELNS1_11target_archE942ELNS1_3gpuE9ELNS1_3repE0EEENS1_36merge_oddeven_config_static_selectorELNS0_4arch9wavefront6targetE0EEEvSM_
		.amdhsa_group_segment_fixed_size 0
		.amdhsa_private_segment_fixed_size 0
		.amdhsa_kernarg_size 56
		.amdhsa_user_sgpr_count 6
		.amdhsa_user_sgpr_private_segment_buffer 1
		.amdhsa_user_sgpr_dispatch_ptr 0
		.amdhsa_user_sgpr_queue_ptr 0
		.amdhsa_user_sgpr_kernarg_segment_ptr 1
		.amdhsa_user_sgpr_dispatch_id 0
		.amdhsa_user_sgpr_flat_scratch_init 0
		.amdhsa_user_sgpr_private_segment_size 0
		.amdhsa_wavefront_size32 1
		.amdhsa_uses_dynamic_stack 0
		.amdhsa_system_sgpr_private_segment_wavefront_offset 0
		.amdhsa_system_sgpr_workgroup_id_x 1
		.amdhsa_system_sgpr_workgroup_id_y 0
		.amdhsa_system_sgpr_workgroup_id_z 0
		.amdhsa_system_sgpr_workgroup_info 0
		.amdhsa_system_vgpr_workitem_id 0
		.amdhsa_next_free_vgpr 1
		.amdhsa_next_free_sgpr 1
		.amdhsa_reserve_vcc 0
		.amdhsa_reserve_flat_scratch 0
		.amdhsa_float_round_mode_32 0
		.amdhsa_float_round_mode_16_64 0
		.amdhsa_float_denorm_mode_32 3
		.amdhsa_float_denorm_mode_16_64 3
		.amdhsa_dx10_clamp 1
		.amdhsa_ieee_mode 1
		.amdhsa_fp16_overflow 0
		.amdhsa_workgroup_processor_mode 1
		.amdhsa_memory_ordered 1
		.amdhsa_forward_progress 1
		.amdhsa_shared_vgpr_count 0
		.amdhsa_exception_fp_ieee_invalid_op 0
		.amdhsa_exception_fp_denorm_src 0
		.amdhsa_exception_fp_ieee_div_zero 0
		.amdhsa_exception_fp_ieee_overflow 0
		.amdhsa_exception_fp_ieee_underflow 0
		.amdhsa_exception_fp_ieee_inexact 0
		.amdhsa_exception_int_div_zero 0
	.end_amdhsa_kernel
	.section	.text._ZN7rocprim17ROCPRIM_400000_NS6detail17trampoline_kernelINS0_14default_configENS1_38merge_sort_block_merge_config_selectorIN6thrust23THRUST_200600_302600_NS4pairIiiEENS0_10empty_typeEEEZZNS1_27merge_sort_block_merge_implIS3_NS6_6detail15normal_iteratorINS6_10device_ptrIS8_EEEEPS9_mNS6_4lessIS8_EEEE10hipError_tT0_T1_T2_jT3_P12ihipStream_tbPNSt15iterator_traitsISL_E10value_typeEPNSR_ISM_E10value_typeEPSN_NS1_7vsmem_tEENKUlT_SL_SM_SN_E_clISG_PS8_SH_SH_EESK_S10_SL_SM_SN_EUlS10_E1_NS1_11comp_targetILNS1_3genE5ELNS1_11target_archE942ELNS1_3gpuE9ELNS1_3repE0EEENS1_36merge_oddeven_config_static_selectorELNS0_4arch9wavefront6targetE0EEEvSM_,"axG",@progbits,_ZN7rocprim17ROCPRIM_400000_NS6detail17trampoline_kernelINS0_14default_configENS1_38merge_sort_block_merge_config_selectorIN6thrust23THRUST_200600_302600_NS4pairIiiEENS0_10empty_typeEEEZZNS1_27merge_sort_block_merge_implIS3_NS6_6detail15normal_iteratorINS6_10device_ptrIS8_EEEEPS9_mNS6_4lessIS8_EEEE10hipError_tT0_T1_T2_jT3_P12ihipStream_tbPNSt15iterator_traitsISL_E10value_typeEPNSR_ISM_E10value_typeEPSN_NS1_7vsmem_tEENKUlT_SL_SM_SN_E_clISG_PS8_SH_SH_EESK_S10_SL_SM_SN_EUlS10_E1_NS1_11comp_targetILNS1_3genE5ELNS1_11target_archE942ELNS1_3gpuE9ELNS1_3repE0EEENS1_36merge_oddeven_config_static_selectorELNS0_4arch9wavefront6targetE0EEEvSM_,comdat
.Lfunc_end675:
	.size	_ZN7rocprim17ROCPRIM_400000_NS6detail17trampoline_kernelINS0_14default_configENS1_38merge_sort_block_merge_config_selectorIN6thrust23THRUST_200600_302600_NS4pairIiiEENS0_10empty_typeEEEZZNS1_27merge_sort_block_merge_implIS3_NS6_6detail15normal_iteratorINS6_10device_ptrIS8_EEEEPS9_mNS6_4lessIS8_EEEE10hipError_tT0_T1_T2_jT3_P12ihipStream_tbPNSt15iterator_traitsISL_E10value_typeEPNSR_ISM_E10value_typeEPSN_NS1_7vsmem_tEENKUlT_SL_SM_SN_E_clISG_PS8_SH_SH_EESK_S10_SL_SM_SN_EUlS10_E1_NS1_11comp_targetILNS1_3genE5ELNS1_11target_archE942ELNS1_3gpuE9ELNS1_3repE0EEENS1_36merge_oddeven_config_static_selectorELNS0_4arch9wavefront6targetE0EEEvSM_, .Lfunc_end675-_ZN7rocprim17ROCPRIM_400000_NS6detail17trampoline_kernelINS0_14default_configENS1_38merge_sort_block_merge_config_selectorIN6thrust23THRUST_200600_302600_NS4pairIiiEENS0_10empty_typeEEEZZNS1_27merge_sort_block_merge_implIS3_NS6_6detail15normal_iteratorINS6_10device_ptrIS8_EEEEPS9_mNS6_4lessIS8_EEEE10hipError_tT0_T1_T2_jT3_P12ihipStream_tbPNSt15iterator_traitsISL_E10value_typeEPNSR_ISM_E10value_typeEPSN_NS1_7vsmem_tEENKUlT_SL_SM_SN_E_clISG_PS8_SH_SH_EESK_S10_SL_SM_SN_EUlS10_E1_NS1_11comp_targetILNS1_3genE5ELNS1_11target_archE942ELNS1_3gpuE9ELNS1_3repE0EEENS1_36merge_oddeven_config_static_selectorELNS0_4arch9wavefront6targetE0EEEvSM_
                                        ; -- End function
	.set _ZN7rocprim17ROCPRIM_400000_NS6detail17trampoline_kernelINS0_14default_configENS1_38merge_sort_block_merge_config_selectorIN6thrust23THRUST_200600_302600_NS4pairIiiEENS0_10empty_typeEEEZZNS1_27merge_sort_block_merge_implIS3_NS6_6detail15normal_iteratorINS6_10device_ptrIS8_EEEEPS9_mNS6_4lessIS8_EEEE10hipError_tT0_T1_T2_jT3_P12ihipStream_tbPNSt15iterator_traitsISL_E10value_typeEPNSR_ISM_E10value_typeEPSN_NS1_7vsmem_tEENKUlT_SL_SM_SN_E_clISG_PS8_SH_SH_EESK_S10_SL_SM_SN_EUlS10_E1_NS1_11comp_targetILNS1_3genE5ELNS1_11target_archE942ELNS1_3gpuE9ELNS1_3repE0EEENS1_36merge_oddeven_config_static_selectorELNS0_4arch9wavefront6targetE0EEEvSM_.num_vgpr, 0
	.set _ZN7rocprim17ROCPRIM_400000_NS6detail17trampoline_kernelINS0_14default_configENS1_38merge_sort_block_merge_config_selectorIN6thrust23THRUST_200600_302600_NS4pairIiiEENS0_10empty_typeEEEZZNS1_27merge_sort_block_merge_implIS3_NS6_6detail15normal_iteratorINS6_10device_ptrIS8_EEEEPS9_mNS6_4lessIS8_EEEE10hipError_tT0_T1_T2_jT3_P12ihipStream_tbPNSt15iterator_traitsISL_E10value_typeEPNSR_ISM_E10value_typeEPSN_NS1_7vsmem_tEENKUlT_SL_SM_SN_E_clISG_PS8_SH_SH_EESK_S10_SL_SM_SN_EUlS10_E1_NS1_11comp_targetILNS1_3genE5ELNS1_11target_archE942ELNS1_3gpuE9ELNS1_3repE0EEENS1_36merge_oddeven_config_static_selectorELNS0_4arch9wavefront6targetE0EEEvSM_.num_agpr, 0
	.set _ZN7rocprim17ROCPRIM_400000_NS6detail17trampoline_kernelINS0_14default_configENS1_38merge_sort_block_merge_config_selectorIN6thrust23THRUST_200600_302600_NS4pairIiiEENS0_10empty_typeEEEZZNS1_27merge_sort_block_merge_implIS3_NS6_6detail15normal_iteratorINS6_10device_ptrIS8_EEEEPS9_mNS6_4lessIS8_EEEE10hipError_tT0_T1_T2_jT3_P12ihipStream_tbPNSt15iterator_traitsISL_E10value_typeEPNSR_ISM_E10value_typeEPSN_NS1_7vsmem_tEENKUlT_SL_SM_SN_E_clISG_PS8_SH_SH_EESK_S10_SL_SM_SN_EUlS10_E1_NS1_11comp_targetILNS1_3genE5ELNS1_11target_archE942ELNS1_3gpuE9ELNS1_3repE0EEENS1_36merge_oddeven_config_static_selectorELNS0_4arch9wavefront6targetE0EEEvSM_.numbered_sgpr, 0
	.set _ZN7rocprim17ROCPRIM_400000_NS6detail17trampoline_kernelINS0_14default_configENS1_38merge_sort_block_merge_config_selectorIN6thrust23THRUST_200600_302600_NS4pairIiiEENS0_10empty_typeEEEZZNS1_27merge_sort_block_merge_implIS3_NS6_6detail15normal_iteratorINS6_10device_ptrIS8_EEEEPS9_mNS6_4lessIS8_EEEE10hipError_tT0_T1_T2_jT3_P12ihipStream_tbPNSt15iterator_traitsISL_E10value_typeEPNSR_ISM_E10value_typeEPSN_NS1_7vsmem_tEENKUlT_SL_SM_SN_E_clISG_PS8_SH_SH_EESK_S10_SL_SM_SN_EUlS10_E1_NS1_11comp_targetILNS1_3genE5ELNS1_11target_archE942ELNS1_3gpuE9ELNS1_3repE0EEENS1_36merge_oddeven_config_static_selectorELNS0_4arch9wavefront6targetE0EEEvSM_.num_named_barrier, 0
	.set _ZN7rocprim17ROCPRIM_400000_NS6detail17trampoline_kernelINS0_14default_configENS1_38merge_sort_block_merge_config_selectorIN6thrust23THRUST_200600_302600_NS4pairIiiEENS0_10empty_typeEEEZZNS1_27merge_sort_block_merge_implIS3_NS6_6detail15normal_iteratorINS6_10device_ptrIS8_EEEEPS9_mNS6_4lessIS8_EEEE10hipError_tT0_T1_T2_jT3_P12ihipStream_tbPNSt15iterator_traitsISL_E10value_typeEPNSR_ISM_E10value_typeEPSN_NS1_7vsmem_tEENKUlT_SL_SM_SN_E_clISG_PS8_SH_SH_EESK_S10_SL_SM_SN_EUlS10_E1_NS1_11comp_targetILNS1_3genE5ELNS1_11target_archE942ELNS1_3gpuE9ELNS1_3repE0EEENS1_36merge_oddeven_config_static_selectorELNS0_4arch9wavefront6targetE0EEEvSM_.private_seg_size, 0
	.set _ZN7rocprim17ROCPRIM_400000_NS6detail17trampoline_kernelINS0_14default_configENS1_38merge_sort_block_merge_config_selectorIN6thrust23THRUST_200600_302600_NS4pairIiiEENS0_10empty_typeEEEZZNS1_27merge_sort_block_merge_implIS3_NS6_6detail15normal_iteratorINS6_10device_ptrIS8_EEEEPS9_mNS6_4lessIS8_EEEE10hipError_tT0_T1_T2_jT3_P12ihipStream_tbPNSt15iterator_traitsISL_E10value_typeEPNSR_ISM_E10value_typeEPSN_NS1_7vsmem_tEENKUlT_SL_SM_SN_E_clISG_PS8_SH_SH_EESK_S10_SL_SM_SN_EUlS10_E1_NS1_11comp_targetILNS1_3genE5ELNS1_11target_archE942ELNS1_3gpuE9ELNS1_3repE0EEENS1_36merge_oddeven_config_static_selectorELNS0_4arch9wavefront6targetE0EEEvSM_.uses_vcc, 0
	.set _ZN7rocprim17ROCPRIM_400000_NS6detail17trampoline_kernelINS0_14default_configENS1_38merge_sort_block_merge_config_selectorIN6thrust23THRUST_200600_302600_NS4pairIiiEENS0_10empty_typeEEEZZNS1_27merge_sort_block_merge_implIS3_NS6_6detail15normal_iteratorINS6_10device_ptrIS8_EEEEPS9_mNS6_4lessIS8_EEEE10hipError_tT0_T1_T2_jT3_P12ihipStream_tbPNSt15iterator_traitsISL_E10value_typeEPNSR_ISM_E10value_typeEPSN_NS1_7vsmem_tEENKUlT_SL_SM_SN_E_clISG_PS8_SH_SH_EESK_S10_SL_SM_SN_EUlS10_E1_NS1_11comp_targetILNS1_3genE5ELNS1_11target_archE942ELNS1_3gpuE9ELNS1_3repE0EEENS1_36merge_oddeven_config_static_selectorELNS0_4arch9wavefront6targetE0EEEvSM_.uses_flat_scratch, 0
	.set _ZN7rocprim17ROCPRIM_400000_NS6detail17trampoline_kernelINS0_14default_configENS1_38merge_sort_block_merge_config_selectorIN6thrust23THRUST_200600_302600_NS4pairIiiEENS0_10empty_typeEEEZZNS1_27merge_sort_block_merge_implIS3_NS6_6detail15normal_iteratorINS6_10device_ptrIS8_EEEEPS9_mNS6_4lessIS8_EEEE10hipError_tT0_T1_T2_jT3_P12ihipStream_tbPNSt15iterator_traitsISL_E10value_typeEPNSR_ISM_E10value_typeEPSN_NS1_7vsmem_tEENKUlT_SL_SM_SN_E_clISG_PS8_SH_SH_EESK_S10_SL_SM_SN_EUlS10_E1_NS1_11comp_targetILNS1_3genE5ELNS1_11target_archE942ELNS1_3gpuE9ELNS1_3repE0EEENS1_36merge_oddeven_config_static_selectorELNS0_4arch9wavefront6targetE0EEEvSM_.has_dyn_sized_stack, 0
	.set _ZN7rocprim17ROCPRIM_400000_NS6detail17trampoline_kernelINS0_14default_configENS1_38merge_sort_block_merge_config_selectorIN6thrust23THRUST_200600_302600_NS4pairIiiEENS0_10empty_typeEEEZZNS1_27merge_sort_block_merge_implIS3_NS6_6detail15normal_iteratorINS6_10device_ptrIS8_EEEEPS9_mNS6_4lessIS8_EEEE10hipError_tT0_T1_T2_jT3_P12ihipStream_tbPNSt15iterator_traitsISL_E10value_typeEPNSR_ISM_E10value_typeEPSN_NS1_7vsmem_tEENKUlT_SL_SM_SN_E_clISG_PS8_SH_SH_EESK_S10_SL_SM_SN_EUlS10_E1_NS1_11comp_targetILNS1_3genE5ELNS1_11target_archE942ELNS1_3gpuE9ELNS1_3repE0EEENS1_36merge_oddeven_config_static_selectorELNS0_4arch9wavefront6targetE0EEEvSM_.has_recursion, 0
	.set _ZN7rocprim17ROCPRIM_400000_NS6detail17trampoline_kernelINS0_14default_configENS1_38merge_sort_block_merge_config_selectorIN6thrust23THRUST_200600_302600_NS4pairIiiEENS0_10empty_typeEEEZZNS1_27merge_sort_block_merge_implIS3_NS6_6detail15normal_iteratorINS6_10device_ptrIS8_EEEEPS9_mNS6_4lessIS8_EEEE10hipError_tT0_T1_T2_jT3_P12ihipStream_tbPNSt15iterator_traitsISL_E10value_typeEPNSR_ISM_E10value_typeEPSN_NS1_7vsmem_tEENKUlT_SL_SM_SN_E_clISG_PS8_SH_SH_EESK_S10_SL_SM_SN_EUlS10_E1_NS1_11comp_targetILNS1_3genE5ELNS1_11target_archE942ELNS1_3gpuE9ELNS1_3repE0EEENS1_36merge_oddeven_config_static_selectorELNS0_4arch9wavefront6targetE0EEEvSM_.has_indirect_call, 0
	.section	.AMDGPU.csdata,"",@progbits
; Kernel info:
; codeLenInByte = 0
; TotalNumSgprs: 0
; NumVgprs: 0
; ScratchSize: 0
; MemoryBound: 0
; FloatMode: 240
; IeeeMode: 1
; LDSByteSize: 0 bytes/workgroup (compile time only)
; SGPRBlocks: 0
; VGPRBlocks: 0
; NumSGPRsForWavesPerEU: 1
; NumVGPRsForWavesPerEU: 1
; Occupancy: 16
; WaveLimiterHint : 0
; COMPUTE_PGM_RSRC2:SCRATCH_EN: 0
; COMPUTE_PGM_RSRC2:USER_SGPR: 6
; COMPUTE_PGM_RSRC2:TRAP_HANDLER: 0
; COMPUTE_PGM_RSRC2:TGID_X_EN: 1
; COMPUTE_PGM_RSRC2:TGID_Y_EN: 0
; COMPUTE_PGM_RSRC2:TGID_Z_EN: 0
; COMPUTE_PGM_RSRC2:TIDIG_COMP_CNT: 0
	.section	.text._ZN7rocprim17ROCPRIM_400000_NS6detail17trampoline_kernelINS0_14default_configENS1_38merge_sort_block_merge_config_selectorIN6thrust23THRUST_200600_302600_NS4pairIiiEENS0_10empty_typeEEEZZNS1_27merge_sort_block_merge_implIS3_NS6_6detail15normal_iteratorINS6_10device_ptrIS8_EEEEPS9_mNS6_4lessIS8_EEEE10hipError_tT0_T1_T2_jT3_P12ihipStream_tbPNSt15iterator_traitsISL_E10value_typeEPNSR_ISM_E10value_typeEPSN_NS1_7vsmem_tEENKUlT_SL_SM_SN_E_clISG_PS8_SH_SH_EESK_S10_SL_SM_SN_EUlS10_E1_NS1_11comp_targetILNS1_3genE4ELNS1_11target_archE910ELNS1_3gpuE8ELNS1_3repE0EEENS1_36merge_oddeven_config_static_selectorELNS0_4arch9wavefront6targetE0EEEvSM_,"axG",@progbits,_ZN7rocprim17ROCPRIM_400000_NS6detail17trampoline_kernelINS0_14default_configENS1_38merge_sort_block_merge_config_selectorIN6thrust23THRUST_200600_302600_NS4pairIiiEENS0_10empty_typeEEEZZNS1_27merge_sort_block_merge_implIS3_NS6_6detail15normal_iteratorINS6_10device_ptrIS8_EEEEPS9_mNS6_4lessIS8_EEEE10hipError_tT0_T1_T2_jT3_P12ihipStream_tbPNSt15iterator_traitsISL_E10value_typeEPNSR_ISM_E10value_typeEPSN_NS1_7vsmem_tEENKUlT_SL_SM_SN_E_clISG_PS8_SH_SH_EESK_S10_SL_SM_SN_EUlS10_E1_NS1_11comp_targetILNS1_3genE4ELNS1_11target_archE910ELNS1_3gpuE8ELNS1_3repE0EEENS1_36merge_oddeven_config_static_selectorELNS0_4arch9wavefront6targetE0EEEvSM_,comdat
	.protected	_ZN7rocprim17ROCPRIM_400000_NS6detail17trampoline_kernelINS0_14default_configENS1_38merge_sort_block_merge_config_selectorIN6thrust23THRUST_200600_302600_NS4pairIiiEENS0_10empty_typeEEEZZNS1_27merge_sort_block_merge_implIS3_NS6_6detail15normal_iteratorINS6_10device_ptrIS8_EEEEPS9_mNS6_4lessIS8_EEEE10hipError_tT0_T1_T2_jT3_P12ihipStream_tbPNSt15iterator_traitsISL_E10value_typeEPNSR_ISM_E10value_typeEPSN_NS1_7vsmem_tEENKUlT_SL_SM_SN_E_clISG_PS8_SH_SH_EESK_S10_SL_SM_SN_EUlS10_E1_NS1_11comp_targetILNS1_3genE4ELNS1_11target_archE910ELNS1_3gpuE8ELNS1_3repE0EEENS1_36merge_oddeven_config_static_selectorELNS0_4arch9wavefront6targetE0EEEvSM_ ; -- Begin function _ZN7rocprim17ROCPRIM_400000_NS6detail17trampoline_kernelINS0_14default_configENS1_38merge_sort_block_merge_config_selectorIN6thrust23THRUST_200600_302600_NS4pairIiiEENS0_10empty_typeEEEZZNS1_27merge_sort_block_merge_implIS3_NS6_6detail15normal_iteratorINS6_10device_ptrIS8_EEEEPS9_mNS6_4lessIS8_EEEE10hipError_tT0_T1_T2_jT3_P12ihipStream_tbPNSt15iterator_traitsISL_E10value_typeEPNSR_ISM_E10value_typeEPSN_NS1_7vsmem_tEENKUlT_SL_SM_SN_E_clISG_PS8_SH_SH_EESK_S10_SL_SM_SN_EUlS10_E1_NS1_11comp_targetILNS1_3genE4ELNS1_11target_archE910ELNS1_3gpuE8ELNS1_3repE0EEENS1_36merge_oddeven_config_static_selectorELNS0_4arch9wavefront6targetE0EEEvSM_
	.globl	_ZN7rocprim17ROCPRIM_400000_NS6detail17trampoline_kernelINS0_14default_configENS1_38merge_sort_block_merge_config_selectorIN6thrust23THRUST_200600_302600_NS4pairIiiEENS0_10empty_typeEEEZZNS1_27merge_sort_block_merge_implIS3_NS6_6detail15normal_iteratorINS6_10device_ptrIS8_EEEEPS9_mNS6_4lessIS8_EEEE10hipError_tT0_T1_T2_jT3_P12ihipStream_tbPNSt15iterator_traitsISL_E10value_typeEPNSR_ISM_E10value_typeEPSN_NS1_7vsmem_tEENKUlT_SL_SM_SN_E_clISG_PS8_SH_SH_EESK_S10_SL_SM_SN_EUlS10_E1_NS1_11comp_targetILNS1_3genE4ELNS1_11target_archE910ELNS1_3gpuE8ELNS1_3repE0EEENS1_36merge_oddeven_config_static_selectorELNS0_4arch9wavefront6targetE0EEEvSM_
	.p2align	8
	.type	_ZN7rocprim17ROCPRIM_400000_NS6detail17trampoline_kernelINS0_14default_configENS1_38merge_sort_block_merge_config_selectorIN6thrust23THRUST_200600_302600_NS4pairIiiEENS0_10empty_typeEEEZZNS1_27merge_sort_block_merge_implIS3_NS6_6detail15normal_iteratorINS6_10device_ptrIS8_EEEEPS9_mNS6_4lessIS8_EEEE10hipError_tT0_T1_T2_jT3_P12ihipStream_tbPNSt15iterator_traitsISL_E10value_typeEPNSR_ISM_E10value_typeEPSN_NS1_7vsmem_tEENKUlT_SL_SM_SN_E_clISG_PS8_SH_SH_EESK_S10_SL_SM_SN_EUlS10_E1_NS1_11comp_targetILNS1_3genE4ELNS1_11target_archE910ELNS1_3gpuE8ELNS1_3repE0EEENS1_36merge_oddeven_config_static_selectorELNS0_4arch9wavefront6targetE0EEEvSM_,@function
_ZN7rocprim17ROCPRIM_400000_NS6detail17trampoline_kernelINS0_14default_configENS1_38merge_sort_block_merge_config_selectorIN6thrust23THRUST_200600_302600_NS4pairIiiEENS0_10empty_typeEEEZZNS1_27merge_sort_block_merge_implIS3_NS6_6detail15normal_iteratorINS6_10device_ptrIS8_EEEEPS9_mNS6_4lessIS8_EEEE10hipError_tT0_T1_T2_jT3_P12ihipStream_tbPNSt15iterator_traitsISL_E10value_typeEPNSR_ISM_E10value_typeEPSN_NS1_7vsmem_tEENKUlT_SL_SM_SN_E_clISG_PS8_SH_SH_EESK_S10_SL_SM_SN_EUlS10_E1_NS1_11comp_targetILNS1_3genE4ELNS1_11target_archE910ELNS1_3gpuE8ELNS1_3repE0EEENS1_36merge_oddeven_config_static_selectorELNS0_4arch9wavefront6targetE0EEEvSM_: ; @_ZN7rocprim17ROCPRIM_400000_NS6detail17trampoline_kernelINS0_14default_configENS1_38merge_sort_block_merge_config_selectorIN6thrust23THRUST_200600_302600_NS4pairIiiEENS0_10empty_typeEEEZZNS1_27merge_sort_block_merge_implIS3_NS6_6detail15normal_iteratorINS6_10device_ptrIS8_EEEEPS9_mNS6_4lessIS8_EEEE10hipError_tT0_T1_T2_jT3_P12ihipStream_tbPNSt15iterator_traitsISL_E10value_typeEPNSR_ISM_E10value_typeEPSN_NS1_7vsmem_tEENKUlT_SL_SM_SN_E_clISG_PS8_SH_SH_EESK_S10_SL_SM_SN_EUlS10_E1_NS1_11comp_targetILNS1_3genE4ELNS1_11target_archE910ELNS1_3gpuE8ELNS1_3repE0EEENS1_36merge_oddeven_config_static_selectorELNS0_4arch9wavefront6targetE0EEEvSM_
; %bb.0:
	.section	.rodata,"a",@progbits
	.p2align	6, 0x0
	.amdhsa_kernel _ZN7rocprim17ROCPRIM_400000_NS6detail17trampoline_kernelINS0_14default_configENS1_38merge_sort_block_merge_config_selectorIN6thrust23THRUST_200600_302600_NS4pairIiiEENS0_10empty_typeEEEZZNS1_27merge_sort_block_merge_implIS3_NS6_6detail15normal_iteratorINS6_10device_ptrIS8_EEEEPS9_mNS6_4lessIS8_EEEE10hipError_tT0_T1_T2_jT3_P12ihipStream_tbPNSt15iterator_traitsISL_E10value_typeEPNSR_ISM_E10value_typeEPSN_NS1_7vsmem_tEENKUlT_SL_SM_SN_E_clISG_PS8_SH_SH_EESK_S10_SL_SM_SN_EUlS10_E1_NS1_11comp_targetILNS1_3genE4ELNS1_11target_archE910ELNS1_3gpuE8ELNS1_3repE0EEENS1_36merge_oddeven_config_static_selectorELNS0_4arch9wavefront6targetE0EEEvSM_
		.amdhsa_group_segment_fixed_size 0
		.amdhsa_private_segment_fixed_size 0
		.amdhsa_kernarg_size 56
		.amdhsa_user_sgpr_count 6
		.amdhsa_user_sgpr_private_segment_buffer 1
		.amdhsa_user_sgpr_dispatch_ptr 0
		.amdhsa_user_sgpr_queue_ptr 0
		.amdhsa_user_sgpr_kernarg_segment_ptr 1
		.amdhsa_user_sgpr_dispatch_id 0
		.amdhsa_user_sgpr_flat_scratch_init 0
		.amdhsa_user_sgpr_private_segment_size 0
		.amdhsa_wavefront_size32 1
		.amdhsa_uses_dynamic_stack 0
		.amdhsa_system_sgpr_private_segment_wavefront_offset 0
		.amdhsa_system_sgpr_workgroup_id_x 1
		.amdhsa_system_sgpr_workgroup_id_y 0
		.amdhsa_system_sgpr_workgroup_id_z 0
		.amdhsa_system_sgpr_workgroup_info 0
		.amdhsa_system_vgpr_workitem_id 0
		.amdhsa_next_free_vgpr 1
		.amdhsa_next_free_sgpr 1
		.amdhsa_reserve_vcc 0
		.amdhsa_reserve_flat_scratch 0
		.amdhsa_float_round_mode_32 0
		.amdhsa_float_round_mode_16_64 0
		.amdhsa_float_denorm_mode_32 3
		.amdhsa_float_denorm_mode_16_64 3
		.amdhsa_dx10_clamp 1
		.amdhsa_ieee_mode 1
		.amdhsa_fp16_overflow 0
		.amdhsa_workgroup_processor_mode 1
		.amdhsa_memory_ordered 1
		.amdhsa_forward_progress 1
		.amdhsa_shared_vgpr_count 0
		.amdhsa_exception_fp_ieee_invalid_op 0
		.amdhsa_exception_fp_denorm_src 0
		.amdhsa_exception_fp_ieee_div_zero 0
		.amdhsa_exception_fp_ieee_overflow 0
		.amdhsa_exception_fp_ieee_underflow 0
		.amdhsa_exception_fp_ieee_inexact 0
		.amdhsa_exception_int_div_zero 0
	.end_amdhsa_kernel
	.section	.text._ZN7rocprim17ROCPRIM_400000_NS6detail17trampoline_kernelINS0_14default_configENS1_38merge_sort_block_merge_config_selectorIN6thrust23THRUST_200600_302600_NS4pairIiiEENS0_10empty_typeEEEZZNS1_27merge_sort_block_merge_implIS3_NS6_6detail15normal_iteratorINS6_10device_ptrIS8_EEEEPS9_mNS6_4lessIS8_EEEE10hipError_tT0_T1_T2_jT3_P12ihipStream_tbPNSt15iterator_traitsISL_E10value_typeEPNSR_ISM_E10value_typeEPSN_NS1_7vsmem_tEENKUlT_SL_SM_SN_E_clISG_PS8_SH_SH_EESK_S10_SL_SM_SN_EUlS10_E1_NS1_11comp_targetILNS1_3genE4ELNS1_11target_archE910ELNS1_3gpuE8ELNS1_3repE0EEENS1_36merge_oddeven_config_static_selectorELNS0_4arch9wavefront6targetE0EEEvSM_,"axG",@progbits,_ZN7rocprim17ROCPRIM_400000_NS6detail17trampoline_kernelINS0_14default_configENS1_38merge_sort_block_merge_config_selectorIN6thrust23THRUST_200600_302600_NS4pairIiiEENS0_10empty_typeEEEZZNS1_27merge_sort_block_merge_implIS3_NS6_6detail15normal_iteratorINS6_10device_ptrIS8_EEEEPS9_mNS6_4lessIS8_EEEE10hipError_tT0_T1_T2_jT3_P12ihipStream_tbPNSt15iterator_traitsISL_E10value_typeEPNSR_ISM_E10value_typeEPSN_NS1_7vsmem_tEENKUlT_SL_SM_SN_E_clISG_PS8_SH_SH_EESK_S10_SL_SM_SN_EUlS10_E1_NS1_11comp_targetILNS1_3genE4ELNS1_11target_archE910ELNS1_3gpuE8ELNS1_3repE0EEENS1_36merge_oddeven_config_static_selectorELNS0_4arch9wavefront6targetE0EEEvSM_,comdat
.Lfunc_end676:
	.size	_ZN7rocprim17ROCPRIM_400000_NS6detail17trampoline_kernelINS0_14default_configENS1_38merge_sort_block_merge_config_selectorIN6thrust23THRUST_200600_302600_NS4pairIiiEENS0_10empty_typeEEEZZNS1_27merge_sort_block_merge_implIS3_NS6_6detail15normal_iteratorINS6_10device_ptrIS8_EEEEPS9_mNS6_4lessIS8_EEEE10hipError_tT0_T1_T2_jT3_P12ihipStream_tbPNSt15iterator_traitsISL_E10value_typeEPNSR_ISM_E10value_typeEPSN_NS1_7vsmem_tEENKUlT_SL_SM_SN_E_clISG_PS8_SH_SH_EESK_S10_SL_SM_SN_EUlS10_E1_NS1_11comp_targetILNS1_3genE4ELNS1_11target_archE910ELNS1_3gpuE8ELNS1_3repE0EEENS1_36merge_oddeven_config_static_selectorELNS0_4arch9wavefront6targetE0EEEvSM_, .Lfunc_end676-_ZN7rocprim17ROCPRIM_400000_NS6detail17trampoline_kernelINS0_14default_configENS1_38merge_sort_block_merge_config_selectorIN6thrust23THRUST_200600_302600_NS4pairIiiEENS0_10empty_typeEEEZZNS1_27merge_sort_block_merge_implIS3_NS6_6detail15normal_iteratorINS6_10device_ptrIS8_EEEEPS9_mNS6_4lessIS8_EEEE10hipError_tT0_T1_T2_jT3_P12ihipStream_tbPNSt15iterator_traitsISL_E10value_typeEPNSR_ISM_E10value_typeEPSN_NS1_7vsmem_tEENKUlT_SL_SM_SN_E_clISG_PS8_SH_SH_EESK_S10_SL_SM_SN_EUlS10_E1_NS1_11comp_targetILNS1_3genE4ELNS1_11target_archE910ELNS1_3gpuE8ELNS1_3repE0EEENS1_36merge_oddeven_config_static_selectorELNS0_4arch9wavefront6targetE0EEEvSM_
                                        ; -- End function
	.set _ZN7rocprim17ROCPRIM_400000_NS6detail17trampoline_kernelINS0_14default_configENS1_38merge_sort_block_merge_config_selectorIN6thrust23THRUST_200600_302600_NS4pairIiiEENS0_10empty_typeEEEZZNS1_27merge_sort_block_merge_implIS3_NS6_6detail15normal_iteratorINS6_10device_ptrIS8_EEEEPS9_mNS6_4lessIS8_EEEE10hipError_tT0_T1_T2_jT3_P12ihipStream_tbPNSt15iterator_traitsISL_E10value_typeEPNSR_ISM_E10value_typeEPSN_NS1_7vsmem_tEENKUlT_SL_SM_SN_E_clISG_PS8_SH_SH_EESK_S10_SL_SM_SN_EUlS10_E1_NS1_11comp_targetILNS1_3genE4ELNS1_11target_archE910ELNS1_3gpuE8ELNS1_3repE0EEENS1_36merge_oddeven_config_static_selectorELNS0_4arch9wavefront6targetE0EEEvSM_.num_vgpr, 0
	.set _ZN7rocprim17ROCPRIM_400000_NS6detail17trampoline_kernelINS0_14default_configENS1_38merge_sort_block_merge_config_selectorIN6thrust23THRUST_200600_302600_NS4pairIiiEENS0_10empty_typeEEEZZNS1_27merge_sort_block_merge_implIS3_NS6_6detail15normal_iteratorINS6_10device_ptrIS8_EEEEPS9_mNS6_4lessIS8_EEEE10hipError_tT0_T1_T2_jT3_P12ihipStream_tbPNSt15iterator_traitsISL_E10value_typeEPNSR_ISM_E10value_typeEPSN_NS1_7vsmem_tEENKUlT_SL_SM_SN_E_clISG_PS8_SH_SH_EESK_S10_SL_SM_SN_EUlS10_E1_NS1_11comp_targetILNS1_3genE4ELNS1_11target_archE910ELNS1_3gpuE8ELNS1_3repE0EEENS1_36merge_oddeven_config_static_selectorELNS0_4arch9wavefront6targetE0EEEvSM_.num_agpr, 0
	.set _ZN7rocprim17ROCPRIM_400000_NS6detail17trampoline_kernelINS0_14default_configENS1_38merge_sort_block_merge_config_selectorIN6thrust23THRUST_200600_302600_NS4pairIiiEENS0_10empty_typeEEEZZNS1_27merge_sort_block_merge_implIS3_NS6_6detail15normal_iteratorINS6_10device_ptrIS8_EEEEPS9_mNS6_4lessIS8_EEEE10hipError_tT0_T1_T2_jT3_P12ihipStream_tbPNSt15iterator_traitsISL_E10value_typeEPNSR_ISM_E10value_typeEPSN_NS1_7vsmem_tEENKUlT_SL_SM_SN_E_clISG_PS8_SH_SH_EESK_S10_SL_SM_SN_EUlS10_E1_NS1_11comp_targetILNS1_3genE4ELNS1_11target_archE910ELNS1_3gpuE8ELNS1_3repE0EEENS1_36merge_oddeven_config_static_selectorELNS0_4arch9wavefront6targetE0EEEvSM_.numbered_sgpr, 0
	.set _ZN7rocprim17ROCPRIM_400000_NS6detail17trampoline_kernelINS0_14default_configENS1_38merge_sort_block_merge_config_selectorIN6thrust23THRUST_200600_302600_NS4pairIiiEENS0_10empty_typeEEEZZNS1_27merge_sort_block_merge_implIS3_NS6_6detail15normal_iteratorINS6_10device_ptrIS8_EEEEPS9_mNS6_4lessIS8_EEEE10hipError_tT0_T1_T2_jT3_P12ihipStream_tbPNSt15iterator_traitsISL_E10value_typeEPNSR_ISM_E10value_typeEPSN_NS1_7vsmem_tEENKUlT_SL_SM_SN_E_clISG_PS8_SH_SH_EESK_S10_SL_SM_SN_EUlS10_E1_NS1_11comp_targetILNS1_3genE4ELNS1_11target_archE910ELNS1_3gpuE8ELNS1_3repE0EEENS1_36merge_oddeven_config_static_selectorELNS0_4arch9wavefront6targetE0EEEvSM_.num_named_barrier, 0
	.set _ZN7rocprim17ROCPRIM_400000_NS6detail17trampoline_kernelINS0_14default_configENS1_38merge_sort_block_merge_config_selectorIN6thrust23THRUST_200600_302600_NS4pairIiiEENS0_10empty_typeEEEZZNS1_27merge_sort_block_merge_implIS3_NS6_6detail15normal_iteratorINS6_10device_ptrIS8_EEEEPS9_mNS6_4lessIS8_EEEE10hipError_tT0_T1_T2_jT3_P12ihipStream_tbPNSt15iterator_traitsISL_E10value_typeEPNSR_ISM_E10value_typeEPSN_NS1_7vsmem_tEENKUlT_SL_SM_SN_E_clISG_PS8_SH_SH_EESK_S10_SL_SM_SN_EUlS10_E1_NS1_11comp_targetILNS1_3genE4ELNS1_11target_archE910ELNS1_3gpuE8ELNS1_3repE0EEENS1_36merge_oddeven_config_static_selectorELNS0_4arch9wavefront6targetE0EEEvSM_.private_seg_size, 0
	.set _ZN7rocprim17ROCPRIM_400000_NS6detail17trampoline_kernelINS0_14default_configENS1_38merge_sort_block_merge_config_selectorIN6thrust23THRUST_200600_302600_NS4pairIiiEENS0_10empty_typeEEEZZNS1_27merge_sort_block_merge_implIS3_NS6_6detail15normal_iteratorINS6_10device_ptrIS8_EEEEPS9_mNS6_4lessIS8_EEEE10hipError_tT0_T1_T2_jT3_P12ihipStream_tbPNSt15iterator_traitsISL_E10value_typeEPNSR_ISM_E10value_typeEPSN_NS1_7vsmem_tEENKUlT_SL_SM_SN_E_clISG_PS8_SH_SH_EESK_S10_SL_SM_SN_EUlS10_E1_NS1_11comp_targetILNS1_3genE4ELNS1_11target_archE910ELNS1_3gpuE8ELNS1_3repE0EEENS1_36merge_oddeven_config_static_selectorELNS0_4arch9wavefront6targetE0EEEvSM_.uses_vcc, 0
	.set _ZN7rocprim17ROCPRIM_400000_NS6detail17trampoline_kernelINS0_14default_configENS1_38merge_sort_block_merge_config_selectorIN6thrust23THRUST_200600_302600_NS4pairIiiEENS0_10empty_typeEEEZZNS1_27merge_sort_block_merge_implIS3_NS6_6detail15normal_iteratorINS6_10device_ptrIS8_EEEEPS9_mNS6_4lessIS8_EEEE10hipError_tT0_T1_T2_jT3_P12ihipStream_tbPNSt15iterator_traitsISL_E10value_typeEPNSR_ISM_E10value_typeEPSN_NS1_7vsmem_tEENKUlT_SL_SM_SN_E_clISG_PS8_SH_SH_EESK_S10_SL_SM_SN_EUlS10_E1_NS1_11comp_targetILNS1_3genE4ELNS1_11target_archE910ELNS1_3gpuE8ELNS1_3repE0EEENS1_36merge_oddeven_config_static_selectorELNS0_4arch9wavefront6targetE0EEEvSM_.uses_flat_scratch, 0
	.set _ZN7rocprim17ROCPRIM_400000_NS6detail17trampoline_kernelINS0_14default_configENS1_38merge_sort_block_merge_config_selectorIN6thrust23THRUST_200600_302600_NS4pairIiiEENS0_10empty_typeEEEZZNS1_27merge_sort_block_merge_implIS3_NS6_6detail15normal_iteratorINS6_10device_ptrIS8_EEEEPS9_mNS6_4lessIS8_EEEE10hipError_tT0_T1_T2_jT3_P12ihipStream_tbPNSt15iterator_traitsISL_E10value_typeEPNSR_ISM_E10value_typeEPSN_NS1_7vsmem_tEENKUlT_SL_SM_SN_E_clISG_PS8_SH_SH_EESK_S10_SL_SM_SN_EUlS10_E1_NS1_11comp_targetILNS1_3genE4ELNS1_11target_archE910ELNS1_3gpuE8ELNS1_3repE0EEENS1_36merge_oddeven_config_static_selectorELNS0_4arch9wavefront6targetE0EEEvSM_.has_dyn_sized_stack, 0
	.set _ZN7rocprim17ROCPRIM_400000_NS6detail17trampoline_kernelINS0_14default_configENS1_38merge_sort_block_merge_config_selectorIN6thrust23THRUST_200600_302600_NS4pairIiiEENS0_10empty_typeEEEZZNS1_27merge_sort_block_merge_implIS3_NS6_6detail15normal_iteratorINS6_10device_ptrIS8_EEEEPS9_mNS6_4lessIS8_EEEE10hipError_tT0_T1_T2_jT3_P12ihipStream_tbPNSt15iterator_traitsISL_E10value_typeEPNSR_ISM_E10value_typeEPSN_NS1_7vsmem_tEENKUlT_SL_SM_SN_E_clISG_PS8_SH_SH_EESK_S10_SL_SM_SN_EUlS10_E1_NS1_11comp_targetILNS1_3genE4ELNS1_11target_archE910ELNS1_3gpuE8ELNS1_3repE0EEENS1_36merge_oddeven_config_static_selectorELNS0_4arch9wavefront6targetE0EEEvSM_.has_recursion, 0
	.set _ZN7rocprim17ROCPRIM_400000_NS6detail17trampoline_kernelINS0_14default_configENS1_38merge_sort_block_merge_config_selectorIN6thrust23THRUST_200600_302600_NS4pairIiiEENS0_10empty_typeEEEZZNS1_27merge_sort_block_merge_implIS3_NS6_6detail15normal_iteratorINS6_10device_ptrIS8_EEEEPS9_mNS6_4lessIS8_EEEE10hipError_tT0_T1_T2_jT3_P12ihipStream_tbPNSt15iterator_traitsISL_E10value_typeEPNSR_ISM_E10value_typeEPSN_NS1_7vsmem_tEENKUlT_SL_SM_SN_E_clISG_PS8_SH_SH_EESK_S10_SL_SM_SN_EUlS10_E1_NS1_11comp_targetILNS1_3genE4ELNS1_11target_archE910ELNS1_3gpuE8ELNS1_3repE0EEENS1_36merge_oddeven_config_static_selectorELNS0_4arch9wavefront6targetE0EEEvSM_.has_indirect_call, 0
	.section	.AMDGPU.csdata,"",@progbits
; Kernel info:
; codeLenInByte = 0
; TotalNumSgprs: 0
; NumVgprs: 0
; ScratchSize: 0
; MemoryBound: 0
; FloatMode: 240
; IeeeMode: 1
; LDSByteSize: 0 bytes/workgroup (compile time only)
; SGPRBlocks: 0
; VGPRBlocks: 0
; NumSGPRsForWavesPerEU: 1
; NumVGPRsForWavesPerEU: 1
; Occupancy: 16
; WaveLimiterHint : 0
; COMPUTE_PGM_RSRC2:SCRATCH_EN: 0
; COMPUTE_PGM_RSRC2:USER_SGPR: 6
; COMPUTE_PGM_RSRC2:TRAP_HANDLER: 0
; COMPUTE_PGM_RSRC2:TGID_X_EN: 1
; COMPUTE_PGM_RSRC2:TGID_Y_EN: 0
; COMPUTE_PGM_RSRC2:TGID_Z_EN: 0
; COMPUTE_PGM_RSRC2:TIDIG_COMP_CNT: 0
	.section	.text._ZN7rocprim17ROCPRIM_400000_NS6detail17trampoline_kernelINS0_14default_configENS1_38merge_sort_block_merge_config_selectorIN6thrust23THRUST_200600_302600_NS4pairIiiEENS0_10empty_typeEEEZZNS1_27merge_sort_block_merge_implIS3_NS6_6detail15normal_iteratorINS6_10device_ptrIS8_EEEEPS9_mNS6_4lessIS8_EEEE10hipError_tT0_T1_T2_jT3_P12ihipStream_tbPNSt15iterator_traitsISL_E10value_typeEPNSR_ISM_E10value_typeEPSN_NS1_7vsmem_tEENKUlT_SL_SM_SN_E_clISG_PS8_SH_SH_EESK_S10_SL_SM_SN_EUlS10_E1_NS1_11comp_targetILNS1_3genE3ELNS1_11target_archE908ELNS1_3gpuE7ELNS1_3repE0EEENS1_36merge_oddeven_config_static_selectorELNS0_4arch9wavefront6targetE0EEEvSM_,"axG",@progbits,_ZN7rocprim17ROCPRIM_400000_NS6detail17trampoline_kernelINS0_14default_configENS1_38merge_sort_block_merge_config_selectorIN6thrust23THRUST_200600_302600_NS4pairIiiEENS0_10empty_typeEEEZZNS1_27merge_sort_block_merge_implIS3_NS6_6detail15normal_iteratorINS6_10device_ptrIS8_EEEEPS9_mNS6_4lessIS8_EEEE10hipError_tT0_T1_T2_jT3_P12ihipStream_tbPNSt15iterator_traitsISL_E10value_typeEPNSR_ISM_E10value_typeEPSN_NS1_7vsmem_tEENKUlT_SL_SM_SN_E_clISG_PS8_SH_SH_EESK_S10_SL_SM_SN_EUlS10_E1_NS1_11comp_targetILNS1_3genE3ELNS1_11target_archE908ELNS1_3gpuE7ELNS1_3repE0EEENS1_36merge_oddeven_config_static_selectorELNS0_4arch9wavefront6targetE0EEEvSM_,comdat
	.protected	_ZN7rocprim17ROCPRIM_400000_NS6detail17trampoline_kernelINS0_14default_configENS1_38merge_sort_block_merge_config_selectorIN6thrust23THRUST_200600_302600_NS4pairIiiEENS0_10empty_typeEEEZZNS1_27merge_sort_block_merge_implIS3_NS6_6detail15normal_iteratorINS6_10device_ptrIS8_EEEEPS9_mNS6_4lessIS8_EEEE10hipError_tT0_T1_T2_jT3_P12ihipStream_tbPNSt15iterator_traitsISL_E10value_typeEPNSR_ISM_E10value_typeEPSN_NS1_7vsmem_tEENKUlT_SL_SM_SN_E_clISG_PS8_SH_SH_EESK_S10_SL_SM_SN_EUlS10_E1_NS1_11comp_targetILNS1_3genE3ELNS1_11target_archE908ELNS1_3gpuE7ELNS1_3repE0EEENS1_36merge_oddeven_config_static_selectorELNS0_4arch9wavefront6targetE0EEEvSM_ ; -- Begin function _ZN7rocprim17ROCPRIM_400000_NS6detail17trampoline_kernelINS0_14default_configENS1_38merge_sort_block_merge_config_selectorIN6thrust23THRUST_200600_302600_NS4pairIiiEENS0_10empty_typeEEEZZNS1_27merge_sort_block_merge_implIS3_NS6_6detail15normal_iteratorINS6_10device_ptrIS8_EEEEPS9_mNS6_4lessIS8_EEEE10hipError_tT0_T1_T2_jT3_P12ihipStream_tbPNSt15iterator_traitsISL_E10value_typeEPNSR_ISM_E10value_typeEPSN_NS1_7vsmem_tEENKUlT_SL_SM_SN_E_clISG_PS8_SH_SH_EESK_S10_SL_SM_SN_EUlS10_E1_NS1_11comp_targetILNS1_3genE3ELNS1_11target_archE908ELNS1_3gpuE7ELNS1_3repE0EEENS1_36merge_oddeven_config_static_selectorELNS0_4arch9wavefront6targetE0EEEvSM_
	.globl	_ZN7rocprim17ROCPRIM_400000_NS6detail17trampoline_kernelINS0_14default_configENS1_38merge_sort_block_merge_config_selectorIN6thrust23THRUST_200600_302600_NS4pairIiiEENS0_10empty_typeEEEZZNS1_27merge_sort_block_merge_implIS3_NS6_6detail15normal_iteratorINS6_10device_ptrIS8_EEEEPS9_mNS6_4lessIS8_EEEE10hipError_tT0_T1_T2_jT3_P12ihipStream_tbPNSt15iterator_traitsISL_E10value_typeEPNSR_ISM_E10value_typeEPSN_NS1_7vsmem_tEENKUlT_SL_SM_SN_E_clISG_PS8_SH_SH_EESK_S10_SL_SM_SN_EUlS10_E1_NS1_11comp_targetILNS1_3genE3ELNS1_11target_archE908ELNS1_3gpuE7ELNS1_3repE0EEENS1_36merge_oddeven_config_static_selectorELNS0_4arch9wavefront6targetE0EEEvSM_
	.p2align	8
	.type	_ZN7rocprim17ROCPRIM_400000_NS6detail17trampoline_kernelINS0_14default_configENS1_38merge_sort_block_merge_config_selectorIN6thrust23THRUST_200600_302600_NS4pairIiiEENS0_10empty_typeEEEZZNS1_27merge_sort_block_merge_implIS3_NS6_6detail15normal_iteratorINS6_10device_ptrIS8_EEEEPS9_mNS6_4lessIS8_EEEE10hipError_tT0_T1_T2_jT3_P12ihipStream_tbPNSt15iterator_traitsISL_E10value_typeEPNSR_ISM_E10value_typeEPSN_NS1_7vsmem_tEENKUlT_SL_SM_SN_E_clISG_PS8_SH_SH_EESK_S10_SL_SM_SN_EUlS10_E1_NS1_11comp_targetILNS1_3genE3ELNS1_11target_archE908ELNS1_3gpuE7ELNS1_3repE0EEENS1_36merge_oddeven_config_static_selectorELNS0_4arch9wavefront6targetE0EEEvSM_,@function
_ZN7rocprim17ROCPRIM_400000_NS6detail17trampoline_kernelINS0_14default_configENS1_38merge_sort_block_merge_config_selectorIN6thrust23THRUST_200600_302600_NS4pairIiiEENS0_10empty_typeEEEZZNS1_27merge_sort_block_merge_implIS3_NS6_6detail15normal_iteratorINS6_10device_ptrIS8_EEEEPS9_mNS6_4lessIS8_EEEE10hipError_tT0_T1_T2_jT3_P12ihipStream_tbPNSt15iterator_traitsISL_E10value_typeEPNSR_ISM_E10value_typeEPSN_NS1_7vsmem_tEENKUlT_SL_SM_SN_E_clISG_PS8_SH_SH_EESK_S10_SL_SM_SN_EUlS10_E1_NS1_11comp_targetILNS1_3genE3ELNS1_11target_archE908ELNS1_3gpuE7ELNS1_3repE0EEENS1_36merge_oddeven_config_static_selectorELNS0_4arch9wavefront6targetE0EEEvSM_: ; @_ZN7rocprim17ROCPRIM_400000_NS6detail17trampoline_kernelINS0_14default_configENS1_38merge_sort_block_merge_config_selectorIN6thrust23THRUST_200600_302600_NS4pairIiiEENS0_10empty_typeEEEZZNS1_27merge_sort_block_merge_implIS3_NS6_6detail15normal_iteratorINS6_10device_ptrIS8_EEEEPS9_mNS6_4lessIS8_EEEE10hipError_tT0_T1_T2_jT3_P12ihipStream_tbPNSt15iterator_traitsISL_E10value_typeEPNSR_ISM_E10value_typeEPSN_NS1_7vsmem_tEENKUlT_SL_SM_SN_E_clISG_PS8_SH_SH_EESK_S10_SL_SM_SN_EUlS10_E1_NS1_11comp_targetILNS1_3genE3ELNS1_11target_archE908ELNS1_3gpuE7ELNS1_3repE0EEENS1_36merge_oddeven_config_static_selectorELNS0_4arch9wavefront6targetE0EEEvSM_
; %bb.0:
	.section	.rodata,"a",@progbits
	.p2align	6, 0x0
	.amdhsa_kernel _ZN7rocprim17ROCPRIM_400000_NS6detail17trampoline_kernelINS0_14default_configENS1_38merge_sort_block_merge_config_selectorIN6thrust23THRUST_200600_302600_NS4pairIiiEENS0_10empty_typeEEEZZNS1_27merge_sort_block_merge_implIS3_NS6_6detail15normal_iteratorINS6_10device_ptrIS8_EEEEPS9_mNS6_4lessIS8_EEEE10hipError_tT0_T1_T2_jT3_P12ihipStream_tbPNSt15iterator_traitsISL_E10value_typeEPNSR_ISM_E10value_typeEPSN_NS1_7vsmem_tEENKUlT_SL_SM_SN_E_clISG_PS8_SH_SH_EESK_S10_SL_SM_SN_EUlS10_E1_NS1_11comp_targetILNS1_3genE3ELNS1_11target_archE908ELNS1_3gpuE7ELNS1_3repE0EEENS1_36merge_oddeven_config_static_selectorELNS0_4arch9wavefront6targetE0EEEvSM_
		.amdhsa_group_segment_fixed_size 0
		.amdhsa_private_segment_fixed_size 0
		.amdhsa_kernarg_size 56
		.amdhsa_user_sgpr_count 6
		.amdhsa_user_sgpr_private_segment_buffer 1
		.amdhsa_user_sgpr_dispatch_ptr 0
		.amdhsa_user_sgpr_queue_ptr 0
		.amdhsa_user_sgpr_kernarg_segment_ptr 1
		.amdhsa_user_sgpr_dispatch_id 0
		.amdhsa_user_sgpr_flat_scratch_init 0
		.amdhsa_user_sgpr_private_segment_size 0
		.amdhsa_wavefront_size32 1
		.amdhsa_uses_dynamic_stack 0
		.amdhsa_system_sgpr_private_segment_wavefront_offset 0
		.amdhsa_system_sgpr_workgroup_id_x 1
		.amdhsa_system_sgpr_workgroup_id_y 0
		.amdhsa_system_sgpr_workgroup_id_z 0
		.amdhsa_system_sgpr_workgroup_info 0
		.amdhsa_system_vgpr_workitem_id 0
		.amdhsa_next_free_vgpr 1
		.amdhsa_next_free_sgpr 1
		.amdhsa_reserve_vcc 0
		.amdhsa_reserve_flat_scratch 0
		.amdhsa_float_round_mode_32 0
		.amdhsa_float_round_mode_16_64 0
		.amdhsa_float_denorm_mode_32 3
		.amdhsa_float_denorm_mode_16_64 3
		.amdhsa_dx10_clamp 1
		.amdhsa_ieee_mode 1
		.amdhsa_fp16_overflow 0
		.amdhsa_workgroup_processor_mode 1
		.amdhsa_memory_ordered 1
		.amdhsa_forward_progress 1
		.amdhsa_shared_vgpr_count 0
		.amdhsa_exception_fp_ieee_invalid_op 0
		.amdhsa_exception_fp_denorm_src 0
		.amdhsa_exception_fp_ieee_div_zero 0
		.amdhsa_exception_fp_ieee_overflow 0
		.amdhsa_exception_fp_ieee_underflow 0
		.amdhsa_exception_fp_ieee_inexact 0
		.amdhsa_exception_int_div_zero 0
	.end_amdhsa_kernel
	.section	.text._ZN7rocprim17ROCPRIM_400000_NS6detail17trampoline_kernelINS0_14default_configENS1_38merge_sort_block_merge_config_selectorIN6thrust23THRUST_200600_302600_NS4pairIiiEENS0_10empty_typeEEEZZNS1_27merge_sort_block_merge_implIS3_NS6_6detail15normal_iteratorINS6_10device_ptrIS8_EEEEPS9_mNS6_4lessIS8_EEEE10hipError_tT0_T1_T2_jT3_P12ihipStream_tbPNSt15iterator_traitsISL_E10value_typeEPNSR_ISM_E10value_typeEPSN_NS1_7vsmem_tEENKUlT_SL_SM_SN_E_clISG_PS8_SH_SH_EESK_S10_SL_SM_SN_EUlS10_E1_NS1_11comp_targetILNS1_3genE3ELNS1_11target_archE908ELNS1_3gpuE7ELNS1_3repE0EEENS1_36merge_oddeven_config_static_selectorELNS0_4arch9wavefront6targetE0EEEvSM_,"axG",@progbits,_ZN7rocprim17ROCPRIM_400000_NS6detail17trampoline_kernelINS0_14default_configENS1_38merge_sort_block_merge_config_selectorIN6thrust23THRUST_200600_302600_NS4pairIiiEENS0_10empty_typeEEEZZNS1_27merge_sort_block_merge_implIS3_NS6_6detail15normal_iteratorINS6_10device_ptrIS8_EEEEPS9_mNS6_4lessIS8_EEEE10hipError_tT0_T1_T2_jT3_P12ihipStream_tbPNSt15iterator_traitsISL_E10value_typeEPNSR_ISM_E10value_typeEPSN_NS1_7vsmem_tEENKUlT_SL_SM_SN_E_clISG_PS8_SH_SH_EESK_S10_SL_SM_SN_EUlS10_E1_NS1_11comp_targetILNS1_3genE3ELNS1_11target_archE908ELNS1_3gpuE7ELNS1_3repE0EEENS1_36merge_oddeven_config_static_selectorELNS0_4arch9wavefront6targetE0EEEvSM_,comdat
.Lfunc_end677:
	.size	_ZN7rocprim17ROCPRIM_400000_NS6detail17trampoline_kernelINS0_14default_configENS1_38merge_sort_block_merge_config_selectorIN6thrust23THRUST_200600_302600_NS4pairIiiEENS0_10empty_typeEEEZZNS1_27merge_sort_block_merge_implIS3_NS6_6detail15normal_iteratorINS6_10device_ptrIS8_EEEEPS9_mNS6_4lessIS8_EEEE10hipError_tT0_T1_T2_jT3_P12ihipStream_tbPNSt15iterator_traitsISL_E10value_typeEPNSR_ISM_E10value_typeEPSN_NS1_7vsmem_tEENKUlT_SL_SM_SN_E_clISG_PS8_SH_SH_EESK_S10_SL_SM_SN_EUlS10_E1_NS1_11comp_targetILNS1_3genE3ELNS1_11target_archE908ELNS1_3gpuE7ELNS1_3repE0EEENS1_36merge_oddeven_config_static_selectorELNS0_4arch9wavefront6targetE0EEEvSM_, .Lfunc_end677-_ZN7rocprim17ROCPRIM_400000_NS6detail17trampoline_kernelINS0_14default_configENS1_38merge_sort_block_merge_config_selectorIN6thrust23THRUST_200600_302600_NS4pairIiiEENS0_10empty_typeEEEZZNS1_27merge_sort_block_merge_implIS3_NS6_6detail15normal_iteratorINS6_10device_ptrIS8_EEEEPS9_mNS6_4lessIS8_EEEE10hipError_tT0_T1_T2_jT3_P12ihipStream_tbPNSt15iterator_traitsISL_E10value_typeEPNSR_ISM_E10value_typeEPSN_NS1_7vsmem_tEENKUlT_SL_SM_SN_E_clISG_PS8_SH_SH_EESK_S10_SL_SM_SN_EUlS10_E1_NS1_11comp_targetILNS1_3genE3ELNS1_11target_archE908ELNS1_3gpuE7ELNS1_3repE0EEENS1_36merge_oddeven_config_static_selectorELNS0_4arch9wavefront6targetE0EEEvSM_
                                        ; -- End function
	.set _ZN7rocprim17ROCPRIM_400000_NS6detail17trampoline_kernelINS0_14default_configENS1_38merge_sort_block_merge_config_selectorIN6thrust23THRUST_200600_302600_NS4pairIiiEENS0_10empty_typeEEEZZNS1_27merge_sort_block_merge_implIS3_NS6_6detail15normal_iteratorINS6_10device_ptrIS8_EEEEPS9_mNS6_4lessIS8_EEEE10hipError_tT0_T1_T2_jT3_P12ihipStream_tbPNSt15iterator_traitsISL_E10value_typeEPNSR_ISM_E10value_typeEPSN_NS1_7vsmem_tEENKUlT_SL_SM_SN_E_clISG_PS8_SH_SH_EESK_S10_SL_SM_SN_EUlS10_E1_NS1_11comp_targetILNS1_3genE3ELNS1_11target_archE908ELNS1_3gpuE7ELNS1_3repE0EEENS1_36merge_oddeven_config_static_selectorELNS0_4arch9wavefront6targetE0EEEvSM_.num_vgpr, 0
	.set _ZN7rocprim17ROCPRIM_400000_NS6detail17trampoline_kernelINS0_14default_configENS1_38merge_sort_block_merge_config_selectorIN6thrust23THRUST_200600_302600_NS4pairIiiEENS0_10empty_typeEEEZZNS1_27merge_sort_block_merge_implIS3_NS6_6detail15normal_iteratorINS6_10device_ptrIS8_EEEEPS9_mNS6_4lessIS8_EEEE10hipError_tT0_T1_T2_jT3_P12ihipStream_tbPNSt15iterator_traitsISL_E10value_typeEPNSR_ISM_E10value_typeEPSN_NS1_7vsmem_tEENKUlT_SL_SM_SN_E_clISG_PS8_SH_SH_EESK_S10_SL_SM_SN_EUlS10_E1_NS1_11comp_targetILNS1_3genE3ELNS1_11target_archE908ELNS1_3gpuE7ELNS1_3repE0EEENS1_36merge_oddeven_config_static_selectorELNS0_4arch9wavefront6targetE0EEEvSM_.num_agpr, 0
	.set _ZN7rocprim17ROCPRIM_400000_NS6detail17trampoline_kernelINS0_14default_configENS1_38merge_sort_block_merge_config_selectorIN6thrust23THRUST_200600_302600_NS4pairIiiEENS0_10empty_typeEEEZZNS1_27merge_sort_block_merge_implIS3_NS6_6detail15normal_iteratorINS6_10device_ptrIS8_EEEEPS9_mNS6_4lessIS8_EEEE10hipError_tT0_T1_T2_jT3_P12ihipStream_tbPNSt15iterator_traitsISL_E10value_typeEPNSR_ISM_E10value_typeEPSN_NS1_7vsmem_tEENKUlT_SL_SM_SN_E_clISG_PS8_SH_SH_EESK_S10_SL_SM_SN_EUlS10_E1_NS1_11comp_targetILNS1_3genE3ELNS1_11target_archE908ELNS1_3gpuE7ELNS1_3repE0EEENS1_36merge_oddeven_config_static_selectorELNS0_4arch9wavefront6targetE0EEEvSM_.numbered_sgpr, 0
	.set _ZN7rocprim17ROCPRIM_400000_NS6detail17trampoline_kernelINS0_14default_configENS1_38merge_sort_block_merge_config_selectorIN6thrust23THRUST_200600_302600_NS4pairIiiEENS0_10empty_typeEEEZZNS1_27merge_sort_block_merge_implIS3_NS6_6detail15normal_iteratorINS6_10device_ptrIS8_EEEEPS9_mNS6_4lessIS8_EEEE10hipError_tT0_T1_T2_jT3_P12ihipStream_tbPNSt15iterator_traitsISL_E10value_typeEPNSR_ISM_E10value_typeEPSN_NS1_7vsmem_tEENKUlT_SL_SM_SN_E_clISG_PS8_SH_SH_EESK_S10_SL_SM_SN_EUlS10_E1_NS1_11comp_targetILNS1_3genE3ELNS1_11target_archE908ELNS1_3gpuE7ELNS1_3repE0EEENS1_36merge_oddeven_config_static_selectorELNS0_4arch9wavefront6targetE0EEEvSM_.num_named_barrier, 0
	.set _ZN7rocprim17ROCPRIM_400000_NS6detail17trampoline_kernelINS0_14default_configENS1_38merge_sort_block_merge_config_selectorIN6thrust23THRUST_200600_302600_NS4pairIiiEENS0_10empty_typeEEEZZNS1_27merge_sort_block_merge_implIS3_NS6_6detail15normal_iteratorINS6_10device_ptrIS8_EEEEPS9_mNS6_4lessIS8_EEEE10hipError_tT0_T1_T2_jT3_P12ihipStream_tbPNSt15iterator_traitsISL_E10value_typeEPNSR_ISM_E10value_typeEPSN_NS1_7vsmem_tEENKUlT_SL_SM_SN_E_clISG_PS8_SH_SH_EESK_S10_SL_SM_SN_EUlS10_E1_NS1_11comp_targetILNS1_3genE3ELNS1_11target_archE908ELNS1_3gpuE7ELNS1_3repE0EEENS1_36merge_oddeven_config_static_selectorELNS0_4arch9wavefront6targetE0EEEvSM_.private_seg_size, 0
	.set _ZN7rocprim17ROCPRIM_400000_NS6detail17trampoline_kernelINS0_14default_configENS1_38merge_sort_block_merge_config_selectorIN6thrust23THRUST_200600_302600_NS4pairIiiEENS0_10empty_typeEEEZZNS1_27merge_sort_block_merge_implIS3_NS6_6detail15normal_iteratorINS6_10device_ptrIS8_EEEEPS9_mNS6_4lessIS8_EEEE10hipError_tT0_T1_T2_jT3_P12ihipStream_tbPNSt15iterator_traitsISL_E10value_typeEPNSR_ISM_E10value_typeEPSN_NS1_7vsmem_tEENKUlT_SL_SM_SN_E_clISG_PS8_SH_SH_EESK_S10_SL_SM_SN_EUlS10_E1_NS1_11comp_targetILNS1_3genE3ELNS1_11target_archE908ELNS1_3gpuE7ELNS1_3repE0EEENS1_36merge_oddeven_config_static_selectorELNS0_4arch9wavefront6targetE0EEEvSM_.uses_vcc, 0
	.set _ZN7rocprim17ROCPRIM_400000_NS6detail17trampoline_kernelINS0_14default_configENS1_38merge_sort_block_merge_config_selectorIN6thrust23THRUST_200600_302600_NS4pairIiiEENS0_10empty_typeEEEZZNS1_27merge_sort_block_merge_implIS3_NS6_6detail15normal_iteratorINS6_10device_ptrIS8_EEEEPS9_mNS6_4lessIS8_EEEE10hipError_tT0_T1_T2_jT3_P12ihipStream_tbPNSt15iterator_traitsISL_E10value_typeEPNSR_ISM_E10value_typeEPSN_NS1_7vsmem_tEENKUlT_SL_SM_SN_E_clISG_PS8_SH_SH_EESK_S10_SL_SM_SN_EUlS10_E1_NS1_11comp_targetILNS1_3genE3ELNS1_11target_archE908ELNS1_3gpuE7ELNS1_3repE0EEENS1_36merge_oddeven_config_static_selectorELNS0_4arch9wavefront6targetE0EEEvSM_.uses_flat_scratch, 0
	.set _ZN7rocprim17ROCPRIM_400000_NS6detail17trampoline_kernelINS0_14default_configENS1_38merge_sort_block_merge_config_selectorIN6thrust23THRUST_200600_302600_NS4pairIiiEENS0_10empty_typeEEEZZNS1_27merge_sort_block_merge_implIS3_NS6_6detail15normal_iteratorINS6_10device_ptrIS8_EEEEPS9_mNS6_4lessIS8_EEEE10hipError_tT0_T1_T2_jT3_P12ihipStream_tbPNSt15iterator_traitsISL_E10value_typeEPNSR_ISM_E10value_typeEPSN_NS1_7vsmem_tEENKUlT_SL_SM_SN_E_clISG_PS8_SH_SH_EESK_S10_SL_SM_SN_EUlS10_E1_NS1_11comp_targetILNS1_3genE3ELNS1_11target_archE908ELNS1_3gpuE7ELNS1_3repE0EEENS1_36merge_oddeven_config_static_selectorELNS0_4arch9wavefront6targetE0EEEvSM_.has_dyn_sized_stack, 0
	.set _ZN7rocprim17ROCPRIM_400000_NS6detail17trampoline_kernelINS0_14default_configENS1_38merge_sort_block_merge_config_selectorIN6thrust23THRUST_200600_302600_NS4pairIiiEENS0_10empty_typeEEEZZNS1_27merge_sort_block_merge_implIS3_NS6_6detail15normal_iteratorINS6_10device_ptrIS8_EEEEPS9_mNS6_4lessIS8_EEEE10hipError_tT0_T1_T2_jT3_P12ihipStream_tbPNSt15iterator_traitsISL_E10value_typeEPNSR_ISM_E10value_typeEPSN_NS1_7vsmem_tEENKUlT_SL_SM_SN_E_clISG_PS8_SH_SH_EESK_S10_SL_SM_SN_EUlS10_E1_NS1_11comp_targetILNS1_3genE3ELNS1_11target_archE908ELNS1_3gpuE7ELNS1_3repE0EEENS1_36merge_oddeven_config_static_selectorELNS0_4arch9wavefront6targetE0EEEvSM_.has_recursion, 0
	.set _ZN7rocprim17ROCPRIM_400000_NS6detail17trampoline_kernelINS0_14default_configENS1_38merge_sort_block_merge_config_selectorIN6thrust23THRUST_200600_302600_NS4pairIiiEENS0_10empty_typeEEEZZNS1_27merge_sort_block_merge_implIS3_NS6_6detail15normal_iteratorINS6_10device_ptrIS8_EEEEPS9_mNS6_4lessIS8_EEEE10hipError_tT0_T1_T2_jT3_P12ihipStream_tbPNSt15iterator_traitsISL_E10value_typeEPNSR_ISM_E10value_typeEPSN_NS1_7vsmem_tEENKUlT_SL_SM_SN_E_clISG_PS8_SH_SH_EESK_S10_SL_SM_SN_EUlS10_E1_NS1_11comp_targetILNS1_3genE3ELNS1_11target_archE908ELNS1_3gpuE7ELNS1_3repE0EEENS1_36merge_oddeven_config_static_selectorELNS0_4arch9wavefront6targetE0EEEvSM_.has_indirect_call, 0
	.section	.AMDGPU.csdata,"",@progbits
; Kernel info:
; codeLenInByte = 0
; TotalNumSgprs: 0
; NumVgprs: 0
; ScratchSize: 0
; MemoryBound: 0
; FloatMode: 240
; IeeeMode: 1
; LDSByteSize: 0 bytes/workgroup (compile time only)
; SGPRBlocks: 0
; VGPRBlocks: 0
; NumSGPRsForWavesPerEU: 1
; NumVGPRsForWavesPerEU: 1
; Occupancy: 16
; WaveLimiterHint : 0
; COMPUTE_PGM_RSRC2:SCRATCH_EN: 0
; COMPUTE_PGM_RSRC2:USER_SGPR: 6
; COMPUTE_PGM_RSRC2:TRAP_HANDLER: 0
; COMPUTE_PGM_RSRC2:TGID_X_EN: 1
; COMPUTE_PGM_RSRC2:TGID_Y_EN: 0
; COMPUTE_PGM_RSRC2:TGID_Z_EN: 0
; COMPUTE_PGM_RSRC2:TIDIG_COMP_CNT: 0
	.section	.text._ZN7rocprim17ROCPRIM_400000_NS6detail17trampoline_kernelINS0_14default_configENS1_38merge_sort_block_merge_config_selectorIN6thrust23THRUST_200600_302600_NS4pairIiiEENS0_10empty_typeEEEZZNS1_27merge_sort_block_merge_implIS3_NS6_6detail15normal_iteratorINS6_10device_ptrIS8_EEEEPS9_mNS6_4lessIS8_EEEE10hipError_tT0_T1_T2_jT3_P12ihipStream_tbPNSt15iterator_traitsISL_E10value_typeEPNSR_ISM_E10value_typeEPSN_NS1_7vsmem_tEENKUlT_SL_SM_SN_E_clISG_PS8_SH_SH_EESK_S10_SL_SM_SN_EUlS10_E1_NS1_11comp_targetILNS1_3genE2ELNS1_11target_archE906ELNS1_3gpuE6ELNS1_3repE0EEENS1_36merge_oddeven_config_static_selectorELNS0_4arch9wavefront6targetE0EEEvSM_,"axG",@progbits,_ZN7rocprim17ROCPRIM_400000_NS6detail17trampoline_kernelINS0_14default_configENS1_38merge_sort_block_merge_config_selectorIN6thrust23THRUST_200600_302600_NS4pairIiiEENS0_10empty_typeEEEZZNS1_27merge_sort_block_merge_implIS3_NS6_6detail15normal_iteratorINS6_10device_ptrIS8_EEEEPS9_mNS6_4lessIS8_EEEE10hipError_tT0_T1_T2_jT3_P12ihipStream_tbPNSt15iterator_traitsISL_E10value_typeEPNSR_ISM_E10value_typeEPSN_NS1_7vsmem_tEENKUlT_SL_SM_SN_E_clISG_PS8_SH_SH_EESK_S10_SL_SM_SN_EUlS10_E1_NS1_11comp_targetILNS1_3genE2ELNS1_11target_archE906ELNS1_3gpuE6ELNS1_3repE0EEENS1_36merge_oddeven_config_static_selectorELNS0_4arch9wavefront6targetE0EEEvSM_,comdat
	.protected	_ZN7rocprim17ROCPRIM_400000_NS6detail17trampoline_kernelINS0_14default_configENS1_38merge_sort_block_merge_config_selectorIN6thrust23THRUST_200600_302600_NS4pairIiiEENS0_10empty_typeEEEZZNS1_27merge_sort_block_merge_implIS3_NS6_6detail15normal_iteratorINS6_10device_ptrIS8_EEEEPS9_mNS6_4lessIS8_EEEE10hipError_tT0_T1_T2_jT3_P12ihipStream_tbPNSt15iterator_traitsISL_E10value_typeEPNSR_ISM_E10value_typeEPSN_NS1_7vsmem_tEENKUlT_SL_SM_SN_E_clISG_PS8_SH_SH_EESK_S10_SL_SM_SN_EUlS10_E1_NS1_11comp_targetILNS1_3genE2ELNS1_11target_archE906ELNS1_3gpuE6ELNS1_3repE0EEENS1_36merge_oddeven_config_static_selectorELNS0_4arch9wavefront6targetE0EEEvSM_ ; -- Begin function _ZN7rocprim17ROCPRIM_400000_NS6detail17trampoline_kernelINS0_14default_configENS1_38merge_sort_block_merge_config_selectorIN6thrust23THRUST_200600_302600_NS4pairIiiEENS0_10empty_typeEEEZZNS1_27merge_sort_block_merge_implIS3_NS6_6detail15normal_iteratorINS6_10device_ptrIS8_EEEEPS9_mNS6_4lessIS8_EEEE10hipError_tT0_T1_T2_jT3_P12ihipStream_tbPNSt15iterator_traitsISL_E10value_typeEPNSR_ISM_E10value_typeEPSN_NS1_7vsmem_tEENKUlT_SL_SM_SN_E_clISG_PS8_SH_SH_EESK_S10_SL_SM_SN_EUlS10_E1_NS1_11comp_targetILNS1_3genE2ELNS1_11target_archE906ELNS1_3gpuE6ELNS1_3repE0EEENS1_36merge_oddeven_config_static_selectorELNS0_4arch9wavefront6targetE0EEEvSM_
	.globl	_ZN7rocprim17ROCPRIM_400000_NS6detail17trampoline_kernelINS0_14default_configENS1_38merge_sort_block_merge_config_selectorIN6thrust23THRUST_200600_302600_NS4pairIiiEENS0_10empty_typeEEEZZNS1_27merge_sort_block_merge_implIS3_NS6_6detail15normal_iteratorINS6_10device_ptrIS8_EEEEPS9_mNS6_4lessIS8_EEEE10hipError_tT0_T1_T2_jT3_P12ihipStream_tbPNSt15iterator_traitsISL_E10value_typeEPNSR_ISM_E10value_typeEPSN_NS1_7vsmem_tEENKUlT_SL_SM_SN_E_clISG_PS8_SH_SH_EESK_S10_SL_SM_SN_EUlS10_E1_NS1_11comp_targetILNS1_3genE2ELNS1_11target_archE906ELNS1_3gpuE6ELNS1_3repE0EEENS1_36merge_oddeven_config_static_selectorELNS0_4arch9wavefront6targetE0EEEvSM_
	.p2align	8
	.type	_ZN7rocprim17ROCPRIM_400000_NS6detail17trampoline_kernelINS0_14default_configENS1_38merge_sort_block_merge_config_selectorIN6thrust23THRUST_200600_302600_NS4pairIiiEENS0_10empty_typeEEEZZNS1_27merge_sort_block_merge_implIS3_NS6_6detail15normal_iteratorINS6_10device_ptrIS8_EEEEPS9_mNS6_4lessIS8_EEEE10hipError_tT0_T1_T2_jT3_P12ihipStream_tbPNSt15iterator_traitsISL_E10value_typeEPNSR_ISM_E10value_typeEPSN_NS1_7vsmem_tEENKUlT_SL_SM_SN_E_clISG_PS8_SH_SH_EESK_S10_SL_SM_SN_EUlS10_E1_NS1_11comp_targetILNS1_3genE2ELNS1_11target_archE906ELNS1_3gpuE6ELNS1_3repE0EEENS1_36merge_oddeven_config_static_selectorELNS0_4arch9wavefront6targetE0EEEvSM_,@function
_ZN7rocprim17ROCPRIM_400000_NS6detail17trampoline_kernelINS0_14default_configENS1_38merge_sort_block_merge_config_selectorIN6thrust23THRUST_200600_302600_NS4pairIiiEENS0_10empty_typeEEEZZNS1_27merge_sort_block_merge_implIS3_NS6_6detail15normal_iteratorINS6_10device_ptrIS8_EEEEPS9_mNS6_4lessIS8_EEEE10hipError_tT0_T1_T2_jT3_P12ihipStream_tbPNSt15iterator_traitsISL_E10value_typeEPNSR_ISM_E10value_typeEPSN_NS1_7vsmem_tEENKUlT_SL_SM_SN_E_clISG_PS8_SH_SH_EESK_S10_SL_SM_SN_EUlS10_E1_NS1_11comp_targetILNS1_3genE2ELNS1_11target_archE906ELNS1_3gpuE6ELNS1_3repE0EEENS1_36merge_oddeven_config_static_selectorELNS0_4arch9wavefront6targetE0EEEvSM_: ; @_ZN7rocprim17ROCPRIM_400000_NS6detail17trampoline_kernelINS0_14default_configENS1_38merge_sort_block_merge_config_selectorIN6thrust23THRUST_200600_302600_NS4pairIiiEENS0_10empty_typeEEEZZNS1_27merge_sort_block_merge_implIS3_NS6_6detail15normal_iteratorINS6_10device_ptrIS8_EEEEPS9_mNS6_4lessIS8_EEEE10hipError_tT0_T1_T2_jT3_P12ihipStream_tbPNSt15iterator_traitsISL_E10value_typeEPNSR_ISM_E10value_typeEPSN_NS1_7vsmem_tEENKUlT_SL_SM_SN_E_clISG_PS8_SH_SH_EESK_S10_SL_SM_SN_EUlS10_E1_NS1_11comp_targetILNS1_3genE2ELNS1_11target_archE906ELNS1_3gpuE6ELNS1_3repE0EEENS1_36merge_oddeven_config_static_selectorELNS0_4arch9wavefront6targetE0EEEvSM_
; %bb.0:
	.section	.rodata,"a",@progbits
	.p2align	6, 0x0
	.amdhsa_kernel _ZN7rocprim17ROCPRIM_400000_NS6detail17trampoline_kernelINS0_14default_configENS1_38merge_sort_block_merge_config_selectorIN6thrust23THRUST_200600_302600_NS4pairIiiEENS0_10empty_typeEEEZZNS1_27merge_sort_block_merge_implIS3_NS6_6detail15normal_iteratorINS6_10device_ptrIS8_EEEEPS9_mNS6_4lessIS8_EEEE10hipError_tT0_T1_T2_jT3_P12ihipStream_tbPNSt15iterator_traitsISL_E10value_typeEPNSR_ISM_E10value_typeEPSN_NS1_7vsmem_tEENKUlT_SL_SM_SN_E_clISG_PS8_SH_SH_EESK_S10_SL_SM_SN_EUlS10_E1_NS1_11comp_targetILNS1_3genE2ELNS1_11target_archE906ELNS1_3gpuE6ELNS1_3repE0EEENS1_36merge_oddeven_config_static_selectorELNS0_4arch9wavefront6targetE0EEEvSM_
		.amdhsa_group_segment_fixed_size 0
		.amdhsa_private_segment_fixed_size 0
		.amdhsa_kernarg_size 56
		.amdhsa_user_sgpr_count 6
		.amdhsa_user_sgpr_private_segment_buffer 1
		.amdhsa_user_sgpr_dispatch_ptr 0
		.amdhsa_user_sgpr_queue_ptr 0
		.amdhsa_user_sgpr_kernarg_segment_ptr 1
		.amdhsa_user_sgpr_dispatch_id 0
		.amdhsa_user_sgpr_flat_scratch_init 0
		.amdhsa_user_sgpr_private_segment_size 0
		.amdhsa_wavefront_size32 1
		.amdhsa_uses_dynamic_stack 0
		.amdhsa_system_sgpr_private_segment_wavefront_offset 0
		.amdhsa_system_sgpr_workgroup_id_x 1
		.amdhsa_system_sgpr_workgroup_id_y 0
		.amdhsa_system_sgpr_workgroup_id_z 0
		.amdhsa_system_sgpr_workgroup_info 0
		.amdhsa_system_vgpr_workitem_id 0
		.amdhsa_next_free_vgpr 1
		.amdhsa_next_free_sgpr 1
		.amdhsa_reserve_vcc 0
		.amdhsa_reserve_flat_scratch 0
		.amdhsa_float_round_mode_32 0
		.amdhsa_float_round_mode_16_64 0
		.amdhsa_float_denorm_mode_32 3
		.amdhsa_float_denorm_mode_16_64 3
		.amdhsa_dx10_clamp 1
		.amdhsa_ieee_mode 1
		.amdhsa_fp16_overflow 0
		.amdhsa_workgroup_processor_mode 1
		.amdhsa_memory_ordered 1
		.amdhsa_forward_progress 1
		.amdhsa_shared_vgpr_count 0
		.amdhsa_exception_fp_ieee_invalid_op 0
		.amdhsa_exception_fp_denorm_src 0
		.amdhsa_exception_fp_ieee_div_zero 0
		.amdhsa_exception_fp_ieee_overflow 0
		.amdhsa_exception_fp_ieee_underflow 0
		.amdhsa_exception_fp_ieee_inexact 0
		.amdhsa_exception_int_div_zero 0
	.end_amdhsa_kernel
	.section	.text._ZN7rocprim17ROCPRIM_400000_NS6detail17trampoline_kernelINS0_14default_configENS1_38merge_sort_block_merge_config_selectorIN6thrust23THRUST_200600_302600_NS4pairIiiEENS0_10empty_typeEEEZZNS1_27merge_sort_block_merge_implIS3_NS6_6detail15normal_iteratorINS6_10device_ptrIS8_EEEEPS9_mNS6_4lessIS8_EEEE10hipError_tT0_T1_T2_jT3_P12ihipStream_tbPNSt15iterator_traitsISL_E10value_typeEPNSR_ISM_E10value_typeEPSN_NS1_7vsmem_tEENKUlT_SL_SM_SN_E_clISG_PS8_SH_SH_EESK_S10_SL_SM_SN_EUlS10_E1_NS1_11comp_targetILNS1_3genE2ELNS1_11target_archE906ELNS1_3gpuE6ELNS1_3repE0EEENS1_36merge_oddeven_config_static_selectorELNS0_4arch9wavefront6targetE0EEEvSM_,"axG",@progbits,_ZN7rocprim17ROCPRIM_400000_NS6detail17trampoline_kernelINS0_14default_configENS1_38merge_sort_block_merge_config_selectorIN6thrust23THRUST_200600_302600_NS4pairIiiEENS0_10empty_typeEEEZZNS1_27merge_sort_block_merge_implIS3_NS6_6detail15normal_iteratorINS6_10device_ptrIS8_EEEEPS9_mNS6_4lessIS8_EEEE10hipError_tT0_T1_T2_jT3_P12ihipStream_tbPNSt15iterator_traitsISL_E10value_typeEPNSR_ISM_E10value_typeEPSN_NS1_7vsmem_tEENKUlT_SL_SM_SN_E_clISG_PS8_SH_SH_EESK_S10_SL_SM_SN_EUlS10_E1_NS1_11comp_targetILNS1_3genE2ELNS1_11target_archE906ELNS1_3gpuE6ELNS1_3repE0EEENS1_36merge_oddeven_config_static_selectorELNS0_4arch9wavefront6targetE0EEEvSM_,comdat
.Lfunc_end678:
	.size	_ZN7rocprim17ROCPRIM_400000_NS6detail17trampoline_kernelINS0_14default_configENS1_38merge_sort_block_merge_config_selectorIN6thrust23THRUST_200600_302600_NS4pairIiiEENS0_10empty_typeEEEZZNS1_27merge_sort_block_merge_implIS3_NS6_6detail15normal_iteratorINS6_10device_ptrIS8_EEEEPS9_mNS6_4lessIS8_EEEE10hipError_tT0_T1_T2_jT3_P12ihipStream_tbPNSt15iterator_traitsISL_E10value_typeEPNSR_ISM_E10value_typeEPSN_NS1_7vsmem_tEENKUlT_SL_SM_SN_E_clISG_PS8_SH_SH_EESK_S10_SL_SM_SN_EUlS10_E1_NS1_11comp_targetILNS1_3genE2ELNS1_11target_archE906ELNS1_3gpuE6ELNS1_3repE0EEENS1_36merge_oddeven_config_static_selectorELNS0_4arch9wavefront6targetE0EEEvSM_, .Lfunc_end678-_ZN7rocprim17ROCPRIM_400000_NS6detail17trampoline_kernelINS0_14default_configENS1_38merge_sort_block_merge_config_selectorIN6thrust23THRUST_200600_302600_NS4pairIiiEENS0_10empty_typeEEEZZNS1_27merge_sort_block_merge_implIS3_NS6_6detail15normal_iteratorINS6_10device_ptrIS8_EEEEPS9_mNS6_4lessIS8_EEEE10hipError_tT0_T1_T2_jT3_P12ihipStream_tbPNSt15iterator_traitsISL_E10value_typeEPNSR_ISM_E10value_typeEPSN_NS1_7vsmem_tEENKUlT_SL_SM_SN_E_clISG_PS8_SH_SH_EESK_S10_SL_SM_SN_EUlS10_E1_NS1_11comp_targetILNS1_3genE2ELNS1_11target_archE906ELNS1_3gpuE6ELNS1_3repE0EEENS1_36merge_oddeven_config_static_selectorELNS0_4arch9wavefront6targetE0EEEvSM_
                                        ; -- End function
	.set _ZN7rocprim17ROCPRIM_400000_NS6detail17trampoline_kernelINS0_14default_configENS1_38merge_sort_block_merge_config_selectorIN6thrust23THRUST_200600_302600_NS4pairIiiEENS0_10empty_typeEEEZZNS1_27merge_sort_block_merge_implIS3_NS6_6detail15normal_iteratorINS6_10device_ptrIS8_EEEEPS9_mNS6_4lessIS8_EEEE10hipError_tT0_T1_T2_jT3_P12ihipStream_tbPNSt15iterator_traitsISL_E10value_typeEPNSR_ISM_E10value_typeEPSN_NS1_7vsmem_tEENKUlT_SL_SM_SN_E_clISG_PS8_SH_SH_EESK_S10_SL_SM_SN_EUlS10_E1_NS1_11comp_targetILNS1_3genE2ELNS1_11target_archE906ELNS1_3gpuE6ELNS1_3repE0EEENS1_36merge_oddeven_config_static_selectorELNS0_4arch9wavefront6targetE0EEEvSM_.num_vgpr, 0
	.set _ZN7rocprim17ROCPRIM_400000_NS6detail17trampoline_kernelINS0_14default_configENS1_38merge_sort_block_merge_config_selectorIN6thrust23THRUST_200600_302600_NS4pairIiiEENS0_10empty_typeEEEZZNS1_27merge_sort_block_merge_implIS3_NS6_6detail15normal_iteratorINS6_10device_ptrIS8_EEEEPS9_mNS6_4lessIS8_EEEE10hipError_tT0_T1_T2_jT3_P12ihipStream_tbPNSt15iterator_traitsISL_E10value_typeEPNSR_ISM_E10value_typeEPSN_NS1_7vsmem_tEENKUlT_SL_SM_SN_E_clISG_PS8_SH_SH_EESK_S10_SL_SM_SN_EUlS10_E1_NS1_11comp_targetILNS1_3genE2ELNS1_11target_archE906ELNS1_3gpuE6ELNS1_3repE0EEENS1_36merge_oddeven_config_static_selectorELNS0_4arch9wavefront6targetE0EEEvSM_.num_agpr, 0
	.set _ZN7rocprim17ROCPRIM_400000_NS6detail17trampoline_kernelINS0_14default_configENS1_38merge_sort_block_merge_config_selectorIN6thrust23THRUST_200600_302600_NS4pairIiiEENS0_10empty_typeEEEZZNS1_27merge_sort_block_merge_implIS3_NS6_6detail15normal_iteratorINS6_10device_ptrIS8_EEEEPS9_mNS6_4lessIS8_EEEE10hipError_tT0_T1_T2_jT3_P12ihipStream_tbPNSt15iterator_traitsISL_E10value_typeEPNSR_ISM_E10value_typeEPSN_NS1_7vsmem_tEENKUlT_SL_SM_SN_E_clISG_PS8_SH_SH_EESK_S10_SL_SM_SN_EUlS10_E1_NS1_11comp_targetILNS1_3genE2ELNS1_11target_archE906ELNS1_3gpuE6ELNS1_3repE0EEENS1_36merge_oddeven_config_static_selectorELNS0_4arch9wavefront6targetE0EEEvSM_.numbered_sgpr, 0
	.set _ZN7rocprim17ROCPRIM_400000_NS6detail17trampoline_kernelINS0_14default_configENS1_38merge_sort_block_merge_config_selectorIN6thrust23THRUST_200600_302600_NS4pairIiiEENS0_10empty_typeEEEZZNS1_27merge_sort_block_merge_implIS3_NS6_6detail15normal_iteratorINS6_10device_ptrIS8_EEEEPS9_mNS6_4lessIS8_EEEE10hipError_tT0_T1_T2_jT3_P12ihipStream_tbPNSt15iterator_traitsISL_E10value_typeEPNSR_ISM_E10value_typeEPSN_NS1_7vsmem_tEENKUlT_SL_SM_SN_E_clISG_PS8_SH_SH_EESK_S10_SL_SM_SN_EUlS10_E1_NS1_11comp_targetILNS1_3genE2ELNS1_11target_archE906ELNS1_3gpuE6ELNS1_3repE0EEENS1_36merge_oddeven_config_static_selectorELNS0_4arch9wavefront6targetE0EEEvSM_.num_named_barrier, 0
	.set _ZN7rocprim17ROCPRIM_400000_NS6detail17trampoline_kernelINS0_14default_configENS1_38merge_sort_block_merge_config_selectorIN6thrust23THRUST_200600_302600_NS4pairIiiEENS0_10empty_typeEEEZZNS1_27merge_sort_block_merge_implIS3_NS6_6detail15normal_iteratorINS6_10device_ptrIS8_EEEEPS9_mNS6_4lessIS8_EEEE10hipError_tT0_T1_T2_jT3_P12ihipStream_tbPNSt15iterator_traitsISL_E10value_typeEPNSR_ISM_E10value_typeEPSN_NS1_7vsmem_tEENKUlT_SL_SM_SN_E_clISG_PS8_SH_SH_EESK_S10_SL_SM_SN_EUlS10_E1_NS1_11comp_targetILNS1_3genE2ELNS1_11target_archE906ELNS1_3gpuE6ELNS1_3repE0EEENS1_36merge_oddeven_config_static_selectorELNS0_4arch9wavefront6targetE0EEEvSM_.private_seg_size, 0
	.set _ZN7rocprim17ROCPRIM_400000_NS6detail17trampoline_kernelINS0_14default_configENS1_38merge_sort_block_merge_config_selectorIN6thrust23THRUST_200600_302600_NS4pairIiiEENS0_10empty_typeEEEZZNS1_27merge_sort_block_merge_implIS3_NS6_6detail15normal_iteratorINS6_10device_ptrIS8_EEEEPS9_mNS6_4lessIS8_EEEE10hipError_tT0_T1_T2_jT3_P12ihipStream_tbPNSt15iterator_traitsISL_E10value_typeEPNSR_ISM_E10value_typeEPSN_NS1_7vsmem_tEENKUlT_SL_SM_SN_E_clISG_PS8_SH_SH_EESK_S10_SL_SM_SN_EUlS10_E1_NS1_11comp_targetILNS1_3genE2ELNS1_11target_archE906ELNS1_3gpuE6ELNS1_3repE0EEENS1_36merge_oddeven_config_static_selectorELNS0_4arch9wavefront6targetE0EEEvSM_.uses_vcc, 0
	.set _ZN7rocprim17ROCPRIM_400000_NS6detail17trampoline_kernelINS0_14default_configENS1_38merge_sort_block_merge_config_selectorIN6thrust23THRUST_200600_302600_NS4pairIiiEENS0_10empty_typeEEEZZNS1_27merge_sort_block_merge_implIS3_NS6_6detail15normal_iteratorINS6_10device_ptrIS8_EEEEPS9_mNS6_4lessIS8_EEEE10hipError_tT0_T1_T2_jT3_P12ihipStream_tbPNSt15iterator_traitsISL_E10value_typeEPNSR_ISM_E10value_typeEPSN_NS1_7vsmem_tEENKUlT_SL_SM_SN_E_clISG_PS8_SH_SH_EESK_S10_SL_SM_SN_EUlS10_E1_NS1_11comp_targetILNS1_3genE2ELNS1_11target_archE906ELNS1_3gpuE6ELNS1_3repE0EEENS1_36merge_oddeven_config_static_selectorELNS0_4arch9wavefront6targetE0EEEvSM_.uses_flat_scratch, 0
	.set _ZN7rocprim17ROCPRIM_400000_NS6detail17trampoline_kernelINS0_14default_configENS1_38merge_sort_block_merge_config_selectorIN6thrust23THRUST_200600_302600_NS4pairIiiEENS0_10empty_typeEEEZZNS1_27merge_sort_block_merge_implIS3_NS6_6detail15normal_iteratorINS6_10device_ptrIS8_EEEEPS9_mNS6_4lessIS8_EEEE10hipError_tT0_T1_T2_jT3_P12ihipStream_tbPNSt15iterator_traitsISL_E10value_typeEPNSR_ISM_E10value_typeEPSN_NS1_7vsmem_tEENKUlT_SL_SM_SN_E_clISG_PS8_SH_SH_EESK_S10_SL_SM_SN_EUlS10_E1_NS1_11comp_targetILNS1_3genE2ELNS1_11target_archE906ELNS1_3gpuE6ELNS1_3repE0EEENS1_36merge_oddeven_config_static_selectorELNS0_4arch9wavefront6targetE0EEEvSM_.has_dyn_sized_stack, 0
	.set _ZN7rocprim17ROCPRIM_400000_NS6detail17trampoline_kernelINS0_14default_configENS1_38merge_sort_block_merge_config_selectorIN6thrust23THRUST_200600_302600_NS4pairIiiEENS0_10empty_typeEEEZZNS1_27merge_sort_block_merge_implIS3_NS6_6detail15normal_iteratorINS6_10device_ptrIS8_EEEEPS9_mNS6_4lessIS8_EEEE10hipError_tT0_T1_T2_jT3_P12ihipStream_tbPNSt15iterator_traitsISL_E10value_typeEPNSR_ISM_E10value_typeEPSN_NS1_7vsmem_tEENKUlT_SL_SM_SN_E_clISG_PS8_SH_SH_EESK_S10_SL_SM_SN_EUlS10_E1_NS1_11comp_targetILNS1_3genE2ELNS1_11target_archE906ELNS1_3gpuE6ELNS1_3repE0EEENS1_36merge_oddeven_config_static_selectorELNS0_4arch9wavefront6targetE0EEEvSM_.has_recursion, 0
	.set _ZN7rocprim17ROCPRIM_400000_NS6detail17trampoline_kernelINS0_14default_configENS1_38merge_sort_block_merge_config_selectorIN6thrust23THRUST_200600_302600_NS4pairIiiEENS0_10empty_typeEEEZZNS1_27merge_sort_block_merge_implIS3_NS6_6detail15normal_iteratorINS6_10device_ptrIS8_EEEEPS9_mNS6_4lessIS8_EEEE10hipError_tT0_T1_T2_jT3_P12ihipStream_tbPNSt15iterator_traitsISL_E10value_typeEPNSR_ISM_E10value_typeEPSN_NS1_7vsmem_tEENKUlT_SL_SM_SN_E_clISG_PS8_SH_SH_EESK_S10_SL_SM_SN_EUlS10_E1_NS1_11comp_targetILNS1_3genE2ELNS1_11target_archE906ELNS1_3gpuE6ELNS1_3repE0EEENS1_36merge_oddeven_config_static_selectorELNS0_4arch9wavefront6targetE0EEEvSM_.has_indirect_call, 0
	.section	.AMDGPU.csdata,"",@progbits
; Kernel info:
; codeLenInByte = 0
; TotalNumSgprs: 0
; NumVgprs: 0
; ScratchSize: 0
; MemoryBound: 0
; FloatMode: 240
; IeeeMode: 1
; LDSByteSize: 0 bytes/workgroup (compile time only)
; SGPRBlocks: 0
; VGPRBlocks: 0
; NumSGPRsForWavesPerEU: 1
; NumVGPRsForWavesPerEU: 1
; Occupancy: 16
; WaveLimiterHint : 0
; COMPUTE_PGM_RSRC2:SCRATCH_EN: 0
; COMPUTE_PGM_RSRC2:USER_SGPR: 6
; COMPUTE_PGM_RSRC2:TRAP_HANDLER: 0
; COMPUTE_PGM_RSRC2:TGID_X_EN: 1
; COMPUTE_PGM_RSRC2:TGID_Y_EN: 0
; COMPUTE_PGM_RSRC2:TGID_Z_EN: 0
; COMPUTE_PGM_RSRC2:TIDIG_COMP_CNT: 0
	.section	.text._ZN7rocprim17ROCPRIM_400000_NS6detail17trampoline_kernelINS0_14default_configENS1_38merge_sort_block_merge_config_selectorIN6thrust23THRUST_200600_302600_NS4pairIiiEENS0_10empty_typeEEEZZNS1_27merge_sort_block_merge_implIS3_NS6_6detail15normal_iteratorINS6_10device_ptrIS8_EEEEPS9_mNS6_4lessIS8_EEEE10hipError_tT0_T1_T2_jT3_P12ihipStream_tbPNSt15iterator_traitsISL_E10value_typeEPNSR_ISM_E10value_typeEPSN_NS1_7vsmem_tEENKUlT_SL_SM_SN_E_clISG_PS8_SH_SH_EESK_S10_SL_SM_SN_EUlS10_E1_NS1_11comp_targetILNS1_3genE9ELNS1_11target_archE1100ELNS1_3gpuE3ELNS1_3repE0EEENS1_36merge_oddeven_config_static_selectorELNS0_4arch9wavefront6targetE0EEEvSM_,"axG",@progbits,_ZN7rocprim17ROCPRIM_400000_NS6detail17trampoline_kernelINS0_14default_configENS1_38merge_sort_block_merge_config_selectorIN6thrust23THRUST_200600_302600_NS4pairIiiEENS0_10empty_typeEEEZZNS1_27merge_sort_block_merge_implIS3_NS6_6detail15normal_iteratorINS6_10device_ptrIS8_EEEEPS9_mNS6_4lessIS8_EEEE10hipError_tT0_T1_T2_jT3_P12ihipStream_tbPNSt15iterator_traitsISL_E10value_typeEPNSR_ISM_E10value_typeEPSN_NS1_7vsmem_tEENKUlT_SL_SM_SN_E_clISG_PS8_SH_SH_EESK_S10_SL_SM_SN_EUlS10_E1_NS1_11comp_targetILNS1_3genE9ELNS1_11target_archE1100ELNS1_3gpuE3ELNS1_3repE0EEENS1_36merge_oddeven_config_static_selectorELNS0_4arch9wavefront6targetE0EEEvSM_,comdat
	.protected	_ZN7rocprim17ROCPRIM_400000_NS6detail17trampoline_kernelINS0_14default_configENS1_38merge_sort_block_merge_config_selectorIN6thrust23THRUST_200600_302600_NS4pairIiiEENS0_10empty_typeEEEZZNS1_27merge_sort_block_merge_implIS3_NS6_6detail15normal_iteratorINS6_10device_ptrIS8_EEEEPS9_mNS6_4lessIS8_EEEE10hipError_tT0_T1_T2_jT3_P12ihipStream_tbPNSt15iterator_traitsISL_E10value_typeEPNSR_ISM_E10value_typeEPSN_NS1_7vsmem_tEENKUlT_SL_SM_SN_E_clISG_PS8_SH_SH_EESK_S10_SL_SM_SN_EUlS10_E1_NS1_11comp_targetILNS1_3genE9ELNS1_11target_archE1100ELNS1_3gpuE3ELNS1_3repE0EEENS1_36merge_oddeven_config_static_selectorELNS0_4arch9wavefront6targetE0EEEvSM_ ; -- Begin function _ZN7rocprim17ROCPRIM_400000_NS6detail17trampoline_kernelINS0_14default_configENS1_38merge_sort_block_merge_config_selectorIN6thrust23THRUST_200600_302600_NS4pairIiiEENS0_10empty_typeEEEZZNS1_27merge_sort_block_merge_implIS3_NS6_6detail15normal_iteratorINS6_10device_ptrIS8_EEEEPS9_mNS6_4lessIS8_EEEE10hipError_tT0_T1_T2_jT3_P12ihipStream_tbPNSt15iterator_traitsISL_E10value_typeEPNSR_ISM_E10value_typeEPSN_NS1_7vsmem_tEENKUlT_SL_SM_SN_E_clISG_PS8_SH_SH_EESK_S10_SL_SM_SN_EUlS10_E1_NS1_11comp_targetILNS1_3genE9ELNS1_11target_archE1100ELNS1_3gpuE3ELNS1_3repE0EEENS1_36merge_oddeven_config_static_selectorELNS0_4arch9wavefront6targetE0EEEvSM_
	.globl	_ZN7rocprim17ROCPRIM_400000_NS6detail17trampoline_kernelINS0_14default_configENS1_38merge_sort_block_merge_config_selectorIN6thrust23THRUST_200600_302600_NS4pairIiiEENS0_10empty_typeEEEZZNS1_27merge_sort_block_merge_implIS3_NS6_6detail15normal_iteratorINS6_10device_ptrIS8_EEEEPS9_mNS6_4lessIS8_EEEE10hipError_tT0_T1_T2_jT3_P12ihipStream_tbPNSt15iterator_traitsISL_E10value_typeEPNSR_ISM_E10value_typeEPSN_NS1_7vsmem_tEENKUlT_SL_SM_SN_E_clISG_PS8_SH_SH_EESK_S10_SL_SM_SN_EUlS10_E1_NS1_11comp_targetILNS1_3genE9ELNS1_11target_archE1100ELNS1_3gpuE3ELNS1_3repE0EEENS1_36merge_oddeven_config_static_selectorELNS0_4arch9wavefront6targetE0EEEvSM_
	.p2align	8
	.type	_ZN7rocprim17ROCPRIM_400000_NS6detail17trampoline_kernelINS0_14default_configENS1_38merge_sort_block_merge_config_selectorIN6thrust23THRUST_200600_302600_NS4pairIiiEENS0_10empty_typeEEEZZNS1_27merge_sort_block_merge_implIS3_NS6_6detail15normal_iteratorINS6_10device_ptrIS8_EEEEPS9_mNS6_4lessIS8_EEEE10hipError_tT0_T1_T2_jT3_P12ihipStream_tbPNSt15iterator_traitsISL_E10value_typeEPNSR_ISM_E10value_typeEPSN_NS1_7vsmem_tEENKUlT_SL_SM_SN_E_clISG_PS8_SH_SH_EESK_S10_SL_SM_SN_EUlS10_E1_NS1_11comp_targetILNS1_3genE9ELNS1_11target_archE1100ELNS1_3gpuE3ELNS1_3repE0EEENS1_36merge_oddeven_config_static_selectorELNS0_4arch9wavefront6targetE0EEEvSM_,@function
_ZN7rocprim17ROCPRIM_400000_NS6detail17trampoline_kernelINS0_14default_configENS1_38merge_sort_block_merge_config_selectorIN6thrust23THRUST_200600_302600_NS4pairIiiEENS0_10empty_typeEEEZZNS1_27merge_sort_block_merge_implIS3_NS6_6detail15normal_iteratorINS6_10device_ptrIS8_EEEEPS9_mNS6_4lessIS8_EEEE10hipError_tT0_T1_T2_jT3_P12ihipStream_tbPNSt15iterator_traitsISL_E10value_typeEPNSR_ISM_E10value_typeEPSN_NS1_7vsmem_tEENKUlT_SL_SM_SN_E_clISG_PS8_SH_SH_EESK_S10_SL_SM_SN_EUlS10_E1_NS1_11comp_targetILNS1_3genE9ELNS1_11target_archE1100ELNS1_3gpuE3ELNS1_3repE0EEENS1_36merge_oddeven_config_static_selectorELNS0_4arch9wavefront6targetE0EEEvSM_: ; @_ZN7rocprim17ROCPRIM_400000_NS6detail17trampoline_kernelINS0_14default_configENS1_38merge_sort_block_merge_config_selectorIN6thrust23THRUST_200600_302600_NS4pairIiiEENS0_10empty_typeEEEZZNS1_27merge_sort_block_merge_implIS3_NS6_6detail15normal_iteratorINS6_10device_ptrIS8_EEEEPS9_mNS6_4lessIS8_EEEE10hipError_tT0_T1_T2_jT3_P12ihipStream_tbPNSt15iterator_traitsISL_E10value_typeEPNSR_ISM_E10value_typeEPSN_NS1_7vsmem_tEENKUlT_SL_SM_SN_E_clISG_PS8_SH_SH_EESK_S10_SL_SM_SN_EUlS10_E1_NS1_11comp_targetILNS1_3genE9ELNS1_11target_archE1100ELNS1_3gpuE3ELNS1_3repE0EEENS1_36merge_oddeven_config_static_selectorELNS0_4arch9wavefront6targetE0EEEvSM_
; %bb.0:
	.section	.rodata,"a",@progbits
	.p2align	6, 0x0
	.amdhsa_kernel _ZN7rocprim17ROCPRIM_400000_NS6detail17trampoline_kernelINS0_14default_configENS1_38merge_sort_block_merge_config_selectorIN6thrust23THRUST_200600_302600_NS4pairIiiEENS0_10empty_typeEEEZZNS1_27merge_sort_block_merge_implIS3_NS6_6detail15normal_iteratorINS6_10device_ptrIS8_EEEEPS9_mNS6_4lessIS8_EEEE10hipError_tT0_T1_T2_jT3_P12ihipStream_tbPNSt15iterator_traitsISL_E10value_typeEPNSR_ISM_E10value_typeEPSN_NS1_7vsmem_tEENKUlT_SL_SM_SN_E_clISG_PS8_SH_SH_EESK_S10_SL_SM_SN_EUlS10_E1_NS1_11comp_targetILNS1_3genE9ELNS1_11target_archE1100ELNS1_3gpuE3ELNS1_3repE0EEENS1_36merge_oddeven_config_static_selectorELNS0_4arch9wavefront6targetE0EEEvSM_
		.amdhsa_group_segment_fixed_size 0
		.amdhsa_private_segment_fixed_size 0
		.amdhsa_kernarg_size 56
		.amdhsa_user_sgpr_count 6
		.amdhsa_user_sgpr_private_segment_buffer 1
		.amdhsa_user_sgpr_dispatch_ptr 0
		.amdhsa_user_sgpr_queue_ptr 0
		.amdhsa_user_sgpr_kernarg_segment_ptr 1
		.amdhsa_user_sgpr_dispatch_id 0
		.amdhsa_user_sgpr_flat_scratch_init 0
		.amdhsa_user_sgpr_private_segment_size 0
		.amdhsa_wavefront_size32 1
		.amdhsa_uses_dynamic_stack 0
		.amdhsa_system_sgpr_private_segment_wavefront_offset 0
		.amdhsa_system_sgpr_workgroup_id_x 1
		.amdhsa_system_sgpr_workgroup_id_y 0
		.amdhsa_system_sgpr_workgroup_id_z 0
		.amdhsa_system_sgpr_workgroup_info 0
		.amdhsa_system_vgpr_workitem_id 0
		.amdhsa_next_free_vgpr 1
		.amdhsa_next_free_sgpr 1
		.amdhsa_reserve_vcc 0
		.amdhsa_reserve_flat_scratch 0
		.amdhsa_float_round_mode_32 0
		.amdhsa_float_round_mode_16_64 0
		.amdhsa_float_denorm_mode_32 3
		.amdhsa_float_denorm_mode_16_64 3
		.amdhsa_dx10_clamp 1
		.amdhsa_ieee_mode 1
		.amdhsa_fp16_overflow 0
		.amdhsa_workgroup_processor_mode 1
		.amdhsa_memory_ordered 1
		.amdhsa_forward_progress 1
		.amdhsa_shared_vgpr_count 0
		.amdhsa_exception_fp_ieee_invalid_op 0
		.amdhsa_exception_fp_denorm_src 0
		.amdhsa_exception_fp_ieee_div_zero 0
		.amdhsa_exception_fp_ieee_overflow 0
		.amdhsa_exception_fp_ieee_underflow 0
		.amdhsa_exception_fp_ieee_inexact 0
		.amdhsa_exception_int_div_zero 0
	.end_amdhsa_kernel
	.section	.text._ZN7rocprim17ROCPRIM_400000_NS6detail17trampoline_kernelINS0_14default_configENS1_38merge_sort_block_merge_config_selectorIN6thrust23THRUST_200600_302600_NS4pairIiiEENS0_10empty_typeEEEZZNS1_27merge_sort_block_merge_implIS3_NS6_6detail15normal_iteratorINS6_10device_ptrIS8_EEEEPS9_mNS6_4lessIS8_EEEE10hipError_tT0_T1_T2_jT3_P12ihipStream_tbPNSt15iterator_traitsISL_E10value_typeEPNSR_ISM_E10value_typeEPSN_NS1_7vsmem_tEENKUlT_SL_SM_SN_E_clISG_PS8_SH_SH_EESK_S10_SL_SM_SN_EUlS10_E1_NS1_11comp_targetILNS1_3genE9ELNS1_11target_archE1100ELNS1_3gpuE3ELNS1_3repE0EEENS1_36merge_oddeven_config_static_selectorELNS0_4arch9wavefront6targetE0EEEvSM_,"axG",@progbits,_ZN7rocprim17ROCPRIM_400000_NS6detail17trampoline_kernelINS0_14default_configENS1_38merge_sort_block_merge_config_selectorIN6thrust23THRUST_200600_302600_NS4pairIiiEENS0_10empty_typeEEEZZNS1_27merge_sort_block_merge_implIS3_NS6_6detail15normal_iteratorINS6_10device_ptrIS8_EEEEPS9_mNS6_4lessIS8_EEEE10hipError_tT0_T1_T2_jT3_P12ihipStream_tbPNSt15iterator_traitsISL_E10value_typeEPNSR_ISM_E10value_typeEPSN_NS1_7vsmem_tEENKUlT_SL_SM_SN_E_clISG_PS8_SH_SH_EESK_S10_SL_SM_SN_EUlS10_E1_NS1_11comp_targetILNS1_3genE9ELNS1_11target_archE1100ELNS1_3gpuE3ELNS1_3repE0EEENS1_36merge_oddeven_config_static_selectorELNS0_4arch9wavefront6targetE0EEEvSM_,comdat
.Lfunc_end679:
	.size	_ZN7rocprim17ROCPRIM_400000_NS6detail17trampoline_kernelINS0_14default_configENS1_38merge_sort_block_merge_config_selectorIN6thrust23THRUST_200600_302600_NS4pairIiiEENS0_10empty_typeEEEZZNS1_27merge_sort_block_merge_implIS3_NS6_6detail15normal_iteratorINS6_10device_ptrIS8_EEEEPS9_mNS6_4lessIS8_EEEE10hipError_tT0_T1_T2_jT3_P12ihipStream_tbPNSt15iterator_traitsISL_E10value_typeEPNSR_ISM_E10value_typeEPSN_NS1_7vsmem_tEENKUlT_SL_SM_SN_E_clISG_PS8_SH_SH_EESK_S10_SL_SM_SN_EUlS10_E1_NS1_11comp_targetILNS1_3genE9ELNS1_11target_archE1100ELNS1_3gpuE3ELNS1_3repE0EEENS1_36merge_oddeven_config_static_selectorELNS0_4arch9wavefront6targetE0EEEvSM_, .Lfunc_end679-_ZN7rocprim17ROCPRIM_400000_NS6detail17trampoline_kernelINS0_14default_configENS1_38merge_sort_block_merge_config_selectorIN6thrust23THRUST_200600_302600_NS4pairIiiEENS0_10empty_typeEEEZZNS1_27merge_sort_block_merge_implIS3_NS6_6detail15normal_iteratorINS6_10device_ptrIS8_EEEEPS9_mNS6_4lessIS8_EEEE10hipError_tT0_T1_T2_jT3_P12ihipStream_tbPNSt15iterator_traitsISL_E10value_typeEPNSR_ISM_E10value_typeEPSN_NS1_7vsmem_tEENKUlT_SL_SM_SN_E_clISG_PS8_SH_SH_EESK_S10_SL_SM_SN_EUlS10_E1_NS1_11comp_targetILNS1_3genE9ELNS1_11target_archE1100ELNS1_3gpuE3ELNS1_3repE0EEENS1_36merge_oddeven_config_static_selectorELNS0_4arch9wavefront6targetE0EEEvSM_
                                        ; -- End function
	.set _ZN7rocprim17ROCPRIM_400000_NS6detail17trampoline_kernelINS0_14default_configENS1_38merge_sort_block_merge_config_selectorIN6thrust23THRUST_200600_302600_NS4pairIiiEENS0_10empty_typeEEEZZNS1_27merge_sort_block_merge_implIS3_NS6_6detail15normal_iteratorINS6_10device_ptrIS8_EEEEPS9_mNS6_4lessIS8_EEEE10hipError_tT0_T1_T2_jT3_P12ihipStream_tbPNSt15iterator_traitsISL_E10value_typeEPNSR_ISM_E10value_typeEPSN_NS1_7vsmem_tEENKUlT_SL_SM_SN_E_clISG_PS8_SH_SH_EESK_S10_SL_SM_SN_EUlS10_E1_NS1_11comp_targetILNS1_3genE9ELNS1_11target_archE1100ELNS1_3gpuE3ELNS1_3repE0EEENS1_36merge_oddeven_config_static_selectorELNS0_4arch9wavefront6targetE0EEEvSM_.num_vgpr, 0
	.set _ZN7rocprim17ROCPRIM_400000_NS6detail17trampoline_kernelINS0_14default_configENS1_38merge_sort_block_merge_config_selectorIN6thrust23THRUST_200600_302600_NS4pairIiiEENS0_10empty_typeEEEZZNS1_27merge_sort_block_merge_implIS3_NS6_6detail15normal_iteratorINS6_10device_ptrIS8_EEEEPS9_mNS6_4lessIS8_EEEE10hipError_tT0_T1_T2_jT3_P12ihipStream_tbPNSt15iterator_traitsISL_E10value_typeEPNSR_ISM_E10value_typeEPSN_NS1_7vsmem_tEENKUlT_SL_SM_SN_E_clISG_PS8_SH_SH_EESK_S10_SL_SM_SN_EUlS10_E1_NS1_11comp_targetILNS1_3genE9ELNS1_11target_archE1100ELNS1_3gpuE3ELNS1_3repE0EEENS1_36merge_oddeven_config_static_selectorELNS0_4arch9wavefront6targetE0EEEvSM_.num_agpr, 0
	.set _ZN7rocprim17ROCPRIM_400000_NS6detail17trampoline_kernelINS0_14default_configENS1_38merge_sort_block_merge_config_selectorIN6thrust23THRUST_200600_302600_NS4pairIiiEENS0_10empty_typeEEEZZNS1_27merge_sort_block_merge_implIS3_NS6_6detail15normal_iteratorINS6_10device_ptrIS8_EEEEPS9_mNS6_4lessIS8_EEEE10hipError_tT0_T1_T2_jT3_P12ihipStream_tbPNSt15iterator_traitsISL_E10value_typeEPNSR_ISM_E10value_typeEPSN_NS1_7vsmem_tEENKUlT_SL_SM_SN_E_clISG_PS8_SH_SH_EESK_S10_SL_SM_SN_EUlS10_E1_NS1_11comp_targetILNS1_3genE9ELNS1_11target_archE1100ELNS1_3gpuE3ELNS1_3repE0EEENS1_36merge_oddeven_config_static_selectorELNS0_4arch9wavefront6targetE0EEEvSM_.numbered_sgpr, 0
	.set _ZN7rocprim17ROCPRIM_400000_NS6detail17trampoline_kernelINS0_14default_configENS1_38merge_sort_block_merge_config_selectorIN6thrust23THRUST_200600_302600_NS4pairIiiEENS0_10empty_typeEEEZZNS1_27merge_sort_block_merge_implIS3_NS6_6detail15normal_iteratorINS6_10device_ptrIS8_EEEEPS9_mNS6_4lessIS8_EEEE10hipError_tT0_T1_T2_jT3_P12ihipStream_tbPNSt15iterator_traitsISL_E10value_typeEPNSR_ISM_E10value_typeEPSN_NS1_7vsmem_tEENKUlT_SL_SM_SN_E_clISG_PS8_SH_SH_EESK_S10_SL_SM_SN_EUlS10_E1_NS1_11comp_targetILNS1_3genE9ELNS1_11target_archE1100ELNS1_3gpuE3ELNS1_3repE0EEENS1_36merge_oddeven_config_static_selectorELNS0_4arch9wavefront6targetE0EEEvSM_.num_named_barrier, 0
	.set _ZN7rocprim17ROCPRIM_400000_NS6detail17trampoline_kernelINS0_14default_configENS1_38merge_sort_block_merge_config_selectorIN6thrust23THRUST_200600_302600_NS4pairIiiEENS0_10empty_typeEEEZZNS1_27merge_sort_block_merge_implIS3_NS6_6detail15normal_iteratorINS6_10device_ptrIS8_EEEEPS9_mNS6_4lessIS8_EEEE10hipError_tT0_T1_T2_jT3_P12ihipStream_tbPNSt15iterator_traitsISL_E10value_typeEPNSR_ISM_E10value_typeEPSN_NS1_7vsmem_tEENKUlT_SL_SM_SN_E_clISG_PS8_SH_SH_EESK_S10_SL_SM_SN_EUlS10_E1_NS1_11comp_targetILNS1_3genE9ELNS1_11target_archE1100ELNS1_3gpuE3ELNS1_3repE0EEENS1_36merge_oddeven_config_static_selectorELNS0_4arch9wavefront6targetE0EEEvSM_.private_seg_size, 0
	.set _ZN7rocprim17ROCPRIM_400000_NS6detail17trampoline_kernelINS0_14default_configENS1_38merge_sort_block_merge_config_selectorIN6thrust23THRUST_200600_302600_NS4pairIiiEENS0_10empty_typeEEEZZNS1_27merge_sort_block_merge_implIS3_NS6_6detail15normal_iteratorINS6_10device_ptrIS8_EEEEPS9_mNS6_4lessIS8_EEEE10hipError_tT0_T1_T2_jT3_P12ihipStream_tbPNSt15iterator_traitsISL_E10value_typeEPNSR_ISM_E10value_typeEPSN_NS1_7vsmem_tEENKUlT_SL_SM_SN_E_clISG_PS8_SH_SH_EESK_S10_SL_SM_SN_EUlS10_E1_NS1_11comp_targetILNS1_3genE9ELNS1_11target_archE1100ELNS1_3gpuE3ELNS1_3repE0EEENS1_36merge_oddeven_config_static_selectorELNS0_4arch9wavefront6targetE0EEEvSM_.uses_vcc, 0
	.set _ZN7rocprim17ROCPRIM_400000_NS6detail17trampoline_kernelINS0_14default_configENS1_38merge_sort_block_merge_config_selectorIN6thrust23THRUST_200600_302600_NS4pairIiiEENS0_10empty_typeEEEZZNS1_27merge_sort_block_merge_implIS3_NS6_6detail15normal_iteratorINS6_10device_ptrIS8_EEEEPS9_mNS6_4lessIS8_EEEE10hipError_tT0_T1_T2_jT3_P12ihipStream_tbPNSt15iterator_traitsISL_E10value_typeEPNSR_ISM_E10value_typeEPSN_NS1_7vsmem_tEENKUlT_SL_SM_SN_E_clISG_PS8_SH_SH_EESK_S10_SL_SM_SN_EUlS10_E1_NS1_11comp_targetILNS1_3genE9ELNS1_11target_archE1100ELNS1_3gpuE3ELNS1_3repE0EEENS1_36merge_oddeven_config_static_selectorELNS0_4arch9wavefront6targetE0EEEvSM_.uses_flat_scratch, 0
	.set _ZN7rocprim17ROCPRIM_400000_NS6detail17trampoline_kernelINS0_14default_configENS1_38merge_sort_block_merge_config_selectorIN6thrust23THRUST_200600_302600_NS4pairIiiEENS0_10empty_typeEEEZZNS1_27merge_sort_block_merge_implIS3_NS6_6detail15normal_iteratorINS6_10device_ptrIS8_EEEEPS9_mNS6_4lessIS8_EEEE10hipError_tT0_T1_T2_jT3_P12ihipStream_tbPNSt15iterator_traitsISL_E10value_typeEPNSR_ISM_E10value_typeEPSN_NS1_7vsmem_tEENKUlT_SL_SM_SN_E_clISG_PS8_SH_SH_EESK_S10_SL_SM_SN_EUlS10_E1_NS1_11comp_targetILNS1_3genE9ELNS1_11target_archE1100ELNS1_3gpuE3ELNS1_3repE0EEENS1_36merge_oddeven_config_static_selectorELNS0_4arch9wavefront6targetE0EEEvSM_.has_dyn_sized_stack, 0
	.set _ZN7rocprim17ROCPRIM_400000_NS6detail17trampoline_kernelINS0_14default_configENS1_38merge_sort_block_merge_config_selectorIN6thrust23THRUST_200600_302600_NS4pairIiiEENS0_10empty_typeEEEZZNS1_27merge_sort_block_merge_implIS3_NS6_6detail15normal_iteratorINS6_10device_ptrIS8_EEEEPS9_mNS6_4lessIS8_EEEE10hipError_tT0_T1_T2_jT3_P12ihipStream_tbPNSt15iterator_traitsISL_E10value_typeEPNSR_ISM_E10value_typeEPSN_NS1_7vsmem_tEENKUlT_SL_SM_SN_E_clISG_PS8_SH_SH_EESK_S10_SL_SM_SN_EUlS10_E1_NS1_11comp_targetILNS1_3genE9ELNS1_11target_archE1100ELNS1_3gpuE3ELNS1_3repE0EEENS1_36merge_oddeven_config_static_selectorELNS0_4arch9wavefront6targetE0EEEvSM_.has_recursion, 0
	.set _ZN7rocprim17ROCPRIM_400000_NS6detail17trampoline_kernelINS0_14default_configENS1_38merge_sort_block_merge_config_selectorIN6thrust23THRUST_200600_302600_NS4pairIiiEENS0_10empty_typeEEEZZNS1_27merge_sort_block_merge_implIS3_NS6_6detail15normal_iteratorINS6_10device_ptrIS8_EEEEPS9_mNS6_4lessIS8_EEEE10hipError_tT0_T1_T2_jT3_P12ihipStream_tbPNSt15iterator_traitsISL_E10value_typeEPNSR_ISM_E10value_typeEPSN_NS1_7vsmem_tEENKUlT_SL_SM_SN_E_clISG_PS8_SH_SH_EESK_S10_SL_SM_SN_EUlS10_E1_NS1_11comp_targetILNS1_3genE9ELNS1_11target_archE1100ELNS1_3gpuE3ELNS1_3repE0EEENS1_36merge_oddeven_config_static_selectorELNS0_4arch9wavefront6targetE0EEEvSM_.has_indirect_call, 0
	.section	.AMDGPU.csdata,"",@progbits
; Kernel info:
; codeLenInByte = 0
; TotalNumSgprs: 0
; NumVgprs: 0
; ScratchSize: 0
; MemoryBound: 0
; FloatMode: 240
; IeeeMode: 1
; LDSByteSize: 0 bytes/workgroup (compile time only)
; SGPRBlocks: 0
; VGPRBlocks: 0
; NumSGPRsForWavesPerEU: 1
; NumVGPRsForWavesPerEU: 1
; Occupancy: 16
; WaveLimiterHint : 0
; COMPUTE_PGM_RSRC2:SCRATCH_EN: 0
; COMPUTE_PGM_RSRC2:USER_SGPR: 6
; COMPUTE_PGM_RSRC2:TRAP_HANDLER: 0
; COMPUTE_PGM_RSRC2:TGID_X_EN: 1
; COMPUTE_PGM_RSRC2:TGID_Y_EN: 0
; COMPUTE_PGM_RSRC2:TGID_Z_EN: 0
; COMPUTE_PGM_RSRC2:TIDIG_COMP_CNT: 0
	.section	.text._ZN7rocprim17ROCPRIM_400000_NS6detail17trampoline_kernelINS0_14default_configENS1_38merge_sort_block_merge_config_selectorIN6thrust23THRUST_200600_302600_NS4pairIiiEENS0_10empty_typeEEEZZNS1_27merge_sort_block_merge_implIS3_NS6_6detail15normal_iteratorINS6_10device_ptrIS8_EEEEPS9_mNS6_4lessIS8_EEEE10hipError_tT0_T1_T2_jT3_P12ihipStream_tbPNSt15iterator_traitsISL_E10value_typeEPNSR_ISM_E10value_typeEPSN_NS1_7vsmem_tEENKUlT_SL_SM_SN_E_clISG_PS8_SH_SH_EESK_S10_SL_SM_SN_EUlS10_E1_NS1_11comp_targetILNS1_3genE8ELNS1_11target_archE1030ELNS1_3gpuE2ELNS1_3repE0EEENS1_36merge_oddeven_config_static_selectorELNS0_4arch9wavefront6targetE0EEEvSM_,"axG",@progbits,_ZN7rocprim17ROCPRIM_400000_NS6detail17trampoline_kernelINS0_14default_configENS1_38merge_sort_block_merge_config_selectorIN6thrust23THRUST_200600_302600_NS4pairIiiEENS0_10empty_typeEEEZZNS1_27merge_sort_block_merge_implIS3_NS6_6detail15normal_iteratorINS6_10device_ptrIS8_EEEEPS9_mNS6_4lessIS8_EEEE10hipError_tT0_T1_T2_jT3_P12ihipStream_tbPNSt15iterator_traitsISL_E10value_typeEPNSR_ISM_E10value_typeEPSN_NS1_7vsmem_tEENKUlT_SL_SM_SN_E_clISG_PS8_SH_SH_EESK_S10_SL_SM_SN_EUlS10_E1_NS1_11comp_targetILNS1_3genE8ELNS1_11target_archE1030ELNS1_3gpuE2ELNS1_3repE0EEENS1_36merge_oddeven_config_static_selectorELNS0_4arch9wavefront6targetE0EEEvSM_,comdat
	.protected	_ZN7rocprim17ROCPRIM_400000_NS6detail17trampoline_kernelINS0_14default_configENS1_38merge_sort_block_merge_config_selectorIN6thrust23THRUST_200600_302600_NS4pairIiiEENS0_10empty_typeEEEZZNS1_27merge_sort_block_merge_implIS3_NS6_6detail15normal_iteratorINS6_10device_ptrIS8_EEEEPS9_mNS6_4lessIS8_EEEE10hipError_tT0_T1_T2_jT3_P12ihipStream_tbPNSt15iterator_traitsISL_E10value_typeEPNSR_ISM_E10value_typeEPSN_NS1_7vsmem_tEENKUlT_SL_SM_SN_E_clISG_PS8_SH_SH_EESK_S10_SL_SM_SN_EUlS10_E1_NS1_11comp_targetILNS1_3genE8ELNS1_11target_archE1030ELNS1_3gpuE2ELNS1_3repE0EEENS1_36merge_oddeven_config_static_selectorELNS0_4arch9wavefront6targetE0EEEvSM_ ; -- Begin function _ZN7rocprim17ROCPRIM_400000_NS6detail17trampoline_kernelINS0_14default_configENS1_38merge_sort_block_merge_config_selectorIN6thrust23THRUST_200600_302600_NS4pairIiiEENS0_10empty_typeEEEZZNS1_27merge_sort_block_merge_implIS3_NS6_6detail15normal_iteratorINS6_10device_ptrIS8_EEEEPS9_mNS6_4lessIS8_EEEE10hipError_tT0_T1_T2_jT3_P12ihipStream_tbPNSt15iterator_traitsISL_E10value_typeEPNSR_ISM_E10value_typeEPSN_NS1_7vsmem_tEENKUlT_SL_SM_SN_E_clISG_PS8_SH_SH_EESK_S10_SL_SM_SN_EUlS10_E1_NS1_11comp_targetILNS1_3genE8ELNS1_11target_archE1030ELNS1_3gpuE2ELNS1_3repE0EEENS1_36merge_oddeven_config_static_selectorELNS0_4arch9wavefront6targetE0EEEvSM_
	.globl	_ZN7rocprim17ROCPRIM_400000_NS6detail17trampoline_kernelINS0_14default_configENS1_38merge_sort_block_merge_config_selectorIN6thrust23THRUST_200600_302600_NS4pairIiiEENS0_10empty_typeEEEZZNS1_27merge_sort_block_merge_implIS3_NS6_6detail15normal_iteratorINS6_10device_ptrIS8_EEEEPS9_mNS6_4lessIS8_EEEE10hipError_tT0_T1_T2_jT3_P12ihipStream_tbPNSt15iterator_traitsISL_E10value_typeEPNSR_ISM_E10value_typeEPSN_NS1_7vsmem_tEENKUlT_SL_SM_SN_E_clISG_PS8_SH_SH_EESK_S10_SL_SM_SN_EUlS10_E1_NS1_11comp_targetILNS1_3genE8ELNS1_11target_archE1030ELNS1_3gpuE2ELNS1_3repE0EEENS1_36merge_oddeven_config_static_selectorELNS0_4arch9wavefront6targetE0EEEvSM_
	.p2align	8
	.type	_ZN7rocprim17ROCPRIM_400000_NS6detail17trampoline_kernelINS0_14default_configENS1_38merge_sort_block_merge_config_selectorIN6thrust23THRUST_200600_302600_NS4pairIiiEENS0_10empty_typeEEEZZNS1_27merge_sort_block_merge_implIS3_NS6_6detail15normal_iteratorINS6_10device_ptrIS8_EEEEPS9_mNS6_4lessIS8_EEEE10hipError_tT0_T1_T2_jT3_P12ihipStream_tbPNSt15iterator_traitsISL_E10value_typeEPNSR_ISM_E10value_typeEPSN_NS1_7vsmem_tEENKUlT_SL_SM_SN_E_clISG_PS8_SH_SH_EESK_S10_SL_SM_SN_EUlS10_E1_NS1_11comp_targetILNS1_3genE8ELNS1_11target_archE1030ELNS1_3gpuE2ELNS1_3repE0EEENS1_36merge_oddeven_config_static_selectorELNS0_4arch9wavefront6targetE0EEEvSM_,@function
_ZN7rocprim17ROCPRIM_400000_NS6detail17trampoline_kernelINS0_14default_configENS1_38merge_sort_block_merge_config_selectorIN6thrust23THRUST_200600_302600_NS4pairIiiEENS0_10empty_typeEEEZZNS1_27merge_sort_block_merge_implIS3_NS6_6detail15normal_iteratorINS6_10device_ptrIS8_EEEEPS9_mNS6_4lessIS8_EEEE10hipError_tT0_T1_T2_jT3_P12ihipStream_tbPNSt15iterator_traitsISL_E10value_typeEPNSR_ISM_E10value_typeEPSN_NS1_7vsmem_tEENKUlT_SL_SM_SN_E_clISG_PS8_SH_SH_EESK_S10_SL_SM_SN_EUlS10_E1_NS1_11comp_targetILNS1_3genE8ELNS1_11target_archE1030ELNS1_3gpuE2ELNS1_3repE0EEENS1_36merge_oddeven_config_static_selectorELNS0_4arch9wavefront6targetE0EEEvSM_: ; @_ZN7rocprim17ROCPRIM_400000_NS6detail17trampoline_kernelINS0_14default_configENS1_38merge_sort_block_merge_config_selectorIN6thrust23THRUST_200600_302600_NS4pairIiiEENS0_10empty_typeEEEZZNS1_27merge_sort_block_merge_implIS3_NS6_6detail15normal_iteratorINS6_10device_ptrIS8_EEEEPS9_mNS6_4lessIS8_EEEE10hipError_tT0_T1_T2_jT3_P12ihipStream_tbPNSt15iterator_traitsISL_E10value_typeEPNSR_ISM_E10value_typeEPSN_NS1_7vsmem_tEENKUlT_SL_SM_SN_E_clISG_PS8_SH_SH_EESK_S10_SL_SM_SN_EUlS10_E1_NS1_11comp_targetILNS1_3genE8ELNS1_11target_archE1030ELNS1_3gpuE2ELNS1_3repE0EEENS1_36merge_oddeven_config_static_selectorELNS0_4arch9wavefront6targetE0EEEvSM_
; %bb.0:
	s_load_dword s1, s[4:5], 0x20
	s_lshl_b32 s2, s6, 8
	s_waitcnt lgkmcnt(0)
	s_lshr_b32 s0, s1, 8
	s_cmp_lg_u32 s6, s0
	s_cselect_b32 s13, -1, 0
	s_cmp_eq_u32 s6, s0
	s_cselect_b32 s7, -1, 0
	s_sub_i32 s0, s1, s2
	v_cmp_gt_u32_e64 s0, s0, v0
	s_or_b32 s3, s13, s0
	s_and_saveexec_b32 s8, s3
	s_cbranch_execz .LBB680_28
; %bb.1:
	s_clause 0x1
	s_load_dwordx4 s[8:11], s[4:5], 0x0
	s_load_dword s12, s[4:5], 0x28
	s_mov_b32 s3, 0
	v_lshlrev_b32_e32 v1, 3, v0
	s_lshl_b64 s[14:15], s[2:3], 3
	v_add_nc_u32_e32 v3, s2, v0
	s_waitcnt lgkmcnt(0)
	s_add_u32 s4, s8, s14
	s_addc_u32 s5, s9, s15
	global_load_dwordx2 v[1:2], v1, s[4:5]
	s_lshr_b32 s4, s12, 8
	s_sub_i32 s5, 0, s4
	s_and_b32 s5, s6, s5
	s_and_b32 s14, s5, s4
	s_cmp_lg_u32 s14, 0
	s_cselect_b32 s4, -1, 0
	s_lshl_b32 s6, s5, 8
	s_sub_i32 s5, 0, s12
	s_cmp_eq_u32 s14, 0
	s_cselect_b32 s5, s12, s5
	s_add_i32 s5, s5, s6
	s_cmp_lt_u32 s5, s1
	s_cbranch_scc1 .LBB680_3
; %bb.2:
	v_cmp_gt_u32_e32 vcc_lo, s1, v3
	s_or_b32 s3, vcc_lo, s13
	s_and_b32 s3, s3, exec_lo
	s_cbranch_execz .LBB680_4
	s_branch .LBB680_26
.LBB680_3:
.LBB680_4:
	s_min_u32 s2, s5, s1
	s_and_b32 vcc_lo, exec_lo, s7
	s_add_i32 s13, s6, s2
	s_min_u32 s6, s6, s2
	v_subrev_nc_u32_e32 v0, s13, v3
	s_add_i32 s12, s2, s12
	v_add_nc_u32_e32 v0, s6, v0
	s_min_u32 s6, s12, s1
	s_cbranch_vccz .LBB680_13
; %bb.5:
                                        ; implicit-def: $vgpr3
	s_and_saveexec_b32 s7, s0
	s_cbranch_execz .LBB680_16
; %bb.6:
	v_mov_b32_e32 v7, s2
	s_cmp_ge_u32 s5, s6
	s_cbranch_scc1 .LBB680_15
; %bb.7:
	v_mov_b32_e32 v8, s6
	v_mov_b32_e32 v7, s2
	v_mov_b32_e32 v4, 0
	s_mov_b32 s12, 0
	s_inst_prefetch 0x1
	s_branch .LBB680_9
	.p2align	6
.LBB680_8:                              ;   in Loop: Header=BB680_9 Depth=1
	v_add_nc_u32_e32 v5, 1, v3
	v_cndmask_b32_e64 v8, v3, v8, s13
	v_cndmask_b32_e64 v7, v7, v5, s13
	v_cmp_ge_u32_e32 vcc_lo, v7, v8
	s_or_b32 s12, vcc_lo, s12
	s_andn2_b32 exec_lo, exec_lo, s12
	s_cbranch_execz .LBB680_14
.LBB680_9:                              ; =>This Inner Loop Header: Depth=1
	v_add_nc_u32_e32 v3, v7, v8
	s_mov_b32 s14, -1
                                        ; implicit-def: $sgpr13
	v_lshrrev_b32_e32 v3, 1, v3
	v_lshlrev_b64 v[5:6], 3, v[3:4]
	v_add_co_u32 v5, vcc_lo, s8, v5
	v_add_co_ci_u32_e64 v6, null, s9, v6, vcc_lo
	s_andn2_b32 vcc_lo, exec_lo, s4
	global_load_dwordx2 v[5:6], v[5:6], off
	s_waitcnt vmcnt(0)
	v_cmp_le_i32_e64 s0, v5, v1
	v_cmp_lt_i32_e64 s1, v5, v1
	s_cbranch_vccnz .LBB680_11
; %bb.10:                               ;   in Loop: Header=BB680_9 Depth=1
	v_cmp_le_i32_e32 vcc_lo, v6, v2
	s_mov_b32 s14, 0
	s_or_b32 s1, s1, vcc_lo
	s_and_b32 s13, s0, s1
.LBB680_11:                             ;   in Loop: Header=BB680_9 Depth=1
	s_andn2_b32 vcc_lo, exec_lo, s14
	s_cbranch_vccnz .LBB680_8
; %bb.12:                               ;   in Loop: Header=BB680_9 Depth=1
	v_cmp_le_i32_e32 vcc_lo, v5, v1
	v_cmp_lt_i32_e64 s0, v6, v2
	v_cmp_lt_i32_e64 s1, v5, v1
	s_and_b32 s0, vcc_lo, s0
	s_or_b32 s0, s1, s0
	s_andn2_b32 s1, s13, exec_lo
	s_and_b32 s0, s0, exec_lo
	s_or_b32 s13, s1, s0
	s_branch .LBB680_8
.LBB680_13:
                                        ; implicit-def: $vgpr3
	s_cbranch_execnz .LBB680_17
	s_branch .LBB680_26
.LBB680_14:
	s_inst_prefetch 0x2
	s_or_b32 exec_lo, exec_lo, s12
.LBB680_15:
	v_add_nc_u32_e32 v3, v7, v0
	s_or_b32 s3, s3, exec_lo
.LBB680_16:
	s_or_b32 exec_lo, exec_lo, s7
	s_branch .LBB680_26
.LBB680_17:
	v_mov_b32_e32 v7, s2
	s_cmp_ge_u32 s5, s6
	s_cbranch_scc1 .LBB680_25
; %bb.18:
	v_mov_b32_e32 v8, s6
	v_mov_b32_e32 v7, s2
	;; [unrolled: 1-line block ×3, first 2 shown]
	s_mov_b32 s2, 0
	s_inst_prefetch 0x1
	s_branch .LBB680_20
	.p2align	6
.LBB680_19:                             ;   in Loop: Header=BB680_20 Depth=1
	v_add_nc_u32_e32 v5, 1, v3
	v_cndmask_b32_e64 v8, v3, v8, s3
	v_cndmask_b32_e64 v7, v7, v5, s3
	v_cmp_ge_u32_e32 vcc_lo, v7, v8
	s_or_b32 s2, vcc_lo, s2
	s_andn2_b32 exec_lo, exec_lo, s2
	s_cbranch_execz .LBB680_24
.LBB680_20:                             ; =>This Inner Loop Header: Depth=1
	v_add_nc_u32_e32 v3, v7, v8
	s_mov_b32 s5, -1
                                        ; implicit-def: $sgpr3
	v_lshrrev_b32_e32 v3, 1, v3
	v_lshlrev_b64 v[5:6], 3, v[3:4]
	v_add_co_u32 v5, vcc_lo, s8, v5
	v_add_co_ci_u32_e64 v6, null, s9, v6, vcc_lo
	s_andn2_b32 vcc_lo, exec_lo, s4
	global_load_dwordx2 v[5:6], v[5:6], off
	s_waitcnt vmcnt(0)
	v_cmp_le_i32_e64 s0, v5, v1
	v_cmp_lt_i32_e64 s1, v5, v1
	s_cbranch_vccnz .LBB680_22
; %bb.21:                               ;   in Loop: Header=BB680_20 Depth=1
	v_cmp_le_i32_e32 vcc_lo, v6, v2
	s_mov_b32 s5, 0
	s_or_b32 s1, s1, vcc_lo
	s_and_b32 s3, s0, s1
.LBB680_22:                             ;   in Loop: Header=BB680_20 Depth=1
	s_andn2_b32 vcc_lo, exec_lo, s5
	s_cbranch_vccnz .LBB680_19
; %bb.23:                               ;   in Loop: Header=BB680_20 Depth=1
	v_cmp_le_i32_e32 vcc_lo, v5, v1
	v_cmp_lt_i32_e64 s0, v6, v2
	v_cmp_lt_i32_e64 s1, v5, v1
	s_and_b32 s0, vcc_lo, s0
	s_or_b32 s0, s1, s0
	s_andn2_b32 s1, s3, exec_lo
	s_and_b32 s0, s0, exec_lo
	s_or_b32 s3, s1, s0
	s_branch .LBB680_19
.LBB680_24:
	s_inst_prefetch 0x2
	s_or_b32 exec_lo, exec_lo, s2
.LBB680_25:
	v_add_nc_u32_e32 v3, v7, v0
	s_mov_b32 s3, -1
.LBB680_26:
	s_and_b32 exec_lo, exec_lo, s3
	s_cbranch_execz .LBB680_28
; %bb.27:
	v_mov_b32_e32 v4, 0
	v_lshlrev_b64 v[3:4], 3, v[3:4]
	v_add_co_u32 v3, vcc_lo, s10, v3
	v_add_co_ci_u32_e64 v4, null, s11, v4, vcc_lo
	s_waitcnt vmcnt(0)
	global_store_dwordx2 v[3:4], v[1:2], off
.LBB680_28:
	s_endpgm
	.section	.rodata,"a",@progbits
	.p2align	6, 0x0
	.amdhsa_kernel _ZN7rocprim17ROCPRIM_400000_NS6detail17trampoline_kernelINS0_14default_configENS1_38merge_sort_block_merge_config_selectorIN6thrust23THRUST_200600_302600_NS4pairIiiEENS0_10empty_typeEEEZZNS1_27merge_sort_block_merge_implIS3_NS6_6detail15normal_iteratorINS6_10device_ptrIS8_EEEEPS9_mNS6_4lessIS8_EEEE10hipError_tT0_T1_T2_jT3_P12ihipStream_tbPNSt15iterator_traitsISL_E10value_typeEPNSR_ISM_E10value_typeEPSN_NS1_7vsmem_tEENKUlT_SL_SM_SN_E_clISG_PS8_SH_SH_EESK_S10_SL_SM_SN_EUlS10_E1_NS1_11comp_targetILNS1_3genE8ELNS1_11target_archE1030ELNS1_3gpuE2ELNS1_3repE0EEENS1_36merge_oddeven_config_static_selectorELNS0_4arch9wavefront6targetE0EEEvSM_
		.amdhsa_group_segment_fixed_size 0
		.amdhsa_private_segment_fixed_size 0
		.amdhsa_kernarg_size 56
		.amdhsa_user_sgpr_count 6
		.amdhsa_user_sgpr_private_segment_buffer 1
		.amdhsa_user_sgpr_dispatch_ptr 0
		.amdhsa_user_sgpr_queue_ptr 0
		.amdhsa_user_sgpr_kernarg_segment_ptr 1
		.amdhsa_user_sgpr_dispatch_id 0
		.amdhsa_user_sgpr_flat_scratch_init 0
		.amdhsa_user_sgpr_private_segment_size 0
		.amdhsa_wavefront_size32 1
		.amdhsa_uses_dynamic_stack 0
		.amdhsa_system_sgpr_private_segment_wavefront_offset 0
		.amdhsa_system_sgpr_workgroup_id_x 1
		.amdhsa_system_sgpr_workgroup_id_y 0
		.amdhsa_system_sgpr_workgroup_id_z 0
		.amdhsa_system_sgpr_workgroup_info 0
		.amdhsa_system_vgpr_workitem_id 0
		.amdhsa_next_free_vgpr 9
		.amdhsa_next_free_sgpr 16
		.amdhsa_reserve_vcc 1
		.amdhsa_reserve_flat_scratch 0
		.amdhsa_float_round_mode_32 0
		.amdhsa_float_round_mode_16_64 0
		.amdhsa_float_denorm_mode_32 3
		.amdhsa_float_denorm_mode_16_64 3
		.amdhsa_dx10_clamp 1
		.amdhsa_ieee_mode 1
		.amdhsa_fp16_overflow 0
		.amdhsa_workgroup_processor_mode 1
		.amdhsa_memory_ordered 1
		.amdhsa_forward_progress 1
		.amdhsa_shared_vgpr_count 0
		.amdhsa_exception_fp_ieee_invalid_op 0
		.amdhsa_exception_fp_denorm_src 0
		.amdhsa_exception_fp_ieee_div_zero 0
		.amdhsa_exception_fp_ieee_overflow 0
		.amdhsa_exception_fp_ieee_underflow 0
		.amdhsa_exception_fp_ieee_inexact 0
		.amdhsa_exception_int_div_zero 0
	.end_amdhsa_kernel
	.section	.text._ZN7rocprim17ROCPRIM_400000_NS6detail17trampoline_kernelINS0_14default_configENS1_38merge_sort_block_merge_config_selectorIN6thrust23THRUST_200600_302600_NS4pairIiiEENS0_10empty_typeEEEZZNS1_27merge_sort_block_merge_implIS3_NS6_6detail15normal_iteratorINS6_10device_ptrIS8_EEEEPS9_mNS6_4lessIS8_EEEE10hipError_tT0_T1_T2_jT3_P12ihipStream_tbPNSt15iterator_traitsISL_E10value_typeEPNSR_ISM_E10value_typeEPSN_NS1_7vsmem_tEENKUlT_SL_SM_SN_E_clISG_PS8_SH_SH_EESK_S10_SL_SM_SN_EUlS10_E1_NS1_11comp_targetILNS1_3genE8ELNS1_11target_archE1030ELNS1_3gpuE2ELNS1_3repE0EEENS1_36merge_oddeven_config_static_selectorELNS0_4arch9wavefront6targetE0EEEvSM_,"axG",@progbits,_ZN7rocprim17ROCPRIM_400000_NS6detail17trampoline_kernelINS0_14default_configENS1_38merge_sort_block_merge_config_selectorIN6thrust23THRUST_200600_302600_NS4pairIiiEENS0_10empty_typeEEEZZNS1_27merge_sort_block_merge_implIS3_NS6_6detail15normal_iteratorINS6_10device_ptrIS8_EEEEPS9_mNS6_4lessIS8_EEEE10hipError_tT0_T1_T2_jT3_P12ihipStream_tbPNSt15iterator_traitsISL_E10value_typeEPNSR_ISM_E10value_typeEPSN_NS1_7vsmem_tEENKUlT_SL_SM_SN_E_clISG_PS8_SH_SH_EESK_S10_SL_SM_SN_EUlS10_E1_NS1_11comp_targetILNS1_3genE8ELNS1_11target_archE1030ELNS1_3gpuE2ELNS1_3repE0EEENS1_36merge_oddeven_config_static_selectorELNS0_4arch9wavefront6targetE0EEEvSM_,comdat
.Lfunc_end680:
	.size	_ZN7rocprim17ROCPRIM_400000_NS6detail17trampoline_kernelINS0_14default_configENS1_38merge_sort_block_merge_config_selectorIN6thrust23THRUST_200600_302600_NS4pairIiiEENS0_10empty_typeEEEZZNS1_27merge_sort_block_merge_implIS3_NS6_6detail15normal_iteratorINS6_10device_ptrIS8_EEEEPS9_mNS6_4lessIS8_EEEE10hipError_tT0_T1_T2_jT3_P12ihipStream_tbPNSt15iterator_traitsISL_E10value_typeEPNSR_ISM_E10value_typeEPSN_NS1_7vsmem_tEENKUlT_SL_SM_SN_E_clISG_PS8_SH_SH_EESK_S10_SL_SM_SN_EUlS10_E1_NS1_11comp_targetILNS1_3genE8ELNS1_11target_archE1030ELNS1_3gpuE2ELNS1_3repE0EEENS1_36merge_oddeven_config_static_selectorELNS0_4arch9wavefront6targetE0EEEvSM_, .Lfunc_end680-_ZN7rocprim17ROCPRIM_400000_NS6detail17trampoline_kernelINS0_14default_configENS1_38merge_sort_block_merge_config_selectorIN6thrust23THRUST_200600_302600_NS4pairIiiEENS0_10empty_typeEEEZZNS1_27merge_sort_block_merge_implIS3_NS6_6detail15normal_iteratorINS6_10device_ptrIS8_EEEEPS9_mNS6_4lessIS8_EEEE10hipError_tT0_T1_T2_jT3_P12ihipStream_tbPNSt15iterator_traitsISL_E10value_typeEPNSR_ISM_E10value_typeEPSN_NS1_7vsmem_tEENKUlT_SL_SM_SN_E_clISG_PS8_SH_SH_EESK_S10_SL_SM_SN_EUlS10_E1_NS1_11comp_targetILNS1_3genE8ELNS1_11target_archE1030ELNS1_3gpuE2ELNS1_3repE0EEENS1_36merge_oddeven_config_static_selectorELNS0_4arch9wavefront6targetE0EEEvSM_
                                        ; -- End function
	.set _ZN7rocprim17ROCPRIM_400000_NS6detail17trampoline_kernelINS0_14default_configENS1_38merge_sort_block_merge_config_selectorIN6thrust23THRUST_200600_302600_NS4pairIiiEENS0_10empty_typeEEEZZNS1_27merge_sort_block_merge_implIS3_NS6_6detail15normal_iteratorINS6_10device_ptrIS8_EEEEPS9_mNS6_4lessIS8_EEEE10hipError_tT0_T1_T2_jT3_P12ihipStream_tbPNSt15iterator_traitsISL_E10value_typeEPNSR_ISM_E10value_typeEPSN_NS1_7vsmem_tEENKUlT_SL_SM_SN_E_clISG_PS8_SH_SH_EESK_S10_SL_SM_SN_EUlS10_E1_NS1_11comp_targetILNS1_3genE8ELNS1_11target_archE1030ELNS1_3gpuE2ELNS1_3repE0EEENS1_36merge_oddeven_config_static_selectorELNS0_4arch9wavefront6targetE0EEEvSM_.num_vgpr, 9
	.set _ZN7rocprim17ROCPRIM_400000_NS6detail17trampoline_kernelINS0_14default_configENS1_38merge_sort_block_merge_config_selectorIN6thrust23THRUST_200600_302600_NS4pairIiiEENS0_10empty_typeEEEZZNS1_27merge_sort_block_merge_implIS3_NS6_6detail15normal_iteratorINS6_10device_ptrIS8_EEEEPS9_mNS6_4lessIS8_EEEE10hipError_tT0_T1_T2_jT3_P12ihipStream_tbPNSt15iterator_traitsISL_E10value_typeEPNSR_ISM_E10value_typeEPSN_NS1_7vsmem_tEENKUlT_SL_SM_SN_E_clISG_PS8_SH_SH_EESK_S10_SL_SM_SN_EUlS10_E1_NS1_11comp_targetILNS1_3genE8ELNS1_11target_archE1030ELNS1_3gpuE2ELNS1_3repE0EEENS1_36merge_oddeven_config_static_selectorELNS0_4arch9wavefront6targetE0EEEvSM_.num_agpr, 0
	.set _ZN7rocprim17ROCPRIM_400000_NS6detail17trampoline_kernelINS0_14default_configENS1_38merge_sort_block_merge_config_selectorIN6thrust23THRUST_200600_302600_NS4pairIiiEENS0_10empty_typeEEEZZNS1_27merge_sort_block_merge_implIS3_NS6_6detail15normal_iteratorINS6_10device_ptrIS8_EEEEPS9_mNS6_4lessIS8_EEEE10hipError_tT0_T1_T2_jT3_P12ihipStream_tbPNSt15iterator_traitsISL_E10value_typeEPNSR_ISM_E10value_typeEPSN_NS1_7vsmem_tEENKUlT_SL_SM_SN_E_clISG_PS8_SH_SH_EESK_S10_SL_SM_SN_EUlS10_E1_NS1_11comp_targetILNS1_3genE8ELNS1_11target_archE1030ELNS1_3gpuE2ELNS1_3repE0EEENS1_36merge_oddeven_config_static_selectorELNS0_4arch9wavefront6targetE0EEEvSM_.numbered_sgpr, 16
	.set _ZN7rocprim17ROCPRIM_400000_NS6detail17trampoline_kernelINS0_14default_configENS1_38merge_sort_block_merge_config_selectorIN6thrust23THRUST_200600_302600_NS4pairIiiEENS0_10empty_typeEEEZZNS1_27merge_sort_block_merge_implIS3_NS6_6detail15normal_iteratorINS6_10device_ptrIS8_EEEEPS9_mNS6_4lessIS8_EEEE10hipError_tT0_T1_T2_jT3_P12ihipStream_tbPNSt15iterator_traitsISL_E10value_typeEPNSR_ISM_E10value_typeEPSN_NS1_7vsmem_tEENKUlT_SL_SM_SN_E_clISG_PS8_SH_SH_EESK_S10_SL_SM_SN_EUlS10_E1_NS1_11comp_targetILNS1_3genE8ELNS1_11target_archE1030ELNS1_3gpuE2ELNS1_3repE0EEENS1_36merge_oddeven_config_static_selectorELNS0_4arch9wavefront6targetE0EEEvSM_.num_named_barrier, 0
	.set _ZN7rocprim17ROCPRIM_400000_NS6detail17trampoline_kernelINS0_14default_configENS1_38merge_sort_block_merge_config_selectorIN6thrust23THRUST_200600_302600_NS4pairIiiEENS0_10empty_typeEEEZZNS1_27merge_sort_block_merge_implIS3_NS6_6detail15normal_iteratorINS6_10device_ptrIS8_EEEEPS9_mNS6_4lessIS8_EEEE10hipError_tT0_T1_T2_jT3_P12ihipStream_tbPNSt15iterator_traitsISL_E10value_typeEPNSR_ISM_E10value_typeEPSN_NS1_7vsmem_tEENKUlT_SL_SM_SN_E_clISG_PS8_SH_SH_EESK_S10_SL_SM_SN_EUlS10_E1_NS1_11comp_targetILNS1_3genE8ELNS1_11target_archE1030ELNS1_3gpuE2ELNS1_3repE0EEENS1_36merge_oddeven_config_static_selectorELNS0_4arch9wavefront6targetE0EEEvSM_.private_seg_size, 0
	.set _ZN7rocprim17ROCPRIM_400000_NS6detail17trampoline_kernelINS0_14default_configENS1_38merge_sort_block_merge_config_selectorIN6thrust23THRUST_200600_302600_NS4pairIiiEENS0_10empty_typeEEEZZNS1_27merge_sort_block_merge_implIS3_NS6_6detail15normal_iteratorINS6_10device_ptrIS8_EEEEPS9_mNS6_4lessIS8_EEEE10hipError_tT0_T1_T2_jT3_P12ihipStream_tbPNSt15iterator_traitsISL_E10value_typeEPNSR_ISM_E10value_typeEPSN_NS1_7vsmem_tEENKUlT_SL_SM_SN_E_clISG_PS8_SH_SH_EESK_S10_SL_SM_SN_EUlS10_E1_NS1_11comp_targetILNS1_3genE8ELNS1_11target_archE1030ELNS1_3gpuE2ELNS1_3repE0EEENS1_36merge_oddeven_config_static_selectorELNS0_4arch9wavefront6targetE0EEEvSM_.uses_vcc, 1
	.set _ZN7rocprim17ROCPRIM_400000_NS6detail17trampoline_kernelINS0_14default_configENS1_38merge_sort_block_merge_config_selectorIN6thrust23THRUST_200600_302600_NS4pairIiiEENS0_10empty_typeEEEZZNS1_27merge_sort_block_merge_implIS3_NS6_6detail15normal_iteratorINS6_10device_ptrIS8_EEEEPS9_mNS6_4lessIS8_EEEE10hipError_tT0_T1_T2_jT3_P12ihipStream_tbPNSt15iterator_traitsISL_E10value_typeEPNSR_ISM_E10value_typeEPSN_NS1_7vsmem_tEENKUlT_SL_SM_SN_E_clISG_PS8_SH_SH_EESK_S10_SL_SM_SN_EUlS10_E1_NS1_11comp_targetILNS1_3genE8ELNS1_11target_archE1030ELNS1_3gpuE2ELNS1_3repE0EEENS1_36merge_oddeven_config_static_selectorELNS0_4arch9wavefront6targetE0EEEvSM_.uses_flat_scratch, 0
	.set _ZN7rocprim17ROCPRIM_400000_NS6detail17trampoline_kernelINS0_14default_configENS1_38merge_sort_block_merge_config_selectorIN6thrust23THRUST_200600_302600_NS4pairIiiEENS0_10empty_typeEEEZZNS1_27merge_sort_block_merge_implIS3_NS6_6detail15normal_iteratorINS6_10device_ptrIS8_EEEEPS9_mNS6_4lessIS8_EEEE10hipError_tT0_T1_T2_jT3_P12ihipStream_tbPNSt15iterator_traitsISL_E10value_typeEPNSR_ISM_E10value_typeEPSN_NS1_7vsmem_tEENKUlT_SL_SM_SN_E_clISG_PS8_SH_SH_EESK_S10_SL_SM_SN_EUlS10_E1_NS1_11comp_targetILNS1_3genE8ELNS1_11target_archE1030ELNS1_3gpuE2ELNS1_3repE0EEENS1_36merge_oddeven_config_static_selectorELNS0_4arch9wavefront6targetE0EEEvSM_.has_dyn_sized_stack, 0
	.set _ZN7rocprim17ROCPRIM_400000_NS6detail17trampoline_kernelINS0_14default_configENS1_38merge_sort_block_merge_config_selectorIN6thrust23THRUST_200600_302600_NS4pairIiiEENS0_10empty_typeEEEZZNS1_27merge_sort_block_merge_implIS3_NS6_6detail15normal_iteratorINS6_10device_ptrIS8_EEEEPS9_mNS6_4lessIS8_EEEE10hipError_tT0_T1_T2_jT3_P12ihipStream_tbPNSt15iterator_traitsISL_E10value_typeEPNSR_ISM_E10value_typeEPSN_NS1_7vsmem_tEENKUlT_SL_SM_SN_E_clISG_PS8_SH_SH_EESK_S10_SL_SM_SN_EUlS10_E1_NS1_11comp_targetILNS1_3genE8ELNS1_11target_archE1030ELNS1_3gpuE2ELNS1_3repE0EEENS1_36merge_oddeven_config_static_selectorELNS0_4arch9wavefront6targetE0EEEvSM_.has_recursion, 0
	.set _ZN7rocprim17ROCPRIM_400000_NS6detail17trampoline_kernelINS0_14default_configENS1_38merge_sort_block_merge_config_selectorIN6thrust23THRUST_200600_302600_NS4pairIiiEENS0_10empty_typeEEEZZNS1_27merge_sort_block_merge_implIS3_NS6_6detail15normal_iteratorINS6_10device_ptrIS8_EEEEPS9_mNS6_4lessIS8_EEEE10hipError_tT0_T1_T2_jT3_P12ihipStream_tbPNSt15iterator_traitsISL_E10value_typeEPNSR_ISM_E10value_typeEPSN_NS1_7vsmem_tEENKUlT_SL_SM_SN_E_clISG_PS8_SH_SH_EESK_S10_SL_SM_SN_EUlS10_E1_NS1_11comp_targetILNS1_3genE8ELNS1_11target_archE1030ELNS1_3gpuE2ELNS1_3repE0EEENS1_36merge_oddeven_config_static_selectorELNS0_4arch9wavefront6targetE0EEEvSM_.has_indirect_call, 0
	.section	.AMDGPU.csdata,"",@progbits
; Kernel info:
; codeLenInByte = 820
; TotalNumSgprs: 18
; NumVgprs: 9
; ScratchSize: 0
; MemoryBound: 0
; FloatMode: 240
; IeeeMode: 1
; LDSByteSize: 0 bytes/workgroup (compile time only)
; SGPRBlocks: 0
; VGPRBlocks: 1
; NumSGPRsForWavesPerEU: 18
; NumVGPRsForWavesPerEU: 9
; Occupancy: 16
; WaveLimiterHint : 0
; COMPUTE_PGM_RSRC2:SCRATCH_EN: 0
; COMPUTE_PGM_RSRC2:USER_SGPR: 6
; COMPUTE_PGM_RSRC2:TRAP_HANDLER: 0
; COMPUTE_PGM_RSRC2:TGID_X_EN: 1
; COMPUTE_PGM_RSRC2:TGID_Y_EN: 0
; COMPUTE_PGM_RSRC2:TGID_Z_EN: 0
; COMPUTE_PGM_RSRC2:TIDIG_COMP_CNT: 0
	.section	.text._ZN7rocprim17ROCPRIM_400000_NS6detail17trampoline_kernelINS0_14default_configENS1_25transform_config_selectorIN6thrust23THRUST_200600_302600_NS4pairIiiEELb0EEEZNS1_14transform_implILb0ES3_S9_PS8_NS6_6detail15normal_iteratorINS6_10device_ptrIS8_EEEENS0_8identityIS8_EEEE10hipError_tT2_T3_mT4_P12ihipStream_tbEUlT_E_NS1_11comp_targetILNS1_3genE0ELNS1_11target_archE4294967295ELNS1_3gpuE0ELNS1_3repE0EEENS1_30default_config_static_selectorELNS0_4arch9wavefront6targetE0EEEvT1_,"axG",@progbits,_ZN7rocprim17ROCPRIM_400000_NS6detail17trampoline_kernelINS0_14default_configENS1_25transform_config_selectorIN6thrust23THRUST_200600_302600_NS4pairIiiEELb0EEEZNS1_14transform_implILb0ES3_S9_PS8_NS6_6detail15normal_iteratorINS6_10device_ptrIS8_EEEENS0_8identityIS8_EEEE10hipError_tT2_T3_mT4_P12ihipStream_tbEUlT_E_NS1_11comp_targetILNS1_3genE0ELNS1_11target_archE4294967295ELNS1_3gpuE0ELNS1_3repE0EEENS1_30default_config_static_selectorELNS0_4arch9wavefront6targetE0EEEvT1_,comdat
	.protected	_ZN7rocprim17ROCPRIM_400000_NS6detail17trampoline_kernelINS0_14default_configENS1_25transform_config_selectorIN6thrust23THRUST_200600_302600_NS4pairIiiEELb0EEEZNS1_14transform_implILb0ES3_S9_PS8_NS6_6detail15normal_iteratorINS6_10device_ptrIS8_EEEENS0_8identityIS8_EEEE10hipError_tT2_T3_mT4_P12ihipStream_tbEUlT_E_NS1_11comp_targetILNS1_3genE0ELNS1_11target_archE4294967295ELNS1_3gpuE0ELNS1_3repE0EEENS1_30default_config_static_selectorELNS0_4arch9wavefront6targetE0EEEvT1_ ; -- Begin function _ZN7rocprim17ROCPRIM_400000_NS6detail17trampoline_kernelINS0_14default_configENS1_25transform_config_selectorIN6thrust23THRUST_200600_302600_NS4pairIiiEELb0EEEZNS1_14transform_implILb0ES3_S9_PS8_NS6_6detail15normal_iteratorINS6_10device_ptrIS8_EEEENS0_8identityIS8_EEEE10hipError_tT2_T3_mT4_P12ihipStream_tbEUlT_E_NS1_11comp_targetILNS1_3genE0ELNS1_11target_archE4294967295ELNS1_3gpuE0ELNS1_3repE0EEENS1_30default_config_static_selectorELNS0_4arch9wavefront6targetE0EEEvT1_
	.globl	_ZN7rocprim17ROCPRIM_400000_NS6detail17trampoline_kernelINS0_14default_configENS1_25transform_config_selectorIN6thrust23THRUST_200600_302600_NS4pairIiiEELb0EEEZNS1_14transform_implILb0ES3_S9_PS8_NS6_6detail15normal_iteratorINS6_10device_ptrIS8_EEEENS0_8identityIS8_EEEE10hipError_tT2_T3_mT4_P12ihipStream_tbEUlT_E_NS1_11comp_targetILNS1_3genE0ELNS1_11target_archE4294967295ELNS1_3gpuE0ELNS1_3repE0EEENS1_30default_config_static_selectorELNS0_4arch9wavefront6targetE0EEEvT1_
	.p2align	8
	.type	_ZN7rocprim17ROCPRIM_400000_NS6detail17trampoline_kernelINS0_14default_configENS1_25transform_config_selectorIN6thrust23THRUST_200600_302600_NS4pairIiiEELb0EEEZNS1_14transform_implILb0ES3_S9_PS8_NS6_6detail15normal_iteratorINS6_10device_ptrIS8_EEEENS0_8identityIS8_EEEE10hipError_tT2_T3_mT4_P12ihipStream_tbEUlT_E_NS1_11comp_targetILNS1_3genE0ELNS1_11target_archE4294967295ELNS1_3gpuE0ELNS1_3repE0EEENS1_30default_config_static_selectorELNS0_4arch9wavefront6targetE0EEEvT1_,@function
_ZN7rocprim17ROCPRIM_400000_NS6detail17trampoline_kernelINS0_14default_configENS1_25transform_config_selectorIN6thrust23THRUST_200600_302600_NS4pairIiiEELb0EEEZNS1_14transform_implILb0ES3_S9_PS8_NS6_6detail15normal_iteratorINS6_10device_ptrIS8_EEEENS0_8identityIS8_EEEE10hipError_tT2_T3_mT4_P12ihipStream_tbEUlT_E_NS1_11comp_targetILNS1_3genE0ELNS1_11target_archE4294967295ELNS1_3gpuE0ELNS1_3repE0EEENS1_30default_config_static_selectorELNS0_4arch9wavefront6targetE0EEEvT1_: ; @_ZN7rocprim17ROCPRIM_400000_NS6detail17trampoline_kernelINS0_14default_configENS1_25transform_config_selectorIN6thrust23THRUST_200600_302600_NS4pairIiiEELb0EEEZNS1_14transform_implILb0ES3_S9_PS8_NS6_6detail15normal_iteratorINS6_10device_ptrIS8_EEEENS0_8identityIS8_EEEE10hipError_tT2_T3_mT4_P12ihipStream_tbEUlT_E_NS1_11comp_targetILNS1_3genE0ELNS1_11target_archE4294967295ELNS1_3gpuE0ELNS1_3repE0EEENS1_30default_config_static_selectorELNS0_4arch9wavefront6targetE0EEEvT1_
; %bb.0:
	.section	.rodata,"a",@progbits
	.p2align	6, 0x0
	.amdhsa_kernel _ZN7rocprim17ROCPRIM_400000_NS6detail17trampoline_kernelINS0_14default_configENS1_25transform_config_selectorIN6thrust23THRUST_200600_302600_NS4pairIiiEELb0EEEZNS1_14transform_implILb0ES3_S9_PS8_NS6_6detail15normal_iteratorINS6_10device_ptrIS8_EEEENS0_8identityIS8_EEEE10hipError_tT2_T3_mT4_P12ihipStream_tbEUlT_E_NS1_11comp_targetILNS1_3genE0ELNS1_11target_archE4294967295ELNS1_3gpuE0ELNS1_3repE0EEENS1_30default_config_static_selectorELNS0_4arch9wavefront6targetE0EEEvT1_
		.amdhsa_group_segment_fixed_size 0
		.amdhsa_private_segment_fixed_size 0
		.amdhsa_kernarg_size 40
		.amdhsa_user_sgpr_count 6
		.amdhsa_user_sgpr_private_segment_buffer 1
		.amdhsa_user_sgpr_dispatch_ptr 0
		.amdhsa_user_sgpr_queue_ptr 0
		.amdhsa_user_sgpr_kernarg_segment_ptr 1
		.amdhsa_user_sgpr_dispatch_id 0
		.amdhsa_user_sgpr_flat_scratch_init 0
		.amdhsa_user_sgpr_private_segment_size 0
		.amdhsa_wavefront_size32 1
		.amdhsa_uses_dynamic_stack 0
		.amdhsa_system_sgpr_private_segment_wavefront_offset 0
		.amdhsa_system_sgpr_workgroup_id_x 1
		.amdhsa_system_sgpr_workgroup_id_y 0
		.amdhsa_system_sgpr_workgroup_id_z 0
		.amdhsa_system_sgpr_workgroup_info 0
		.amdhsa_system_vgpr_workitem_id 0
		.amdhsa_next_free_vgpr 1
		.amdhsa_next_free_sgpr 1
		.amdhsa_reserve_vcc 0
		.amdhsa_reserve_flat_scratch 0
		.amdhsa_float_round_mode_32 0
		.amdhsa_float_round_mode_16_64 0
		.amdhsa_float_denorm_mode_32 3
		.amdhsa_float_denorm_mode_16_64 3
		.amdhsa_dx10_clamp 1
		.amdhsa_ieee_mode 1
		.amdhsa_fp16_overflow 0
		.amdhsa_workgroup_processor_mode 1
		.amdhsa_memory_ordered 1
		.amdhsa_forward_progress 1
		.amdhsa_shared_vgpr_count 0
		.amdhsa_exception_fp_ieee_invalid_op 0
		.amdhsa_exception_fp_denorm_src 0
		.amdhsa_exception_fp_ieee_div_zero 0
		.amdhsa_exception_fp_ieee_overflow 0
		.amdhsa_exception_fp_ieee_underflow 0
		.amdhsa_exception_fp_ieee_inexact 0
		.amdhsa_exception_int_div_zero 0
	.end_amdhsa_kernel
	.section	.text._ZN7rocprim17ROCPRIM_400000_NS6detail17trampoline_kernelINS0_14default_configENS1_25transform_config_selectorIN6thrust23THRUST_200600_302600_NS4pairIiiEELb0EEEZNS1_14transform_implILb0ES3_S9_PS8_NS6_6detail15normal_iteratorINS6_10device_ptrIS8_EEEENS0_8identityIS8_EEEE10hipError_tT2_T3_mT4_P12ihipStream_tbEUlT_E_NS1_11comp_targetILNS1_3genE0ELNS1_11target_archE4294967295ELNS1_3gpuE0ELNS1_3repE0EEENS1_30default_config_static_selectorELNS0_4arch9wavefront6targetE0EEEvT1_,"axG",@progbits,_ZN7rocprim17ROCPRIM_400000_NS6detail17trampoline_kernelINS0_14default_configENS1_25transform_config_selectorIN6thrust23THRUST_200600_302600_NS4pairIiiEELb0EEEZNS1_14transform_implILb0ES3_S9_PS8_NS6_6detail15normal_iteratorINS6_10device_ptrIS8_EEEENS0_8identityIS8_EEEE10hipError_tT2_T3_mT4_P12ihipStream_tbEUlT_E_NS1_11comp_targetILNS1_3genE0ELNS1_11target_archE4294967295ELNS1_3gpuE0ELNS1_3repE0EEENS1_30default_config_static_selectorELNS0_4arch9wavefront6targetE0EEEvT1_,comdat
.Lfunc_end681:
	.size	_ZN7rocprim17ROCPRIM_400000_NS6detail17trampoline_kernelINS0_14default_configENS1_25transform_config_selectorIN6thrust23THRUST_200600_302600_NS4pairIiiEELb0EEEZNS1_14transform_implILb0ES3_S9_PS8_NS6_6detail15normal_iteratorINS6_10device_ptrIS8_EEEENS0_8identityIS8_EEEE10hipError_tT2_T3_mT4_P12ihipStream_tbEUlT_E_NS1_11comp_targetILNS1_3genE0ELNS1_11target_archE4294967295ELNS1_3gpuE0ELNS1_3repE0EEENS1_30default_config_static_selectorELNS0_4arch9wavefront6targetE0EEEvT1_, .Lfunc_end681-_ZN7rocprim17ROCPRIM_400000_NS6detail17trampoline_kernelINS0_14default_configENS1_25transform_config_selectorIN6thrust23THRUST_200600_302600_NS4pairIiiEELb0EEEZNS1_14transform_implILb0ES3_S9_PS8_NS6_6detail15normal_iteratorINS6_10device_ptrIS8_EEEENS0_8identityIS8_EEEE10hipError_tT2_T3_mT4_P12ihipStream_tbEUlT_E_NS1_11comp_targetILNS1_3genE0ELNS1_11target_archE4294967295ELNS1_3gpuE0ELNS1_3repE0EEENS1_30default_config_static_selectorELNS0_4arch9wavefront6targetE0EEEvT1_
                                        ; -- End function
	.set _ZN7rocprim17ROCPRIM_400000_NS6detail17trampoline_kernelINS0_14default_configENS1_25transform_config_selectorIN6thrust23THRUST_200600_302600_NS4pairIiiEELb0EEEZNS1_14transform_implILb0ES3_S9_PS8_NS6_6detail15normal_iteratorINS6_10device_ptrIS8_EEEENS0_8identityIS8_EEEE10hipError_tT2_T3_mT4_P12ihipStream_tbEUlT_E_NS1_11comp_targetILNS1_3genE0ELNS1_11target_archE4294967295ELNS1_3gpuE0ELNS1_3repE0EEENS1_30default_config_static_selectorELNS0_4arch9wavefront6targetE0EEEvT1_.num_vgpr, 0
	.set _ZN7rocprim17ROCPRIM_400000_NS6detail17trampoline_kernelINS0_14default_configENS1_25transform_config_selectorIN6thrust23THRUST_200600_302600_NS4pairIiiEELb0EEEZNS1_14transform_implILb0ES3_S9_PS8_NS6_6detail15normal_iteratorINS6_10device_ptrIS8_EEEENS0_8identityIS8_EEEE10hipError_tT2_T3_mT4_P12ihipStream_tbEUlT_E_NS1_11comp_targetILNS1_3genE0ELNS1_11target_archE4294967295ELNS1_3gpuE0ELNS1_3repE0EEENS1_30default_config_static_selectorELNS0_4arch9wavefront6targetE0EEEvT1_.num_agpr, 0
	.set _ZN7rocprim17ROCPRIM_400000_NS6detail17trampoline_kernelINS0_14default_configENS1_25transform_config_selectorIN6thrust23THRUST_200600_302600_NS4pairIiiEELb0EEEZNS1_14transform_implILb0ES3_S9_PS8_NS6_6detail15normal_iteratorINS6_10device_ptrIS8_EEEENS0_8identityIS8_EEEE10hipError_tT2_T3_mT4_P12ihipStream_tbEUlT_E_NS1_11comp_targetILNS1_3genE0ELNS1_11target_archE4294967295ELNS1_3gpuE0ELNS1_3repE0EEENS1_30default_config_static_selectorELNS0_4arch9wavefront6targetE0EEEvT1_.numbered_sgpr, 0
	.set _ZN7rocprim17ROCPRIM_400000_NS6detail17trampoline_kernelINS0_14default_configENS1_25transform_config_selectorIN6thrust23THRUST_200600_302600_NS4pairIiiEELb0EEEZNS1_14transform_implILb0ES3_S9_PS8_NS6_6detail15normal_iteratorINS6_10device_ptrIS8_EEEENS0_8identityIS8_EEEE10hipError_tT2_T3_mT4_P12ihipStream_tbEUlT_E_NS1_11comp_targetILNS1_3genE0ELNS1_11target_archE4294967295ELNS1_3gpuE0ELNS1_3repE0EEENS1_30default_config_static_selectorELNS0_4arch9wavefront6targetE0EEEvT1_.num_named_barrier, 0
	.set _ZN7rocprim17ROCPRIM_400000_NS6detail17trampoline_kernelINS0_14default_configENS1_25transform_config_selectorIN6thrust23THRUST_200600_302600_NS4pairIiiEELb0EEEZNS1_14transform_implILb0ES3_S9_PS8_NS6_6detail15normal_iteratorINS6_10device_ptrIS8_EEEENS0_8identityIS8_EEEE10hipError_tT2_T3_mT4_P12ihipStream_tbEUlT_E_NS1_11comp_targetILNS1_3genE0ELNS1_11target_archE4294967295ELNS1_3gpuE0ELNS1_3repE0EEENS1_30default_config_static_selectorELNS0_4arch9wavefront6targetE0EEEvT1_.private_seg_size, 0
	.set _ZN7rocprim17ROCPRIM_400000_NS6detail17trampoline_kernelINS0_14default_configENS1_25transform_config_selectorIN6thrust23THRUST_200600_302600_NS4pairIiiEELb0EEEZNS1_14transform_implILb0ES3_S9_PS8_NS6_6detail15normal_iteratorINS6_10device_ptrIS8_EEEENS0_8identityIS8_EEEE10hipError_tT2_T3_mT4_P12ihipStream_tbEUlT_E_NS1_11comp_targetILNS1_3genE0ELNS1_11target_archE4294967295ELNS1_3gpuE0ELNS1_3repE0EEENS1_30default_config_static_selectorELNS0_4arch9wavefront6targetE0EEEvT1_.uses_vcc, 0
	.set _ZN7rocprim17ROCPRIM_400000_NS6detail17trampoline_kernelINS0_14default_configENS1_25transform_config_selectorIN6thrust23THRUST_200600_302600_NS4pairIiiEELb0EEEZNS1_14transform_implILb0ES3_S9_PS8_NS6_6detail15normal_iteratorINS6_10device_ptrIS8_EEEENS0_8identityIS8_EEEE10hipError_tT2_T3_mT4_P12ihipStream_tbEUlT_E_NS1_11comp_targetILNS1_3genE0ELNS1_11target_archE4294967295ELNS1_3gpuE0ELNS1_3repE0EEENS1_30default_config_static_selectorELNS0_4arch9wavefront6targetE0EEEvT1_.uses_flat_scratch, 0
	.set _ZN7rocprim17ROCPRIM_400000_NS6detail17trampoline_kernelINS0_14default_configENS1_25transform_config_selectorIN6thrust23THRUST_200600_302600_NS4pairIiiEELb0EEEZNS1_14transform_implILb0ES3_S9_PS8_NS6_6detail15normal_iteratorINS6_10device_ptrIS8_EEEENS0_8identityIS8_EEEE10hipError_tT2_T3_mT4_P12ihipStream_tbEUlT_E_NS1_11comp_targetILNS1_3genE0ELNS1_11target_archE4294967295ELNS1_3gpuE0ELNS1_3repE0EEENS1_30default_config_static_selectorELNS0_4arch9wavefront6targetE0EEEvT1_.has_dyn_sized_stack, 0
	.set _ZN7rocprim17ROCPRIM_400000_NS6detail17trampoline_kernelINS0_14default_configENS1_25transform_config_selectorIN6thrust23THRUST_200600_302600_NS4pairIiiEELb0EEEZNS1_14transform_implILb0ES3_S9_PS8_NS6_6detail15normal_iteratorINS6_10device_ptrIS8_EEEENS0_8identityIS8_EEEE10hipError_tT2_T3_mT4_P12ihipStream_tbEUlT_E_NS1_11comp_targetILNS1_3genE0ELNS1_11target_archE4294967295ELNS1_3gpuE0ELNS1_3repE0EEENS1_30default_config_static_selectorELNS0_4arch9wavefront6targetE0EEEvT1_.has_recursion, 0
	.set _ZN7rocprim17ROCPRIM_400000_NS6detail17trampoline_kernelINS0_14default_configENS1_25transform_config_selectorIN6thrust23THRUST_200600_302600_NS4pairIiiEELb0EEEZNS1_14transform_implILb0ES3_S9_PS8_NS6_6detail15normal_iteratorINS6_10device_ptrIS8_EEEENS0_8identityIS8_EEEE10hipError_tT2_T3_mT4_P12ihipStream_tbEUlT_E_NS1_11comp_targetILNS1_3genE0ELNS1_11target_archE4294967295ELNS1_3gpuE0ELNS1_3repE0EEENS1_30default_config_static_selectorELNS0_4arch9wavefront6targetE0EEEvT1_.has_indirect_call, 0
	.section	.AMDGPU.csdata,"",@progbits
; Kernel info:
; codeLenInByte = 0
; TotalNumSgprs: 0
; NumVgprs: 0
; ScratchSize: 0
; MemoryBound: 0
; FloatMode: 240
; IeeeMode: 1
; LDSByteSize: 0 bytes/workgroup (compile time only)
; SGPRBlocks: 0
; VGPRBlocks: 0
; NumSGPRsForWavesPerEU: 1
; NumVGPRsForWavesPerEU: 1
; Occupancy: 16
; WaveLimiterHint : 0
; COMPUTE_PGM_RSRC2:SCRATCH_EN: 0
; COMPUTE_PGM_RSRC2:USER_SGPR: 6
; COMPUTE_PGM_RSRC2:TRAP_HANDLER: 0
; COMPUTE_PGM_RSRC2:TGID_X_EN: 1
; COMPUTE_PGM_RSRC2:TGID_Y_EN: 0
; COMPUTE_PGM_RSRC2:TGID_Z_EN: 0
; COMPUTE_PGM_RSRC2:TIDIG_COMP_CNT: 0
	.section	.text._ZN7rocprim17ROCPRIM_400000_NS6detail17trampoline_kernelINS0_14default_configENS1_25transform_config_selectorIN6thrust23THRUST_200600_302600_NS4pairIiiEELb0EEEZNS1_14transform_implILb0ES3_S9_PS8_NS6_6detail15normal_iteratorINS6_10device_ptrIS8_EEEENS0_8identityIS8_EEEE10hipError_tT2_T3_mT4_P12ihipStream_tbEUlT_E_NS1_11comp_targetILNS1_3genE5ELNS1_11target_archE942ELNS1_3gpuE9ELNS1_3repE0EEENS1_30default_config_static_selectorELNS0_4arch9wavefront6targetE0EEEvT1_,"axG",@progbits,_ZN7rocprim17ROCPRIM_400000_NS6detail17trampoline_kernelINS0_14default_configENS1_25transform_config_selectorIN6thrust23THRUST_200600_302600_NS4pairIiiEELb0EEEZNS1_14transform_implILb0ES3_S9_PS8_NS6_6detail15normal_iteratorINS6_10device_ptrIS8_EEEENS0_8identityIS8_EEEE10hipError_tT2_T3_mT4_P12ihipStream_tbEUlT_E_NS1_11comp_targetILNS1_3genE5ELNS1_11target_archE942ELNS1_3gpuE9ELNS1_3repE0EEENS1_30default_config_static_selectorELNS0_4arch9wavefront6targetE0EEEvT1_,comdat
	.protected	_ZN7rocprim17ROCPRIM_400000_NS6detail17trampoline_kernelINS0_14default_configENS1_25transform_config_selectorIN6thrust23THRUST_200600_302600_NS4pairIiiEELb0EEEZNS1_14transform_implILb0ES3_S9_PS8_NS6_6detail15normal_iteratorINS6_10device_ptrIS8_EEEENS0_8identityIS8_EEEE10hipError_tT2_T3_mT4_P12ihipStream_tbEUlT_E_NS1_11comp_targetILNS1_3genE5ELNS1_11target_archE942ELNS1_3gpuE9ELNS1_3repE0EEENS1_30default_config_static_selectorELNS0_4arch9wavefront6targetE0EEEvT1_ ; -- Begin function _ZN7rocprim17ROCPRIM_400000_NS6detail17trampoline_kernelINS0_14default_configENS1_25transform_config_selectorIN6thrust23THRUST_200600_302600_NS4pairIiiEELb0EEEZNS1_14transform_implILb0ES3_S9_PS8_NS6_6detail15normal_iteratorINS6_10device_ptrIS8_EEEENS0_8identityIS8_EEEE10hipError_tT2_T3_mT4_P12ihipStream_tbEUlT_E_NS1_11comp_targetILNS1_3genE5ELNS1_11target_archE942ELNS1_3gpuE9ELNS1_3repE0EEENS1_30default_config_static_selectorELNS0_4arch9wavefront6targetE0EEEvT1_
	.globl	_ZN7rocprim17ROCPRIM_400000_NS6detail17trampoline_kernelINS0_14default_configENS1_25transform_config_selectorIN6thrust23THRUST_200600_302600_NS4pairIiiEELb0EEEZNS1_14transform_implILb0ES3_S9_PS8_NS6_6detail15normal_iteratorINS6_10device_ptrIS8_EEEENS0_8identityIS8_EEEE10hipError_tT2_T3_mT4_P12ihipStream_tbEUlT_E_NS1_11comp_targetILNS1_3genE5ELNS1_11target_archE942ELNS1_3gpuE9ELNS1_3repE0EEENS1_30default_config_static_selectorELNS0_4arch9wavefront6targetE0EEEvT1_
	.p2align	8
	.type	_ZN7rocprim17ROCPRIM_400000_NS6detail17trampoline_kernelINS0_14default_configENS1_25transform_config_selectorIN6thrust23THRUST_200600_302600_NS4pairIiiEELb0EEEZNS1_14transform_implILb0ES3_S9_PS8_NS6_6detail15normal_iteratorINS6_10device_ptrIS8_EEEENS0_8identityIS8_EEEE10hipError_tT2_T3_mT4_P12ihipStream_tbEUlT_E_NS1_11comp_targetILNS1_3genE5ELNS1_11target_archE942ELNS1_3gpuE9ELNS1_3repE0EEENS1_30default_config_static_selectorELNS0_4arch9wavefront6targetE0EEEvT1_,@function
_ZN7rocprim17ROCPRIM_400000_NS6detail17trampoline_kernelINS0_14default_configENS1_25transform_config_selectorIN6thrust23THRUST_200600_302600_NS4pairIiiEELb0EEEZNS1_14transform_implILb0ES3_S9_PS8_NS6_6detail15normal_iteratorINS6_10device_ptrIS8_EEEENS0_8identityIS8_EEEE10hipError_tT2_T3_mT4_P12ihipStream_tbEUlT_E_NS1_11comp_targetILNS1_3genE5ELNS1_11target_archE942ELNS1_3gpuE9ELNS1_3repE0EEENS1_30default_config_static_selectorELNS0_4arch9wavefront6targetE0EEEvT1_: ; @_ZN7rocprim17ROCPRIM_400000_NS6detail17trampoline_kernelINS0_14default_configENS1_25transform_config_selectorIN6thrust23THRUST_200600_302600_NS4pairIiiEELb0EEEZNS1_14transform_implILb0ES3_S9_PS8_NS6_6detail15normal_iteratorINS6_10device_ptrIS8_EEEENS0_8identityIS8_EEEE10hipError_tT2_T3_mT4_P12ihipStream_tbEUlT_E_NS1_11comp_targetILNS1_3genE5ELNS1_11target_archE942ELNS1_3gpuE9ELNS1_3repE0EEENS1_30default_config_static_selectorELNS0_4arch9wavefront6targetE0EEEvT1_
; %bb.0:
	.section	.rodata,"a",@progbits
	.p2align	6, 0x0
	.amdhsa_kernel _ZN7rocprim17ROCPRIM_400000_NS6detail17trampoline_kernelINS0_14default_configENS1_25transform_config_selectorIN6thrust23THRUST_200600_302600_NS4pairIiiEELb0EEEZNS1_14transform_implILb0ES3_S9_PS8_NS6_6detail15normal_iteratorINS6_10device_ptrIS8_EEEENS0_8identityIS8_EEEE10hipError_tT2_T3_mT4_P12ihipStream_tbEUlT_E_NS1_11comp_targetILNS1_3genE5ELNS1_11target_archE942ELNS1_3gpuE9ELNS1_3repE0EEENS1_30default_config_static_selectorELNS0_4arch9wavefront6targetE0EEEvT1_
		.amdhsa_group_segment_fixed_size 0
		.amdhsa_private_segment_fixed_size 0
		.amdhsa_kernarg_size 40
		.amdhsa_user_sgpr_count 6
		.amdhsa_user_sgpr_private_segment_buffer 1
		.amdhsa_user_sgpr_dispatch_ptr 0
		.amdhsa_user_sgpr_queue_ptr 0
		.amdhsa_user_sgpr_kernarg_segment_ptr 1
		.amdhsa_user_sgpr_dispatch_id 0
		.amdhsa_user_sgpr_flat_scratch_init 0
		.amdhsa_user_sgpr_private_segment_size 0
		.amdhsa_wavefront_size32 1
		.amdhsa_uses_dynamic_stack 0
		.amdhsa_system_sgpr_private_segment_wavefront_offset 0
		.amdhsa_system_sgpr_workgroup_id_x 1
		.amdhsa_system_sgpr_workgroup_id_y 0
		.amdhsa_system_sgpr_workgroup_id_z 0
		.amdhsa_system_sgpr_workgroup_info 0
		.amdhsa_system_vgpr_workitem_id 0
		.amdhsa_next_free_vgpr 1
		.amdhsa_next_free_sgpr 1
		.amdhsa_reserve_vcc 0
		.amdhsa_reserve_flat_scratch 0
		.amdhsa_float_round_mode_32 0
		.amdhsa_float_round_mode_16_64 0
		.amdhsa_float_denorm_mode_32 3
		.amdhsa_float_denorm_mode_16_64 3
		.amdhsa_dx10_clamp 1
		.amdhsa_ieee_mode 1
		.amdhsa_fp16_overflow 0
		.amdhsa_workgroup_processor_mode 1
		.amdhsa_memory_ordered 1
		.amdhsa_forward_progress 1
		.amdhsa_shared_vgpr_count 0
		.amdhsa_exception_fp_ieee_invalid_op 0
		.amdhsa_exception_fp_denorm_src 0
		.amdhsa_exception_fp_ieee_div_zero 0
		.amdhsa_exception_fp_ieee_overflow 0
		.amdhsa_exception_fp_ieee_underflow 0
		.amdhsa_exception_fp_ieee_inexact 0
		.amdhsa_exception_int_div_zero 0
	.end_amdhsa_kernel
	.section	.text._ZN7rocprim17ROCPRIM_400000_NS6detail17trampoline_kernelINS0_14default_configENS1_25transform_config_selectorIN6thrust23THRUST_200600_302600_NS4pairIiiEELb0EEEZNS1_14transform_implILb0ES3_S9_PS8_NS6_6detail15normal_iteratorINS6_10device_ptrIS8_EEEENS0_8identityIS8_EEEE10hipError_tT2_T3_mT4_P12ihipStream_tbEUlT_E_NS1_11comp_targetILNS1_3genE5ELNS1_11target_archE942ELNS1_3gpuE9ELNS1_3repE0EEENS1_30default_config_static_selectorELNS0_4arch9wavefront6targetE0EEEvT1_,"axG",@progbits,_ZN7rocprim17ROCPRIM_400000_NS6detail17trampoline_kernelINS0_14default_configENS1_25transform_config_selectorIN6thrust23THRUST_200600_302600_NS4pairIiiEELb0EEEZNS1_14transform_implILb0ES3_S9_PS8_NS6_6detail15normal_iteratorINS6_10device_ptrIS8_EEEENS0_8identityIS8_EEEE10hipError_tT2_T3_mT4_P12ihipStream_tbEUlT_E_NS1_11comp_targetILNS1_3genE5ELNS1_11target_archE942ELNS1_3gpuE9ELNS1_3repE0EEENS1_30default_config_static_selectorELNS0_4arch9wavefront6targetE0EEEvT1_,comdat
.Lfunc_end682:
	.size	_ZN7rocprim17ROCPRIM_400000_NS6detail17trampoline_kernelINS0_14default_configENS1_25transform_config_selectorIN6thrust23THRUST_200600_302600_NS4pairIiiEELb0EEEZNS1_14transform_implILb0ES3_S9_PS8_NS6_6detail15normal_iteratorINS6_10device_ptrIS8_EEEENS0_8identityIS8_EEEE10hipError_tT2_T3_mT4_P12ihipStream_tbEUlT_E_NS1_11comp_targetILNS1_3genE5ELNS1_11target_archE942ELNS1_3gpuE9ELNS1_3repE0EEENS1_30default_config_static_selectorELNS0_4arch9wavefront6targetE0EEEvT1_, .Lfunc_end682-_ZN7rocprim17ROCPRIM_400000_NS6detail17trampoline_kernelINS0_14default_configENS1_25transform_config_selectorIN6thrust23THRUST_200600_302600_NS4pairIiiEELb0EEEZNS1_14transform_implILb0ES3_S9_PS8_NS6_6detail15normal_iteratorINS6_10device_ptrIS8_EEEENS0_8identityIS8_EEEE10hipError_tT2_T3_mT4_P12ihipStream_tbEUlT_E_NS1_11comp_targetILNS1_3genE5ELNS1_11target_archE942ELNS1_3gpuE9ELNS1_3repE0EEENS1_30default_config_static_selectorELNS0_4arch9wavefront6targetE0EEEvT1_
                                        ; -- End function
	.set _ZN7rocprim17ROCPRIM_400000_NS6detail17trampoline_kernelINS0_14default_configENS1_25transform_config_selectorIN6thrust23THRUST_200600_302600_NS4pairIiiEELb0EEEZNS1_14transform_implILb0ES3_S9_PS8_NS6_6detail15normal_iteratorINS6_10device_ptrIS8_EEEENS0_8identityIS8_EEEE10hipError_tT2_T3_mT4_P12ihipStream_tbEUlT_E_NS1_11comp_targetILNS1_3genE5ELNS1_11target_archE942ELNS1_3gpuE9ELNS1_3repE0EEENS1_30default_config_static_selectorELNS0_4arch9wavefront6targetE0EEEvT1_.num_vgpr, 0
	.set _ZN7rocprim17ROCPRIM_400000_NS6detail17trampoline_kernelINS0_14default_configENS1_25transform_config_selectorIN6thrust23THRUST_200600_302600_NS4pairIiiEELb0EEEZNS1_14transform_implILb0ES3_S9_PS8_NS6_6detail15normal_iteratorINS6_10device_ptrIS8_EEEENS0_8identityIS8_EEEE10hipError_tT2_T3_mT4_P12ihipStream_tbEUlT_E_NS1_11comp_targetILNS1_3genE5ELNS1_11target_archE942ELNS1_3gpuE9ELNS1_3repE0EEENS1_30default_config_static_selectorELNS0_4arch9wavefront6targetE0EEEvT1_.num_agpr, 0
	.set _ZN7rocprim17ROCPRIM_400000_NS6detail17trampoline_kernelINS0_14default_configENS1_25transform_config_selectorIN6thrust23THRUST_200600_302600_NS4pairIiiEELb0EEEZNS1_14transform_implILb0ES3_S9_PS8_NS6_6detail15normal_iteratorINS6_10device_ptrIS8_EEEENS0_8identityIS8_EEEE10hipError_tT2_T3_mT4_P12ihipStream_tbEUlT_E_NS1_11comp_targetILNS1_3genE5ELNS1_11target_archE942ELNS1_3gpuE9ELNS1_3repE0EEENS1_30default_config_static_selectorELNS0_4arch9wavefront6targetE0EEEvT1_.numbered_sgpr, 0
	.set _ZN7rocprim17ROCPRIM_400000_NS6detail17trampoline_kernelINS0_14default_configENS1_25transform_config_selectorIN6thrust23THRUST_200600_302600_NS4pairIiiEELb0EEEZNS1_14transform_implILb0ES3_S9_PS8_NS6_6detail15normal_iteratorINS6_10device_ptrIS8_EEEENS0_8identityIS8_EEEE10hipError_tT2_T3_mT4_P12ihipStream_tbEUlT_E_NS1_11comp_targetILNS1_3genE5ELNS1_11target_archE942ELNS1_3gpuE9ELNS1_3repE0EEENS1_30default_config_static_selectorELNS0_4arch9wavefront6targetE0EEEvT1_.num_named_barrier, 0
	.set _ZN7rocprim17ROCPRIM_400000_NS6detail17trampoline_kernelINS0_14default_configENS1_25transform_config_selectorIN6thrust23THRUST_200600_302600_NS4pairIiiEELb0EEEZNS1_14transform_implILb0ES3_S9_PS8_NS6_6detail15normal_iteratorINS6_10device_ptrIS8_EEEENS0_8identityIS8_EEEE10hipError_tT2_T3_mT4_P12ihipStream_tbEUlT_E_NS1_11comp_targetILNS1_3genE5ELNS1_11target_archE942ELNS1_3gpuE9ELNS1_3repE0EEENS1_30default_config_static_selectorELNS0_4arch9wavefront6targetE0EEEvT1_.private_seg_size, 0
	.set _ZN7rocprim17ROCPRIM_400000_NS6detail17trampoline_kernelINS0_14default_configENS1_25transform_config_selectorIN6thrust23THRUST_200600_302600_NS4pairIiiEELb0EEEZNS1_14transform_implILb0ES3_S9_PS8_NS6_6detail15normal_iteratorINS6_10device_ptrIS8_EEEENS0_8identityIS8_EEEE10hipError_tT2_T3_mT4_P12ihipStream_tbEUlT_E_NS1_11comp_targetILNS1_3genE5ELNS1_11target_archE942ELNS1_3gpuE9ELNS1_3repE0EEENS1_30default_config_static_selectorELNS0_4arch9wavefront6targetE0EEEvT1_.uses_vcc, 0
	.set _ZN7rocprim17ROCPRIM_400000_NS6detail17trampoline_kernelINS0_14default_configENS1_25transform_config_selectorIN6thrust23THRUST_200600_302600_NS4pairIiiEELb0EEEZNS1_14transform_implILb0ES3_S9_PS8_NS6_6detail15normal_iteratorINS6_10device_ptrIS8_EEEENS0_8identityIS8_EEEE10hipError_tT2_T3_mT4_P12ihipStream_tbEUlT_E_NS1_11comp_targetILNS1_3genE5ELNS1_11target_archE942ELNS1_3gpuE9ELNS1_3repE0EEENS1_30default_config_static_selectorELNS0_4arch9wavefront6targetE0EEEvT1_.uses_flat_scratch, 0
	.set _ZN7rocprim17ROCPRIM_400000_NS6detail17trampoline_kernelINS0_14default_configENS1_25transform_config_selectorIN6thrust23THRUST_200600_302600_NS4pairIiiEELb0EEEZNS1_14transform_implILb0ES3_S9_PS8_NS6_6detail15normal_iteratorINS6_10device_ptrIS8_EEEENS0_8identityIS8_EEEE10hipError_tT2_T3_mT4_P12ihipStream_tbEUlT_E_NS1_11comp_targetILNS1_3genE5ELNS1_11target_archE942ELNS1_3gpuE9ELNS1_3repE0EEENS1_30default_config_static_selectorELNS0_4arch9wavefront6targetE0EEEvT1_.has_dyn_sized_stack, 0
	.set _ZN7rocprim17ROCPRIM_400000_NS6detail17trampoline_kernelINS0_14default_configENS1_25transform_config_selectorIN6thrust23THRUST_200600_302600_NS4pairIiiEELb0EEEZNS1_14transform_implILb0ES3_S9_PS8_NS6_6detail15normal_iteratorINS6_10device_ptrIS8_EEEENS0_8identityIS8_EEEE10hipError_tT2_T3_mT4_P12ihipStream_tbEUlT_E_NS1_11comp_targetILNS1_3genE5ELNS1_11target_archE942ELNS1_3gpuE9ELNS1_3repE0EEENS1_30default_config_static_selectorELNS0_4arch9wavefront6targetE0EEEvT1_.has_recursion, 0
	.set _ZN7rocprim17ROCPRIM_400000_NS6detail17trampoline_kernelINS0_14default_configENS1_25transform_config_selectorIN6thrust23THRUST_200600_302600_NS4pairIiiEELb0EEEZNS1_14transform_implILb0ES3_S9_PS8_NS6_6detail15normal_iteratorINS6_10device_ptrIS8_EEEENS0_8identityIS8_EEEE10hipError_tT2_T3_mT4_P12ihipStream_tbEUlT_E_NS1_11comp_targetILNS1_3genE5ELNS1_11target_archE942ELNS1_3gpuE9ELNS1_3repE0EEENS1_30default_config_static_selectorELNS0_4arch9wavefront6targetE0EEEvT1_.has_indirect_call, 0
	.section	.AMDGPU.csdata,"",@progbits
; Kernel info:
; codeLenInByte = 0
; TotalNumSgprs: 0
; NumVgprs: 0
; ScratchSize: 0
; MemoryBound: 0
; FloatMode: 240
; IeeeMode: 1
; LDSByteSize: 0 bytes/workgroup (compile time only)
; SGPRBlocks: 0
; VGPRBlocks: 0
; NumSGPRsForWavesPerEU: 1
; NumVGPRsForWavesPerEU: 1
; Occupancy: 16
; WaveLimiterHint : 0
; COMPUTE_PGM_RSRC2:SCRATCH_EN: 0
; COMPUTE_PGM_RSRC2:USER_SGPR: 6
; COMPUTE_PGM_RSRC2:TRAP_HANDLER: 0
; COMPUTE_PGM_RSRC2:TGID_X_EN: 1
; COMPUTE_PGM_RSRC2:TGID_Y_EN: 0
; COMPUTE_PGM_RSRC2:TGID_Z_EN: 0
; COMPUTE_PGM_RSRC2:TIDIG_COMP_CNT: 0
	.section	.text._ZN7rocprim17ROCPRIM_400000_NS6detail17trampoline_kernelINS0_14default_configENS1_25transform_config_selectorIN6thrust23THRUST_200600_302600_NS4pairIiiEELb0EEEZNS1_14transform_implILb0ES3_S9_PS8_NS6_6detail15normal_iteratorINS6_10device_ptrIS8_EEEENS0_8identityIS8_EEEE10hipError_tT2_T3_mT4_P12ihipStream_tbEUlT_E_NS1_11comp_targetILNS1_3genE4ELNS1_11target_archE910ELNS1_3gpuE8ELNS1_3repE0EEENS1_30default_config_static_selectorELNS0_4arch9wavefront6targetE0EEEvT1_,"axG",@progbits,_ZN7rocprim17ROCPRIM_400000_NS6detail17trampoline_kernelINS0_14default_configENS1_25transform_config_selectorIN6thrust23THRUST_200600_302600_NS4pairIiiEELb0EEEZNS1_14transform_implILb0ES3_S9_PS8_NS6_6detail15normal_iteratorINS6_10device_ptrIS8_EEEENS0_8identityIS8_EEEE10hipError_tT2_T3_mT4_P12ihipStream_tbEUlT_E_NS1_11comp_targetILNS1_3genE4ELNS1_11target_archE910ELNS1_3gpuE8ELNS1_3repE0EEENS1_30default_config_static_selectorELNS0_4arch9wavefront6targetE0EEEvT1_,comdat
	.protected	_ZN7rocprim17ROCPRIM_400000_NS6detail17trampoline_kernelINS0_14default_configENS1_25transform_config_selectorIN6thrust23THRUST_200600_302600_NS4pairIiiEELb0EEEZNS1_14transform_implILb0ES3_S9_PS8_NS6_6detail15normal_iteratorINS6_10device_ptrIS8_EEEENS0_8identityIS8_EEEE10hipError_tT2_T3_mT4_P12ihipStream_tbEUlT_E_NS1_11comp_targetILNS1_3genE4ELNS1_11target_archE910ELNS1_3gpuE8ELNS1_3repE0EEENS1_30default_config_static_selectorELNS0_4arch9wavefront6targetE0EEEvT1_ ; -- Begin function _ZN7rocprim17ROCPRIM_400000_NS6detail17trampoline_kernelINS0_14default_configENS1_25transform_config_selectorIN6thrust23THRUST_200600_302600_NS4pairIiiEELb0EEEZNS1_14transform_implILb0ES3_S9_PS8_NS6_6detail15normal_iteratorINS6_10device_ptrIS8_EEEENS0_8identityIS8_EEEE10hipError_tT2_T3_mT4_P12ihipStream_tbEUlT_E_NS1_11comp_targetILNS1_3genE4ELNS1_11target_archE910ELNS1_3gpuE8ELNS1_3repE0EEENS1_30default_config_static_selectorELNS0_4arch9wavefront6targetE0EEEvT1_
	.globl	_ZN7rocprim17ROCPRIM_400000_NS6detail17trampoline_kernelINS0_14default_configENS1_25transform_config_selectorIN6thrust23THRUST_200600_302600_NS4pairIiiEELb0EEEZNS1_14transform_implILb0ES3_S9_PS8_NS6_6detail15normal_iteratorINS6_10device_ptrIS8_EEEENS0_8identityIS8_EEEE10hipError_tT2_T3_mT4_P12ihipStream_tbEUlT_E_NS1_11comp_targetILNS1_3genE4ELNS1_11target_archE910ELNS1_3gpuE8ELNS1_3repE0EEENS1_30default_config_static_selectorELNS0_4arch9wavefront6targetE0EEEvT1_
	.p2align	8
	.type	_ZN7rocprim17ROCPRIM_400000_NS6detail17trampoline_kernelINS0_14default_configENS1_25transform_config_selectorIN6thrust23THRUST_200600_302600_NS4pairIiiEELb0EEEZNS1_14transform_implILb0ES3_S9_PS8_NS6_6detail15normal_iteratorINS6_10device_ptrIS8_EEEENS0_8identityIS8_EEEE10hipError_tT2_T3_mT4_P12ihipStream_tbEUlT_E_NS1_11comp_targetILNS1_3genE4ELNS1_11target_archE910ELNS1_3gpuE8ELNS1_3repE0EEENS1_30default_config_static_selectorELNS0_4arch9wavefront6targetE0EEEvT1_,@function
_ZN7rocprim17ROCPRIM_400000_NS6detail17trampoline_kernelINS0_14default_configENS1_25transform_config_selectorIN6thrust23THRUST_200600_302600_NS4pairIiiEELb0EEEZNS1_14transform_implILb0ES3_S9_PS8_NS6_6detail15normal_iteratorINS6_10device_ptrIS8_EEEENS0_8identityIS8_EEEE10hipError_tT2_T3_mT4_P12ihipStream_tbEUlT_E_NS1_11comp_targetILNS1_3genE4ELNS1_11target_archE910ELNS1_3gpuE8ELNS1_3repE0EEENS1_30default_config_static_selectorELNS0_4arch9wavefront6targetE0EEEvT1_: ; @_ZN7rocprim17ROCPRIM_400000_NS6detail17trampoline_kernelINS0_14default_configENS1_25transform_config_selectorIN6thrust23THRUST_200600_302600_NS4pairIiiEELb0EEEZNS1_14transform_implILb0ES3_S9_PS8_NS6_6detail15normal_iteratorINS6_10device_ptrIS8_EEEENS0_8identityIS8_EEEE10hipError_tT2_T3_mT4_P12ihipStream_tbEUlT_E_NS1_11comp_targetILNS1_3genE4ELNS1_11target_archE910ELNS1_3gpuE8ELNS1_3repE0EEENS1_30default_config_static_selectorELNS0_4arch9wavefront6targetE0EEEvT1_
; %bb.0:
	.section	.rodata,"a",@progbits
	.p2align	6, 0x0
	.amdhsa_kernel _ZN7rocprim17ROCPRIM_400000_NS6detail17trampoline_kernelINS0_14default_configENS1_25transform_config_selectorIN6thrust23THRUST_200600_302600_NS4pairIiiEELb0EEEZNS1_14transform_implILb0ES3_S9_PS8_NS6_6detail15normal_iteratorINS6_10device_ptrIS8_EEEENS0_8identityIS8_EEEE10hipError_tT2_T3_mT4_P12ihipStream_tbEUlT_E_NS1_11comp_targetILNS1_3genE4ELNS1_11target_archE910ELNS1_3gpuE8ELNS1_3repE0EEENS1_30default_config_static_selectorELNS0_4arch9wavefront6targetE0EEEvT1_
		.amdhsa_group_segment_fixed_size 0
		.amdhsa_private_segment_fixed_size 0
		.amdhsa_kernarg_size 40
		.amdhsa_user_sgpr_count 6
		.amdhsa_user_sgpr_private_segment_buffer 1
		.amdhsa_user_sgpr_dispatch_ptr 0
		.amdhsa_user_sgpr_queue_ptr 0
		.amdhsa_user_sgpr_kernarg_segment_ptr 1
		.amdhsa_user_sgpr_dispatch_id 0
		.amdhsa_user_sgpr_flat_scratch_init 0
		.amdhsa_user_sgpr_private_segment_size 0
		.amdhsa_wavefront_size32 1
		.amdhsa_uses_dynamic_stack 0
		.amdhsa_system_sgpr_private_segment_wavefront_offset 0
		.amdhsa_system_sgpr_workgroup_id_x 1
		.amdhsa_system_sgpr_workgroup_id_y 0
		.amdhsa_system_sgpr_workgroup_id_z 0
		.amdhsa_system_sgpr_workgroup_info 0
		.amdhsa_system_vgpr_workitem_id 0
		.amdhsa_next_free_vgpr 1
		.amdhsa_next_free_sgpr 1
		.amdhsa_reserve_vcc 0
		.amdhsa_reserve_flat_scratch 0
		.amdhsa_float_round_mode_32 0
		.amdhsa_float_round_mode_16_64 0
		.amdhsa_float_denorm_mode_32 3
		.amdhsa_float_denorm_mode_16_64 3
		.amdhsa_dx10_clamp 1
		.amdhsa_ieee_mode 1
		.amdhsa_fp16_overflow 0
		.amdhsa_workgroup_processor_mode 1
		.amdhsa_memory_ordered 1
		.amdhsa_forward_progress 1
		.amdhsa_shared_vgpr_count 0
		.amdhsa_exception_fp_ieee_invalid_op 0
		.amdhsa_exception_fp_denorm_src 0
		.amdhsa_exception_fp_ieee_div_zero 0
		.amdhsa_exception_fp_ieee_overflow 0
		.amdhsa_exception_fp_ieee_underflow 0
		.amdhsa_exception_fp_ieee_inexact 0
		.amdhsa_exception_int_div_zero 0
	.end_amdhsa_kernel
	.section	.text._ZN7rocprim17ROCPRIM_400000_NS6detail17trampoline_kernelINS0_14default_configENS1_25transform_config_selectorIN6thrust23THRUST_200600_302600_NS4pairIiiEELb0EEEZNS1_14transform_implILb0ES3_S9_PS8_NS6_6detail15normal_iteratorINS6_10device_ptrIS8_EEEENS0_8identityIS8_EEEE10hipError_tT2_T3_mT4_P12ihipStream_tbEUlT_E_NS1_11comp_targetILNS1_3genE4ELNS1_11target_archE910ELNS1_3gpuE8ELNS1_3repE0EEENS1_30default_config_static_selectorELNS0_4arch9wavefront6targetE0EEEvT1_,"axG",@progbits,_ZN7rocprim17ROCPRIM_400000_NS6detail17trampoline_kernelINS0_14default_configENS1_25transform_config_selectorIN6thrust23THRUST_200600_302600_NS4pairIiiEELb0EEEZNS1_14transform_implILb0ES3_S9_PS8_NS6_6detail15normal_iteratorINS6_10device_ptrIS8_EEEENS0_8identityIS8_EEEE10hipError_tT2_T3_mT4_P12ihipStream_tbEUlT_E_NS1_11comp_targetILNS1_3genE4ELNS1_11target_archE910ELNS1_3gpuE8ELNS1_3repE0EEENS1_30default_config_static_selectorELNS0_4arch9wavefront6targetE0EEEvT1_,comdat
.Lfunc_end683:
	.size	_ZN7rocprim17ROCPRIM_400000_NS6detail17trampoline_kernelINS0_14default_configENS1_25transform_config_selectorIN6thrust23THRUST_200600_302600_NS4pairIiiEELb0EEEZNS1_14transform_implILb0ES3_S9_PS8_NS6_6detail15normal_iteratorINS6_10device_ptrIS8_EEEENS0_8identityIS8_EEEE10hipError_tT2_T3_mT4_P12ihipStream_tbEUlT_E_NS1_11comp_targetILNS1_3genE4ELNS1_11target_archE910ELNS1_3gpuE8ELNS1_3repE0EEENS1_30default_config_static_selectorELNS0_4arch9wavefront6targetE0EEEvT1_, .Lfunc_end683-_ZN7rocprim17ROCPRIM_400000_NS6detail17trampoline_kernelINS0_14default_configENS1_25transform_config_selectorIN6thrust23THRUST_200600_302600_NS4pairIiiEELb0EEEZNS1_14transform_implILb0ES3_S9_PS8_NS6_6detail15normal_iteratorINS6_10device_ptrIS8_EEEENS0_8identityIS8_EEEE10hipError_tT2_T3_mT4_P12ihipStream_tbEUlT_E_NS1_11comp_targetILNS1_3genE4ELNS1_11target_archE910ELNS1_3gpuE8ELNS1_3repE0EEENS1_30default_config_static_selectorELNS0_4arch9wavefront6targetE0EEEvT1_
                                        ; -- End function
	.set _ZN7rocprim17ROCPRIM_400000_NS6detail17trampoline_kernelINS0_14default_configENS1_25transform_config_selectorIN6thrust23THRUST_200600_302600_NS4pairIiiEELb0EEEZNS1_14transform_implILb0ES3_S9_PS8_NS6_6detail15normal_iteratorINS6_10device_ptrIS8_EEEENS0_8identityIS8_EEEE10hipError_tT2_T3_mT4_P12ihipStream_tbEUlT_E_NS1_11comp_targetILNS1_3genE4ELNS1_11target_archE910ELNS1_3gpuE8ELNS1_3repE0EEENS1_30default_config_static_selectorELNS0_4arch9wavefront6targetE0EEEvT1_.num_vgpr, 0
	.set _ZN7rocprim17ROCPRIM_400000_NS6detail17trampoline_kernelINS0_14default_configENS1_25transform_config_selectorIN6thrust23THRUST_200600_302600_NS4pairIiiEELb0EEEZNS1_14transform_implILb0ES3_S9_PS8_NS6_6detail15normal_iteratorINS6_10device_ptrIS8_EEEENS0_8identityIS8_EEEE10hipError_tT2_T3_mT4_P12ihipStream_tbEUlT_E_NS1_11comp_targetILNS1_3genE4ELNS1_11target_archE910ELNS1_3gpuE8ELNS1_3repE0EEENS1_30default_config_static_selectorELNS0_4arch9wavefront6targetE0EEEvT1_.num_agpr, 0
	.set _ZN7rocprim17ROCPRIM_400000_NS6detail17trampoline_kernelINS0_14default_configENS1_25transform_config_selectorIN6thrust23THRUST_200600_302600_NS4pairIiiEELb0EEEZNS1_14transform_implILb0ES3_S9_PS8_NS6_6detail15normal_iteratorINS6_10device_ptrIS8_EEEENS0_8identityIS8_EEEE10hipError_tT2_T3_mT4_P12ihipStream_tbEUlT_E_NS1_11comp_targetILNS1_3genE4ELNS1_11target_archE910ELNS1_3gpuE8ELNS1_3repE0EEENS1_30default_config_static_selectorELNS0_4arch9wavefront6targetE0EEEvT1_.numbered_sgpr, 0
	.set _ZN7rocprim17ROCPRIM_400000_NS6detail17trampoline_kernelINS0_14default_configENS1_25transform_config_selectorIN6thrust23THRUST_200600_302600_NS4pairIiiEELb0EEEZNS1_14transform_implILb0ES3_S9_PS8_NS6_6detail15normal_iteratorINS6_10device_ptrIS8_EEEENS0_8identityIS8_EEEE10hipError_tT2_T3_mT4_P12ihipStream_tbEUlT_E_NS1_11comp_targetILNS1_3genE4ELNS1_11target_archE910ELNS1_3gpuE8ELNS1_3repE0EEENS1_30default_config_static_selectorELNS0_4arch9wavefront6targetE0EEEvT1_.num_named_barrier, 0
	.set _ZN7rocprim17ROCPRIM_400000_NS6detail17trampoline_kernelINS0_14default_configENS1_25transform_config_selectorIN6thrust23THRUST_200600_302600_NS4pairIiiEELb0EEEZNS1_14transform_implILb0ES3_S9_PS8_NS6_6detail15normal_iteratorINS6_10device_ptrIS8_EEEENS0_8identityIS8_EEEE10hipError_tT2_T3_mT4_P12ihipStream_tbEUlT_E_NS1_11comp_targetILNS1_3genE4ELNS1_11target_archE910ELNS1_3gpuE8ELNS1_3repE0EEENS1_30default_config_static_selectorELNS0_4arch9wavefront6targetE0EEEvT1_.private_seg_size, 0
	.set _ZN7rocprim17ROCPRIM_400000_NS6detail17trampoline_kernelINS0_14default_configENS1_25transform_config_selectorIN6thrust23THRUST_200600_302600_NS4pairIiiEELb0EEEZNS1_14transform_implILb0ES3_S9_PS8_NS6_6detail15normal_iteratorINS6_10device_ptrIS8_EEEENS0_8identityIS8_EEEE10hipError_tT2_T3_mT4_P12ihipStream_tbEUlT_E_NS1_11comp_targetILNS1_3genE4ELNS1_11target_archE910ELNS1_3gpuE8ELNS1_3repE0EEENS1_30default_config_static_selectorELNS0_4arch9wavefront6targetE0EEEvT1_.uses_vcc, 0
	.set _ZN7rocprim17ROCPRIM_400000_NS6detail17trampoline_kernelINS0_14default_configENS1_25transform_config_selectorIN6thrust23THRUST_200600_302600_NS4pairIiiEELb0EEEZNS1_14transform_implILb0ES3_S9_PS8_NS6_6detail15normal_iteratorINS6_10device_ptrIS8_EEEENS0_8identityIS8_EEEE10hipError_tT2_T3_mT4_P12ihipStream_tbEUlT_E_NS1_11comp_targetILNS1_3genE4ELNS1_11target_archE910ELNS1_3gpuE8ELNS1_3repE0EEENS1_30default_config_static_selectorELNS0_4arch9wavefront6targetE0EEEvT1_.uses_flat_scratch, 0
	.set _ZN7rocprim17ROCPRIM_400000_NS6detail17trampoline_kernelINS0_14default_configENS1_25transform_config_selectorIN6thrust23THRUST_200600_302600_NS4pairIiiEELb0EEEZNS1_14transform_implILb0ES3_S9_PS8_NS6_6detail15normal_iteratorINS6_10device_ptrIS8_EEEENS0_8identityIS8_EEEE10hipError_tT2_T3_mT4_P12ihipStream_tbEUlT_E_NS1_11comp_targetILNS1_3genE4ELNS1_11target_archE910ELNS1_3gpuE8ELNS1_3repE0EEENS1_30default_config_static_selectorELNS0_4arch9wavefront6targetE0EEEvT1_.has_dyn_sized_stack, 0
	.set _ZN7rocprim17ROCPRIM_400000_NS6detail17trampoline_kernelINS0_14default_configENS1_25transform_config_selectorIN6thrust23THRUST_200600_302600_NS4pairIiiEELb0EEEZNS1_14transform_implILb0ES3_S9_PS8_NS6_6detail15normal_iteratorINS6_10device_ptrIS8_EEEENS0_8identityIS8_EEEE10hipError_tT2_T3_mT4_P12ihipStream_tbEUlT_E_NS1_11comp_targetILNS1_3genE4ELNS1_11target_archE910ELNS1_3gpuE8ELNS1_3repE0EEENS1_30default_config_static_selectorELNS0_4arch9wavefront6targetE0EEEvT1_.has_recursion, 0
	.set _ZN7rocprim17ROCPRIM_400000_NS6detail17trampoline_kernelINS0_14default_configENS1_25transform_config_selectorIN6thrust23THRUST_200600_302600_NS4pairIiiEELb0EEEZNS1_14transform_implILb0ES3_S9_PS8_NS6_6detail15normal_iteratorINS6_10device_ptrIS8_EEEENS0_8identityIS8_EEEE10hipError_tT2_T3_mT4_P12ihipStream_tbEUlT_E_NS1_11comp_targetILNS1_3genE4ELNS1_11target_archE910ELNS1_3gpuE8ELNS1_3repE0EEENS1_30default_config_static_selectorELNS0_4arch9wavefront6targetE0EEEvT1_.has_indirect_call, 0
	.section	.AMDGPU.csdata,"",@progbits
; Kernel info:
; codeLenInByte = 0
; TotalNumSgprs: 0
; NumVgprs: 0
; ScratchSize: 0
; MemoryBound: 0
; FloatMode: 240
; IeeeMode: 1
; LDSByteSize: 0 bytes/workgroup (compile time only)
; SGPRBlocks: 0
; VGPRBlocks: 0
; NumSGPRsForWavesPerEU: 1
; NumVGPRsForWavesPerEU: 1
; Occupancy: 16
; WaveLimiterHint : 0
; COMPUTE_PGM_RSRC2:SCRATCH_EN: 0
; COMPUTE_PGM_RSRC2:USER_SGPR: 6
; COMPUTE_PGM_RSRC2:TRAP_HANDLER: 0
; COMPUTE_PGM_RSRC2:TGID_X_EN: 1
; COMPUTE_PGM_RSRC2:TGID_Y_EN: 0
; COMPUTE_PGM_RSRC2:TGID_Z_EN: 0
; COMPUTE_PGM_RSRC2:TIDIG_COMP_CNT: 0
	.section	.text._ZN7rocprim17ROCPRIM_400000_NS6detail17trampoline_kernelINS0_14default_configENS1_25transform_config_selectorIN6thrust23THRUST_200600_302600_NS4pairIiiEELb0EEEZNS1_14transform_implILb0ES3_S9_PS8_NS6_6detail15normal_iteratorINS6_10device_ptrIS8_EEEENS0_8identityIS8_EEEE10hipError_tT2_T3_mT4_P12ihipStream_tbEUlT_E_NS1_11comp_targetILNS1_3genE3ELNS1_11target_archE908ELNS1_3gpuE7ELNS1_3repE0EEENS1_30default_config_static_selectorELNS0_4arch9wavefront6targetE0EEEvT1_,"axG",@progbits,_ZN7rocprim17ROCPRIM_400000_NS6detail17trampoline_kernelINS0_14default_configENS1_25transform_config_selectorIN6thrust23THRUST_200600_302600_NS4pairIiiEELb0EEEZNS1_14transform_implILb0ES3_S9_PS8_NS6_6detail15normal_iteratorINS6_10device_ptrIS8_EEEENS0_8identityIS8_EEEE10hipError_tT2_T3_mT4_P12ihipStream_tbEUlT_E_NS1_11comp_targetILNS1_3genE3ELNS1_11target_archE908ELNS1_3gpuE7ELNS1_3repE0EEENS1_30default_config_static_selectorELNS0_4arch9wavefront6targetE0EEEvT1_,comdat
	.protected	_ZN7rocprim17ROCPRIM_400000_NS6detail17trampoline_kernelINS0_14default_configENS1_25transform_config_selectorIN6thrust23THRUST_200600_302600_NS4pairIiiEELb0EEEZNS1_14transform_implILb0ES3_S9_PS8_NS6_6detail15normal_iteratorINS6_10device_ptrIS8_EEEENS0_8identityIS8_EEEE10hipError_tT2_T3_mT4_P12ihipStream_tbEUlT_E_NS1_11comp_targetILNS1_3genE3ELNS1_11target_archE908ELNS1_3gpuE7ELNS1_3repE0EEENS1_30default_config_static_selectorELNS0_4arch9wavefront6targetE0EEEvT1_ ; -- Begin function _ZN7rocprim17ROCPRIM_400000_NS6detail17trampoline_kernelINS0_14default_configENS1_25transform_config_selectorIN6thrust23THRUST_200600_302600_NS4pairIiiEELb0EEEZNS1_14transform_implILb0ES3_S9_PS8_NS6_6detail15normal_iteratorINS6_10device_ptrIS8_EEEENS0_8identityIS8_EEEE10hipError_tT2_T3_mT4_P12ihipStream_tbEUlT_E_NS1_11comp_targetILNS1_3genE3ELNS1_11target_archE908ELNS1_3gpuE7ELNS1_3repE0EEENS1_30default_config_static_selectorELNS0_4arch9wavefront6targetE0EEEvT1_
	.globl	_ZN7rocprim17ROCPRIM_400000_NS6detail17trampoline_kernelINS0_14default_configENS1_25transform_config_selectorIN6thrust23THRUST_200600_302600_NS4pairIiiEELb0EEEZNS1_14transform_implILb0ES3_S9_PS8_NS6_6detail15normal_iteratorINS6_10device_ptrIS8_EEEENS0_8identityIS8_EEEE10hipError_tT2_T3_mT4_P12ihipStream_tbEUlT_E_NS1_11comp_targetILNS1_3genE3ELNS1_11target_archE908ELNS1_3gpuE7ELNS1_3repE0EEENS1_30default_config_static_selectorELNS0_4arch9wavefront6targetE0EEEvT1_
	.p2align	8
	.type	_ZN7rocprim17ROCPRIM_400000_NS6detail17trampoline_kernelINS0_14default_configENS1_25transform_config_selectorIN6thrust23THRUST_200600_302600_NS4pairIiiEELb0EEEZNS1_14transform_implILb0ES3_S9_PS8_NS6_6detail15normal_iteratorINS6_10device_ptrIS8_EEEENS0_8identityIS8_EEEE10hipError_tT2_T3_mT4_P12ihipStream_tbEUlT_E_NS1_11comp_targetILNS1_3genE3ELNS1_11target_archE908ELNS1_3gpuE7ELNS1_3repE0EEENS1_30default_config_static_selectorELNS0_4arch9wavefront6targetE0EEEvT1_,@function
_ZN7rocprim17ROCPRIM_400000_NS6detail17trampoline_kernelINS0_14default_configENS1_25transform_config_selectorIN6thrust23THRUST_200600_302600_NS4pairIiiEELb0EEEZNS1_14transform_implILb0ES3_S9_PS8_NS6_6detail15normal_iteratorINS6_10device_ptrIS8_EEEENS0_8identityIS8_EEEE10hipError_tT2_T3_mT4_P12ihipStream_tbEUlT_E_NS1_11comp_targetILNS1_3genE3ELNS1_11target_archE908ELNS1_3gpuE7ELNS1_3repE0EEENS1_30default_config_static_selectorELNS0_4arch9wavefront6targetE0EEEvT1_: ; @_ZN7rocprim17ROCPRIM_400000_NS6detail17trampoline_kernelINS0_14default_configENS1_25transform_config_selectorIN6thrust23THRUST_200600_302600_NS4pairIiiEELb0EEEZNS1_14transform_implILb0ES3_S9_PS8_NS6_6detail15normal_iteratorINS6_10device_ptrIS8_EEEENS0_8identityIS8_EEEE10hipError_tT2_T3_mT4_P12ihipStream_tbEUlT_E_NS1_11comp_targetILNS1_3genE3ELNS1_11target_archE908ELNS1_3gpuE7ELNS1_3repE0EEENS1_30default_config_static_selectorELNS0_4arch9wavefront6targetE0EEEvT1_
; %bb.0:
	.section	.rodata,"a",@progbits
	.p2align	6, 0x0
	.amdhsa_kernel _ZN7rocprim17ROCPRIM_400000_NS6detail17trampoline_kernelINS0_14default_configENS1_25transform_config_selectorIN6thrust23THRUST_200600_302600_NS4pairIiiEELb0EEEZNS1_14transform_implILb0ES3_S9_PS8_NS6_6detail15normal_iteratorINS6_10device_ptrIS8_EEEENS0_8identityIS8_EEEE10hipError_tT2_T3_mT4_P12ihipStream_tbEUlT_E_NS1_11comp_targetILNS1_3genE3ELNS1_11target_archE908ELNS1_3gpuE7ELNS1_3repE0EEENS1_30default_config_static_selectorELNS0_4arch9wavefront6targetE0EEEvT1_
		.amdhsa_group_segment_fixed_size 0
		.amdhsa_private_segment_fixed_size 0
		.amdhsa_kernarg_size 40
		.amdhsa_user_sgpr_count 6
		.amdhsa_user_sgpr_private_segment_buffer 1
		.amdhsa_user_sgpr_dispatch_ptr 0
		.amdhsa_user_sgpr_queue_ptr 0
		.amdhsa_user_sgpr_kernarg_segment_ptr 1
		.amdhsa_user_sgpr_dispatch_id 0
		.amdhsa_user_sgpr_flat_scratch_init 0
		.amdhsa_user_sgpr_private_segment_size 0
		.amdhsa_wavefront_size32 1
		.amdhsa_uses_dynamic_stack 0
		.amdhsa_system_sgpr_private_segment_wavefront_offset 0
		.amdhsa_system_sgpr_workgroup_id_x 1
		.amdhsa_system_sgpr_workgroup_id_y 0
		.amdhsa_system_sgpr_workgroup_id_z 0
		.amdhsa_system_sgpr_workgroup_info 0
		.amdhsa_system_vgpr_workitem_id 0
		.amdhsa_next_free_vgpr 1
		.amdhsa_next_free_sgpr 1
		.amdhsa_reserve_vcc 0
		.amdhsa_reserve_flat_scratch 0
		.amdhsa_float_round_mode_32 0
		.amdhsa_float_round_mode_16_64 0
		.amdhsa_float_denorm_mode_32 3
		.amdhsa_float_denorm_mode_16_64 3
		.amdhsa_dx10_clamp 1
		.amdhsa_ieee_mode 1
		.amdhsa_fp16_overflow 0
		.amdhsa_workgroup_processor_mode 1
		.amdhsa_memory_ordered 1
		.amdhsa_forward_progress 1
		.amdhsa_shared_vgpr_count 0
		.amdhsa_exception_fp_ieee_invalid_op 0
		.amdhsa_exception_fp_denorm_src 0
		.amdhsa_exception_fp_ieee_div_zero 0
		.amdhsa_exception_fp_ieee_overflow 0
		.amdhsa_exception_fp_ieee_underflow 0
		.amdhsa_exception_fp_ieee_inexact 0
		.amdhsa_exception_int_div_zero 0
	.end_amdhsa_kernel
	.section	.text._ZN7rocprim17ROCPRIM_400000_NS6detail17trampoline_kernelINS0_14default_configENS1_25transform_config_selectorIN6thrust23THRUST_200600_302600_NS4pairIiiEELb0EEEZNS1_14transform_implILb0ES3_S9_PS8_NS6_6detail15normal_iteratorINS6_10device_ptrIS8_EEEENS0_8identityIS8_EEEE10hipError_tT2_T3_mT4_P12ihipStream_tbEUlT_E_NS1_11comp_targetILNS1_3genE3ELNS1_11target_archE908ELNS1_3gpuE7ELNS1_3repE0EEENS1_30default_config_static_selectorELNS0_4arch9wavefront6targetE0EEEvT1_,"axG",@progbits,_ZN7rocprim17ROCPRIM_400000_NS6detail17trampoline_kernelINS0_14default_configENS1_25transform_config_selectorIN6thrust23THRUST_200600_302600_NS4pairIiiEELb0EEEZNS1_14transform_implILb0ES3_S9_PS8_NS6_6detail15normal_iteratorINS6_10device_ptrIS8_EEEENS0_8identityIS8_EEEE10hipError_tT2_T3_mT4_P12ihipStream_tbEUlT_E_NS1_11comp_targetILNS1_3genE3ELNS1_11target_archE908ELNS1_3gpuE7ELNS1_3repE0EEENS1_30default_config_static_selectorELNS0_4arch9wavefront6targetE0EEEvT1_,comdat
.Lfunc_end684:
	.size	_ZN7rocprim17ROCPRIM_400000_NS6detail17trampoline_kernelINS0_14default_configENS1_25transform_config_selectorIN6thrust23THRUST_200600_302600_NS4pairIiiEELb0EEEZNS1_14transform_implILb0ES3_S9_PS8_NS6_6detail15normal_iteratorINS6_10device_ptrIS8_EEEENS0_8identityIS8_EEEE10hipError_tT2_T3_mT4_P12ihipStream_tbEUlT_E_NS1_11comp_targetILNS1_3genE3ELNS1_11target_archE908ELNS1_3gpuE7ELNS1_3repE0EEENS1_30default_config_static_selectorELNS0_4arch9wavefront6targetE0EEEvT1_, .Lfunc_end684-_ZN7rocprim17ROCPRIM_400000_NS6detail17trampoline_kernelINS0_14default_configENS1_25transform_config_selectorIN6thrust23THRUST_200600_302600_NS4pairIiiEELb0EEEZNS1_14transform_implILb0ES3_S9_PS8_NS6_6detail15normal_iteratorINS6_10device_ptrIS8_EEEENS0_8identityIS8_EEEE10hipError_tT2_T3_mT4_P12ihipStream_tbEUlT_E_NS1_11comp_targetILNS1_3genE3ELNS1_11target_archE908ELNS1_3gpuE7ELNS1_3repE0EEENS1_30default_config_static_selectorELNS0_4arch9wavefront6targetE0EEEvT1_
                                        ; -- End function
	.set _ZN7rocprim17ROCPRIM_400000_NS6detail17trampoline_kernelINS0_14default_configENS1_25transform_config_selectorIN6thrust23THRUST_200600_302600_NS4pairIiiEELb0EEEZNS1_14transform_implILb0ES3_S9_PS8_NS6_6detail15normal_iteratorINS6_10device_ptrIS8_EEEENS0_8identityIS8_EEEE10hipError_tT2_T3_mT4_P12ihipStream_tbEUlT_E_NS1_11comp_targetILNS1_3genE3ELNS1_11target_archE908ELNS1_3gpuE7ELNS1_3repE0EEENS1_30default_config_static_selectorELNS0_4arch9wavefront6targetE0EEEvT1_.num_vgpr, 0
	.set _ZN7rocprim17ROCPRIM_400000_NS6detail17trampoline_kernelINS0_14default_configENS1_25transform_config_selectorIN6thrust23THRUST_200600_302600_NS4pairIiiEELb0EEEZNS1_14transform_implILb0ES3_S9_PS8_NS6_6detail15normal_iteratorINS6_10device_ptrIS8_EEEENS0_8identityIS8_EEEE10hipError_tT2_T3_mT4_P12ihipStream_tbEUlT_E_NS1_11comp_targetILNS1_3genE3ELNS1_11target_archE908ELNS1_3gpuE7ELNS1_3repE0EEENS1_30default_config_static_selectorELNS0_4arch9wavefront6targetE0EEEvT1_.num_agpr, 0
	.set _ZN7rocprim17ROCPRIM_400000_NS6detail17trampoline_kernelINS0_14default_configENS1_25transform_config_selectorIN6thrust23THRUST_200600_302600_NS4pairIiiEELb0EEEZNS1_14transform_implILb0ES3_S9_PS8_NS6_6detail15normal_iteratorINS6_10device_ptrIS8_EEEENS0_8identityIS8_EEEE10hipError_tT2_T3_mT4_P12ihipStream_tbEUlT_E_NS1_11comp_targetILNS1_3genE3ELNS1_11target_archE908ELNS1_3gpuE7ELNS1_3repE0EEENS1_30default_config_static_selectorELNS0_4arch9wavefront6targetE0EEEvT1_.numbered_sgpr, 0
	.set _ZN7rocprim17ROCPRIM_400000_NS6detail17trampoline_kernelINS0_14default_configENS1_25transform_config_selectorIN6thrust23THRUST_200600_302600_NS4pairIiiEELb0EEEZNS1_14transform_implILb0ES3_S9_PS8_NS6_6detail15normal_iteratorINS6_10device_ptrIS8_EEEENS0_8identityIS8_EEEE10hipError_tT2_T3_mT4_P12ihipStream_tbEUlT_E_NS1_11comp_targetILNS1_3genE3ELNS1_11target_archE908ELNS1_3gpuE7ELNS1_3repE0EEENS1_30default_config_static_selectorELNS0_4arch9wavefront6targetE0EEEvT1_.num_named_barrier, 0
	.set _ZN7rocprim17ROCPRIM_400000_NS6detail17trampoline_kernelINS0_14default_configENS1_25transform_config_selectorIN6thrust23THRUST_200600_302600_NS4pairIiiEELb0EEEZNS1_14transform_implILb0ES3_S9_PS8_NS6_6detail15normal_iteratorINS6_10device_ptrIS8_EEEENS0_8identityIS8_EEEE10hipError_tT2_T3_mT4_P12ihipStream_tbEUlT_E_NS1_11comp_targetILNS1_3genE3ELNS1_11target_archE908ELNS1_3gpuE7ELNS1_3repE0EEENS1_30default_config_static_selectorELNS0_4arch9wavefront6targetE0EEEvT1_.private_seg_size, 0
	.set _ZN7rocprim17ROCPRIM_400000_NS6detail17trampoline_kernelINS0_14default_configENS1_25transform_config_selectorIN6thrust23THRUST_200600_302600_NS4pairIiiEELb0EEEZNS1_14transform_implILb0ES3_S9_PS8_NS6_6detail15normal_iteratorINS6_10device_ptrIS8_EEEENS0_8identityIS8_EEEE10hipError_tT2_T3_mT4_P12ihipStream_tbEUlT_E_NS1_11comp_targetILNS1_3genE3ELNS1_11target_archE908ELNS1_3gpuE7ELNS1_3repE0EEENS1_30default_config_static_selectorELNS0_4arch9wavefront6targetE0EEEvT1_.uses_vcc, 0
	.set _ZN7rocprim17ROCPRIM_400000_NS6detail17trampoline_kernelINS0_14default_configENS1_25transform_config_selectorIN6thrust23THRUST_200600_302600_NS4pairIiiEELb0EEEZNS1_14transform_implILb0ES3_S9_PS8_NS6_6detail15normal_iteratorINS6_10device_ptrIS8_EEEENS0_8identityIS8_EEEE10hipError_tT2_T3_mT4_P12ihipStream_tbEUlT_E_NS1_11comp_targetILNS1_3genE3ELNS1_11target_archE908ELNS1_3gpuE7ELNS1_3repE0EEENS1_30default_config_static_selectorELNS0_4arch9wavefront6targetE0EEEvT1_.uses_flat_scratch, 0
	.set _ZN7rocprim17ROCPRIM_400000_NS6detail17trampoline_kernelINS0_14default_configENS1_25transform_config_selectorIN6thrust23THRUST_200600_302600_NS4pairIiiEELb0EEEZNS1_14transform_implILb0ES3_S9_PS8_NS6_6detail15normal_iteratorINS6_10device_ptrIS8_EEEENS0_8identityIS8_EEEE10hipError_tT2_T3_mT4_P12ihipStream_tbEUlT_E_NS1_11comp_targetILNS1_3genE3ELNS1_11target_archE908ELNS1_3gpuE7ELNS1_3repE0EEENS1_30default_config_static_selectorELNS0_4arch9wavefront6targetE0EEEvT1_.has_dyn_sized_stack, 0
	.set _ZN7rocprim17ROCPRIM_400000_NS6detail17trampoline_kernelINS0_14default_configENS1_25transform_config_selectorIN6thrust23THRUST_200600_302600_NS4pairIiiEELb0EEEZNS1_14transform_implILb0ES3_S9_PS8_NS6_6detail15normal_iteratorINS6_10device_ptrIS8_EEEENS0_8identityIS8_EEEE10hipError_tT2_T3_mT4_P12ihipStream_tbEUlT_E_NS1_11comp_targetILNS1_3genE3ELNS1_11target_archE908ELNS1_3gpuE7ELNS1_3repE0EEENS1_30default_config_static_selectorELNS0_4arch9wavefront6targetE0EEEvT1_.has_recursion, 0
	.set _ZN7rocprim17ROCPRIM_400000_NS6detail17trampoline_kernelINS0_14default_configENS1_25transform_config_selectorIN6thrust23THRUST_200600_302600_NS4pairIiiEELb0EEEZNS1_14transform_implILb0ES3_S9_PS8_NS6_6detail15normal_iteratorINS6_10device_ptrIS8_EEEENS0_8identityIS8_EEEE10hipError_tT2_T3_mT4_P12ihipStream_tbEUlT_E_NS1_11comp_targetILNS1_3genE3ELNS1_11target_archE908ELNS1_3gpuE7ELNS1_3repE0EEENS1_30default_config_static_selectorELNS0_4arch9wavefront6targetE0EEEvT1_.has_indirect_call, 0
	.section	.AMDGPU.csdata,"",@progbits
; Kernel info:
; codeLenInByte = 0
; TotalNumSgprs: 0
; NumVgprs: 0
; ScratchSize: 0
; MemoryBound: 0
; FloatMode: 240
; IeeeMode: 1
; LDSByteSize: 0 bytes/workgroup (compile time only)
; SGPRBlocks: 0
; VGPRBlocks: 0
; NumSGPRsForWavesPerEU: 1
; NumVGPRsForWavesPerEU: 1
; Occupancy: 16
; WaveLimiterHint : 0
; COMPUTE_PGM_RSRC2:SCRATCH_EN: 0
; COMPUTE_PGM_RSRC2:USER_SGPR: 6
; COMPUTE_PGM_RSRC2:TRAP_HANDLER: 0
; COMPUTE_PGM_RSRC2:TGID_X_EN: 1
; COMPUTE_PGM_RSRC2:TGID_Y_EN: 0
; COMPUTE_PGM_RSRC2:TGID_Z_EN: 0
; COMPUTE_PGM_RSRC2:TIDIG_COMP_CNT: 0
	.section	.text._ZN7rocprim17ROCPRIM_400000_NS6detail17trampoline_kernelINS0_14default_configENS1_25transform_config_selectorIN6thrust23THRUST_200600_302600_NS4pairIiiEELb0EEEZNS1_14transform_implILb0ES3_S9_PS8_NS6_6detail15normal_iteratorINS6_10device_ptrIS8_EEEENS0_8identityIS8_EEEE10hipError_tT2_T3_mT4_P12ihipStream_tbEUlT_E_NS1_11comp_targetILNS1_3genE2ELNS1_11target_archE906ELNS1_3gpuE6ELNS1_3repE0EEENS1_30default_config_static_selectorELNS0_4arch9wavefront6targetE0EEEvT1_,"axG",@progbits,_ZN7rocprim17ROCPRIM_400000_NS6detail17trampoline_kernelINS0_14default_configENS1_25transform_config_selectorIN6thrust23THRUST_200600_302600_NS4pairIiiEELb0EEEZNS1_14transform_implILb0ES3_S9_PS8_NS6_6detail15normal_iteratorINS6_10device_ptrIS8_EEEENS0_8identityIS8_EEEE10hipError_tT2_T3_mT4_P12ihipStream_tbEUlT_E_NS1_11comp_targetILNS1_3genE2ELNS1_11target_archE906ELNS1_3gpuE6ELNS1_3repE0EEENS1_30default_config_static_selectorELNS0_4arch9wavefront6targetE0EEEvT1_,comdat
	.protected	_ZN7rocprim17ROCPRIM_400000_NS6detail17trampoline_kernelINS0_14default_configENS1_25transform_config_selectorIN6thrust23THRUST_200600_302600_NS4pairIiiEELb0EEEZNS1_14transform_implILb0ES3_S9_PS8_NS6_6detail15normal_iteratorINS6_10device_ptrIS8_EEEENS0_8identityIS8_EEEE10hipError_tT2_T3_mT4_P12ihipStream_tbEUlT_E_NS1_11comp_targetILNS1_3genE2ELNS1_11target_archE906ELNS1_3gpuE6ELNS1_3repE0EEENS1_30default_config_static_selectorELNS0_4arch9wavefront6targetE0EEEvT1_ ; -- Begin function _ZN7rocprim17ROCPRIM_400000_NS6detail17trampoline_kernelINS0_14default_configENS1_25transform_config_selectorIN6thrust23THRUST_200600_302600_NS4pairIiiEELb0EEEZNS1_14transform_implILb0ES3_S9_PS8_NS6_6detail15normal_iteratorINS6_10device_ptrIS8_EEEENS0_8identityIS8_EEEE10hipError_tT2_T3_mT4_P12ihipStream_tbEUlT_E_NS1_11comp_targetILNS1_3genE2ELNS1_11target_archE906ELNS1_3gpuE6ELNS1_3repE0EEENS1_30default_config_static_selectorELNS0_4arch9wavefront6targetE0EEEvT1_
	.globl	_ZN7rocprim17ROCPRIM_400000_NS6detail17trampoline_kernelINS0_14default_configENS1_25transform_config_selectorIN6thrust23THRUST_200600_302600_NS4pairIiiEELb0EEEZNS1_14transform_implILb0ES3_S9_PS8_NS6_6detail15normal_iteratorINS6_10device_ptrIS8_EEEENS0_8identityIS8_EEEE10hipError_tT2_T3_mT4_P12ihipStream_tbEUlT_E_NS1_11comp_targetILNS1_3genE2ELNS1_11target_archE906ELNS1_3gpuE6ELNS1_3repE0EEENS1_30default_config_static_selectorELNS0_4arch9wavefront6targetE0EEEvT1_
	.p2align	8
	.type	_ZN7rocprim17ROCPRIM_400000_NS6detail17trampoline_kernelINS0_14default_configENS1_25transform_config_selectorIN6thrust23THRUST_200600_302600_NS4pairIiiEELb0EEEZNS1_14transform_implILb0ES3_S9_PS8_NS6_6detail15normal_iteratorINS6_10device_ptrIS8_EEEENS0_8identityIS8_EEEE10hipError_tT2_T3_mT4_P12ihipStream_tbEUlT_E_NS1_11comp_targetILNS1_3genE2ELNS1_11target_archE906ELNS1_3gpuE6ELNS1_3repE0EEENS1_30default_config_static_selectorELNS0_4arch9wavefront6targetE0EEEvT1_,@function
_ZN7rocprim17ROCPRIM_400000_NS6detail17trampoline_kernelINS0_14default_configENS1_25transform_config_selectorIN6thrust23THRUST_200600_302600_NS4pairIiiEELb0EEEZNS1_14transform_implILb0ES3_S9_PS8_NS6_6detail15normal_iteratorINS6_10device_ptrIS8_EEEENS0_8identityIS8_EEEE10hipError_tT2_T3_mT4_P12ihipStream_tbEUlT_E_NS1_11comp_targetILNS1_3genE2ELNS1_11target_archE906ELNS1_3gpuE6ELNS1_3repE0EEENS1_30default_config_static_selectorELNS0_4arch9wavefront6targetE0EEEvT1_: ; @_ZN7rocprim17ROCPRIM_400000_NS6detail17trampoline_kernelINS0_14default_configENS1_25transform_config_selectorIN6thrust23THRUST_200600_302600_NS4pairIiiEELb0EEEZNS1_14transform_implILb0ES3_S9_PS8_NS6_6detail15normal_iteratorINS6_10device_ptrIS8_EEEENS0_8identityIS8_EEEE10hipError_tT2_T3_mT4_P12ihipStream_tbEUlT_E_NS1_11comp_targetILNS1_3genE2ELNS1_11target_archE906ELNS1_3gpuE6ELNS1_3repE0EEENS1_30default_config_static_selectorELNS0_4arch9wavefront6targetE0EEEvT1_
; %bb.0:
	.section	.rodata,"a",@progbits
	.p2align	6, 0x0
	.amdhsa_kernel _ZN7rocprim17ROCPRIM_400000_NS6detail17trampoline_kernelINS0_14default_configENS1_25transform_config_selectorIN6thrust23THRUST_200600_302600_NS4pairIiiEELb0EEEZNS1_14transform_implILb0ES3_S9_PS8_NS6_6detail15normal_iteratorINS6_10device_ptrIS8_EEEENS0_8identityIS8_EEEE10hipError_tT2_T3_mT4_P12ihipStream_tbEUlT_E_NS1_11comp_targetILNS1_3genE2ELNS1_11target_archE906ELNS1_3gpuE6ELNS1_3repE0EEENS1_30default_config_static_selectorELNS0_4arch9wavefront6targetE0EEEvT1_
		.amdhsa_group_segment_fixed_size 0
		.amdhsa_private_segment_fixed_size 0
		.amdhsa_kernarg_size 40
		.amdhsa_user_sgpr_count 6
		.amdhsa_user_sgpr_private_segment_buffer 1
		.amdhsa_user_sgpr_dispatch_ptr 0
		.amdhsa_user_sgpr_queue_ptr 0
		.amdhsa_user_sgpr_kernarg_segment_ptr 1
		.amdhsa_user_sgpr_dispatch_id 0
		.amdhsa_user_sgpr_flat_scratch_init 0
		.amdhsa_user_sgpr_private_segment_size 0
		.amdhsa_wavefront_size32 1
		.amdhsa_uses_dynamic_stack 0
		.amdhsa_system_sgpr_private_segment_wavefront_offset 0
		.amdhsa_system_sgpr_workgroup_id_x 1
		.amdhsa_system_sgpr_workgroup_id_y 0
		.amdhsa_system_sgpr_workgroup_id_z 0
		.amdhsa_system_sgpr_workgroup_info 0
		.amdhsa_system_vgpr_workitem_id 0
		.amdhsa_next_free_vgpr 1
		.amdhsa_next_free_sgpr 1
		.amdhsa_reserve_vcc 0
		.amdhsa_reserve_flat_scratch 0
		.amdhsa_float_round_mode_32 0
		.amdhsa_float_round_mode_16_64 0
		.amdhsa_float_denorm_mode_32 3
		.amdhsa_float_denorm_mode_16_64 3
		.amdhsa_dx10_clamp 1
		.amdhsa_ieee_mode 1
		.amdhsa_fp16_overflow 0
		.amdhsa_workgroup_processor_mode 1
		.amdhsa_memory_ordered 1
		.amdhsa_forward_progress 1
		.amdhsa_shared_vgpr_count 0
		.amdhsa_exception_fp_ieee_invalid_op 0
		.amdhsa_exception_fp_denorm_src 0
		.amdhsa_exception_fp_ieee_div_zero 0
		.amdhsa_exception_fp_ieee_overflow 0
		.amdhsa_exception_fp_ieee_underflow 0
		.amdhsa_exception_fp_ieee_inexact 0
		.amdhsa_exception_int_div_zero 0
	.end_amdhsa_kernel
	.section	.text._ZN7rocprim17ROCPRIM_400000_NS6detail17trampoline_kernelINS0_14default_configENS1_25transform_config_selectorIN6thrust23THRUST_200600_302600_NS4pairIiiEELb0EEEZNS1_14transform_implILb0ES3_S9_PS8_NS6_6detail15normal_iteratorINS6_10device_ptrIS8_EEEENS0_8identityIS8_EEEE10hipError_tT2_T3_mT4_P12ihipStream_tbEUlT_E_NS1_11comp_targetILNS1_3genE2ELNS1_11target_archE906ELNS1_3gpuE6ELNS1_3repE0EEENS1_30default_config_static_selectorELNS0_4arch9wavefront6targetE0EEEvT1_,"axG",@progbits,_ZN7rocprim17ROCPRIM_400000_NS6detail17trampoline_kernelINS0_14default_configENS1_25transform_config_selectorIN6thrust23THRUST_200600_302600_NS4pairIiiEELb0EEEZNS1_14transform_implILb0ES3_S9_PS8_NS6_6detail15normal_iteratorINS6_10device_ptrIS8_EEEENS0_8identityIS8_EEEE10hipError_tT2_T3_mT4_P12ihipStream_tbEUlT_E_NS1_11comp_targetILNS1_3genE2ELNS1_11target_archE906ELNS1_3gpuE6ELNS1_3repE0EEENS1_30default_config_static_selectorELNS0_4arch9wavefront6targetE0EEEvT1_,comdat
.Lfunc_end685:
	.size	_ZN7rocprim17ROCPRIM_400000_NS6detail17trampoline_kernelINS0_14default_configENS1_25transform_config_selectorIN6thrust23THRUST_200600_302600_NS4pairIiiEELb0EEEZNS1_14transform_implILb0ES3_S9_PS8_NS6_6detail15normal_iteratorINS6_10device_ptrIS8_EEEENS0_8identityIS8_EEEE10hipError_tT2_T3_mT4_P12ihipStream_tbEUlT_E_NS1_11comp_targetILNS1_3genE2ELNS1_11target_archE906ELNS1_3gpuE6ELNS1_3repE0EEENS1_30default_config_static_selectorELNS0_4arch9wavefront6targetE0EEEvT1_, .Lfunc_end685-_ZN7rocprim17ROCPRIM_400000_NS6detail17trampoline_kernelINS0_14default_configENS1_25transform_config_selectorIN6thrust23THRUST_200600_302600_NS4pairIiiEELb0EEEZNS1_14transform_implILb0ES3_S9_PS8_NS6_6detail15normal_iteratorINS6_10device_ptrIS8_EEEENS0_8identityIS8_EEEE10hipError_tT2_T3_mT4_P12ihipStream_tbEUlT_E_NS1_11comp_targetILNS1_3genE2ELNS1_11target_archE906ELNS1_3gpuE6ELNS1_3repE0EEENS1_30default_config_static_selectorELNS0_4arch9wavefront6targetE0EEEvT1_
                                        ; -- End function
	.set _ZN7rocprim17ROCPRIM_400000_NS6detail17trampoline_kernelINS0_14default_configENS1_25transform_config_selectorIN6thrust23THRUST_200600_302600_NS4pairIiiEELb0EEEZNS1_14transform_implILb0ES3_S9_PS8_NS6_6detail15normal_iteratorINS6_10device_ptrIS8_EEEENS0_8identityIS8_EEEE10hipError_tT2_T3_mT4_P12ihipStream_tbEUlT_E_NS1_11comp_targetILNS1_3genE2ELNS1_11target_archE906ELNS1_3gpuE6ELNS1_3repE0EEENS1_30default_config_static_selectorELNS0_4arch9wavefront6targetE0EEEvT1_.num_vgpr, 0
	.set _ZN7rocprim17ROCPRIM_400000_NS6detail17trampoline_kernelINS0_14default_configENS1_25transform_config_selectorIN6thrust23THRUST_200600_302600_NS4pairIiiEELb0EEEZNS1_14transform_implILb0ES3_S9_PS8_NS6_6detail15normal_iteratorINS6_10device_ptrIS8_EEEENS0_8identityIS8_EEEE10hipError_tT2_T3_mT4_P12ihipStream_tbEUlT_E_NS1_11comp_targetILNS1_3genE2ELNS1_11target_archE906ELNS1_3gpuE6ELNS1_3repE0EEENS1_30default_config_static_selectorELNS0_4arch9wavefront6targetE0EEEvT1_.num_agpr, 0
	.set _ZN7rocprim17ROCPRIM_400000_NS6detail17trampoline_kernelINS0_14default_configENS1_25transform_config_selectorIN6thrust23THRUST_200600_302600_NS4pairIiiEELb0EEEZNS1_14transform_implILb0ES3_S9_PS8_NS6_6detail15normal_iteratorINS6_10device_ptrIS8_EEEENS0_8identityIS8_EEEE10hipError_tT2_T3_mT4_P12ihipStream_tbEUlT_E_NS1_11comp_targetILNS1_3genE2ELNS1_11target_archE906ELNS1_3gpuE6ELNS1_3repE0EEENS1_30default_config_static_selectorELNS0_4arch9wavefront6targetE0EEEvT1_.numbered_sgpr, 0
	.set _ZN7rocprim17ROCPRIM_400000_NS6detail17trampoline_kernelINS0_14default_configENS1_25transform_config_selectorIN6thrust23THRUST_200600_302600_NS4pairIiiEELb0EEEZNS1_14transform_implILb0ES3_S9_PS8_NS6_6detail15normal_iteratorINS6_10device_ptrIS8_EEEENS0_8identityIS8_EEEE10hipError_tT2_T3_mT4_P12ihipStream_tbEUlT_E_NS1_11comp_targetILNS1_3genE2ELNS1_11target_archE906ELNS1_3gpuE6ELNS1_3repE0EEENS1_30default_config_static_selectorELNS0_4arch9wavefront6targetE0EEEvT1_.num_named_barrier, 0
	.set _ZN7rocprim17ROCPRIM_400000_NS6detail17trampoline_kernelINS0_14default_configENS1_25transform_config_selectorIN6thrust23THRUST_200600_302600_NS4pairIiiEELb0EEEZNS1_14transform_implILb0ES3_S9_PS8_NS6_6detail15normal_iteratorINS6_10device_ptrIS8_EEEENS0_8identityIS8_EEEE10hipError_tT2_T3_mT4_P12ihipStream_tbEUlT_E_NS1_11comp_targetILNS1_3genE2ELNS1_11target_archE906ELNS1_3gpuE6ELNS1_3repE0EEENS1_30default_config_static_selectorELNS0_4arch9wavefront6targetE0EEEvT1_.private_seg_size, 0
	.set _ZN7rocprim17ROCPRIM_400000_NS6detail17trampoline_kernelINS0_14default_configENS1_25transform_config_selectorIN6thrust23THRUST_200600_302600_NS4pairIiiEELb0EEEZNS1_14transform_implILb0ES3_S9_PS8_NS6_6detail15normal_iteratorINS6_10device_ptrIS8_EEEENS0_8identityIS8_EEEE10hipError_tT2_T3_mT4_P12ihipStream_tbEUlT_E_NS1_11comp_targetILNS1_3genE2ELNS1_11target_archE906ELNS1_3gpuE6ELNS1_3repE0EEENS1_30default_config_static_selectorELNS0_4arch9wavefront6targetE0EEEvT1_.uses_vcc, 0
	.set _ZN7rocprim17ROCPRIM_400000_NS6detail17trampoline_kernelINS0_14default_configENS1_25transform_config_selectorIN6thrust23THRUST_200600_302600_NS4pairIiiEELb0EEEZNS1_14transform_implILb0ES3_S9_PS8_NS6_6detail15normal_iteratorINS6_10device_ptrIS8_EEEENS0_8identityIS8_EEEE10hipError_tT2_T3_mT4_P12ihipStream_tbEUlT_E_NS1_11comp_targetILNS1_3genE2ELNS1_11target_archE906ELNS1_3gpuE6ELNS1_3repE0EEENS1_30default_config_static_selectorELNS0_4arch9wavefront6targetE0EEEvT1_.uses_flat_scratch, 0
	.set _ZN7rocprim17ROCPRIM_400000_NS6detail17trampoline_kernelINS0_14default_configENS1_25transform_config_selectorIN6thrust23THRUST_200600_302600_NS4pairIiiEELb0EEEZNS1_14transform_implILb0ES3_S9_PS8_NS6_6detail15normal_iteratorINS6_10device_ptrIS8_EEEENS0_8identityIS8_EEEE10hipError_tT2_T3_mT4_P12ihipStream_tbEUlT_E_NS1_11comp_targetILNS1_3genE2ELNS1_11target_archE906ELNS1_3gpuE6ELNS1_3repE0EEENS1_30default_config_static_selectorELNS0_4arch9wavefront6targetE0EEEvT1_.has_dyn_sized_stack, 0
	.set _ZN7rocprim17ROCPRIM_400000_NS6detail17trampoline_kernelINS0_14default_configENS1_25transform_config_selectorIN6thrust23THRUST_200600_302600_NS4pairIiiEELb0EEEZNS1_14transform_implILb0ES3_S9_PS8_NS6_6detail15normal_iteratorINS6_10device_ptrIS8_EEEENS0_8identityIS8_EEEE10hipError_tT2_T3_mT4_P12ihipStream_tbEUlT_E_NS1_11comp_targetILNS1_3genE2ELNS1_11target_archE906ELNS1_3gpuE6ELNS1_3repE0EEENS1_30default_config_static_selectorELNS0_4arch9wavefront6targetE0EEEvT1_.has_recursion, 0
	.set _ZN7rocprim17ROCPRIM_400000_NS6detail17trampoline_kernelINS0_14default_configENS1_25transform_config_selectorIN6thrust23THRUST_200600_302600_NS4pairIiiEELb0EEEZNS1_14transform_implILb0ES3_S9_PS8_NS6_6detail15normal_iteratorINS6_10device_ptrIS8_EEEENS0_8identityIS8_EEEE10hipError_tT2_T3_mT4_P12ihipStream_tbEUlT_E_NS1_11comp_targetILNS1_3genE2ELNS1_11target_archE906ELNS1_3gpuE6ELNS1_3repE0EEENS1_30default_config_static_selectorELNS0_4arch9wavefront6targetE0EEEvT1_.has_indirect_call, 0
	.section	.AMDGPU.csdata,"",@progbits
; Kernel info:
; codeLenInByte = 0
; TotalNumSgprs: 0
; NumVgprs: 0
; ScratchSize: 0
; MemoryBound: 0
; FloatMode: 240
; IeeeMode: 1
; LDSByteSize: 0 bytes/workgroup (compile time only)
; SGPRBlocks: 0
; VGPRBlocks: 0
; NumSGPRsForWavesPerEU: 1
; NumVGPRsForWavesPerEU: 1
; Occupancy: 16
; WaveLimiterHint : 0
; COMPUTE_PGM_RSRC2:SCRATCH_EN: 0
; COMPUTE_PGM_RSRC2:USER_SGPR: 6
; COMPUTE_PGM_RSRC2:TRAP_HANDLER: 0
; COMPUTE_PGM_RSRC2:TGID_X_EN: 1
; COMPUTE_PGM_RSRC2:TGID_Y_EN: 0
; COMPUTE_PGM_RSRC2:TGID_Z_EN: 0
; COMPUTE_PGM_RSRC2:TIDIG_COMP_CNT: 0
	.section	.text._ZN7rocprim17ROCPRIM_400000_NS6detail17trampoline_kernelINS0_14default_configENS1_25transform_config_selectorIN6thrust23THRUST_200600_302600_NS4pairIiiEELb0EEEZNS1_14transform_implILb0ES3_S9_PS8_NS6_6detail15normal_iteratorINS6_10device_ptrIS8_EEEENS0_8identityIS8_EEEE10hipError_tT2_T3_mT4_P12ihipStream_tbEUlT_E_NS1_11comp_targetILNS1_3genE10ELNS1_11target_archE1201ELNS1_3gpuE5ELNS1_3repE0EEENS1_30default_config_static_selectorELNS0_4arch9wavefront6targetE0EEEvT1_,"axG",@progbits,_ZN7rocprim17ROCPRIM_400000_NS6detail17trampoline_kernelINS0_14default_configENS1_25transform_config_selectorIN6thrust23THRUST_200600_302600_NS4pairIiiEELb0EEEZNS1_14transform_implILb0ES3_S9_PS8_NS6_6detail15normal_iteratorINS6_10device_ptrIS8_EEEENS0_8identityIS8_EEEE10hipError_tT2_T3_mT4_P12ihipStream_tbEUlT_E_NS1_11comp_targetILNS1_3genE10ELNS1_11target_archE1201ELNS1_3gpuE5ELNS1_3repE0EEENS1_30default_config_static_selectorELNS0_4arch9wavefront6targetE0EEEvT1_,comdat
	.protected	_ZN7rocprim17ROCPRIM_400000_NS6detail17trampoline_kernelINS0_14default_configENS1_25transform_config_selectorIN6thrust23THRUST_200600_302600_NS4pairIiiEELb0EEEZNS1_14transform_implILb0ES3_S9_PS8_NS6_6detail15normal_iteratorINS6_10device_ptrIS8_EEEENS0_8identityIS8_EEEE10hipError_tT2_T3_mT4_P12ihipStream_tbEUlT_E_NS1_11comp_targetILNS1_3genE10ELNS1_11target_archE1201ELNS1_3gpuE5ELNS1_3repE0EEENS1_30default_config_static_selectorELNS0_4arch9wavefront6targetE0EEEvT1_ ; -- Begin function _ZN7rocprim17ROCPRIM_400000_NS6detail17trampoline_kernelINS0_14default_configENS1_25transform_config_selectorIN6thrust23THRUST_200600_302600_NS4pairIiiEELb0EEEZNS1_14transform_implILb0ES3_S9_PS8_NS6_6detail15normal_iteratorINS6_10device_ptrIS8_EEEENS0_8identityIS8_EEEE10hipError_tT2_T3_mT4_P12ihipStream_tbEUlT_E_NS1_11comp_targetILNS1_3genE10ELNS1_11target_archE1201ELNS1_3gpuE5ELNS1_3repE0EEENS1_30default_config_static_selectorELNS0_4arch9wavefront6targetE0EEEvT1_
	.globl	_ZN7rocprim17ROCPRIM_400000_NS6detail17trampoline_kernelINS0_14default_configENS1_25transform_config_selectorIN6thrust23THRUST_200600_302600_NS4pairIiiEELb0EEEZNS1_14transform_implILb0ES3_S9_PS8_NS6_6detail15normal_iteratorINS6_10device_ptrIS8_EEEENS0_8identityIS8_EEEE10hipError_tT2_T3_mT4_P12ihipStream_tbEUlT_E_NS1_11comp_targetILNS1_3genE10ELNS1_11target_archE1201ELNS1_3gpuE5ELNS1_3repE0EEENS1_30default_config_static_selectorELNS0_4arch9wavefront6targetE0EEEvT1_
	.p2align	8
	.type	_ZN7rocprim17ROCPRIM_400000_NS6detail17trampoline_kernelINS0_14default_configENS1_25transform_config_selectorIN6thrust23THRUST_200600_302600_NS4pairIiiEELb0EEEZNS1_14transform_implILb0ES3_S9_PS8_NS6_6detail15normal_iteratorINS6_10device_ptrIS8_EEEENS0_8identityIS8_EEEE10hipError_tT2_T3_mT4_P12ihipStream_tbEUlT_E_NS1_11comp_targetILNS1_3genE10ELNS1_11target_archE1201ELNS1_3gpuE5ELNS1_3repE0EEENS1_30default_config_static_selectorELNS0_4arch9wavefront6targetE0EEEvT1_,@function
_ZN7rocprim17ROCPRIM_400000_NS6detail17trampoline_kernelINS0_14default_configENS1_25transform_config_selectorIN6thrust23THRUST_200600_302600_NS4pairIiiEELb0EEEZNS1_14transform_implILb0ES3_S9_PS8_NS6_6detail15normal_iteratorINS6_10device_ptrIS8_EEEENS0_8identityIS8_EEEE10hipError_tT2_T3_mT4_P12ihipStream_tbEUlT_E_NS1_11comp_targetILNS1_3genE10ELNS1_11target_archE1201ELNS1_3gpuE5ELNS1_3repE0EEENS1_30default_config_static_selectorELNS0_4arch9wavefront6targetE0EEEvT1_: ; @_ZN7rocprim17ROCPRIM_400000_NS6detail17trampoline_kernelINS0_14default_configENS1_25transform_config_selectorIN6thrust23THRUST_200600_302600_NS4pairIiiEELb0EEEZNS1_14transform_implILb0ES3_S9_PS8_NS6_6detail15normal_iteratorINS6_10device_ptrIS8_EEEENS0_8identityIS8_EEEE10hipError_tT2_T3_mT4_P12ihipStream_tbEUlT_E_NS1_11comp_targetILNS1_3genE10ELNS1_11target_archE1201ELNS1_3gpuE5ELNS1_3repE0EEENS1_30default_config_static_selectorELNS0_4arch9wavefront6targetE0EEEvT1_
; %bb.0:
	.section	.rodata,"a",@progbits
	.p2align	6, 0x0
	.amdhsa_kernel _ZN7rocprim17ROCPRIM_400000_NS6detail17trampoline_kernelINS0_14default_configENS1_25transform_config_selectorIN6thrust23THRUST_200600_302600_NS4pairIiiEELb0EEEZNS1_14transform_implILb0ES3_S9_PS8_NS6_6detail15normal_iteratorINS6_10device_ptrIS8_EEEENS0_8identityIS8_EEEE10hipError_tT2_T3_mT4_P12ihipStream_tbEUlT_E_NS1_11comp_targetILNS1_3genE10ELNS1_11target_archE1201ELNS1_3gpuE5ELNS1_3repE0EEENS1_30default_config_static_selectorELNS0_4arch9wavefront6targetE0EEEvT1_
		.amdhsa_group_segment_fixed_size 0
		.amdhsa_private_segment_fixed_size 0
		.amdhsa_kernarg_size 40
		.amdhsa_user_sgpr_count 6
		.amdhsa_user_sgpr_private_segment_buffer 1
		.amdhsa_user_sgpr_dispatch_ptr 0
		.amdhsa_user_sgpr_queue_ptr 0
		.amdhsa_user_sgpr_kernarg_segment_ptr 1
		.amdhsa_user_sgpr_dispatch_id 0
		.amdhsa_user_sgpr_flat_scratch_init 0
		.amdhsa_user_sgpr_private_segment_size 0
		.amdhsa_wavefront_size32 1
		.amdhsa_uses_dynamic_stack 0
		.amdhsa_system_sgpr_private_segment_wavefront_offset 0
		.amdhsa_system_sgpr_workgroup_id_x 1
		.amdhsa_system_sgpr_workgroup_id_y 0
		.amdhsa_system_sgpr_workgroup_id_z 0
		.amdhsa_system_sgpr_workgroup_info 0
		.amdhsa_system_vgpr_workitem_id 0
		.amdhsa_next_free_vgpr 1
		.amdhsa_next_free_sgpr 1
		.amdhsa_reserve_vcc 0
		.amdhsa_reserve_flat_scratch 0
		.amdhsa_float_round_mode_32 0
		.amdhsa_float_round_mode_16_64 0
		.amdhsa_float_denorm_mode_32 3
		.amdhsa_float_denorm_mode_16_64 3
		.amdhsa_dx10_clamp 1
		.amdhsa_ieee_mode 1
		.amdhsa_fp16_overflow 0
		.amdhsa_workgroup_processor_mode 1
		.amdhsa_memory_ordered 1
		.amdhsa_forward_progress 1
		.amdhsa_shared_vgpr_count 0
		.amdhsa_exception_fp_ieee_invalid_op 0
		.amdhsa_exception_fp_denorm_src 0
		.amdhsa_exception_fp_ieee_div_zero 0
		.amdhsa_exception_fp_ieee_overflow 0
		.amdhsa_exception_fp_ieee_underflow 0
		.amdhsa_exception_fp_ieee_inexact 0
		.amdhsa_exception_int_div_zero 0
	.end_amdhsa_kernel
	.section	.text._ZN7rocprim17ROCPRIM_400000_NS6detail17trampoline_kernelINS0_14default_configENS1_25transform_config_selectorIN6thrust23THRUST_200600_302600_NS4pairIiiEELb0EEEZNS1_14transform_implILb0ES3_S9_PS8_NS6_6detail15normal_iteratorINS6_10device_ptrIS8_EEEENS0_8identityIS8_EEEE10hipError_tT2_T3_mT4_P12ihipStream_tbEUlT_E_NS1_11comp_targetILNS1_3genE10ELNS1_11target_archE1201ELNS1_3gpuE5ELNS1_3repE0EEENS1_30default_config_static_selectorELNS0_4arch9wavefront6targetE0EEEvT1_,"axG",@progbits,_ZN7rocprim17ROCPRIM_400000_NS6detail17trampoline_kernelINS0_14default_configENS1_25transform_config_selectorIN6thrust23THRUST_200600_302600_NS4pairIiiEELb0EEEZNS1_14transform_implILb0ES3_S9_PS8_NS6_6detail15normal_iteratorINS6_10device_ptrIS8_EEEENS0_8identityIS8_EEEE10hipError_tT2_T3_mT4_P12ihipStream_tbEUlT_E_NS1_11comp_targetILNS1_3genE10ELNS1_11target_archE1201ELNS1_3gpuE5ELNS1_3repE0EEENS1_30default_config_static_selectorELNS0_4arch9wavefront6targetE0EEEvT1_,comdat
.Lfunc_end686:
	.size	_ZN7rocprim17ROCPRIM_400000_NS6detail17trampoline_kernelINS0_14default_configENS1_25transform_config_selectorIN6thrust23THRUST_200600_302600_NS4pairIiiEELb0EEEZNS1_14transform_implILb0ES3_S9_PS8_NS6_6detail15normal_iteratorINS6_10device_ptrIS8_EEEENS0_8identityIS8_EEEE10hipError_tT2_T3_mT4_P12ihipStream_tbEUlT_E_NS1_11comp_targetILNS1_3genE10ELNS1_11target_archE1201ELNS1_3gpuE5ELNS1_3repE0EEENS1_30default_config_static_selectorELNS0_4arch9wavefront6targetE0EEEvT1_, .Lfunc_end686-_ZN7rocprim17ROCPRIM_400000_NS6detail17trampoline_kernelINS0_14default_configENS1_25transform_config_selectorIN6thrust23THRUST_200600_302600_NS4pairIiiEELb0EEEZNS1_14transform_implILb0ES3_S9_PS8_NS6_6detail15normal_iteratorINS6_10device_ptrIS8_EEEENS0_8identityIS8_EEEE10hipError_tT2_T3_mT4_P12ihipStream_tbEUlT_E_NS1_11comp_targetILNS1_3genE10ELNS1_11target_archE1201ELNS1_3gpuE5ELNS1_3repE0EEENS1_30default_config_static_selectorELNS0_4arch9wavefront6targetE0EEEvT1_
                                        ; -- End function
	.set _ZN7rocprim17ROCPRIM_400000_NS6detail17trampoline_kernelINS0_14default_configENS1_25transform_config_selectorIN6thrust23THRUST_200600_302600_NS4pairIiiEELb0EEEZNS1_14transform_implILb0ES3_S9_PS8_NS6_6detail15normal_iteratorINS6_10device_ptrIS8_EEEENS0_8identityIS8_EEEE10hipError_tT2_T3_mT4_P12ihipStream_tbEUlT_E_NS1_11comp_targetILNS1_3genE10ELNS1_11target_archE1201ELNS1_3gpuE5ELNS1_3repE0EEENS1_30default_config_static_selectorELNS0_4arch9wavefront6targetE0EEEvT1_.num_vgpr, 0
	.set _ZN7rocprim17ROCPRIM_400000_NS6detail17trampoline_kernelINS0_14default_configENS1_25transform_config_selectorIN6thrust23THRUST_200600_302600_NS4pairIiiEELb0EEEZNS1_14transform_implILb0ES3_S9_PS8_NS6_6detail15normal_iteratorINS6_10device_ptrIS8_EEEENS0_8identityIS8_EEEE10hipError_tT2_T3_mT4_P12ihipStream_tbEUlT_E_NS1_11comp_targetILNS1_3genE10ELNS1_11target_archE1201ELNS1_3gpuE5ELNS1_3repE0EEENS1_30default_config_static_selectorELNS0_4arch9wavefront6targetE0EEEvT1_.num_agpr, 0
	.set _ZN7rocprim17ROCPRIM_400000_NS6detail17trampoline_kernelINS0_14default_configENS1_25transform_config_selectorIN6thrust23THRUST_200600_302600_NS4pairIiiEELb0EEEZNS1_14transform_implILb0ES3_S9_PS8_NS6_6detail15normal_iteratorINS6_10device_ptrIS8_EEEENS0_8identityIS8_EEEE10hipError_tT2_T3_mT4_P12ihipStream_tbEUlT_E_NS1_11comp_targetILNS1_3genE10ELNS1_11target_archE1201ELNS1_3gpuE5ELNS1_3repE0EEENS1_30default_config_static_selectorELNS0_4arch9wavefront6targetE0EEEvT1_.numbered_sgpr, 0
	.set _ZN7rocprim17ROCPRIM_400000_NS6detail17trampoline_kernelINS0_14default_configENS1_25transform_config_selectorIN6thrust23THRUST_200600_302600_NS4pairIiiEELb0EEEZNS1_14transform_implILb0ES3_S9_PS8_NS6_6detail15normal_iteratorINS6_10device_ptrIS8_EEEENS0_8identityIS8_EEEE10hipError_tT2_T3_mT4_P12ihipStream_tbEUlT_E_NS1_11comp_targetILNS1_3genE10ELNS1_11target_archE1201ELNS1_3gpuE5ELNS1_3repE0EEENS1_30default_config_static_selectorELNS0_4arch9wavefront6targetE0EEEvT1_.num_named_barrier, 0
	.set _ZN7rocprim17ROCPRIM_400000_NS6detail17trampoline_kernelINS0_14default_configENS1_25transform_config_selectorIN6thrust23THRUST_200600_302600_NS4pairIiiEELb0EEEZNS1_14transform_implILb0ES3_S9_PS8_NS6_6detail15normal_iteratorINS6_10device_ptrIS8_EEEENS0_8identityIS8_EEEE10hipError_tT2_T3_mT4_P12ihipStream_tbEUlT_E_NS1_11comp_targetILNS1_3genE10ELNS1_11target_archE1201ELNS1_3gpuE5ELNS1_3repE0EEENS1_30default_config_static_selectorELNS0_4arch9wavefront6targetE0EEEvT1_.private_seg_size, 0
	.set _ZN7rocprim17ROCPRIM_400000_NS6detail17trampoline_kernelINS0_14default_configENS1_25transform_config_selectorIN6thrust23THRUST_200600_302600_NS4pairIiiEELb0EEEZNS1_14transform_implILb0ES3_S9_PS8_NS6_6detail15normal_iteratorINS6_10device_ptrIS8_EEEENS0_8identityIS8_EEEE10hipError_tT2_T3_mT4_P12ihipStream_tbEUlT_E_NS1_11comp_targetILNS1_3genE10ELNS1_11target_archE1201ELNS1_3gpuE5ELNS1_3repE0EEENS1_30default_config_static_selectorELNS0_4arch9wavefront6targetE0EEEvT1_.uses_vcc, 0
	.set _ZN7rocprim17ROCPRIM_400000_NS6detail17trampoline_kernelINS0_14default_configENS1_25transform_config_selectorIN6thrust23THRUST_200600_302600_NS4pairIiiEELb0EEEZNS1_14transform_implILb0ES3_S9_PS8_NS6_6detail15normal_iteratorINS6_10device_ptrIS8_EEEENS0_8identityIS8_EEEE10hipError_tT2_T3_mT4_P12ihipStream_tbEUlT_E_NS1_11comp_targetILNS1_3genE10ELNS1_11target_archE1201ELNS1_3gpuE5ELNS1_3repE0EEENS1_30default_config_static_selectorELNS0_4arch9wavefront6targetE0EEEvT1_.uses_flat_scratch, 0
	.set _ZN7rocprim17ROCPRIM_400000_NS6detail17trampoline_kernelINS0_14default_configENS1_25transform_config_selectorIN6thrust23THRUST_200600_302600_NS4pairIiiEELb0EEEZNS1_14transform_implILb0ES3_S9_PS8_NS6_6detail15normal_iteratorINS6_10device_ptrIS8_EEEENS0_8identityIS8_EEEE10hipError_tT2_T3_mT4_P12ihipStream_tbEUlT_E_NS1_11comp_targetILNS1_3genE10ELNS1_11target_archE1201ELNS1_3gpuE5ELNS1_3repE0EEENS1_30default_config_static_selectorELNS0_4arch9wavefront6targetE0EEEvT1_.has_dyn_sized_stack, 0
	.set _ZN7rocprim17ROCPRIM_400000_NS6detail17trampoline_kernelINS0_14default_configENS1_25transform_config_selectorIN6thrust23THRUST_200600_302600_NS4pairIiiEELb0EEEZNS1_14transform_implILb0ES3_S9_PS8_NS6_6detail15normal_iteratorINS6_10device_ptrIS8_EEEENS0_8identityIS8_EEEE10hipError_tT2_T3_mT4_P12ihipStream_tbEUlT_E_NS1_11comp_targetILNS1_3genE10ELNS1_11target_archE1201ELNS1_3gpuE5ELNS1_3repE0EEENS1_30default_config_static_selectorELNS0_4arch9wavefront6targetE0EEEvT1_.has_recursion, 0
	.set _ZN7rocprim17ROCPRIM_400000_NS6detail17trampoline_kernelINS0_14default_configENS1_25transform_config_selectorIN6thrust23THRUST_200600_302600_NS4pairIiiEELb0EEEZNS1_14transform_implILb0ES3_S9_PS8_NS6_6detail15normal_iteratorINS6_10device_ptrIS8_EEEENS0_8identityIS8_EEEE10hipError_tT2_T3_mT4_P12ihipStream_tbEUlT_E_NS1_11comp_targetILNS1_3genE10ELNS1_11target_archE1201ELNS1_3gpuE5ELNS1_3repE0EEENS1_30default_config_static_selectorELNS0_4arch9wavefront6targetE0EEEvT1_.has_indirect_call, 0
	.section	.AMDGPU.csdata,"",@progbits
; Kernel info:
; codeLenInByte = 0
; TotalNumSgprs: 0
; NumVgprs: 0
; ScratchSize: 0
; MemoryBound: 0
; FloatMode: 240
; IeeeMode: 1
; LDSByteSize: 0 bytes/workgroup (compile time only)
; SGPRBlocks: 0
; VGPRBlocks: 0
; NumSGPRsForWavesPerEU: 1
; NumVGPRsForWavesPerEU: 1
; Occupancy: 16
; WaveLimiterHint : 0
; COMPUTE_PGM_RSRC2:SCRATCH_EN: 0
; COMPUTE_PGM_RSRC2:USER_SGPR: 6
; COMPUTE_PGM_RSRC2:TRAP_HANDLER: 0
; COMPUTE_PGM_RSRC2:TGID_X_EN: 1
; COMPUTE_PGM_RSRC2:TGID_Y_EN: 0
; COMPUTE_PGM_RSRC2:TGID_Z_EN: 0
; COMPUTE_PGM_RSRC2:TIDIG_COMP_CNT: 0
	.section	.text._ZN7rocprim17ROCPRIM_400000_NS6detail17trampoline_kernelINS0_14default_configENS1_25transform_config_selectorIN6thrust23THRUST_200600_302600_NS4pairIiiEELb0EEEZNS1_14transform_implILb0ES3_S9_PS8_NS6_6detail15normal_iteratorINS6_10device_ptrIS8_EEEENS0_8identityIS8_EEEE10hipError_tT2_T3_mT4_P12ihipStream_tbEUlT_E_NS1_11comp_targetILNS1_3genE10ELNS1_11target_archE1200ELNS1_3gpuE4ELNS1_3repE0EEENS1_30default_config_static_selectorELNS0_4arch9wavefront6targetE0EEEvT1_,"axG",@progbits,_ZN7rocprim17ROCPRIM_400000_NS6detail17trampoline_kernelINS0_14default_configENS1_25transform_config_selectorIN6thrust23THRUST_200600_302600_NS4pairIiiEELb0EEEZNS1_14transform_implILb0ES3_S9_PS8_NS6_6detail15normal_iteratorINS6_10device_ptrIS8_EEEENS0_8identityIS8_EEEE10hipError_tT2_T3_mT4_P12ihipStream_tbEUlT_E_NS1_11comp_targetILNS1_3genE10ELNS1_11target_archE1200ELNS1_3gpuE4ELNS1_3repE0EEENS1_30default_config_static_selectorELNS0_4arch9wavefront6targetE0EEEvT1_,comdat
	.protected	_ZN7rocprim17ROCPRIM_400000_NS6detail17trampoline_kernelINS0_14default_configENS1_25transform_config_selectorIN6thrust23THRUST_200600_302600_NS4pairIiiEELb0EEEZNS1_14transform_implILb0ES3_S9_PS8_NS6_6detail15normal_iteratorINS6_10device_ptrIS8_EEEENS0_8identityIS8_EEEE10hipError_tT2_T3_mT4_P12ihipStream_tbEUlT_E_NS1_11comp_targetILNS1_3genE10ELNS1_11target_archE1200ELNS1_3gpuE4ELNS1_3repE0EEENS1_30default_config_static_selectorELNS0_4arch9wavefront6targetE0EEEvT1_ ; -- Begin function _ZN7rocprim17ROCPRIM_400000_NS6detail17trampoline_kernelINS0_14default_configENS1_25transform_config_selectorIN6thrust23THRUST_200600_302600_NS4pairIiiEELb0EEEZNS1_14transform_implILb0ES3_S9_PS8_NS6_6detail15normal_iteratorINS6_10device_ptrIS8_EEEENS0_8identityIS8_EEEE10hipError_tT2_T3_mT4_P12ihipStream_tbEUlT_E_NS1_11comp_targetILNS1_3genE10ELNS1_11target_archE1200ELNS1_3gpuE4ELNS1_3repE0EEENS1_30default_config_static_selectorELNS0_4arch9wavefront6targetE0EEEvT1_
	.globl	_ZN7rocprim17ROCPRIM_400000_NS6detail17trampoline_kernelINS0_14default_configENS1_25transform_config_selectorIN6thrust23THRUST_200600_302600_NS4pairIiiEELb0EEEZNS1_14transform_implILb0ES3_S9_PS8_NS6_6detail15normal_iteratorINS6_10device_ptrIS8_EEEENS0_8identityIS8_EEEE10hipError_tT2_T3_mT4_P12ihipStream_tbEUlT_E_NS1_11comp_targetILNS1_3genE10ELNS1_11target_archE1200ELNS1_3gpuE4ELNS1_3repE0EEENS1_30default_config_static_selectorELNS0_4arch9wavefront6targetE0EEEvT1_
	.p2align	8
	.type	_ZN7rocprim17ROCPRIM_400000_NS6detail17trampoline_kernelINS0_14default_configENS1_25transform_config_selectorIN6thrust23THRUST_200600_302600_NS4pairIiiEELb0EEEZNS1_14transform_implILb0ES3_S9_PS8_NS6_6detail15normal_iteratorINS6_10device_ptrIS8_EEEENS0_8identityIS8_EEEE10hipError_tT2_T3_mT4_P12ihipStream_tbEUlT_E_NS1_11comp_targetILNS1_3genE10ELNS1_11target_archE1200ELNS1_3gpuE4ELNS1_3repE0EEENS1_30default_config_static_selectorELNS0_4arch9wavefront6targetE0EEEvT1_,@function
_ZN7rocprim17ROCPRIM_400000_NS6detail17trampoline_kernelINS0_14default_configENS1_25transform_config_selectorIN6thrust23THRUST_200600_302600_NS4pairIiiEELb0EEEZNS1_14transform_implILb0ES3_S9_PS8_NS6_6detail15normal_iteratorINS6_10device_ptrIS8_EEEENS0_8identityIS8_EEEE10hipError_tT2_T3_mT4_P12ihipStream_tbEUlT_E_NS1_11comp_targetILNS1_3genE10ELNS1_11target_archE1200ELNS1_3gpuE4ELNS1_3repE0EEENS1_30default_config_static_selectorELNS0_4arch9wavefront6targetE0EEEvT1_: ; @_ZN7rocprim17ROCPRIM_400000_NS6detail17trampoline_kernelINS0_14default_configENS1_25transform_config_selectorIN6thrust23THRUST_200600_302600_NS4pairIiiEELb0EEEZNS1_14transform_implILb0ES3_S9_PS8_NS6_6detail15normal_iteratorINS6_10device_ptrIS8_EEEENS0_8identityIS8_EEEE10hipError_tT2_T3_mT4_P12ihipStream_tbEUlT_E_NS1_11comp_targetILNS1_3genE10ELNS1_11target_archE1200ELNS1_3gpuE4ELNS1_3repE0EEENS1_30default_config_static_selectorELNS0_4arch9wavefront6targetE0EEEvT1_
; %bb.0:
	.section	.rodata,"a",@progbits
	.p2align	6, 0x0
	.amdhsa_kernel _ZN7rocprim17ROCPRIM_400000_NS6detail17trampoline_kernelINS0_14default_configENS1_25transform_config_selectorIN6thrust23THRUST_200600_302600_NS4pairIiiEELb0EEEZNS1_14transform_implILb0ES3_S9_PS8_NS6_6detail15normal_iteratorINS6_10device_ptrIS8_EEEENS0_8identityIS8_EEEE10hipError_tT2_T3_mT4_P12ihipStream_tbEUlT_E_NS1_11comp_targetILNS1_3genE10ELNS1_11target_archE1200ELNS1_3gpuE4ELNS1_3repE0EEENS1_30default_config_static_selectorELNS0_4arch9wavefront6targetE0EEEvT1_
		.amdhsa_group_segment_fixed_size 0
		.amdhsa_private_segment_fixed_size 0
		.amdhsa_kernarg_size 40
		.amdhsa_user_sgpr_count 6
		.amdhsa_user_sgpr_private_segment_buffer 1
		.amdhsa_user_sgpr_dispatch_ptr 0
		.amdhsa_user_sgpr_queue_ptr 0
		.amdhsa_user_sgpr_kernarg_segment_ptr 1
		.amdhsa_user_sgpr_dispatch_id 0
		.amdhsa_user_sgpr_flat_scratch_init 0
		.amdhsa_user_sgpr_private_segment_size 0
		.amdhsa_wavefront_size32 1
		.amdhsa_uses_dynamic_stack 0
		.amdhsa_system_sgpr_private_segment_wavefront_offset 0
		.amdhsa_system_sgpr_workgroup_id_x 1
		.amdhsa_system_sgpr_workgroup_id_y 0
		.amdhsa_system_sgpr_workgroup_id_z 0
		.amdhsa_system_sgpr_workgroup_info 0
		.amdhsa_system_vgpr_workitem_id 0
		.amdhsa_next_free_vgpr 1
		.amdhsa_next_free_sgpr 1
		.amdhsa_reserve_vcc 0
		.amdhsa_reserve_flat_scratch 0
		.amdhsa_float_round_mode_32 0
		.amdhsa_float_round_mode_16_64 0
		.amdhsa_float_denorm_mode_32 3
		.amdhsa_float_denorm_mode_16_64 3
		.amdhsa_dx10_clamp 1
		.amdhsa_ieee_mode 1
		.amdhsa_fp16_overflow 0
		.amdhsa_workgroup_processor_mode 1
		.amdhsa_memory_ordered 1
		.amdhsa_forward_progress 1
		.amdhsa_shared_vgpr_count 0
		.amdhsa_exception_fp_ieee_invalid_op 0
		.amdhsa_exception_fp_denorm_src 0
		.amdhsa_exception_fp_ieee_div_zero 0
		.amdhsa_exception_fp_ieee_overflow 0
		.amdhsa_exception_fp_ieee_underflow 0
		.amdhsa_exception_fp_ieee_inexact 0
		.amdhsa_exception_int_div_zero 0
	.end_amdhsa_kernel
	.section	.text._ZN7rocprim17ROCPRIM_400000_NS6detail17trampoline_kernelINS0_14default_configENS1_25transform_config_selectorIN6thrust23THRUST_200600_302600_NS4pairIiiEELb0EEEZNS1_14transform_implILb0ES3_S9_PS8_NS6_6detail15normal_iteratorINS6_10device_ptrIS8_EEEENS0_8identityIS8_EEEE10hipError_tT2_T3_mT4_P12ihipStream_tbEUlT_E_NS1_11comp_targetILNS1_3genE10ELNS1_11target_archE1200ELNS1_3gpuE4ELNS1_3repE0EEENS1_30default_config_static_selectorELNS0_4arch9wavefront6targetE0EEEvT1_,"axG",@progbits,_ZN7rocprim17ROCPRIM_400000_NS6detail17trampoline_kernelINS0_14default_configENS1_25transform_config_selectorIN6thrust23THRUST_200600_302600_NS4pairIiiEELb0EEEZNS1_14transform_implILb0ES3_S9_PS8_NS6_6detail15normal_iteratorINS6_10device_ptrIS8_EEEENS0_8identityIS8_EEEE10hipError_tT2_T3_mT4_P12ihipStream_tbEUlT_E_NS1_11comp_targetILNS1_3genE10ELNS1_11target_archE1200ELNS1_3gpuE4ELNS1_3repE0EEENS1_30default_config_static_selectorELNS0_4arch9wavefront6targetE0EEEvT1_,comdat
.Lfunc_end687:
	.size	_ZN7rocprim17ROCPRIM_400000_NS6detail17trampoline_kernelINS0_14default_configENS1_25transform_config_selectorIN6thrust23THRUST_200600_302600_NS4pairIiiEELb0EEEZNS1_14transform_implILb0ES3_S9_PS8_NS6_6detail15normal_iteratorINS6_10device_ptrIS8_EEEENS0_8identityIS8_EEEE10hipError_tT2_T3_mT4_P12ihipStream_tbEUlT_E_NS1_11comp_targetILNS1_3genE10ELNS1_11target_archE1200ELNS1_3gpuE4ELNS1_3repE0EEENS1_30default_config_static_selectorELNS0_4arch9wavefront6targetE0EEEvT1_, .Lfunc_end687-_ZN7rocprim17ROCPRIM_400000_NS6detail17trampoline_kernelINS0_14default_configENS1_25transform_config_selectorIN6thrust23THRUST_200600_302600_NS4pairIiiEELb0EEEZNS1_14transform_implILb0ES3_S9_PS8_NS6_6detail15normal_iteratorINS6_10device_ptrIS8_EEEENS0_8identityIS8_EEEE10hipError_tT2_T3_mT4_P12ihipStream_tbEUlT_E_NS1_11comp_targetILNS1_3genE10ELNS1_11target_archE1200ELNS1_3gpuE4ELNS1_3repE0EEENS1_30default_config_static_selectorELNS0_4arch9wavefront6targetE0EEEvT1_
                                        ; -- End function
	.set _ZN7rocprim17ROCPRIM_400000_NS6detail17trampoline_kernelINS0_14default_configENS1_25transform_config_selectorIN6thrust23THRUST_200600_302600_NS4pairIiiEELb0EEEZNS1_14transform_implILb0ES3_S9_PS8_NS6_6detail15normal_iteratorINS6_10device_ptrIS8_EEEENS0_8identityIS8_EEEE10hipError_tT2_T3_mT4_P12ihipStream_tbEUlT_E_NS1_11comp_targetILNS1_3genE10ELNS1_11target_archE1200ELNS1_3gpuE4ELNS1_3repE0EEENS1_30default_config_static_selectorELNS0_4arch9wavefront6targetE0EEEvT1_.num_vgpr, 0
	.set _ZN7rocprim17ROCPRIM_400000_NS6detail17trampoline_kernelINS0_14default_configENS1_25transform_config_selectorIN6thrust23THRUST_200600_302600_NS4pairIiiEELb0EEEZNS1_14transform_implILb0ES3_S9_PS8_NS6_6detail15normal_iteratorINS6_10device_ptrIS8_EEEENS0_8identityIS8_EEEE10hipError_tT2_T3_mT4_P12ihipStream_tbEUlT_E_NS1_11comp_targetILNS1_3genE10ELNS1_11target_archE1200ELNS1_3gpuE4ELNS1_3repE0EEENS1_30default_config_static_selectorELNS0_4arch9wavefront6targetE0EEEvT1_.num_agpr, 0
	.set _ZN7rocprim17ROCPRIM_400000_NS6detail17trampoline_kernelINS0_14default_configENS1_25transform_config_selectorIN6thrust23THRUST_200600_302600_NS4pairIiiEELb0EEEZNS1_14transform_implILb0ES3_S9_PS8_NS6_6detail15normal_iteratorINS6_10device_ptrIS8_EEEENS0_8identityIS8_EEEE10hipError_tT2_T3_mT4_P12ihipStream_tbEUlT_E_NS1_11comp_targetILNS1_3genE10ELNS1_11target_archE1200ELNS1_3gpuE4ELNS1_3repE0EEENS1_30default_config_static_selectorELNS0_4arch9wavefront6targetE0EEEvT1_.numbered_sgpr, 0
	.set _ZN7rocprim17ROCPRIM_400000_NS6detail17trampoline_kernelINS0_14default_configENS1_25transform_config_selectorIN6thrust23THRUST_200600_302600_NS4pairIiiEELb0EEEZNS1_14transform_implILb0ES3_S9_PS8_NS6_6detail15normal_iteratorINS6_10device_ptrIS8_EEEENS0_8identityIS8_EEEE10hipError_tT2_T3_mT4_P12ihipStream_tbEUlT_E_NS1_11comp_targetILNS1_3genE10ELNS1_11target_archE1200ELNS1_3gpuE4ELNS1_3repE0EEENS1_30default_config_static_selectorELNS0_4arch9wavefront6targetE0EEEvT1_.num_named_barrier, 0
	.set _ZN7rocprim17ROCPRIM_400000_NS6detail17trampoline_kernelINS0_14default_configENS1_25transform_config_selectorIN6thrust23THRUST_200600_302600_NS4pairIiiEELb0EEEZNS1_14transform_implILb0ES3_S9_PS8_NS6_6detail15normal_iteratorINS6_10device_ptrIS8_EEEENS0_8identityIS8_EEEE10hipError_tT2_T3_mT4_P12ihipStream_tbEUlT_E_NS1_11comp_targetILNS1_3genE10ELNS1_11target_archE1200ELNS1_3gpuE4ELNS1_3repE0EEENS1_30default_config_static_selectorELNS0_4arch9wavefront6targetE0EEEvT1_.private_seg_size, 0
	.set _ZN7rocprim17ROCPRIM_400000_NS6detail17trampoline_kernelINS0_14default_configENS1_25transform_config_selectorIN6thrust23THRUST_200600_302600_NS4pairIiiEELb0EEEZNS1_14transform_implILb0ES3_S9_PS8_NS6_6detail15normal_iteratorINS6_10device_ptrIS8_EEEENS0_8identityIS8_EEEE10hipError_tT2_T3_mT4_P12ihipStream_tbEUlT_E_NS1_11comp_targetILNS1_3genE10ELNS1_11target_archE1200ELNS1_3gpuE4ELNS1_3repE0EEENS1_30default_config_static_selectorELNS0_4arch9wavefront6targetE0EEEvT1_.uses_vcc, 0
	.set _ZN7rocprim17ROCPRIM_400000_NS6detail17trampoline_kernelINS0_14default_configENS1_25transform_config_selectorIN6thrust23THRUST_200600_302600_NS4pairIiiEELb0EEEZNS1_14transform_implILb0ES3_S9_PS8_NS6_6detail15normal_iteratorINS6_10device_ptrIS8_EEEENS0_8identityIS8_EEEE10hipError_tT2_T3_mT4_P12ihipStream_tbEUlT_E_NS1_11comp_targetILNS1_3genE10ELNS1_11target_archE1200ELNS1_3gpuE4ELNS1_3repE0EEENS1_30default_config_static_selectorELNS0_4arch9wavefront6targetE0EEEvT1_.uses_flat_scratch, 0
	.set _ZN7rocprim17ROCPRIM_400000_NS6detail17trampoline_kernelINS0_14default_configENS1_25transform_config_selectorIN6thrust23THRUST_200600_302600_NS4pairIiiEELb0EEEZNS1_14transform_implILb0ES3_S9_PS8_NS6_6detail15normal_iteratorINS6_10device_ptrIS8_EEEENS0_8identityIS8_EEEE10hipError_tT2_T3_mT4_P12ihipStream_tbEUlT_E_NS1_11comp_targetILNS1_3genE10ELNS1_11target_archE1200ELNS1_3gpuE4ELNS1_3repE0EEENS1_30default_config_static_selectorELNS0_4arch9wavefront6targetE0EEEvT1_.has_dyn_sized_stack, 0
	.set _ZN7rocprim17ROCPRIM_400000_NS6detail17trampoline_kernelINS0_14default_configENS1_25transform_config_selectorIN6thrust23THRUST_200600_302600_NS4pairIiiEELb0EEEZNS1_14transform_implILb0ES3_S9_PS8_NS6_6detail15normal_iteratorINS6_10device_ptrIS8_EEEENS0_8identityIS8_EEEE10hipError_tT2_T3_mT4_P12ihipStream_tbEUlT_E_NS1_11comp_targetILNS1_3genE10ELNS1_11target_archE1200ELNS1_3gpuE4ELNS1_3repE0EEENS1_30default_config_static_selectorELNS0_4arch9wavefront6targetE0EEEvT1_.has_recursion, 0
	.set _ZN7rocprim17ROCPRIM_400000_NS6detail17trampoline_kernelINS0_14default_configENS1_25transform_config_selectorIN6thrust23THRUST_200600_302600_NS4pairIiiEELb0EEEZNS1_14transform_implILb0ES3_S9_PS8_NS6_6detail15normal_iteratorINS6_10device_ptrIS8_EEEENS0_8identityIS8_EEEE10hipError_tT2_T3_mT4_P12ihipStream_tbEUlT_E_NS1_11comp_targetILNS1_3genE10ELNS1_11target_archE1200ELNS1_3gpuE4ELNS1_3repE0EEENS1_30default_config_static_selectorELNS0_4arch9wavefront6targetE0EEEvT1_.has_indirect_call, 0
	.section	.AMDGPU.csdata,"",@progbits
; Kernel info:
; codeLenInByte = 0
; TotalNumSgprs: 0
; NumVgprs: 0
; ScratchSize: 0
; MemoryBound: 0
; FloatMode: 240
; IeeeMode: 1
; LDSByteSize: 0 bytes/workgroup (compile time only)
; SGPRBlocks: 0
; VGPRBlocks: 0
; NumSGPRsForWavesPerEU: 1
; NumVGPRsForWavesPerEU: 1
; Occupancy: 16
; WaveLimiterHint : 0
; COMPUTE_PGM_RSRC2:SCRATCH_EN: 0
; COMPUTE_PGM_RSRC2:USER_SGPR: 6
; COMPUTE_PGM_RSRC2:TRAP_HANDLER: 0
; COMPUTE_PGM_RSRC2:TGID_X_EN: 1
; COMPUTE_PGM_RSRC2:TGID_Y_EN: 0
; COMPUTE_PGM_RSRC2:TGID_Z_EN: 0
; COMPUTE_PGM_RSRC2:TIDIG_COMP_CNT: 0
	.section	.text._ZN7rocprim17ROCPRIM_400000_NS6detail17trampoline_kernelINS0_14default_configENS1_25transform_config_selectorIN6thrust23THRUST_200600_302600_NS4pairIiiEELb0EEEZNS1_14transform_implILb0ES3_S9_PS8_NS6_6detail15normal_iteratorINS6_10device_ptrIS8_EEEENS0_8identityIS8_EEEE10hipError_tT2_T3_mT4_P12ihipStream_tbEUlT_E_NS1_11comp_targetILNS1_3genE9ELNS1_11target_archE1100ELNS1_3gpuE3ELNS1_3repE0EEENS1_30default_config_static_selectorELNS0_4arch9wavefront6targetE0EEEvT1_,"axG",@progbits,_ZN7rocprim17ROCPRIM_400000_NS6detail17trampoline_kernelINS0_14default_configENS1_25transform_config_selectorIN6thrust23THRUST_200600_302600_NS4pairIiiEELb0EEEZNS1_14transform_implILb0ES3_S9_PS8_NS6_6detail15normal_iteratorINS6_10device_ptrIS8_EEEENS0_8identityIS8_EEEE10hipError_tT2_T3_mT4_P12ihipStream_tbEUlT_E_NS1_11comp_targetILNS1_3genE9ELNS1_11target_archE1100ELNS1_3gpuE3ELNS1_3repE0EEENS1_30default_config_static_selectorELNS0_4arch9wavefront6targetE0EEEvT1_,comdat
	.protected	_ZN7rocprim17ROCPRIM_400000_NS6detail17trampoline_kernelINS0_14default_configENS1_25transform_config_selectorIN6thrust23THRUST_200600_302600_NS4pairIiiEELb0EEEZNS1_14transform_implILb0ES3_S9_PS8_NS6_6detail15normal_iteratorINS6_10device_ptrIS8_EEEENS0_8identityIS8_EEEE10hipError_tT2_T3_mT4_P12ihipStream_tbEUlT_E_NS1_11comp_targetILNS1_3genE9ELNS1_11target_archE1100ELNS1_3gpuE3ELNS1_3repE0EEENS1_30default_config_static_selectorELNS0_4arch9wavefront6targetE0EEEvT1_ ; -- Begin function _ZN7rocprim17ROCPRIM_400000_NS6detail17trampoline_kernelINS0_14default_configENS1_25transform_config_selectorIN6thrust23THRUST_200600_302600_NS4pairIiiEELb0EEEZNS1_14transform_implILb0ES3_S9_PS8_NS6_6detail15normal_iteratorINS6_10device_ptrIS8_EEEENS0_8identityIS8_EEEE10hipError_tT2_T3_mT4_P12ihipStream_tbEUlT_E_NS1_11comp_targetILNS1_3genE9ELNS1_11target_archE1100ELNS1_3gpuE3ELNS1_3repE0EEENS1_30default_config_static_selectorELNS0_4arch9wavefront6targetE0EEEvT1_
	.globl	_ZN7rocprim17ROCPRIM_400000_NS6detail17trampoline_kernelINS0_14default_configENS1_25transform_config_selectorIN6thrust23THRUST_200600_302600_NS4pairIiiEELb0EEEZNS1_14transform_implILb0ES3_S9_PS8_NS6_6detail15normal_iteratorINS6_10device_ptrIS8_EEEENS0_8identityIS8_EEEE10hipError_tT2_T3_mT4_P12ihipStream_tbEUlT_E_NS1_11comp_targetILNS1_3genE9ELNS1_11target_archE1100ELNS1_3gpuE3ELNS1_3repE0EEENS1_30default_config_static_selectorELNS0_4arch9wavefront6targetE0EEEvT1_
	.p2align	8
	.type	_ZN7rocprim17ROCPRIM_400000_NS6detail17trampoline_kernelINS0_14default_configENS1_25transform_config_selectorIN6thrust23THRUST_200600_302600_NS4pairIiiEELb0EEEZNS1_14transform_implILb0ES3_S9_PS8_NS6_6detail15normal_iteratorINS6_10device_ptrIS8_EEEENS0_8identityIS8_EEEE10hipError_tT2_T3_mT4_P12ihipStream_tbEUlT_E_NS1_11comp_targetILNS1_3genE9ELNS1_11target_archE1100ELNS1_3gpuE3ELNS1_3repE0EEENS1_30default_config_static_selectorELNS0_4arch9wavefront6targetE0EEEvT1_,@function
_ZN7rocprim17ROCPRIM_400000_NS6detail17trampoline_kernelINS0_14default_configENS1_25transform_config_selectorIN6thrust23THRUST_200600_302600_NS4pairIiiEELb0EEEZNS1_14transform_implILb0ES3_S9_PS8_NS6_6detail15normal_iteratorINS6_10device_ptrIS8_EEEENS0_8identityIS8_EEEE10hipError_tT2_T3_mT4_P12ihipStream_tbEUlT_E_NS1_11comp_targetILNS1_3genE9ELNS1_11target_archE1100ELNS1_3gpuE3ELNS1_3repE0EEENS1_30default_config_static_selectorELNS0_4arch9wavefront6targetE0EEEvT1_: ; @_ZN7rocprim17ROCPRIM_400000_NS6detail17trampoline_kernelINS0_14default_configENS1_25transform_config_selectorIN6thrust23THRUST_200600_302600_NS4pairIiiEELb0EEEZNS1_14transform_implILb0ES3_S9_PS8_NS6_6detail15normal_iteratorINS6_10device_ptrIS8_EEEENS0_8identityIS8_EEEE10hipError_tT2_T3_mT4_P12ihipStream_tbEUlT_E_NS1_11comp_targetILNS1_3genE9ELNS1_11target_archE1100ELNS1_3gpuE3ELNS1_3repE0EEENS1_30default_config_static_selectorELNS0_4arch9wavefront6targetE0EEEvT1_
; %bb.0:
	.section	.rodata,"a",@progbits
	.p2align	6, 0x0
	.amdhsa_kernel _ZN7rocprim17ROCPRIM_400000_NS6detail17trampoline_kernelINS0_14default_configENS1_25transform_config_selectorIN6thrust23THRUST_200600_302600_NS4pairIiiEELb0EEEZNS1_14transform_implILb0ES3_S9_PS8_NS6_6detail15normal_iteratorINS6_10device_ptrIS8_EEEENS0_8identityIS8_EEEE10hipError_tT2_T3_mT4_P12ihipStream_tbEUlT_E_NS1_11comp_targetILNS1_3genE9ELNS1_11target_archE1100ELNS1_3gpuE3ELNS1_3repE0EEENS1_30default_config_static_selectorELNS0_4arch9wavefront6targetE0EEEvT1_
		.amdhsa_group_segment_fixed_size 0
		.amdhsa_private_segment_fixed_size 0
		.amdhsa_kernarg_size 40
		.amdhsa_user_sgpr_count 6
		.amdhsa_user_sgpr_private_segment_buffer 1
		.amdhsa_user_sgpr_dispatch_ptr 0
		.amdhsa_user_sgpr_queue_ptr 0
		.amdhsa_user_sgpr_kernarg_segment_ptr 1
		.amdhsa_user_sgpr_dispatch_id 0
		.amdhsa_user_sgpr_flat_scratch_init 0
		.amdhsa_user_sgpr_private_segment_size 0
		.amdhsa_wavefront_size32 1
		.amdhsa_uses_dynamic_stack 0
		.amdhsa_system_sgpr_private_segment_wavefront_offset 0
		.amdhsa_system_sgpr_workgroup_id_x 1
		.amdhsa_system_sgpr_workgroup_id_y 0
		.amdhsa_system_sgpr_workgroup_id_z 0
		.amdhsa_system_sgpr_workgroup_info 0
		.amdhsa_system_vgpr_workitem_id 0
		.amdhsa_next_free_vgpr 1
		.amdhsa_next_free_sgpr 1
		.amdhsa_reserve_vcc 0
		.amdhsa_reserve_flat_scratch 0
		.amdhsa_float_round_mode_32 0
		.amdhsa_float_round_mode_16_64 0
		.amdhsa_float_denorm_mode_32 3
		.amdhsa_float_denorm_mode_16_64 3
		.amdhsa_dx10_clamp 1
		.amdhsa_ieee_mode 1
		.amdhsa_fp16_overflow 0
		.amdhsa_workgroup_processor_mode 1
		.amdhsa_memory_ordered 1
		.amdhsa_forward_progress 1
		.amdhsa_shared_vgpr_count 0
		.amdhsa_exception_fp_ieee_invalid_op 0
		.amdhsa_exception_fp_denorm_src 0
		.amdhsa_exception_fp_ieee_div_zero 0
		.amdhsa_exception_fp_ieee_overflow 0
		.amdhsa_exception_fp_ieee_underflow 0
		.amdhsa_exception_fp_ieee_inexact 0
		.amdhsa_exception_int_div_zero 0
	.end_amdhsa_kernel
	.section	.text._ZN7rocprim17ROCPRIM_400000_NS6detail17trampoline_kernelINS0_14default_configENS1_25transform_config_selectorIN6thrust23THRUST_200600_302600_NS4pairIiiEELb0EEEZNS1_14transform_implILb0ES3_S9_PS8_NS6_6detail15normal_iteratorINS6_10device_ptrIS8_EEEENS0_8identityIS8_EEEE10hipError_tT2_T3_mT4_P12ihipStream_tbEUlT_E_NS1_11comp_targetILNS1_3genE9ELNS1_11target_archE1100ELNS1_3gpuE3ELNS1_3repE0EEENS1_30default_config_static_selectorELNS0_4arch9wavefront6targetE0EEEvT1_,"axG",@progbits,_ZN7rocprim17ROCPRIM_400000_NS6detail17trampoline_kernelINS0_14default_configENS1_25transform_config_selectorIN6thrust23THRUST_200600_302600_NS4pairIiiEELb0EEEZNS1_14transform_implILb0ES3_S9_PS8_NS6_6detail15normal_iteratorINS6_10device_ptrIS8_EEEENS0_8identityIS8_EEEE10hipError_tT2_T3_mT4_P12ihipStream_tbEUlT_E_NS1_11comp_targetILNS1_3genE9ELNS1_11target_archE1100ELNS1_3gpuE3ELNS1_3repE0EEENS1_30default_config_static_selectorELNS0_4arch9wavefront6targetE0EEEvT1_,comdat
.Lfunc_end688:
	.size	_ZN7rocprim17ROCPRIM_400000_NS6detail17trampoline_kernelINS0_14default_configENS1_25transform_config_selectorIN6thrust23THRUST_200600_302600_NS4pairIiiEELb0EEEZNS1_14transform_implILb0ES3_S9_PS8_NS6_6detail15normal_iteratorINS6_10device_ptrIS8_EEEENS0_8identityIS8_EEEE10hipError_tT2_T3_mT4_P12ihipStream_tbEUlT_E_NS1_11comp_targetILNS1_3genE9ELNS1_11target_archE1100ELNS1_3gpuE3ELNS1_3repE0EEENS1_30default_config_static_selectorELNS0_4arch9wavefront6targetE0EEEvT1_, .Lfunc_end688-_ZN7rocprim17ROCPRIM_400000_NS6detail17trampoline_kernelINS0_14default_configENS1_25transform_config_selectorIN6thrust23THRUST_200600_302600_NS4pairIiiEELb0EEEZNS1_14transform_implILb0ES3_S9_PS8_NS6_6detail15normal_iteratorINS6_10device_ptrIS8_EEEENS0_8identityIS8_EEEE10hipError_tT2_T3_mT4_P12ihipStream_tbEUlT_E_NS1_11comp_targetILNS1_3genE9ELNS1_11target_archE1100ELNS1_3gpuE3ELNS1_3repE0EEENS1_30default_config_static_selectorELNS0_4arch9wavefront6targetE0EEEvT1_
                                        ; -- End function
	.set _ZN7rocprim17ROCPRIM_400000_NS6detail17trampoline_kernelINS0_14default_configENS1_25transform_config_selectorIN6thrust23THRUST_200600_302600_NS4pairIiiEELb0EEEZNS1_14transform_implILb0ES3_S9_PS8_NS6_6detail15normal_iteratorINS6_10device_ptrIS8_EEEENS0_8identityIS8_EEEE10hipError_tT2_T3_mT4_P12ihipStream_tbEUlT_E_NS1_11comp_targetILNS1_3genE9ELNS1_11target_archE1100ELNS1_3gpuE3ELNS1_3repE0EEENS1_30default_config_static_selectorELNS0_4arch9wavefront6targetE0EEEvT1_.num_vgpr, 0
	.set _ZN7rocprim17ROCPRIM_400000_NS6detail17trampoline_kernelINS0_14default_configENS1_25transform_config_selectorIN6thrust23THRUST_200600_302600_NS4pairIiiEELb0EEEZNS1_14transform_implILb0ES3_S9_PS8_NS6_6detail15normal_iteratorINS6_10device_ptrIS8_EEEENS0_8identityIS8_EEEE10hipError_tT2_T3_mT4_P12ihipStream_tbEUlT_E_NS1_11comp_targetILNS1_3genE9ELNS1_11target_archE1100ELNS1_3gpuE3ELNS1_3repE0EEENS1_30default_config_static_selectorELNS0_4arch9wavefront6targetE0EEEvT1_.num_agpr, 0
	.set _ZN7rocprim17ROCPRIM_400000_NS6detail17trampoline_kernelINS0_14default_configENS1_25transform_config_selectorIN6thrust23THRUST_200600_302600_NS4pairIiiEELb0EEEZNS1_14transform_implILb0ES3_S9_PS8_NS6_6detail15normal_iteratorINS6_10device_ptrIS8_EEEENS0_8identityIS8_EEEE10hipError_tT2_T3_mT4_P12ihipStream_tbEUlT_E_NS1_11comp_targetILNS1_3genE9ELNS1_11target_archE1100ELNS1_3gpuE3ELNS1_3repE0EEENS1_30default_config_static_selectorELNS0_4arch9wavefront6targetE0EEEvT1_.numbered_sgpr, 0
	.set _ZN7rocprim17ROCPRIM_400000_NS6detail17trampoline_kernelINS0_14default_configENS1_25transform_config_selectorIN6thrust23THRUST_200600_302600_NS4pairIiiEELb0EEEZNS1_14transform_implILb0ES3_S9_PS8_NS6_6detail15normal_iteratorINS6_10device_ptrIS8_EEEENS0_8identityIS8_EEEE10hipError_tT2_T3_mT4_P12ihipStream_tbEUlT_E_NS1_11comp_targetILNS1_3genE9ELNS1_11target_archE1100ELNS1_3gpuE3ELNS1_3repE0EEENS1_30default_config_static_selectorELNS0_4arch9wavefront6targetE0EEEvT1_.num_named_barrier, 0
	.set _ZN7rocprim17ROCPRIM_400000_NS6detail17trampoline_kernelINS0_14default_configENS1_25transform_config_selectorIN6thrust23THRUST_200600_302600_NS4pairIiiEELb0EEEZNS1_14transform_implILb0ES3_S9_PS8_NS6_6detail15normal_iteratorINS6_10device_ptrIS8_EEEENS0_8identityIS8_EEEE10hipError_tT2_T3_mT4_P12ihipStream_tbEUlT_E_NS1_11comp_targetILNS1_3genE9ELNS1_11target_archE1100ELNS1_3gpuE3ELNS1_3repE0EEENS1_30default_config_static_selectorELNS0_4arch9wavefront6targetE0EEEvT1_.private_seg_size, 0
	.set _ZN7rocprim17ROCPRIM_400000_NS6detail17trampoline_kernelINS0_14default_configENS1_25transform_config_selectorIN6thrust23THRUST_200600_302600_NS4pairIiiEELb0EEEZNS1_14transform_implILb0ES3_S9_PS8_NS6_6detail15normal_iteratorINS6_10device_ptrIS8_EEEENS0_8identityIS8_EEEE10hipError_tT2_T3_mT4_P12ihipStream_tbEUlT_E_NS1_11comp_targetILNS1_3genE9ELNS1_11target_archE1100ELNS1_3gpuE3ELNS1_3repE0EEENS1_30default_config_static_selectorELNS0_4arch9wavefront6targetE0EEEvT1_.uses_vcc, 0
	.set _ZN7rocprim17ROCPRIM_400000_NS6detail17trampoline_kernelINS0_14default_configENS1_25transform_config_selectorIN6thrust23THRUST_200600_302600_NS4pairIiiEELb0EEEZNS1_14transform_implILb0ES3_S9_PS8_NS6_6detail15normal_iteratorINS6_10device_ptrIS8_EEEENS0_8identityIS8_EEEE10hipError_tT2_T3_mT4_P12ihipStream_tbEUlT_E_NS1_11comp_targetILNS1_3genE9ELNS1_11target_archE1100ELNS1_3gpuE3ELNS1_3repE0EEENS1_30default_config_static_selectorELNS0_4arch9wavefront6targetE0EEEvT1_.uses_flat_scratch, 0
	.set _ZN7rocprim17ROCPRIM_400000_NS6detail17trampoline_kernelINS0_14default_configENS1_25transform_config_selectorIN6thrust23THRUST_200600_302600_NS4pairIiiEELb0EEEZNS1_14transform_implILb0ES3_S9_PS8_NS6_6detail15normal_iteratorINS6_10device_ptrIS8_EEEENS0_8identityIS8_EEEE10hipError_tT2_T3_mT4_P12ihipStream_tbEUlT_E_NS1_11comp_targetILNS1_3genE9ELNS1_11target_archE1100ELNS1_3gpuE3ELNS1_3repE0EEENS1_30default_config_static_selectorELNS0_4arch9wavefront6targetE0EEEvT1_.has_dyn_sized_stack, 0
	.set _ZN7rocprim17ROCPRIM_400000_NS6detail17trampoline_kernelINS0_14default_configENS1_25transform_config_selectorIN6thrust23THRUST_200600_302600_NS4pairIiiEELb0EEEZNS1_14transform_implILb0ES3_S9_PS8_NS6_6detail15normal_iteratorINS6_10device_ptrIS8_EEEENS0_8identityIS8_EEEE10hipError_tT2_T3_mT4_P12ihipStream_tbEUlT_E_NS1_11comp_targetILNS1_3genE9ELNS1_11target_archE1100ELNS1_3gpuE3ELNS1_3repE0EEENS1_30default_config_static_selectorELNS0_4arch9wavefront6targetE0EEEvT1_.has_recursion, 0
	.set _ZN7rocprim17ROCPRIM_400000_NS6detail17trampoline_kernelINS0_14default_configENS1_25transform_config_selectorIN6thrust23THRUST_200600_302600_NS4pairIiiEELb0EEEZNS1_14transform_implILb0ES3_S9_PS8_NS6_6detail15normal_iteratorINS6_10device_ptrIS8_EEEENS0_8identityIS8_EEEE10hipError_tT2_T3_mT4_P12ihipStream_tbEUlT_E_NS1_11comp_targetILNS1_3genE9ELNS1_11target_archE1100ELNS1_3gpuE3ELNS1_3repE0EEENS1_30default_config_static_selectorELNS0_4arch9wavefront6targetE0EEEvT1_.has_indirect_call, 0
	.section	.AMDGPU.csdata,"",@progbits
; Kernel info:
; codeLenInByte = 0
; TotalNumSgprs: 0
; NumVgprs: 0
; ScratchSize: 0
; MemoryBound: 0
; FloatMode: 240
; IeeeMode: 1
; LDSByteSize: 0 bytes/workgroup (compile time only)
; SGPRBlocks: 0
; VGPRBlocks: 0
; NumSGPRsForWavesPerEU: 1
; NumVGPRsForWavesPerEU: 1
; Occupancy: 16
; WaveLimiterHint : 0
; COMPUTE_PGM_RSRC2:SCRATCH_EN: 0
; COMPUTE_PGM_RSRC2:USER_SGPR: 6
; COMPUTE_PGM_RSRC2:TRAP_HANDLER: 0
; COMPUTE_PGM_RSRC2:TGID_X_EN: 1
; COMPUTE_PGM_RSRC2:TGID_Y_EN: 0
; COMPUTE_PGM_RSRC2:TGID_Z_EN: 0
; COMPUTE_PGM_RSRC2:TIDIG_COMP_CNT: 0
	.section	.text._ZN7rocprim17ROCPRIM_400000_NS6detail17trampoline_kernelINS0_14default_configENS1_25transform_config_selectorIN6thrust23THRUST_200600_302600_NS4pairIiiEELb0EEEZNS1_14transform_implILb0ES3_S9_PS8_NS6_6detail15normal_iteratorINS6_10device_ptrIS8_EEEENS0_8identityIS8_EEEE10hipError_tT2_T3_mT4_P12ihipStream_tbEUlT_E_NS1_11comp_targetILNS1_3genE8ELNS1_11target_archE1030ELNS1_3gpuE2ELNS1_3repE0EEENS1_30default_config_static_selectorELNS0_4arch9wavefront6targetE0EEEvT1_,"axG",@progbits,_ZN7rocprim17ROCPRIM_400000_NS6detail17trampoline_kernelINS0_14default_configENS1_25transform_config_selectorIN6thrust23THRUST_200600_302600_NS4pairIiiEELb0EEEZNS1_14transform_implILb0ES3_S9_PS8_NS6_6detail15normal_iteratorINS6_10device_ptrIS8_EEEENS0_8identityIS8_EEEE10hipError_tT2_T3_mT4_P12ihipStream_tbEUlT_E_NS1_11comp_targetILNS1_3genE8ELNS1_11target_archE1030ELNS1_3gpuE2ELNS1_3repE0EEENS1_30default_config_static_selectorELNS0_4arch9wavefront6targetE0EEEvT1_,comdat
	.protected	_ZN7rocprim17ROCPRIM_400000_NS6detail17trampoline_kernelINS0_14default_configENS1_25transform_config_selectorIN6thrust23THRUST_200600_302600_NS4pairIiiEELb0EEEZNS1_14transform_implILb0ES3_S9_PS8_NS6_6detail15normal_iteratorINS6_10device_ptrIS8_EEEENS0_8identityIS8_EEEE10hipError_tT2_T3_mT4_P12ihipStream_tbEUlT_E_NS1_11comp_targetILNS1_3genE8ELNS1_11target_archE1030ELNS1_3gpuE2ELNS1_3repE0EEENS1_30default_config_static_selectorELNS0_4arch9wavefront6targetE0EEEvT1_ ; -- Begin function _ZN7rocprim17ROCPRIM_400000_NS6detail17trampoline_kernelINS0_14default_configENS1_25transform_config_selectorIN6thrust23THRUST_200600_302600_NS4pairIiiEELb0EEEZNS1_14transform_implILb0ES3_S9_PS8_NS6_6detail15normal_iteratorINS6_10device_ptrIS8_EEEENS0_8identityIS8_EEEE10hipError_tT2_T3_mT4_P12ihipStream_tbEUlT_E_NS1_11comp_targetILNS1_3genE8ELNS1_11target_archE1030ELNS1_3gpuE2ELNS1_3repE0EEENS1_30default_config_static_selectorELNS0_4arch9wavefront6targetE0EEEvT1_
	.globl	_ZN7rocprim17ROCPRIM_400000_NS6detail17trampoline_kernelINS0_14default_configENS1_25transform_config_selectorIN6thrust23THRUST_200600_302600_NS4pairIiiEELb0EEEZNS1_14transform_implILb0ES3_S9_PS8_NS6_6detail15normal_iteratorINS6_10device_ptrIS8_EEEENS0_8identityIS8_EEEE10hipError_tT2_T3_mT4_P12ihipStream_tbEUlT_E_NS1_11comp_targetILNS1_3genE8ELNS1_11target_archE1030ELNS1_3gpuE2ELNS1_3repE0EEENS1_30default_config_static_selectorELNS0_4arch9wavefront6targetE0EEEvT1_
	.p2align	8
	.type	_ZN7rocprim17ROCPRIM_400000_NS6detail17trampoline_kernelINS0_14default_configENS1_25transform_config_selectorIN6thrust23THRUST_200600_302600_NS4pairIiiEELb0EEEZNS1_14transform_implILb0ES3_S9_PS8_NS6_6detail15normal_iteratorINS6_10device_ptrIS8_EEEENS0_8identityIS8_EEEE10hipError_tT2_T3_mT4_P12ihipStream_tbEUlT_E_NS1_11comp_targetILNS1_3genE8ELNS1_11target_archE1030ELNS1_3gpuE2ELNS1_3repE0EEENS1_30default_config_static_selectorELNS0_4arch9wavefront6targetE0EEEvT1_,@function
_ZN7rocprim17ROCPRIM_400000_NS6detail17trampoline_kernelINS0_14default_configENS1_25transform_config_selectorIN6thrust23THRUST_200600_302600_NS4pairIiiEELb0EEEZNS1_14transform_implILb0ES3_S9_PS8_NS6_6detail15normal_iteratorINS6_10device_ptrIS8_EEEENS0_8identityIS8_EEEE10hipError_tT2_T3_mT4_P12ihipStream_tbEUlT_E_NS1_11comp_targetILNS1_3genE8ELNS1_11target_archE1030ELNS1_3gpuE2ELNS1_3repE0EEENS1_30default_config_static_selectorELNS0_4arch9wavefront6targetE0EEEvT1_: ; @_ZN7rocprim17ROCPRIM_400000_NS6detail17trampoline_kernelINS0_14default_configENS1_25transform_config_selectorIN6thrust23THRUST_200600_302600_NS4pairIiiEELb0EEEZNS1_14transform_implILb0ES3_S9_PS8_NS6_6detail15normal_iteratorINS6_10device_ptrIS8_EEEENS0_8identityIS8_EEEE10hipError_tT2_T3_mT4_P12ihipStream_tbEUlT_E_NS1_11comp_targetILNS1_3genE8ELNS1_11target_archE1030ELNS1_3gpuE2ELNS1_3repE0EEENS1_30default_config_static_selectorELNS0_4arch9wavefront6targetE0EEEvT1_
; %bb.0:
	s_clause 0x1
	s_load_dwordx8 s[8:15], s[4:5], 0x0
	s_load_dword s4, s[4:5], 0x28
	s_mov_b32 s1, 0
	v_lshlrev_b32_e32 v7, 3, v0
	s_waitcnt lgkmcnt(0)
	s_lshl_b64 s[2:3], s[10:11], 3
	s_add_u32 s5, s8, s2
	s_addc_u32 s9, s9, s3
	s_add_u32 s7, s14, s2
	s_addc_u32 s8, s15, s3
	s_lshl_b32 s0, s6, 10
	s_add_i32 s10, s4, -1
	s_lshl_b64 s[2:3], s[0:1], 3
	s_add_u32 s4, s5, s2
	s_addc_u32 s5, s9, s3
	s_cmp_lg_u32 s6, s10
	s_mov_b32 s6, -1
	s_cbranch_scc0 .LBB689_2
; %bb.1:
	v_add_co_u32 v1, s1, s4, v7
	v_add_co_ci_u32_e64 v2, null, s5, 0, s1
	s_add_u32 s1, s7, s2
	v_add_co_u32 v1, vcc_lo, 0x1000, v1
	v_add_co_ci_u32_e64 v2, null, 0, v2, vcc_lo
	s_addc_u32 s6, s8, s3
	v_add_co_u32 v3, s1, s1, v7
	s_clause 0x1
	global_load_dwordx2 v[5:6], v7, s[4:5]
	global_load_dwordx2 v[1:2], v[1:2], off
	v_add_co_ci_u32_e64 v4, null, s6, 0, s1
	s_mov_b32 s1, -1
	s_waitcnt vmcnt(1)
	flat_store_dwordx2 v[3:4], v[5:6]
	s_cbranch_execz .LBB689_3
	s_branch .LBB689_10
.LBB689_2:
                                        ; implicit-def: $vgpr1_vgpr2
                                        ; implicit-def: $vgpr3_vgpr4
	s_andn2_b32 vcc_lo, exec_lo, s6
	s_cbranch_vccnz .LBB689_10
.LBB689_3:
	s_sub_i32 s0, s12, s0
	s_waitcnt vmcnt(0)
	v_mov_b32_e32 v1, 0
	v_mov_b32_e32 v5, 0
	;; [unrolled: 1-line block ×4, first 2 shown]
	v_cmp_gt_u32_e32 vcc_lo, s0, v0
	s_and_saveexec_b32 s1, vcc_lo
	s_cbranch_execz .LBB689_5
; %bb.4:
	global_load_dwordx2 v[5:6], v7, s[4:5]
.LBB689_5:
	s_or_b32 exec_lo, exec_lo, s1
	v_or_b32_e32 v0, 0x200, v0
	v_cmp_gt_u32_e64 s1, s0, v0
	s_and_saveexec_b32 s0, s1
	s_cbranch_execz .LBB689_7
; %bb.6:
	v_lshlrev_b32_e32 v0, 3, v0
	global_load_dwordx2 v[1:2], v0, s[4:5]
.LBB689_7:
	s_or_b32 exec_lo, exec_lo, s0
	s_add_u32 s0, s7, s2
	s_addc_u32 s2, s8, s3
	v_add_co_u32 v3, s0, s0, v7
	v_add_co_ci_u32_e64 v4, null, s2, 0, s0
	s_and_saveexec_b32 s0, vcc_lo
	s_cbranch_execz .LBB689_9
; %bb.8:
	s_waitcnt vmcnt(0)
	flat_store_dwordx2 v[3:4], v[5:6]
.LBB689_9:
	s_or_b32 exec_lo, exec_lo, s0
.LBB689_10:
	s_and_saveexec_b32 s0, s1
	s_cbranch_execnz .LBB689_12
; %bb.11:
	s_endpgm
.LBB689_12:
	v_add_co_u32 v3, vcc_lo, 0x1000, v3
	v_add_co_ci_u32_e64 v4, null, 0, v4, vcc_lo
	s_waitcnt vmcnt(0)
	flat_store_dwordx2 v[3:4], v[1:2]
	s_endpgm
	.section	.rodata,"a",@progbits
	.p2align	6, 0x0
	.amdhsa_kernel _ZN7rocprim17ROCPRIM_400000_NS6detail17trampoline_kernelINS0_14default_configENS1_25transform_config_selectorIN6thrust23THRUST_200600_302600_NS4pairIiiEELb0EEEZNS1_14transform_implILb0ES3_S9_PS8_NS6_6detail15normal_iteratorINS6_10device_ptrIS8_EEEENS0_8identityIS8_EEEE10hipError_tT2_T3_mT4_P12ihipStream_tbEUlT_E_NS1_11comp_targetILNS1_3genE8ELNS1_11target_archE1030ELNS1_3gpuE2ELNS1_3repE0EEENS1_30default_config_static_selectorELNS0_4arch9wavefront6targetE0EEEvT1_
		.amdhsa_group_segment_fixed_size 0
		.amdhsa_private_segment_fixed_size 0
		.amdhsa_kernarg_size 296
		.amdhsa_user_sgpr_count 6
		.amdhsa_user_sgpr_private_segment_buffer 1
		.amdhsa_user_sgpr_dispatch_ptr 0
		.amdhsa_user_sgpr_queue_ptr 0
		.amdhsa_user_sgpr_kernarg_segment_ptr 1
		.amdhsa_user_sgpr_dispatch_id 0
		.amdhsa_user_sgpr_flat_scratch_init 0
		.amdhsa_user_sgpr_private_segment_size 0
		.amdhsa_wavefront_size32 1
		.amdhsa_uses_dynamic_stack 0
		.amdhsa_system_sgpr_private_segment_wavefront_offset 0
		.amdhsa_system_sgpr_workgroup_id_x 1
		.amdhsa_system_sgpr_workgroup_id_y 0
		.amdhsa_system_sgpr_workgroup_id_z 0
		.amdhsa_system_sgpr_workgroup_info 0
		.amdhsa_system_vgpr_workitem_id 0
		.amdhsa_next_free_vgpr 8
		.amdhsa_next_free_sgpr 16
		.amdhsa_reserve_vcc 1
		.amdhsa_reserve_flat_scratch 0
		.amdhsa_float_round_mode_32 0
		.amdhsa_float_round_mode_16_64 0
		.amdhsa_float_denorm_mode_32 3
		.amdhsa_float_denorm_mode_16_64 3
		.amdhsa_dx10_clamp 1
		.amdhsa_ieee_mode 1
		.amdhsa_fp16_overflow 0
		.amdhsa_workgroup_processor_mode 1
		.amdhsa_memory_ordered 1
		.amdhsa_forward_progress 1
		.amdhsa_shared_vgpr_count 0
		.amdhsa_exception_fp_ieee_invalid_op 0
		.amdhsa_exception_fp_denorm_src 0
		.amdhsa_exception_fp_ieee_div_zero 0
		.amdhsa_exception_fp_ieee_overflow 0
		.amdhsa_exception_fp_ieee_underflow 0
		.amdhsa_exception_fp_ieee_inexact 0
		.amdhsa_exception_int_div_zero 0
	.end_amdhsa_kernel
	.section	.text._ZN7rocprim17ROCPRIM_400000_NS6detail17trampoline_kernelINS0_14default_configENS1_25transform_config_selectorIN6thrust23THRUST_200600_302600_NS4pairIiiEELb0EEEZNS1_14transform_implILb0ES3_S9_PS8_NS6_6detail15normal_iteratorINS6_10device_ptrIS8_EEEENS0_8identityIS8_EEEE10hipError_tT2_T3_mT4_P12ihipStream_tbEUlT_E_NS1_11comp_targetILNS1_3genE8ELNS1_11target_archE1030ELNS1_3gpuE2ELNS1_3repE0EEENS1_30default_config_static_selectorELNS0_4arch9wavefront6targetE0EEEvT1_,"axG",@progbits,_ZN7rocprim17ROCPRIM_400000_NS6detail17trampoline_kernelINS0_14default_configENS1_25transform_config_selectorIN6thrust23THRUST_200600_302600_NS4pairIiiEELb0EEEZNS1_14transform_implILb0ES3_S9_PS8_NS6_6detail15normal_iteratorINS6_10device_ptrIS8_EEEENS0_8identityIS8_EEEE10hipError_tT2_T3_mT4_P12ihipStream_tbEUlT_E_NS1_11comp_targetILNS1_3genE8ELNS1_11target_archE1030ELNS1_3gpuE2ELNS1_3repE0EEENS1_30default_config_static_selectorELNS0_4arch9wavefront6targetE0EEEvT1_,comdat
.Lfunc_end689:
	.size	_ZN7rocprim17ROCPRIM_400000_NS6detail17trampoline_kernelINS0_14default_configENS1_25transform_config_selectorIN6thrust23THRUST_200600_302600_NS4pairIiiEELb0EEEZNS1_14transform_implILb0ES3_S9_PS8_NS6_6detail15normal_iteratorINS6_10device_ptrIS8_EEEENS0_8identityIS8_EEEE10hipError_tT2_T3_mT4_P12ihipStream_tbEUlT_E_NS1_11comp_targetILNS1_3genE8ELNS1_11target_archE1030ELNS1_3gpuE2ELNS1_3repE0EEENS1_30default_config_static_selectorELNS0_4arch9wavefront6targetE0EEEvT1_, .Lfunc_end689-_ZN7rocprim17ROCPRIM_400000_NS6detail17trampoline_kernelINS0_14default_configENS1_25transform_config_selectorIN6thrust23THRUST_200600_302600_NS4pairIiiEELb0EEEZNS1_14transform_implILb0ES3_S9_PS8_NS6_6detail15normal_iteratorINS6_10device_ptrIS8_EEEENS0_8identityIS8_EEEE10hipError_tT2_T3_mT4_P12ihipStream_tbEUlT_E_NS1_11comp_targetILNS1_3genE8ELNS1_11target_archE1030ELNS1_3gpuE2ELNS1_3repE0EEENS1_30default_config_static_selectorELNS0_4arch9wavefront6targetE0EEEvT1_
                                        ; -- End function
	.set _ZN7rocprim17ROCPRIM_400000_NS6detail17trampoline_kernelINS0_14default_configENS1_25transform_config_selectorIN6thrust23THRUST_200600_302600_NS4pairIiiEELb0EEEZNS1_14transform_implILb0ES3_S9_PS8_NS6_6detail15normal_iteratorINS6_10device_ptrIS8_EEEENS0_8identityIS8_EEEE10hipError_tT2_T3_mT4_P12ihipStream_tbEUlT_E_NS1_11comp_targetILNS1_3genE8ELNS1_11target_archE1030ELNS1_3gpuE2ELNS1_3repE0EEENS1_30default_config_static_selectorELNS0_4arch9wavefront6targetE0EEEvT1_.num_vgpr, 8
	.set _ZN7rocprim17ROCPRIM_400000_NS6detail17trampoline_kernelINS0_14default_configENS1_25transform_config_selectorIN6thrust23THRUST_200600_302600_NS4pairIiiEELb0EEEZNS1_14transform_implILb0ES3_S9_PS8_NS6_6detail15normal_iteratorINS6_10device_ptrIS8_EEEENS0_8identityIS8_EEEE10hipError_tT2_T3_mT4_P12ihipStream_tbEUlT_E_NS1_11comp_targetILNS1_3genE8ELNS1_11target_archE1030ELNS1_3gpuE2ELNS1_3repE0EEENS1_30default_config_static_selectorELNS0_4arch9wavefront6targetE0EEEvT1_.num_agpr, 0
	.set _ZN7rocprim17ROCPRIM_400000_NS6detail17trampoline_kernelINS0_14default_configENS1_25transform_config_selectorIN6thrust23THRUST_200600_302600_NS4pairIiiEELb0EEEZNS1_14transform_implILb0ES3_S9_PS8_NS6_6detail15normal_iteratorINS6_10device_ptrIS8_EEEENS0_8identityIS8_EEEE10hipError_tT2_T3_mT4_P12ihipStream_tbEUlT_E_NS1_11comp_targetILNS1_3genE8ELNS1_11target_archE1030ELNS1_3gpuE2ELNS1_3repE0EEENS1_30default_config_static_selectorELNS0_4arch9wavefront6targetE0EEEvT1_.numbered_sgpr, 16
	.set _ZN7rocprim17ROCPRIM_400000_NS6detail17trampoline_kernelINS0_14default_configENS1_25transform_config_selectorIN6thrust23THRUST_200600_302600_NS4pairIiiEELb0EEEZNS1_14transform_implILb0ES3_S9_PS8_NS6_6detail15normal_iteratorINS6_10device_ptrIS8_EEEENS0_8identityIS8_EEEE10hipError_tT2_T3_mT4_P12ihipStream_tbEUlT_E_NS1_11comp_targetILNS1_3genE8ELNS1_11target_archE1030ELNS1_3gpuE2ELNS1_3repE0EEENS1_30default_config_static_selectorELNS0_4arch9wavefront6targetE0EEEvT1_.num_named_barrier, 0
	.set _ZN7rocprim17ROCPRIM_400000_NS6detail17trampoline_kernelINS0_14default_configENS1_25transform_config_selectorIN6thrust23THRUST_200600_302600_NS4pairIiiEELb0EEEZNS1_14transform_implILb0ES3_S9_PS8_NS6_6detail15normal_iteratorINS6_10device_ptrIS8_EEEENS0_8identityIS8_EEEE10hipError_tT2_T3_mT4_P12ihipStream_tbEUlT_E_NS1_11comp_targetILNS1_3genE8ELNS1_11target_archE1030ELNS1_3gpuE2ELNS1_3repE0EEENS1_30default_config_static_selectorELNS0_4arch9wavefront6targetE0EEEvT1_.private_seg_size, 0
	.set _ZN7rocprim17ROCPRIM_400000_NS6detail17trampoline_kernelINS0_14default_configENS1_25transform_config_selectorIN6thrust23THRUST_200600_302600_NS4pairIiiEELb0EEEZNS1_14transform_implILb0ES3_S9_PS8_NS6_6detail15normal_iteratorINS6_10device_ptrIS8_EEEENS0_8identityIS8_EEEE10hipError_tT2_T3_mT4_P12ihipStream_tbEUlT_E_NS1_11comp_targetILNS1_3genE8ELNS1_11target_archE1030ELNS1_3gpuE2ELNS1_3repE0EEENS1_30default_config_static_selectorELNS0_4arch9wavefront6targetE0EEEvT1_.uses_vcc, 1
	.set _ZN7rocprim17ROCPRIM_400000_NS6detail17trampoline_kernelINS0_14default_configENS1_25transform_config_selectorIN6thrust23THRUST_200600_302600_NS4pairIiiEELb0EEEZNS1_14transform_implILb0ES3_S9_PS8_NS6_6detail15normal_iteratorINS6_10device_ptrIS8_EEEENS0_8identityIS8_EEEE10hipError_tT2_T3_mT4_P12ihipStream_tbEUlT_E_NS1_11comp_targetILNS1_3genE8ELNS1_11target_archE1030ELNS1_3gpuE2ELNS1_3repE0EEENS1_30default_config_static_selectorELNS0_4arch9wavefront6targetE0EEEvT1_.uses_flat_scratch, 0
	.set _ZN7rocprim17ROCPRIM_400000_NS6detail17trampoline_kernelINS0_14default_configENS1_25transform_config_selectorIN6thrust23THRUST_200600_302600_NS4pairIiiEELb0EEEZNS1_14transform_implILb0ES3_S9_PS8_NS6_6detail15normal_iteratorINS6_10device_ptrIS8_EEEENS0_8identityIS8_EEEE10hipError_tT2_T3_mT4_P12ihipStream_tbEUlT_E_NS1_11comp_targetILNS1_3genE8ELNS1_11target_archE1030ELNS1_3gpuE2ELNS1_3repE0EEENS1_30default_config_static_selectorELNS0_4arch9wavefront6targetE0EEEvT1_.has_dyn_sized_stack, 0
	.set _ZN7rocprim17ROCPRIM_400000_NS6detail17trampoline_kernelINS0_14default_configENS1_25transform_config_selectorIN6thrust23THRUST_200600_302600_NS4pairIiiEELb0EEEZNS1_14transform_implILb0ES3_S9_PS8_NS6_6detail15normal_iteratorINS6_10device_ptrIS8_EEEENS0_8identityIS8_EEEE10hipError_tT2_T3_mT4_P12ihipStream_tbEUlT_E_NS1_11comp_targetILNS1_3genE8ELNS1_11target_archE1030ELNS1_3gpuE2ELNS1_3repE0EEENS1_30default_config_static_selectorELNS0_4arch9wavefront6targetE0EEEvT1_.has_recursion, 0
	.set _ZN7rocprim17ROCPRIM_400000_NS6detail17trampoline_kernelINS0_14default_configENS1_25transform_config_selectorIN6thrust23THRUST_200600_302600_NS4pairIiiEELb0EEEZNS1_14transform_implILb0ES3_S9_PS8_NS6_6detail15normal_iteratorINS6_10device_ptrIS8_EEEENS0_8identityIS8_EEEE10hipError_tT2_T3_mT4_P12ihipStream_tbEUlT_E_NS1_11comp_targetILNS1_3genE8ELNS1_11target_archE1030ELNS1_3gpuE2ELNS1_3repE0EEENS1_30default_config_static_selectorELNS0_4arch9wavefront6targetE0EEEvT1_.has_indirect_call, 0
	.section	.AMDGPU.csdata,"",@progbits
; Kernel info:
; codeLenInByte = 380
; TotalNumSgprs: 18
; NumVgprs: 8
; ScratchSize: 0
; MemoryBound: 0
; FloatMode: 240
; IeeeMode: 1
; LDSByteSize: 0 bytes/workgroup (compile time only)
; SGPRBlocks: 0
; VGPRBlocks: 0
; NumSGPRsForWavesPerEU: 18
; NumVGPRsForWavesPerEU: 8
; Occupancy: 16
; WaveLimiterHint : 1
; COMPUTE_PGM_RSRC2:SCRATCH_EN: 0
; COMPUTE_PGM_RSRC2:USER_SGPR: 6
; COMPUTE_PGM_RSRC2:TRAP_HANDLER: 0
; COMPUTE_PGM_RSRC2:TGID_X_EN: 1
; COMPUTE_PGM_RSRC2:TGID_Y_EN: 0
; COMPUTE_PGM_RSRC2:TGID_Z_EN: 0
; COMPUTE_PGM_RSRC2:TIDIG_COMP_CNT: 0
	.section	.text._ZN7rocprim17ROCPRIM_400000_NS6detail17trampoline_kernelINS0_13kernel_configILj256ELj4ELj4294967295EEENS1_37radix_sort_block_sort_config_selectorIiiEEZNS1_21radix_sort_block_sortIS4_Lb0EN6thrust23THRUST_200600_302600_NS6detail15normal_iteratorINS9_10device_ptrIiEEEESE_SE_SE_NS0_19identity_decomposerEEE10hipError_tT1_T2_T3_T4_jRjT5_jjP12ihipStream_tbEUlT_E_NS1_11comp_targetILNS1_3genE0ELNS1_11target_archE4294967295ELNS1_3gpuE0ELNS1_3repE0EEENS1_44radix_sort_block_sort_config_static_selectorELNS0_4arch9wavefront6targetE0EEEvSH_,"axG",@progbits,_ZN7rocprim17ROCPRIM_400000_NS6detail17trampoline_kernelINS0_13kernel_configILj256ELj4ELj4294967295EEENS1_37radix_sort_block_sort_config_selectorIiiEEZNS1_21radix_sort_block_sortIS4_Lb0EN6thrust23THRUST_200600_302600_NS6detail15normal_iteratorINS9_10device_ptrIiEEEESE_SE_SE_NS0_19identity_decomposerEEE10hipError_tT1_T2_T3_T4_jRjT5_jjP12ihipStream_tbEUlT_E_NS1_11comp_targetILNS1_3genE0ELNS1_11target_archE4294967295ELNS1_3gpuE0ELNS1_3repE0EEENS1_44radix_sort_block_sort_config_static_selectorELNS0_4arch9wavefront6targetE0EEEvSH_,comdat
	.protected	_ZN7rocprim17ROCPRIM_400000_NS6detail17trampoline_kernelINS0_13kernel_configILj256ELj4ELj4294967295EEENS1_37radix_sort_block_sort_config_selectorIiiEEZNS1_21radix_sort_block_sortIS4_Lb0EN6thrust23THRUST_200600_302600_NS6detail15normal_iteratorINS9_10device_ptrIiEEEESE_SE_SE_NS0_19identity_decomposerEEE10hipError_tT1_T2_T3_T4_jRjT5_jjP12ihipStream_tbEUlT_E_NS1_11comp_targetILNS1_3genE0ELNS1_11target_archE4294967295ELNS1_3gpuE0ELNS1_3repE0EEENS1_44radix_sort_block_sort_config_static_selectorELNS0_4arch9wavefront6targetE0EEEvSH_ ; -- Begin function _ZN7rocprim17ROCPRIM_400000_NS6detail17trampoline_kernelINS0_13kernel_configILj256ELj4ELj4294967295EEENS1_37radix_sort_block_sort_config_selectorIiiEEZNS1_21radix_sort_block_sortIS4_Lb0EN6thrust23THRUST_200600_302600_NS6detail15normal_iteratorINS9_10device_ptrIiEEEESE_SE_SE_NS0_19identity_decomposerEEE10hipError_tT1_T2_T3_T4_jRjT5_jjP12ihipStream_tbEUlT_E_NS1_11comp_targetILNS1_3genE0ELNS1_11target_archE4294967295ELNS1_3gpuE0ELNS1_3repE0EEENS1_44radix_sort_block_sort_config_static_selectorELNS0_4arch9wavefront6targetE0EEEvSH_
	.globl	_ZN7rocprim17ROCPRIM_400000_NS6detail17trampoline_kernelINS0_13kernel_configILj256ELj4ELj4294967295EEENS1_37radix_sort_block_sort_config_selectorIiiEEZNS1_21radix_sort_block_sortIS4_Lb0EN6thrust23THRUST_200600_302600_NS6detail15normal_iteratorINS9_10device_ptrIiEEEESE_SE_SE_NS0_19identity_decomposerEEE10hipError_tT1_T2_T3_T4_jRjT5_jjP12ihipStream_tbEUlT_E_NS1_11comp_targetILNS1_3genE0ELNS1_11target_archE4294967295ELNS1_3gpuE0ELNS1_3repE0EEENS1_44radix_sort_block_sort_config_static_selectorELNS0_4arch9wavefront6targetE0EEEvSH_
	.p2align	8
	.type	_ZN7rocprim17ROCPRIM_400000_NS6detail17trampoline_kernelINS0_13kernel_configILj256ELj4ELj4294967295EEENS1_37radix_sort_block_sort_config_selectorIiiEEZNS1_21radix_sort_block_sortIS4_Lb0EN6thrust23THRUST_200600_302600_NS6detail15normal_iteratorINS9_10device_ptrIiEEEESE_SE_SE_NS0_19identity_decomposerEEE10hipError_tT1_T2_T3_T4_jRjT5_jjP12ihipStream_tbEUlT_E_NS1_11comp_targetILNS1_3genE0ELNS1_11target_archE4294967295ELNS1_3gpuE0ELNS1_3repE0EEENS1_44radix_sort_block_sort_config_static_selectorELNS0_4arch9wavefront6targetE0EEEvSH_,@function
_ZN7rocprim17ROCPRIM_400000_NS6detail17trampoline_kernelINS0_13kernel_configILj256ELj4ELj4294967295EEENS1_37radix_sort_block_sort_config_selectorIiiEEZNS1_21radix_sort_block_sortIS4_Lb0EN6thrust23THRUST_200600_302600_NS6detail15normal_iteratorINS9_10device_ptrIiEEEESE_SE_SE_NS0_19identity_decomposerEEE10hipError_tT1_T2_T3_T4_jRjT5_jjP12ihipStream_tbEUlT_E_NS1_11comp_targetILNS1_3genE0ELNS1_11target_archE4294967295ELNS1_3gpuE0ELNS1_3repE0EEENS1_44radix_sort_block_sort_config_static_selectorELNS0_4arch9wavefront6targetE0EEEvSH_: ; @_ZN7rocprim17ROCPRIM_400000_NS6detail17trampoline_kernelINS0_13kernel_configILj256ELj4ELj4294967295EEENS1_37radix_sort_block_sort_config_selectorIiiEEZNS1_21radix_sort_block_sortIS4_Lb0EN6thrust23THRUST_200600_302600_NS6detail15normal_iteratorINS9_10device_ptrIiEEEESE_SE_SE_NS0_19identity_decomposerEEE10hipError_tT1_T2_T3_T4_jRjT5_jjP12ihipStream_tbEUlT_E_NS1_11comp_targetILNS1_3genE0ELNS1_11target_archE4294967295ELNS1_3gpuE0ELNS1_3repE0EEENS1_44radix_sort_block_sort_config_static_selectorELNS0_4arch9wavefront6targetE0EEEvSH_
; %bb.0:
	.section	.rodata,"a",@progbits
	.p2align	6, 0x0
	.amdhsa_kernel _ZN7rocprim17ROCPRIM_400000_NS6detail17trampoline_kernelINS0_13kernel_configILj256ELj4ELj4294967295EEENS1_37radix_sort_block_sort_config_selectorIiiEEZNS1_21radix_sort_block_sortIS4_Lb0EN6thrust23THRUST_200600_302600_NS6detail15normal_iteratorINS9_10device_ptrIiEEEESE_SE_SE_NS0_19identity_decomposerEEE10hipError_tT1_T2_T3_T4_jRjT5_jjP12ihipStream_tbEUlT_E_NS1_11comp_targetILNS1_3genE0ELNS1_11target_archE4294967295ELNS1_3gpuE0ELNS1_3repE0EEENS1_44radix_sort_block_sort_config_static_selectorELNS0_4arch9wavefront6targetE0EEEvSH_
		.amdhsa_group_segment_fixed_size 0
		.amdhsa_private_segment_fixed_size 0
		.amdhsa_kernarg_size 48
		.amdhsa_user_sgpr_count 6
		.amdhsa_user_sgpr_private_segment_buffer 1
		.amdhsa_user_sgpr_dispatch_ptr 0
		.amdhsa_user_sgpr_queue_ptr 0
		.amdhsa_user_sgpr_kernarg_segment_ptr 1
		.amdhsa_user_sgpr_dispatch_id 0
		.amdhsa_user_sgpr_flat_scratch_init 0
		.amdhsa_user_sgpr_private_segment_size 0
		.amdhsa_wavefront_size32 1
		.amdhsa_uses_dynamic_stack 0
		.amdhsa_system_sgpr_private_segment_wavefront_offset 0
		.amdhsa_system_sgpr_workgroup_id_x 1
		.amdhsa_system_sgpr_workgroup_id_y 0
		.amdhsa_system_sgpr_workgroup_id_z 0
		.amdhsa_system_sgpr_workgroup_info 0
		.amdhsa_system_vgpr_workitem_id 0
		.amdhsa_next_free_vgpr 1
		.amdhsa_next_free_sgpr 1
		.amdhsa_reserve_vcc 0
		.amdhsa_reserve_flat_scratch 0
		.amdhsa_float_round_mode_32 0
		.amdhsa_float_round_mode_16_64 0
		.amdhsa_float_denorm_mode_32 3
		.amdhsa_float_denorm_mode_16_64 3
		.amdhsa_dx10_clamp 1
		.amdhsa_ieee_mode 1
		.amdhsa_fp16_overflow 0
		.amdhsa_workgroup_processor_mode 1
		.amdhsa_memory_ordered 1
		.amdhsa_forward_progress 1
		.amdhsa_shared_vgpr_count 0
		.amdhsa_exception_fp_ieee_invalid_op 0
		.amdhsa_exception_fp_denorm_src 0
		.amdhsa_exception_fp_ieee_div_zero 0
		.amdhsa_exception_fp_ieee_overflow 0
		.amdhsa_exception_fp_ieee_underflow 0
		.amdhsa_exception_fp_ieee_inexact 0
		.amdhsa_exception_int_div_zero 0
	.end_amdhsa_kernel
	.section	.text._ZN7rocprim17ROCPRIM_400000_NS6detail17trampoline_kernelINS0_13kernel_configILj256ELj4ELj4294967295EEENS1_37radix_sort_block_sort_config_selectorIiiEEZNS1_21radix_sort_block_sortIS4_Lb0EN6thrust23THRUST_200600_302600_NS6detail15normal_iteratorINS9_10device_ptrIiEEEESE_SE_SE_NS0_19identity_decomposerEEE10hipError_tT1_T2_T3_T4_jRjT5_jjP12ihipStream_tbEUlT_E_NS1_11comp_targetILNS1_3genE0ELNS1_11target_archE4294967295ELNS1_3gpuE0ELNS1_3repE0EEENS1_44radix_sort_block_sort_config_static_selectorELNS0_4arch9wavefront6targetE0EEEvSH_,"axG",@progbits,_ZN7rocprim17ROCPRIM_400000_NS6detail17trampoline_kernelINS0_13kernel_configILj256ELj4ELj4294967295EEENS1_37radix_sort_block_sort_config_selectorIiiEEZNS1_21radix_sort_block_sortIS4_Lb0EN6thrust23THRUST_200600_302600_NS6detail15normal_iteratorINS9_10device_ptrIiEEEESE_SE_SE_NS0_19identity_decomposerEEE10hipError_tT1_T2_T3_T4_jRjT5_jjP12ihipStream_tbEUlT_E_NS1_11comp_targetILNS1_3genE0ELNS1_11target_archE4294967295ELNS1_3gpuE0ELNS1_3repE0EEENS1_44radix_sort_block_sort_config_static_selectorELNS0_4arch9wavefront6targetE0EEEvSH_,comdat
.Lfunc_end690:
	.size	_ZN7rocprim17ROCPRIM_400000_NS6detail17trampoline_kernelINS0_13kernel_configILj256ELj4ELj4294967295EEENS1_37radix_sort_block_sort_config_selectorIiiEEZNS1_21radix_sort_block_sortIS4_Lb0EN6thrust23THRUST_200600_302600_NS6detail15normal_iteratorINS9_10device_ptrIiEEEESE_SE_SE_NS0_19identity_decomposerEEE10hipError_tT1_T2_T3_T4_jRjT5_jjP12ihipStream_tbEUlT_E_NS1_11comp_targetILNS1_3genE0ELNS1_11target_archE4294967295ELNS1_3gpuE0ELNS1_3repE0EEENS1_44radix_sort_block_sort_config_static_selectorELNS0_4arch9wavefront6targetE0EEEvSH_, .Lfunc_end690-_ZN7rocprim17ROCPRIM_400000_NS6detail17trampoline_kernelINS0_13kernel_configILj256ELj4ELj4294967295EEENS1_37radix_sort_block_sort_config_selectorIiiEEZNS1_21radix_sort_block_sortIS4_Lb0EN6thrust23THRUST_200600_302600_NS6detail15normal_iteratorINS9_10device_ptrIiEEEESE_SE_SE_NS0_19identity_decomposerEEE10hipError_tT1_T2_T3_T4_jRjT5_jjP12ihipStream_tbEUlT_E_NS1_11comp_targetILNS1_3genE0ELNS1_11target_archE4294967295ELNS1_3gpuE0ELNS1_3repE0EEENS1_44radix_sort_block_sort_config_static_selectorELNS0_4arch9wavefront6targetE0EEEvSH_
                                        ; -- End function
	.set _ZN7rocprim17ROCPRIM_400000_NS6detail17trampoline_kernelINS0_13kernel_configILj256ELj4ELj4294967295EEENS1_37radix_sort_block_sort_config_selectorIiiEEZNS1_21radix_sort_block_sortIS4_Lb0EN6thrust23THRUST_200600_302600_NS6detail15normal_iteratorINS9_10device_ptrIiEEEESE_SE_SE_NS0_19identity_decomposerEEE10hipError_tT1_T2_T3_T4_jRjT5_jjP12ihipStream_tbEUlT_E_NS1_11comp_targetILNS1_3genE0ELNS1_11target_archE4294967295ELNS1_3gpuE0ELNS1_3repE0EEENS1_44radix_sort_block_sort_config_static_selectorELNS0_4arch9wavefront6targetE0EEEvSH_.num_vgpr, 0
	.set _ZN7rocprim17ROCPRIM_400000_NS6detail17trampoline_kernelINS0_13kernel_configILj256ELj4ELj4294967295EEENS1_37radix_sort_block_sort_config_selectorIiiEEZNS1_21radix_sort_block_sortIS4_Lb0EN6thrust23THRUST_200600_302600_NS6detail15normal_iteratorINS9_10device_ptrIiEEEESE_SE_SE_NS0_19identity_decomposerEEE10hipError_tT1_T2_T3_T4_jRjT5_jjP12ihipStream_tbEUlT_E_NS1_11comp_targetILNS1_3genE0ELNS1_11target_archE4294967295ELNS1_3gpuE0ELNS1_3repE0EEENS1_44radix_sort_block_sort_config_static_selectorELNS0_4arch9wavefront6targetE0EEEvSH_.num_agpr, 0
	.set _ZN7rocprim17ROCPRIM_400000_NS6detail17trampoline_kernelINS0_13kernel_configILj256ELj4ELj4294967295EEENS1_37radix_sort_block_sort_config_selectorIiiEEZNS1_21radix_sort_block_sortIS4_Lb0EN6thrust23THRUST_200600_302600_NS6detail15normal_iteratorINS9_10device_ptrIiEEEESE_SE_SE_NS0_19identity_decomposerEEE10hipError_tT1_T2_T3_T4_jRjT5_jjP12ihipStream_tbEUlT_E_NS1_11comp_targetILNS1_3genE0ELNS1_11target_archE4294967295ELNS1_3gpuE0ELNS1_3repE0EEENS1_44radix_sort_block_sort_config_static_selectorELNS0_4arch9wavefront6targetE0EEEvSH_.numbered_sgpr, 0
	.set _ZN7rocprim17ROCPRIM_400000_NS6detail17trampoline_kernelINS0_13kernel_configILj256ELj4ELj4294967295EEENS1_37radix_sort_block_sort_config_selectorIiiEEZNS1_21radix_sort_block_sortIS4_Lb0EN6thrust23THRUST_200600_302600_NS6detail15normal_iteratorINS9_10device_ptrIiEEEESE_SE_SE_NS0_19identity_decomposerEEE10hipError_tT1_T2_T3_T4_jRjT5_jjP12ihipStream_tbEUlT_E_NS1_11comp_targetILNS1_3genE0ELNS1_11target_archE4294967295ELNS1_3gpuE0ELNS1_3repE0EEENS1_44radix_sort_block_sort_config_static_selectorELNS0_4arch9wavefront6targetE0EEEvSH_.num_named_barrier, 0
	.set _ZN7rocprim17ROCPRIM_400000_NS6detail17trampoline_kernelINS0_13kernel_configILj256ELj4ELj4294967295EEENS1_37radix_sort_block_sort_config_selectorIiiEEZNS1_21radix_sort_block_sortIS4_Lb0EN6thrust23THRUST_200600_302600_NS6detail15normal_iteratorINS9_10device_ptrIiEEEESE_SE_SE_NS0_19identity_decomposerEEE10hipError_tT1_T2_T3_T4_jRjT5_jjP12ihipStream_tbEUlT_E_NS1_11comp_targetILNS1_3genE0ELNS1_11target_archE4294967295ELNS1_3gpuE0ELNS1_3repE0EEENS1_44radix_sort_block_sort_config_static_selectorELNS0_4arch9wavefront6targetE0EEEvSH_.private_seg_size, 0
	.set _ZN7rocprim17ROCPRIM_400000_NS6detail17trampoline_kernelINS0_13kernel_configILj256ELj4ELj4294967295EEENS1_37radix_sort_block_sort_config_selectorIiiEEZNS1_21radix_sort_block_sortIS4_Lb0EN6thrust23THRUST_200600_302600_NS6detail15normal_iteratorINS9_10device_ptrIiEEEESE_SE_SE_NS0_19identity_decomposerEEE10hipError_tT1_T2_T3_T4_jRjT5_jjP12ihipStream_tbEUlT_E_NS1_11comp_targetILNS1_3genE0ELNS1_11target_archE4294967295ELNS1_3gpuE0ELNS1_3repE0EEENS1_44radix_sort_block_sort_config_static_selectorELNS0_4arch9wavefront6targetE0EEEvSH_.uses_vcc, 0
	.set _ZN7rocprim17ROCPRIM_400000_NS6detail17trampoline_kernelINS0_13kernel_configILj256ELj4ELj4294967295EEENS1_37radix_sort_block_sort_config_selectorIiiEEZNS1_21radix_sort_block_sortIS4_Lb0EN6thrust23THRUST_200600_302600_NS6detail15normal_iteratorINS9_10device_ptrIiEEEESE_SE_SE_NS0_19identity_decomposerEEE10hipError_tT1_T2_T3_T4_jRjT5_jjP12ihipStream_tbEUlT_E_NS1_11comp_targetILNS1_3genE0ELNS1_11target_archE4294967295ELNS1_3gpuE0ELNS1_3repE0EEENS1_44radix_sort_block_sort_config_static_selectorELNS0_4arch9wavefront6targetE0EEEvSH_.uses_flat_scratch, 0
	.set _ZN7rocprim17ROCPRIM_400000_NS6detail17trampoline_kernelINS0_13kernel_configILj256ELj4ELj4294967295EEENS1_37radix_sort_block_sort_config_selectorIiiEEZNS1_21radix_sort_block_sortIS4_Lb0EN6thrust23THRUST_200600_302600_NS6detail15normal_iteratorINS9_10device_ptrIiEEEESE_SE_SE_NS0_19identity_decomposerEEE10hipError_tT1_T2_T3_T4_jRjT5_jjP12ihipStream_tbEUlT_E_NS1_11comp_targetILNS1_3genE0ELNS1_11target_archE4294967295ELNS1_3gpuE0ELNS1_3repE0EEENS1_44radix_sort_block_sort_config_static_selectorELNS0_4arch9wavefront6targetE0EEEvSH_.has_dyn_sized_stack, 0
	.set _ZN7rocprim17ROCPRIM_400000_NS6detail17trampoline_kernelINS0_13kernel_configILj256ELj4ELj4294967295EEENS1_37radix_sort_block_sort_config_selectorIiiEEZNS1_21radix_sort_block_sortIS4_Lb0EN6thrust23THRUST_200600_302600_NS6detail15normal_iteratorINS9_10device_ptrIiEEEESE_SE_SE_NS0_19identity_decomposerEEE10hipError_tT1_T2_T3_T4_jRjT5_jjP12ihipStream_tbEUlT_E_NS1_11comp_targetILNS1_3genE0ELNS1_11target_archE4294967295ELNS1_3gpuE0ELNS1_3repE0EEENS1_44radix_sort_block_sort_config_static_selectorELNS0_4arch9wavefront6targetE0EEEvSH_.has_recursion, 0
	.set _ZN7rocprim17ROCPRIM_400000_NS6detail17trampoline_kernelINS0_13kernel_configILj256ELj4ELj4294967295EEENS1_37radix_sort_block_sort_config_selectorIiiEEZNS1_21radix_sort_block_sortIS4_Lb0EN6thrust23THRUST_200600_302600_NS6detail15normal_iteratorINS9_10device_ptrIiEEEESE_SE_SE_NS0_19identity_decomposerEEE10hipError_tT1_T2_T3_T4_jRjT5_jjP12ihipStream_tbEUlT_E_NS1_11comp_targetILNS1_3genE0ELNS1_11target_archE4294967295ELNS1_3gpuE0ELNS1_3repE0EEENS1_44radix_sort_block_sort_config_static_selectorELNS0_4arch9wavefront6targetE0EEEvSH_.has_indirect_call, 0
	.section	.AMDGPU.csdata,"",@progbits
; Kernel info:
; codeLenInByte = 0
; TotalNumSgprs: 0
; NumVgprs: 0
; ScratchSize: 0
; MemoryBound: 0
; FloatMode: 240
; IeeeMode: 1
; LDSByteSize: 0 bytes/workgroup (compile time only)
; SGPRBlocks: 0
; VGPRBlocks: 0
; NumSGPRsForWavesPerEU: 1
; NumVGPRsForWavesPerEU: 1
; Occupancy: 16
; WaveLimiterHint : 0
; COMPUTE_PGM_RSRC2:SCRATCH_EN: 0
; COMPUTE_PGM_RSRC2:USER_SGPR: 6
; COMPUTE_PGM_RSRC2:TRAP_HANDLER: 0
; COMPUTE_PGM_RSRC2:TGID_X_EN: 1
; COMPUTE_PGM_RSRC2:TGID_Y_EN: 0
; COMPUTE_PGM_RSRC2:TGID_Z_EN: 0
; COMPUTE_PGM_RSRC2:TIDIG_COMP_CNT: 0
	.section	.text._ZN7rocprim17ROCPRIM_400000_NS6detail17trampoline_kernelINS0_13kernel_configILj256ELj4ELj4294967295EEENS1_37radix_sort_block_sort_config_selectorIiiEEZNS1_21radix_sort_block_sortIS4_Lb0EN6thrust23THRUST_200600_302600_NS6detail15normal_iteratorINS9_10device_ptrIiEEEESE_SE_SE_NS0_19identity_decomposerEEE10hipError_tT1_T2_T3_T4_jRjT5_jjP12ihipStream_tbEUlT_E_NS1_11comp_targetILNS1_3genE5ELNS1_11target_archE942ELNS1_3gpuE9ELNS1_3repE0EEENS1_44radix_sort_block_sort_config_static_selectorELNS0_4arch9wavefront6targetE0EEEvSH_,"axG",@progbits,_ZN7rocprim17ROCPRIM_400000_NS6detail17trampoline_kernelINS0_13kernel_configILj256ELj4ELj4294967295EEENS1_37radix_sort_block_sort_config_selectorIiiEEZNS1_21radix_sort_block_sortIS4_Lb0EN6thrust23THRUST_200600_302600_NS6detail15normal_iteratorINS9_10device_ptrIiEEEESE_SE_SE_NS0_19identity_decomposerEEE10hipError_tT1_T2_T3_T4_jRjT5_jjP12ihipStream_tbEUlT_E_NS1_11comp_targetILNS1_3genE5ELNS1_11target_archE942ELNS1_3gpuE9ELNS1_3repE0EEENS1_44radix_sort_block_sort_config_static_selectorELNS0_4arch9wavefront6targetE0EEEvSH_,comdat
	.protected	_ZN7rocprim17ROCPRIM_400000_NS6detail17trampoline_kernelINS0_13kernel_configILj256ELj4ELj4294967295EEENS1_37radix_sort_block_sort_config_selectorIiiEEZNS1_21radix_sort_block_sortIS4_Lb0EN6thrust23THRUST_200600_302600_NS6detail15normal_iteratorINS9_10device_ptrIiEEEESE_SE_SE_NS0_19identity_decomposerEEE10hipError_tT1_T2_T3_T4_jRjT5_jjP12ihipStream_tbEUlT_E_NS1_11comp_targetILNS1_3genE5ELNS1_11target_archE942ELNS1_3gpuE9ELNS1_3repE0EEENS1_44radix_sort_block_sort_config_static_selectorELNS0_4arch9wavefront6targetE0EEEvSH_ ; -- Begin function _ZN7rocprim17ROCPRIM_400000_NS6detail17trampoline_kernelINS0_13kernel_configILj256ELj4ELj4294967295EEENS1_37radix_sort_block_sort_config_selectorIiiEEZNS1_21radix_sort_block_sortIS4_Lb0EN6thrust23THRUST_200600_302600_NS6detail15normal_iteratorINS9_10device_ptrIiEEEESE_SE_SE_NS0_19identity_decomposerEEE10hipError_tT1_T2_T3_T4_jRjT5_jjP12ihipStream_tbEUlT_E_NS1_11comp_targetILNS1_3genE5ELNS1_11target_archE942ELNS1_3gpuE9ELNS1_3repE0EEENS1_44radix_sort_block_sort_config_static_selectorELNS0_4arch9wavefront6targetE0EEEvSH_
	.globl	_ZN7rocprim17ROCPRIM_400000_NS6detail17trampoline_kernelINS0_13kernel_configILj256ELj4ELj4294967295EEENS1_37radix_sort_block_sort_config_selectorIiiEEZNS1_21radix_sort_block_sortIS4_Lb0EN6thrust23THRUST_200600_302600_NS6detail15normal_iteratorINS9_10device_ptrIiEEEESE_SE_SE_NS0_19identity_decomposerEEE10hipError_tT1_T2_T3_T4_jRjT5_jjP12ihipStream_tbEUlT_E_NS1_11comp_targetILNS1_3genE5ELNS1_11target_archE942ELNS1_3gpuE9ELNS1_3repE0EEENS1_44radix_sort_block_sort_config_static_selectorELNS0_4arch9wavefront6targetE0EEEvSH_
	.p2align	8
	.type	_ZN7rocprim17ROCPRIM_400000_NS6detail17trampoline_kernelINS0_13kernel_configILj256ELj4ELj4294967295EEENS1_37radix_sort_block_sort_config_selectorIiiEEZNS1_21radix_sort_block_sortIS4_Lb0EN6thrust23THRUST_200600_302600_NS6detail15normal_iteratorINS9_10device_ptrIiEEEESE_SE_SE_NS0_19identity_decomposerEEE10hipError_tT1_T2_T3_T4_jRjT5_jjP12ihipStream_tbEUlT_E_NS1_11comp_targetILNS1_3genE5ELNS1_11target_archE942ELNS1_3gpuE9ELNS1_3repE0EEENS1_44radix_sort_block_sort_config_static_selectorELNS0_4arch9wavefront6targetE0EEEvSH_,@function
_ZN7rocprim17ROCPRIM_400000_NS6detail17trampoline_kernelINS0_13kernel_configILj256ELj4ELj4294967295EEENS1_37radix_sort_block_sort_config_selectorIiiEEZNS1_21radix_sort_block_sortIS4_Lb0EN6thrust23THRUST_200600_302600_NS6detail15normal_iteratorINS9_10device_ptrIiEEEESE_SE_SE_NS0_19identity_decomposerEEE10hipError_tT1_T2_T3_T4_jRjT5_jjP12ihipStream_tbEUlT_E_NS1_11comp_targetILNS1_3genE5ELNS1_11target_archE942ELNS1_3gpuE9ELNS1_3repE0EEENS1_44radix_sort_block_sort_config_static_selectorELNS0_4arch9wavefront6targetE0EEEvSH_: ; @_ZN7rocprim17ROCPRIM_400000_NS6detail17trampoline_kernelINS0_13kernel_configILj256ELj4ELj4294967295EEENS1_37radix_sort_block_sort_config_selectorIiiEEZNS1_21radix_sort_block_sortIS4_Lb0EN6thrust23THRUST_200600_302600_NS6detail15normal_iteratorINS9_10device_ptrIiEEEESE_SE_SE_NS0_19identity_decomposerEEE10hipError_tT1_T2_T3_T4_jRjT5_jjP12ihipStream_tbEUlT_E_NS1_11comp_targetILNS1_3genE5ELNS1_11target_archE942ELNS1_3gpuE9ELNS1_3repE0EEENS1_44radix_sort_block_sort_config_static_selectorELNS0_4arch9wavefront6targetE0EEEvSH_
; %bb.0:
	.section	.rodata,"a",@progbits
	.p2align	6, 0x0
	.amdhsa_kernel _ZN7rocprim17ROCPRIM_400000_NS6detail17trampoline_kernelINS0_13kernel_configILj256ELj4ELj4294967295EEENS1_37radix_sort_block_sort_config_selectorIiiEEZNS1_21radix_sort_block_sortIS4_Lb0EN6thrust23THRUST_200600_302600_NS6detail15normal_iteratorINS9_10device_ptrIiEEEESE_SE_SE_NS0_19identity_decomposerEEE10hipError_tT1_T2_T3_T4_jRjT5_jjP12ihipStream_tbEUlT_E_NS1_11comp_targetILNS1_3genE5ELNS1_11target_archE942ELNS1_3gpuE9ELNS1_3repE0EEENS1_44radix_sort_block_sort_config_static_selectorELNS0_4arch9wavefront6targetE0EEEvSH_
		.amdhsa_group_segment_fixed_size 0
		.amdhsa_private_segment_fixed_size 0
		.amdhsa_kernarg_size 48
		.amdhsa_user_sgpr_count 6
		.amdhsa_user_sgpr_private_segment_buffer 1
		.amdhsa_user_sgpr_dispatch_ptr 0
		.amdhsa_user_sgpr_queue_ptr 0
		.amdhsa_user_sgpr_kernarg_segment_ptr 1
		.amdhsa_user_sgpr_dispatch_id 0
		.amdhsa_user_sgpr_flat_scratch_init 0
		.amdhsa_user_sgpr_private_segment_size 0
		.amdhsa_wavefront_size32 1
		.amdhsa_uses_dynamic_stack 0
		.amdhsa_system_sgpr_private_segment_wavefront_offset 0
		.amdhsa_system_sgpr_workgroup_id_x 1
		.amdhsa_system_sgpr_workgroup_id_y 0
		.amdhsa_system_sgpr_workgroup_id_z 0
		.amdhsa_system_sgpr_workgroup_info 0
		.amdhsa_system_vgpr_workitem_id 0
		.amdhsa_next_free_vgpr 1
		.amdhsa_next_free_sgpr 1
		.amdhsa_reserve_vcc 0
		.amdhsa_reserve_flat_scratch 0
		.amdhsa_float_round_mode_32 0
		.amdhsa_float_round_mode_16_64 0
		.amdhsa_float_denorm_mode_32 3
		.amdhsa_float_denorm_mode_16_64 3
		.amdhsa_dx10_clamp 1
		.amdhsa_ieee_mode 1
		.amdhsa_fp16_overflow 0
		.amdhsa_workgroup_processor_mode 1
		.amdhsa_memory_ordered 1
		.amdhsa_forward_progress 1
		.amdhsa_shared_vgpr_count 0
		.amdhsa_exception_fp_ieee_invalid_op 0
		.amdhsa_exception_fp_denorm_src 0
		.amdhsa_exception_fp_ieee_div_zero 0
		.amdhsa_exception_fp_ieee_overflow 0
		.amdhsa_exception_fp_ieee_underflow 0
		.amdhsa_exception_fp_ieee_inexact 0
		.amdhsa_exception_int_div_zero 0
	.end_amdhsa_kernel
	.section	.text._ZN7rocprim17ROCPRIM_400000_NS6detail17trampoline_kernelINS0_13kernel_configILj256ELj4ELj4294967295EEENS1_37radix_sort_block_sort_config_selectorIiiEEZNS1_21radix_sort_block_sortIS4_Lb0EN6thrust23THRUST_200600_302600_NS6detail15normal_iteratorINS9_10device_ptrIiEEEESE_SE_SE_NS0_19identity_decomposerEEE10hipError_tT1_T2_T3_T4_jRjT5_jjP12ihipStream_tbEUlT_E_NS1_11comp_targetILNS1_3genE5ELNS1_11target_archE942ELNS1_3gpuE9ELNS1_3repE0EEENS1_44radix_sort_block_sort_config_static_selectorELNS0_4arch9wavefront6targetE0EEEvSH_,"axG",@progbits,_ZN7rocprim17ROCPRIM_400000_NS6detail17trampoline_kernelINS0_13kernel_configILj256ELj4ELj4294967295EEENS1_37radix_sort_block_sort_config_selectorIiiEEZNS1_21radix_sort_block_sortIS4_Lb0EN6thrust23THRUST_200600_302600_NS6detail15normal_iteratorINS9_10device_ptrIiEEEESE_SE_SE_NS0_19identity_decomposerEEE10hipError_tT1_T2_T3_T4_jRjT5_jjP12ihipStream_tbEUlT_E_NS1_11comp_targetILNS1_3genE5ELNS1_11target_archE942ELNS1_3gpuE9ELNS1_3repE0EEENS1_44radix_sort_block_sort_config_static_selectorELNS0_4arch9wavefront6targetE0EEEvSH_,comdat
.Lfunc_end691:
	.size	_ZN7rocprim17ROCPRIM_400000_NS6detail17trampoline_kernelINS0_13kernel_configILj256ELj4ELj4294967295EEENS1_37radix_sort_block_sort_config_selectorIiiEEZNS1_21radix_sort_block_sortIS4_Lb0EN6thrust23THRUST_200600_302600_NS6detail15normal_iteratorINS9_10device_ptrIiEEEESE_SE_SE_NS0_19identity_decomposerEEE10hipError_tT1_T2_T3_T4_jRjT5_jjP12ihipStream_tbEUlT_E_NS1_11comp_targetILNS1_3genE5ELNS1_11target_archE942ELNS1_3gpuE9ELNS1_3repE0EEENS1_44radix_sort_block_sort_config_static_selectorELNS0_4arch9wavefront6targetE0EEEvSH_, .Lfunc_end691-_ZN7rocprim17ROCPRIM_400000_NS6detail17trampoline_kernelINS0_13kernel_configILj256ELj4ELj4294967295EEENS1_37radix_sort_block_sort_config_selectorIiiEEZNS1_21radix_sort_block_sortIS4_Lb0EN6thrust23THRUST_200600_302600_NS6detail15normal_iteratorINS9_10device_ptrIiEEEESE_SE_SE_NS0_19identity_decomposerEEE10hipError_tT1_T2_T3_T4_jRjT5_jjP12ihipStream_tbEUlT_E_NS1_11comp_targetILNS1_3genE5ELNS1_11target_archE942ELNS1_3gpuE9ELNS1_3repE0EEENS1_44radix_sort_block_sort_config_static_selectorELNS0_4arch9wavefront6targetE0EEEvSH_
                                        ; -- End function
	.set _ZN7rocprim17ROCPRIM_400000_NS6detail17trampoline_kernelINS0_13kernel_configILj256ELj4ELj4294967295EEENS1_37radix_sort_block_sort_config_selectorIiiEEZNS1_21radix_sort_block_sortIS4_Lb0EN6thrust23THRUST_200600_302600_NS6detail15normal_iteratorINS9_10device_ptrIiEEEESE_SE_SE_NS0_19identity_decomposerEEE10hipError_tT1_T2_T3_T4_jRjT5_jjP12ihipStream_tbEUlT_E_NS1_11comp_targetILNS1_3genE5ELNS1_11target_archE942ELNS1_3gpuE9ELNS1_3repE0EEENS1_44radix_sort_block_sort_config_static_selectorELNS0_4arch9wavefront6targetE0EEEvSH_.num_vgpr, 0
	.set _ZN7rocprim17ROCPRIM_400000_NS6detail17trampoline_kernelINS0_13kernel_configILj256ELj4ELj4294967295EEENS1_37radix_sort_block_sort_config_selectorIiiEEZNS1_21radix_sort_block_sortIS4_Lb0EN6thrust23THRUST_200600_302600_NS6detail15normal_iteratorINS9_10device_ptrIiEEEESE_SE_SE_NS0_19identity_decomposerEEE10hipError_tT1_T2_T3_T4_jRjT5_jjP12ihipStream_tbEUlT_E_NS1_11comp_targetILNS1_3genE5ELNS1_11target_archE942ELNS1_3gpuE9ELNS1_3repE0EEENS1_44radix_sort_block_sort_config_static_selectorELNS0_4arch9wavefront6targetE0EEEvSH_.num_agpr, 0
	.set _ZN7rocprim17ROCPRIM_400000_NS6detail17trampoline_kernelINS0_13kernel_configILj256ELj4ELj4294967295EEENS1_37radix_sort_block_sort_config_selectorIiiEEZNS1_21radix_sort_block_sortIS4_Lb0EN6thrust23THRUST_200600_302600_NS6detail15normal_iteratorINS9_10device_ptrIiEEEESE_SE_SE_NS0_19identity_decomposerEEE10hipError_tT1_T2_T3_T4_jRjT5_jjP12ihipStream_tbEUlT_E_NS1_11comp_targetILNS1_3genE5ELNS1_11target_archE942ELNS1_3gpuE9ELNS1_3repE0EEENS1_44radix_sort_block_sort_config_static_selectorELNS0_4arch9wavefront6targetE0EEEvSH_.numbered_sgpr, 0
	.set _ZN7rocprim17ROCPRIM_400000_NS6detail17trampoline_kernelINS0_13kernel_configILj256ELj4ELj4294967295EEENS1_37radix_sort_block_sort_config_selectorIiiEEZNS1_21radix_sort_block_sortIS4_Lb0EN6thrust23THRUST_200600_302600_NS6detail15normal_iteratorINS9_10device_ptrIiEEEESE_SE_SE_NS0_19identity_decomposerEEE10hipError_tT1_T2_T3_T4_jRjT5_jjP12ihipStream_tbEUlT_E_NS1_11comp_targetILNS1_3genE5ELNS1_11target_archE942ELNS1_3gpuE9ELNS1_3repE0EEENS1_44radix_sort_block_sort_config_static_selectorELNS0_4arch9wavefront6targetE0EEEvSH_.num_named_barrier, 0
	.set _ZN7rocprim17ROCPRIM_400000_NS6detail17trampoline_kernelINS0_13kernel_configILj256ELj4ELj4294967295EEENS1_37radix_sort_block_sort_config_selectorIiiEEZNS1_21radix_sort_block_sortIS4_Lb0EN6thrust23THRUST_200600_302600_NS6detail15normal_iteratorINS9_10device_ptrIiEEEESE_SE_SE_NS0_19identity_decomposerEEE10hipError_tT1_T2_T3_T4_jRjT5_jjP12ihipStream_tbEUlT_E_NS1_11comp_targetILNS1_3genE5ELNS1_11target_archE942ELNS1_3gpuE9ELNS1_3repE0EEENS1_44radix_sort_block_sort_config_static_selectorELNS0_4arch9wavefront6targetE0EEEvSH_.private_seg_size, 0
	.set _ZN7rocprim17ROCPRIM_400000_NS6detail17trampoline_kernelINS0_13kernel_configILj256ELj4ELj4294967295EEENS1_37radix_sort_block_sort_config_selectorIiiEEZNS1_21radix_sort_block_sortIS4_Lb0EN6thrust23THRUST_200600_302600_NS6detail15normal_iteratorINS9_10device_ptrIiEEEESE_SE_SE_NS0_19identity_decomposerEEE10hipError_tT1_T2_T3_T4_jRjT5_jjP12ihipStream_tbEUlT_E_NS1_11comp_targetILNS1_3genE5ELNS1_11target_archE942ELNS1_3gpuE9ELNS1_3repE0EEENS1_44radix_sort_block_sort_config_static_selectorELNS0_4arch9wavefront6targetE0EEEvSH_.uses_vcc, 0
	.set _ZN7rocprim17ROCPRIM_400000_NS6detail17trampoline_kernelINS0_13kernel_configILj256ELj4ELj4294967295EEENS1_37radix_sort_block_sort_config_selectorIiiEEZNS1_21radix_sort_block_sortIS4_Lb0EN6thrust23THRUST_200600_302600_NS6detail15normal_iteratorINS9_10device_ptrIiEEEESE_SE_SE_NS0_19identity_decomposerEEE10hipError_tT1_T2_T3_T4_jRjT5_jjP12ihipStream_tbEUlT_E_NS1_11comp_targetILNS1_3genE5ELNS1_11target_archE942ELNS1_3gpuE9ELNS1_3repE0EEENS1_44radix_sort_block_sort_config_static_selectorELNS0_4arch9wavefront6targetE0EEEvSH_.uses_flat_scratch, 0
	.set _ZN7rocprim17ROCPRIM_400000_NS6detail17trampoline_kernelINS0_13kernel_configILj256ELj4ELj4294967295EEENS1_37radix_sort_block_sort_config_selectorIiiEEZNS1_21radix_sort_block_sortIS4_Lb0EN6thrust23THRUST_200600_302600_NS6detail15normal_iteratorINS9_10device_ptrIiEEEESE_SE_SE_NS0_19identity_decomposerEEE10hipError_tT1_T2_T3_T4_jRjT5_jjP12ihipStream_tbEUlT_E_NS1_11comp_targetILNS1_3genE5ELNS1_11target_archE942ELNS1_3gpuE9ELNS1_3repE0EEENS1_44radix_sort_block_sort_config_static_selectorELNS0_4arch9wavefront6targetE0EEEvSH_.has_dyn_sized_stack, 0
	.set _ZN7rocprim17ROCPRIM_400000_NS6detail17trampoline_kernelINS0_13kernel_configILj256ELj4ELj4294967295EEENS1_37radix_sort_block_sort_config_selectorIiiEEZNS1_21radix_sort_block_sortIS4_Lb0EN6thrust23THRUST_200600_302600_NS6detail15normal_iteratorINS9_10device_ptrIiEEEESE_SE_SE_NS0_19identity_decomposerEEE10hipError_tT1_T2_T3_T4_jRjT5_jjP12ihipStream_tbEUlT_E_NS1_11comp_targetILNS1_3genE5ELNS1_11target_archE942ELNS1_3gpuE9ELNS1_3repE0EEENS1_44radix_sort_block_sort_config_static_selectorELNS0_4arch9wavefront6targetE0EEEvSH_.has_recursion, 0
	.set _ZN7rocprim17ROCPRIM_400000_NS6detail17trampoline_kernelINS0_13kernel_configILj256ELj4ELj4294967295EEENS1_37radix_sort_block_sort_config_selectorIiiEEZNS1_21radix_sort_block_sortIS4_Lb0EN6thrust23THRUST_200600_302600_NS6detail15normal_iteratorINS9_10device_ptrIiEEEESE_SE_SE_NS0_19identity_decomposerEEE10hipError_tT1_T2_T3_T4_jRjT5_jjP12ihipStream_tbEUlT_E_NS1_11comp_targetILNS1_3genE5ELNS1_11target_archE942ELNS1_3gpuE9ELNS1_3repE0EEENS1_44radix_sort_block_sort_config_static_selectorELNS0_4arch9wavefront6targetE0EEEvSH_.has_indirect_call, 0
	.section	.AMDGPU.csdata,"",@progbits
; Kernel info:
; codeLenInByte = 0
; TotalNumSgprs: 0
; NumVgprs: 0
; ScratchSize: 0
; MemoryBound: 0
; FloatMode: 240
; IeeeMode: 1
; LDSByteSize: 0 bytes/workgroup (compile time only)
; SGPRBlocks: 0
; VGPRBlocks: 0
; NumSGPRsForWavesPerEU: 1
; NumVGPRsForWavesPerEU: 1
; Occupancy: 16
; WaveLimiterHint : 0
; COMPUTE_PGM_RSRC2:SCRATCH_EN: 0
; COMPUTE_PGM_RSRC2:USER_SGPR: 6
; COMPUTE_PGM_RSRC2:TRAP_HANDLER: 0
; COMPUTE_PGM_RSRC2:TGID_X_EN: 1
; COMPUTE_PGM_RSRC2:TGID_Y_EN: 0
; COMPUTE_PGM_RSRC2:TGID_Z_EN: 0
; COMPUTE_PGM_RSRC2:TIDIG_COMP_CNT: 0
	.section	.text._ZN7rocprim17ROCPRIM_400000_NS6detail17trampoline_kernelINS0_13kernel_configILj256ELj4ELj4294967295EEENS1_37radix_sort_block_sort_config_selectorIiiEEZNS1_21radix_sort_block_sortIS4_Lb0EN6thrust23THRUST_200600_302600_NS6detail15normal_iteratorINS9_10device_ptrIiEEEESE_SE_SE_NS0_19identity_decomposerEEE10hipError_tT1_T2_T3_T4_jRjT5_jjP12ihipStream_tbEUlT_E_NS1_11comp_targetILNS1_3genE4ELNS1_11target_archE910ELNS1_3gpuE8ELNS1_3repE0EEENS1_44radix_sort_block_sort_config_static_selectorELNS0_4arch9wavefront6targetE0EEEvSH_,"axG",@progbits,_ZN7rocprim17ROCPRIM_400000_NS6detail17trampoline_kernelINS0_13kernel_configILj256ELj4ELj4294967295EEENS1_37radix_sort_block_sort_config_selectorIiiEEZNS1_21radix_sort_block_sortIS4_Lb0EN6thrust23THRUST_200600_302600_NS6detail15normal_iteratorINS9_10device_ptrIiEEEESE_SE_SE_NS0_19identity_decomposerEEE10hipError_tT1_T2_T3_T4_jRjT5_jjP12ihipStream_tbEUlT_E_NS1_11comp_targetILNS1_3genE4ELNS1_11target_archE910ELNS1_3gpuE8ELNS1_3repE0EEENS1_44radix_sort_block_sort_config_static_selectorELNS0_4arch9wavefront6targetE0EEEvSH_,comdat
	.protected	_ZN7rocprim17ROCPRIM_400000_NS6detail17trampoline_kernelINS0_13kernel_configILj256ELj4ELj4294967295EEENS1_37radix_sort_block_sort_config_selectorIiiEEZNS1_21radix_sort_block_sortIS4_Lb0EN6thrust23THRUST_200600_302600_NS6detail15normal_iteratorINS9_10device_ptrIiEEEESE_SE_SE_NS0_19identity_decomposerEEE10hipError_tT1_T2_T3_T4_jRjT5_jjP12ihipStream_tbEUlT_E_NS1_11comp_targetILNS1_3genE4ELNS1_11target_archE910ELNS1_3gpuE8ELNS1_3repE0EEENS1_44radix_sort_block_sort_config_static_selectorELNS0_4arch9wavefront6targetE0EEEvSH_ ; -- Begin function _ZN7rocprim17ROCPRIM_400000_NS6detail17trampoline_kernelINS0_13kernel_configILj256ELj4ELj4294967295EEENS1_37radix_sort_block_sort_config_selectorIiiEEZNS1_21radix_sort_block_sortIS4_Lb0EN6thrust23THRUST_200600_302600_NS6detail15normal_iteratorINS9_10device_ptrIiEEEESE_SE_SE_NS0_19identity_decomposerEEE10hipError_tT1_T2_T3_T4_jRjT5_jjP12ihipStream_tbEUlT_E_NS1_11comp_targetILNS1_3genE4ELNS1_11target_archE910ELNS1_3gpuE8ELNS1_3repE0EEENS1_44radix_sort_block_sort_config_static_selectorELNS0_4arch9wavefront6targetE0EEEvSH_
	.globl	_ZN7rocprim17ROCPRIM_400000_NS6detail17trampoline_kernelINS0_13kernel_configILj256ELj4ELj4294967295EEENS1_37radix_sort_block_sort_config_selectorIiiEEZNS1_21radix_sort_block_sortIS4_Lb0EN6thrust23THRUST_200600_302600_NS6detail15normal_iteratorINS9_10device_ptrIiEEEESE_SE_SE_NS0_19identity_decomposerEEE10hipError_tT1_T2_T3_T4_jRjT5_jjP12ihipStream_tbEUlT_E_NS1_11comp_targetILNS1_3genE4ELNS1_11target_archE910ELNS1_3gpuE8ELNS1_3repE0EEENS1_44radix_sort_block_sort_config_static_selectorELNS0_4arch9wavefront6targetE0EEEvSH_
	.p2align	8
	.type	_ZN7rocprim17ROCPRIM_400000_NS6detail17trampoline_kernelINS0_13kernel_configILj256ELj4ELj4294967295EEENS1_37radix_sort_block_sort_config_selectorIiiEEZNS1_21radix_sort_block_sortIS4_Lb0EN6thrust23THRUST_200600_302600_NS6detail15normal_iteratorINS9_10device_ptrIiEEEESE_SE_SE_NS0_19identity_decomposerEEE10hipError_tT1_T2_T3_T4_jRjT5_jjP12ihipStream_tbEUlT_E_NS1_11comp_targetILNS1_3genE4ELNS1_11target_archE910ELNS1_3gpuE8ELNS1_3repE0EEENS1_44radix_sort_block_sort_config_static_selectorELNS0_4arch9wavefront6targetE0EEEvSH_,@function
_ZN7rocprim17ROCPRIM_400000_NS6detail17trampoline_kernelINS0_13kernel_configILj256ELj4ELj4294967295EEENS1_37radix_sort_block_sort_config_selectorIiiEEZNS1_21radix_sort_block_sortIS4_Lb0EN6thrust23THRUST_200600_302600_NS6detail15normal_iteratorINS9_10device_ptrIiEEEESE_SE_SE_NS0_19identity_decomposerEEE10hipError_tT1_T2_T3_T4_jRjT5_jjP12ihipStream_tbEUlT_E_NS1_11comp_targetILNS1_3genE4ELNS1_11target_archE910ELNS1_3gpuE8ELNS1_3repE0EEENS1_44radix_sort_block_sort_config_static_selectorELNS0_4arch9wavefront6targetE0EEEvSH_: ; @_ZN7rocprim17ROCPRIM_400000_NS6detail17trampoline_kernelINS0_13kernel_configILj256ELj4ELj4294967295EEENS1_37radix_sort_block_sort_config_selectorIiiEEZNS1_21radix_sort_block_sortIS4_Lb0EN6thrust23THRUST_200600_302600_NS6detail15normal_iteratorINS9_10device_ptrIiEEEESE_SE_SE_NS0_19identity_decomposerEEE10hipError_tT1_T2_T3_T4_jRjT5_jjP12ihipStream_tbEUlT_E_NS1_11comp_targetILNS1_3genE4ELNS1_11target_archE910ELNS1_3gpuE8ELNS1_3repE0EEENS1_44radix_sort_block_sort_config_static_selectorELNS0_4arch9wavefront6targetE0EEEvSH_
; %bb.0:
	.section	.rodata,"a",@progbits
	.p2align	6, 0x0
	.amdhsa_kernel _ZN7rocprim17ROCPRIM_400000_NS6detail17trampoline_kernelINS0_13kernel_configILj256ELj4ELj4294967295EEENS1_37radix_sort_block_sort_config_selectorIiiEEZNS1_21radix_sort_block_sortIS4_Lb0EN6thrust23THRUST_200600_302600_NS6detail15normal_iteratorINS9_10device_ptrIiEEEESE_SE_SE_NS0_19identity_decomposerEEE10hipError_tT1_T2_T3_T4_jRjT5_jjP12ihipStream_tbEUlT_E_NS1_11comp_targetILNS1_3genE4ELNS1_11target_archE910ELNS1_3gpuE8ELNS1_3repE0EEENS1_44radix_sort_block_sort_config_static_selectorELNS0_4arch9wavefront6targetE0EEEvSH_
		.amdhsa_group_segment_fixed_size 0
		.amdhsa_private_segment_fixed_size 0
		.amdhsa_kernarg_size 48
		.amdhsa_user_sgpr_count 6
		.amdhsa_user_sgpr_private_segment_buffer 1
		.amdhsa_user_sgpr_dispatch_ptr 0
		.amdhsa_user_sgpr_queue_ptr 0
		.amdhsa_user_sgpr_kernarg_segment_ptr 1
		.amdhsa_user_sgpr_dispatch_id 0
		.amdhsa_user_sgpr_flat_scratch_init 0
		.amdhsa_user_sgpr_private_segment_size 0
		.amdhsa_wavefront_size32 1
		.amdhsa_uses_dynamic_stack 0
		.amdhsa_system_sgpr_private_segment_wavefront_offset 0
		.amdhsa_system_sgpr_workgroup_id_x 1
		.amdhsa_system_sgpr_workgroup_id_y 0
		.amdhsa_system_sgpr_workgroup_id_z 0
		.amdhsa_system_sgpr_workgroup_info 0
		.amdhsa_system_vgpr_workitem_id 0
		.amdhsa_next_free_vgpr 1
		.amdhsa_next_free_sgpr 1
		.amdhsa_reserve_vcc 0
		.amdhsa_reserve_flat_scratch 0
		.amdhsa_float_round_mode_32 0
		.amdhsa_float_round_mode_16_64 0
		.amdhsa_float_denorm_mode_32 3
		.amdhsa_float_denorm_mode_16_64 3
		.amdhsa_dx10_clamp 1
		.amdhsa_ieee_mode 1
		.amdhsa_fp16_overflow 0
		.amdhsa_workgroup_processor_mode 1
		.amdhsa_memory_ordered 1
		.amdhsa_forward_progress 1
		.amdhsa_shared_vgpr_count 0
		.amdhsa_exception_fp_ieee_invalid_op 0
		.amdhsa_exception_fp_denorm_src 0
		.amdhsa_exception_fp_ieee_div_zero 0
		.amdhsa_exception_fp_ieee_overflow 0
		.amdhsa_exception_fp_ieee_underflow 0
		.amdhsa_exception_fp_ieee_inexact 0
		.amdhsa_exception_int_div_zero 0
	.end_amdhsa_kernel
	.section	.text._ZN7rocprim17ROCPRIM_400000_NS6detail17trampoline_kernelINS0_13kernel_configILj256ELj4ELj4294967295EEENS1_37radix_sort_block_sort_config_selectorIiiEEZNS1_21radix_sort_block_sortIS4_Lb0EN6thrust23THRUST_200600_302600_NS6detail15normal_iteratorINS9_10device_ptrIiEEEESE_SE_SE_NS0_19identity_decomposerEEE10hipError_tT1_T2_T3_T4_jRjT5_jjP12ihipStream_tbEUlT_E_NS1_11comp_targetILNS1_3genE4ELNS1_11target_archE910ELNS1_3gpuE8ELNS1_3repE0EEENS1_44radix_sort_block_sort_config_static_selectorELNS0_4arch9wavefront6targetE0EEEvSH_,"axG",@progbits,_ZN7rocprim17ROCPRIM_400000_NS6detail17trampoline_kernelINS0_13kernel_configILj256ELj4ELj4294967295EEENS1_37radix_sort_block_sort_config_selectorIiiEEZNS1_21radix_sort_block_sortIS4_Lb0EN6thrust23THRUST_200600_302600_NS6detail15normal_iteratorINS9_10device_ptrIiEEEESE_SE_SE_NS0_19identity_decomposerEEE10hipError_tT1_T2_T3_T4_jRjT5_jjP12ihipStream_tbEUlT_E_NS1_11comp_targetILNS1_3genE4ELNS1_11target_archE910ELNS1_3gpuE8ELNS1_3repE0EEENS1_44radix_sort_block_sort_config_static_selectorELNS0_4arch9wavefront6targetE0EEEvSH_,comdat
.Lfunc_end692:
	.size	_ZN7rocprim17ROCPRIM_400000_NS6detail17trampoline_kernelINS0_13kernel_configILj256ELj4ELj4294967295EEENS1_37radix_sort_block_sort_config_selectorIiiEEZNS1_21radix_sort_block_sortIS4_Lb0EN6thrust23THRUST_200600_302600_NS6detail15normal_iteratorINS9_10device_ptrIiEEEESE_SE_SE_NS0_19identity_decomposerEEE10hipError_tT1_T2_T3_T4_jRjT5_jjP12ihipStream_tbEUlT_E_NS1_11comp_targetILNS1_3genE4ELNS1_11target_archE910ELNS1_3gpuE8ELNS1_3repE0EEENS1_44radix_sort_block_sort_config_static_selectorELNS0_4arch9wavefront6targetE0EEEvSH_, .Lfunc_end692-_ZN7rocprim17ROCPRIM_400000_NS6detail17trampoline_kernelINS0_13kernel_configILj256ELj4ELj4294967295EEENS1_37radix_sort_block_sort_config_selectorIiiEEZNS1_21radix_sort_block_sortIS4_Lb0EN6thrust23THRUST_200600_302600_NS6detail15normal_iteratorINS9_10device_ptrIiEEEESE_SE_SE_NS0_19identity_decomposerEEE10hipError_tT1_T2_T3_T4_jRjT5_jjP12ihipStream_tbEUlT_E_NS1_11comp_targetILNS1_3genE4ELNS1_11target_archE910ELNS1_3gpuE8ELNS1_3repE0EEENS1_44radix_sort_block_sort_config_static_selectorELNS0_4arch9wavefront6targetE0EEEvSH_
                                        ; -- End function
	.set _ZN7rocprim17ROCPRIM_400000_NS6detail17trampoline_kernelINS0_13kernel_configILj256ELj4ELj4294967295EEENS1_37radix_sort_block_sort_config_selectorIiiEEZNS1_21radix_sort_block_sortIS4_Lb0EN6thrust23THRUST_200600_302600_NS6detail15normal_iteratorINS9_10device_ptrIiEEEESE_SE_SE_NS0_19identity_decomposerEEE10hipError_tT1_T2_T3_T4_jRjT5_jjP12ihipStream_tbEUlT_E_NS1_11comp_targetILNS1_3genE4ELNS1_11target_archE910ELNS1_3gpuE8ELNS1_3repE0EEENS1_44radix_sort_block_sort_config_static_selectorELNS0_4arch9wavefront6targetE0EEEvSH_.num_vgpr, 0
	.set _ZN7rocprim17ROCPRIM_400000_NS6detail17trampoline_kernelINS0_13kernel_configILj256ELj4ELj4294967295EEENS1_37radix_sort_block_sort_config_selectorIiiEEZNS1_21radix_sort_block_sortIS4_Lb0EN6thrust23THRUST_200600_302600_NS6detail15normal_iteratorINS9_10device_ptrIiEEEESE_SE_SE_NS0_19identity_decomposerEEE10hipError_tT1_T2_T3_T4_jRjT5_jjP12ihipStream_tbEUlT_E_NS1_11comp_targetILNS1_3genE4ELNS1_11target_archE910ELNS1_3gpuE8ELNS1_3repE0EEENS1_44radix_sort_block_sort_config_static_selectorELNS0_4arch9wavefront6targetE0EEEvSH_.num_agpr, 0
	.set _ZN7rocprim17ROCPRIM_400000_NS6detail17trampoline_kernelINS0_13kernel_configILj256ELj4ELj4294967295EEENS1_37radix_sort_block_sort_config_selectorIiiEEZNS1_21radix_sort_block_sortIS4_Lb0EN6thrust23THRUST_200600_302600_NS6detail15normal_iteratorINS9_10device_ptrIiEEEESE_SE_SE_NS0_19identity_decomposerEEE10hipError_tT1_T2_T3_T4_jRjT5_jjP12ihipStream_tbEUlT_E_NS1_11comp_targetILNS1_3genE4ELNS1_11target_archE910ELNS1_3gpuE8ELNS1_3repE0EEENS1_44radix_sort_block_sort_config_static_selectorELNS0_4arch9wavefront6targetE0EEEvSH_.numbered_sgpr, 0
	.set _ZN7rocprim17ROCPRIM_400000_NS6detail17trampoline_kernelINS0_13kernel_configILj256ELj4ELj4294967295EEENS1_37radix_sort_block_sort_config_selectorIiiEEZNS1_21radix_sort_block_sortIS4_Lb0EN6thrust23THRUST_200600_302600_NS6detail15normal_iteratorINS9_10device_ptrIiEEEESE_SE_SE_NS0_19identity_decomposerEEE10hipError_tT1_T2_T3_T4_jRjT5_jjP12ihipStream_tbEUlT_E_NS1_11comp_targetILNS1_3genE4ELNS1_11target_archE910ELNS1_3gpuE8ELNS1_3repE0EEENS1_44radix_sort_block_sort_config_static_selectorELNS0_4arch9wavefront6targetE0EEEvSH_.num_named_barrier, 0
	.set _ZN7rocprim17ROCPRIM_400000_NS6detail17trampoline_kernelINS0_13kernel_configILj256ELj4ELj4294967295EEENS1_37radix_sort_block_sort_config_selectorIiiEEZNS1_21radix_sort_block_sortIS4_Lb0EN6thrust23THRUST_200600_302600_NS6detail15normal_iteratorINS9_10device_ptrIiEEEESE_SE_SE_NS0_19identity_decomposerEEE10hipError_tT1_T2_T3_T4_jRjT5_jjP12ihipStream_tbEUlT_E_NS1_11comp_targetILNS1_3genE4ELNS1_11target_archE910ELNS1_3gpuE8ELNS1_3repE0EEENS1_44radix_sort_block_sort_config_static_selectorELNS0_4arch9wavefront6targetE0EEEvSH_.private_seg_size, 0
	.set _ZN7rocprim17ROCPRIM_400000_NS6detail17trampoline_kernelINS0_13kernel_configILj256ELj4ELj4294967295EEENS1_37radix_sort_block_sort_config_selectorIiiEEZNS1_21radix_sort_block_sortIS4_Lb0EN6thrust23THRUST_200600_302600_NS6detail15normal_iteratorINS9_10device_ptrIiEEEESE_SE_SE_NS0_19identity_decomposerEEE10hipError_tT1_T2_T3_T4_jRjT5_jjP12ihipStream_tbEUlT_E_NS1_11comp_targetILNS1_3genE4ELNS1_11target_archE910ELNS1_3gpuE8ELNS1_3repE0EEENS1_44radix_sort_block_sort_config_static_selectorELNS0_4arch9wavefront6targetE0EEEvSH_.uses_vcc, 0
	.set _ZN7rocprim17ROCPRIM_400000_NS6detail17trampoline_kernelINS0_13kernel_configILj256ELj4ELj4294967295EEENS1_37radix_sort_block_sort_config_selectorIiiEEZNS1_21radix_sort_block_sortIS4_Lb0EN6thrust23THRUST_200600_302600_NS6detail15normal_iteratorINS9_10device_ptrIiEEEESE_SE_SE_NS0_19identity_decomposerEEE10hipError_tT1_T2_T3_T4_jRjT5_jjP12ihipStream_tbEUlT_E_NS1_11comp_targetILNS1_3genE4ELNS1_11target_archE910ELNS1_3gpuE8ELNS1_3repE0EEENS1_44radix_sort_block_sort_config_static_selectorELNS0_4arch9wavefront6targetE0EEEvSH_.uses_flat_scratch, 0
	.set _ZN7rocprim17ROCPRIM_400000_NS6detail17trampoline_kernelINS0_13kernel_configILj256ELj4ELj4294967295EEENS1_37radix_sort_block_sort_config_selectorIiiEEZNS1_21radix_sort_block_sortIS4_Lb0EN6thrust23THRUST_200600_302600_NS6detail15normal_iteratorINS9_10device_ptrIiEEEESE_SE_SE_NS0_19identity_decomposerEEE10hipError_tT1_T2_T3_T4_jRjT5_jjP12ihipStream_tbEUlT_E_NS1_11comp_targetILNS1_3genE4ELNS1_11target_archE910ELNS1_3gpuE8ELNS1_3repE0EEENS1_44radix_sort_block_sort_config_static_selectorELNS0_4arch9wavefront6targetE0EEEvSH_.has_dyn_sized_stack, 0
	.set _ZN7rocprim17ROCPRIM_400000_NS6detail17trampoline_kernelINS0_13kernel_configILj256ELj4ELj4294967295EEENS1_37radix_sort_block_sort_config_selectorIiiEEZNS1_21radix_sort_block_sortIS4_Lb0EN6thrust23THRUST_200600_302600_NS6detail15normal_iteratorINS9_10device_ptrIiEEEESE_SE_SE_NS0_19identity_decomposerEEE10hipError_tT1_T2_T3_T4_jRjT5_jjP12ihipStream_tbEUlT_E_NS1_11comp_targetILNS1_3genE4ELNS1_11target_archE910ELNS1_3gpuE8ELNS1_3repE0EEENS1_44radix_sort_block_sort_config_static_selectorELNS0_4arch9wavefront6targetE0EEEvSH_.has_recursion, 0
	.set _ZN7rocprim17ROCPRIM_400000_NS6detail17trampoline_kernelINS0_13kernel_configILj256ELj4ELj4294967295EEENS1_37radix_sort_block_sort_config_selectorIiiEEZNS1_21radix_sort_block_sortIS4_Lb0EN6thrust23THRUST_200600_302600_NS6detail15normal_iteratorINS9_10device_ptrIiEEEESE_SE_SE_NS0_19identity_decomposerEEE10hipError_tT1_T2_T3_T4_jRjT5_jjP12ihipStream_tbEUlT_E_NS1_11comp_targetILNS1_3genE4ELNS1_11target_archE910ELNS1_3gpuE8ELNS1_3repE0EEENS1_44radix_sort_block_sort_config_static_selectorELNS0_4arch9wavefront6targetE0EEEvSH_.has_indirect_call, 0
	.section	.AMDGPU.csdata,"",@progbits
; Kernel info:
; codeLenInByte = 0
; TotalNumSgprs: 0
; NumVgprs: 0
; ScratchSize: 0
; MemoryBound: 0
; FloatMode: 240
; IeeeMode: 1
; LDSByteSize: 0 bytes/workgroup (compile time only)
; SGPRBlocks: 0
; VGPRBlocks: 0
; NumSGPRsForWavesPerEU: 1
; NumVGPRsForWavesPerEU: 1
; Occupancy: 16
; WaveLimiterHint : 0
; COMPUTE_PGM_RSRC2:SCRATCH_EN: 0
; COMPUTE_PGM_RSRC2:USER_SGPR: 6
; COMPUTE_PGM_RSRC2:TRAP_HANDLER: 0
; COMPUTE_PGM_RSRC2:TGID_X_EN: 1
; COMPUTE_PGM_RSRC2:TGID_Y_EN: 0
; COMPUTE_PGM_RSRC2:TGID_Z_EN: 0
; COMPUTE_PGM_RSRC2:TIDIG_COMP_CNT: 0
	.section	.text._ZN7rocprim17ROCPRIM_400000_NS6detail17trampoline_kernelINS0_13kernel_configILj256ELj4ELj4294967295EEENS1_37radix_sort_block_sort_config_selectorIiiEEZNS1_21radix_sort_block_sortIS4_Lb0EN6thrust23THRUST_200600_302600_NS6detail15normal_iteratorINS9_10device_ptrIiEEEESE_SE_SE_NS0_19identity_decomposerEEE10hipError_tT1_T2_T3_T4_jRjT5_jjP12ihipStream_tbEUlT_E_NS1_11comp_targetILNS1_3genE3ELNS1_11target_archE908ELNS1_3gpuE7ELNS1_3repE0EEENS1_44radix_sort_block_sort_config_static_selectorELNS0_4arch9wavefront6targetE0EEEvSH_,"axG",@progbits,_ZN7rocprim17ROCPRIM_400000_NS6detail17trampoline_kernelINS0_13kernel_configILj256ELj4ELj4294967295EEENS1_37radix_sort_block_sort_config_selectorIiiEEZNS1_21radix_sort_block_sortIS4_Lb0EN6thrust23THRUST_200600_302600_NS6detail15normal_iteratorINS9_10device_ptrIiEEEESE_SE_SE_NS0_19identity_decomposerEEE10hipError_tT1_T2_T3_T4_jRjT5_jjP12ihipStream_tbEUlT_E_NS1_11comp_targetILNS1_3genE3ELNS1_11target_archE908ELNS1_3gpuE7ELNS1_3repE0EEENS1_44radix_sort_block_sort_config_static_selectorELNS0_4arch9wavefront6targetE0EEEvSH_,comdat
	.protected	_ZN7rocprim17ROCPRIM_400000_NS6detail17trampoline_kernelINS0_13kernel_configILj256ELj4ELj4294967295EEENS1_37radix_sort_block_sort_config_selectorIiiEEZNS1_21radix_sort_block_sortIS4_Lb0EN6thrust23THRUST_200600_302600_NS6detail15normal_iteratorINS9_10device_ptrIiEEEESE_SE_SE_NS0_19identity_decomposerEEE10hipError_tT1_T2_T3_T4_jRjT5_jjP12ihipStream_tbEUlT_E_NS1_11comp_targetILNS1_3genE3ELNS1_11target_archE908ELNS1_3gpuE7ELNS1_3repE0EEENS1_44radix_sort_block_sort_config_static_selectorELNS0_4arch9wavefront6targetE0EEEvSH_ ; -- Begin function _ZN7rocprim17ROCPRIM_400000_NS6detail17trampoline_kernelINS0_13kernel_configILj256ELj4ELj4294967295EEENS1_37radix_sort_block_sort_config_selectorIiiEEZNS1_21radix_sort_block_sortIS4_Lb0EN6thrust23THRUST_200600_302600_NS6detail15normal_iteratorINS9_10device_ptrIiEEEESE_SE_SE_NS0_19identity_decomposerEEE10hipError_tT1_T2_T3_T4_jRjT5_jjP12ihipStream_tbEUlT_E_NS1_11comp_targetILNS1_3genE3ELNS1_11target_archE908ELNS1_3gpuE7ELNS1_3repE0EEENS1_44radix_sort_block_sort_config_static_selectorELNS0_4arch9wavefront6targetE0EEEvSH_
	.globl	_ZN7rocprim17ROCPRIM_400000_NS6detail17trampoline_kernelINS0_13kernel_configILj256ELj4ELj4294967295EEENS1_37radix_sort_block_sort_config_selectorIiiEEZNS1_21radix_sort_block_sortIS4_Lb0EN6thrust23THRUST_200600_302600_NS6detail15normal_iteratorINS9_10device_ptrIiEEEESE_SE_SE_NS0_19identity_decomposerEEE10hipError_tT1_T2_T3_T4_jRjT5_jjP12ihipStream_tbEUlT_E_NS1_11comp_targetILNS1_3genE3ELNS1_11target_archE908ELNS1_3gpuE7ELNS1_3repE0EEENS1_44radix_sort_block_sort_config_static_selectorELNS0_4arch9wavefront6targetE0EEEvSH_
	.p2align	8
	.type	_ZN7rocprim17ROCPRIM_400000_NS6detail17trampoline_kernelINS0_13kernel_configILj256ELj4ELj4294967295EEENS1_37radix_sort_block_sort_config_selectorIiiEEZNS1_21radix_sort_block_sortIS4_Lb0EN6thrust23THRUST_200600_302600_NS6detail15normal_iteratorINS9_10device_ptrIiEEEESE_SE_SE_NS0_19identity_decomposerEEE10hipError_tT1_T2_T3_T4_jRjT5_jjP12ihipStream_tbEUlT_E_NS1_11comp_targetILNS1_3genE3ELNS1_11target_archE908ELNS1_3gpuE7ELNS1_3repE0EEENS1_44radix_sort_block_sort_config_static_selectorELNS0_4arch9wavefront6targetE0EEEvSH_,@function
_ZN7rocprim17ROCPRIM_400000_NS6detail17trampoline_kernelINS0_13kernel_configILj256ELj4ELj4294967295EEENS1_37radix_sort_block_sort_config_selectorIiiEEZNS1_21radix_sort_block_sortIS4_Lb0EN6thrust23THRUST_200600_302600_NS6detail15normal_iteratorINS9_10device_ptrIiEEEESE_SE_SE_NS0_19identity_decomposerEEE10hipError_tT1_T2_T3_T4_jRjT5_jjP12ihipStream_tbEUlT_E_NS1_11comp_targetILNS1_3genE3ELNS1_11target_archE908ELNS1_3gpuE7ELNS1_3repE0EEENS1_44radix_sort_block_sort_config_static_selectorELNS0_4arch9wavefront6targetE0EEEvSH_: ; @_ZN7rocprim17ROCPRIM_400000_NS6detail17trampoline_kernelINS0_13kernel_configILj256ELj4ELj4294967295EEENS1_37radix_sort_block_sort_config_selectorIiiEEZNS1_21radix_sort_block_sortIS4_Lb0EN6thrust23THRUST_200600_302600_NS6detail15normal_iteratorINS9_10device_ptrIiEEEESE_SE_SE_NS0_19identity_decomposerEEE10hipError_tT1_T2_T3_T4_jRjT5_jjP12ihipStream_tbEUlT_E_NS1_11comp_targetILNS1_3genE3ELNS1_11target_archE908ELNS1_3gpuE7ELNS1_3repE0EEENS1_44radix_sort_block_sort_config_static_selectorELNS0_4arch9wavefront6targetE0EEEvSH_
; %bb.0:
	.section	.rodata,"a",@progbits
	.p2align	6, 0x0
	.amdhsa_kernel _ZN7rocprim17ROCPRIM_400000_NS6detail17trampoline_kernelINS0_13kernel_configILj256ELj4ELj4294967295EEENS1_37radix_sort_block_sort_config_selectorIiiEEZNS1_21radix_sort_block_sortIS4_Lb0EN6thrust23THRUST_200600_302600_NS6detail15normal_iteratorINS9_10device_ptrIiEEEESE_SE_SE_NS0_19identity_decomposerEEE10hipError_tT1_T2_T3_T4_jRjT5_jjP12ihipStream_tbEUlT_E_NS1_11comp_targetILNS1_3genE3ELNS1_11target_archE908ELNS1_3gpuE7ELNS1_3repE0EEENS1_44radix_sort_block_sort_config_static_selectorELNS0_4arch9wavefront6targetE0EEEvSH_
		.amdhsa_group_segment_fixed_size 0
		.amdhsa_private_segment_fixed_size 0
		.amdhsa_kernarg_size 48
		.amdhsa_user_sgpr_count 6
		.amdhsa_user_sgpr_private_segment_buffer 1
		.amdhsa_user_sgpr_dispatch_ptr 0
		.amdhsa_user_sgpr_queue_ptr 0
		.amdhsa_user_sgpr_kernarg_segment_ptr 1
		.amdhsa_user_sgpr_dispatch_id 0
		.amdhsa_user_sgpr_flat_scratch_init 0
		.amdhsa_user_sgpr_private_segment_size 0
		.amdhsa_wavefront_size32 1
		.amdhsa_uses_dynamic_stack 0
		.amdhsa_system_sgpr_private_segment_wavefront_offset 0
		.amdhsa_system_sgpr_workgroup_id_x 1
		.amdhsa_system_sgpr_workgroup_id_y 0
		.amdhsa_system_sgpr_workgroup_id_z 0
		.amdhsa_system_sgpr_workgroup_info 0
		.amdhsa_system_vgpr_workitem_id 0
		.amdhsa_next_free_vgpr 1
		.amdhsa_next_free_sgpr 1
		.amdhsa_reserve_vcc 0
		.amdhsa_reserve_flat_scratch 0
		.amdhsa_float_round_mode_32 0
		.amdhsa_float_round_mode_16_64 0
		.amdhsa_float_denorm_mode_32 3
		.amdhsa_float_denorm_mode_16_64 3
		.amdhsa_dx10_clamp 1
		.amdhsa_ieee_mode 1
		.amdhsa_fp16_overflow 0
		.amdhsa_workgroup_processor_mode 1
		.amdhsa_memory_ordered 1
		.amdhsa_forward_progress 1
		.amdhsa_shared_vgpr_count 0
		.amdhsa_exception_fp_ieee_invalid_op 0
		.amdhsa_exception_fp_denorm_src 0
		.amdhsa_exception_fp_ieee_div_zero 0
		.amdhsa_exception_fp_ieee_overflow 0
		.amdhsa_exception_fp_ieee_underflow 0
		.amdhsa_exception_fp_ieee_inexact 0
		.amdhsa_exception_int_div_zero 0
	.end_amdhsa_kernel
	.section	.text._ZN7rocprim17ROCPRIM_400000_NS6detail17trampoline_kernelINS0_13kernel_configILj256ELj4ELj4294967295EEENS1_37radix_sort_block_sort_config_selectorIiiEEZNS1_21radix_sort_block_sortIS4_Lb0EN6thrust23THRUST_200600_302600_NS6detail15normal_iteratorINS9_10device_ptrIiEEEESE_SE_SE_NS0_19identity_decomposerEEE10hipError_tT1_T2_T3_T4_jRjT5_jjP12ihipStream_tbEUlT_E_NS1_11comp_targetILNS1_3genE3ELNS1_11target_archE908ELNS1_3gpuE7ELNS1_3repE0EEENS1_44radix_sort_block_sort_config_static_selectorELNS0_4arch9wavefront6targetE0EEEvSH_,"axG",@progbits,_ZN7rocprim17ROCPRIM_400000_NS6detail17trampoline_kernelINS0_13kernel_configILj256ELj4ELj4294967295EEENS1_37radix_sort_block_sort_config_selectorIiiEEZNS1_21radix_sort_block_sortIS4_Lb0EN6thrust23THRUST_200600_302600_NS6detail15normal_iteratorINS9_10device_ptrIiEEEESE_SE_SE_NS0_19identity_decomposerEEE10hipError_tT1_T2_T3_T4_jRjT5_jjP12ihipStream_tbEUlT_E_NS1_11comp_targetILNS1_3genE3ELNS1_11target_archE908ELNS1_3gpuE7ELNS1_3repE0EEENS1_44radix_sort_block_sort_config_static_selectorELNS0_4arch9wavefront6targetE0EEEvSH_,comdat
.Lfunc_end693:
	.size	_ZN7rocprim17ROCPRIM_400000_NS6detail17trampoline_kernelINS0_13kernel_configILj256ELj4ELj4294967295EEENS1_37radix_sort_block_sort_config_selectorIiiEEZNS1_21radix_sort_block_sortIS4_Lb0EN6thrust23THRUST_200600_302600_NS6detail15normal_iteratorINS9_10device_ptrIiEEEESE_SE_SE_NS0_19identity_decomposerEEE10hipError_tT1_T2_T3_T4_jRjT5_jjP12ihipStream_tbEUlT_E_NS1_11comp_targetILNS1_3genE3ELNS1_11target_archE908ELNS1_3gpuE7ELNS1_3repE0EEENS1_44radix_sort_block_sort_config_static_selectorELNS0_4arch9wavefront6targetE0EEEvSH_, .Lfunc_end693-_ZN7rocprim17ROCPRIM_400000_NS6detail17trampoline_kernelINS0_13kernel_configILj256ELj4ELj4294967295EEENS1_37radix_sort_block_sort_config_selectorIiiEEZNS1_21radix_sort_block_sortIS4_Lb0EN6thrust23THRUST_200600_302600_NS6detail15normal_iteratorINS9_10device_ptrIiEEEESE_SE_SE_NS0_19identity_decomposerEEE10hipError_tT1_T2_T3_T4_jRjT5_jjP12ihipStream_tbEUlT_E_NS1_11comp_targetILNS1_3genE3ELNS1_11target_archE908ELNS1_3gpuE7ELNS1_3repE0EEENS1_44radix_sort_block_sort_config_static_selectorELNS0_4arch9wavefront6targetE0EEEvSH_
                                        ; -- End function
	.set _ZN7rocprim17ROCPRIM_400000_NS6detail17trampoline_kernelINS0_13kernel_configILj256ELj4ELj4294967295EEENS1_37radix_sort_block_sort_config_selectorIiiEEZNS1_21radix_sort_block_sortIS4_Lb0EN6thrust23THRUST_200600_302600_NS6detail15normal_iteratorINS9_10device_ptrIiEEEESE_SE_SE_NS0_19identity_decomposerEEE10hipError_tT1_T2_T3_T4_jRjT5_jjP12ihipStream_tbEUlT_E_NS1_11comp_targetILNS1_3genE3ELNS1_11target_archE908ELNS1_3gpuE7ELNS1_3repE0EEENS1_44radix_sort_block_sort_config_static_selectorELNS0_4arch9wavefront6targetE0EEEvSH_.num_vgpr, 0
	.set _ZN7rocprim17ROCPRIM_400000_NS6detail17trampoline_kernelINS0_13kernel_configILj256ELj4ELj4294967295EEENS1_37radix_sort_block_sort_config_selectorIiiEEZNS1_21radix_sort_block_sortIS4_Lb0EN6thrust23THRUST_200600_302600_NS6detail15normal_iteratorINS9_10device_ptrIiEEEESE_SE_SE_NS0_19identity_decomposerEEE10hipError_tT1_T2_T3_T4_jRjT5_jjP12ihipStream_tbEUlT_E_NS1_11comp_targetILNS1_3genE3ELNS1_11target_archE908ELNS1_3gpuE7ELNS1_3repE0EEENS1_44radix_sort_block_sort_config_static_selectorELNS0_4arch9wavefront6targetE0EEEvSH_.num_agpr, 0
	.set _ZN7rocprim17ROCPRIM_400000_NS6detail17trampoline_kernelINS0_13kernel_configILj256ELj4ELj4294967295EEENS1_37radix_sort_block_sort_config_selectorIiiEEZNS1_21radix_sort_block_sortIS4_Lb0EN6thrust23THRUST_200600_302600_NS6detail15normal_iteratorINS9_10device_ptrIiEEEESE_SE_SE_NS0_19identity_decomposerEEE10hipError_tT1_T2_T3_T4_jRjT5_jjP12ihipStream_tbEUlT_E_NS1_11comp_targetILNS1_3genE3ELNS1_11target_archE908ELNS1_3gpuE7ELNS1_3repE0EEENS1_44radix_sort_block_sort_config_static_selectorELNS0_4arch9wavefront6targetE0EEEvSH_.numbered_sgpr, 0
	.set _ZN7rocprim17ROCPRIM_400000_NS6detail17trampoline_kernelINS0_13kernel_configILj256ELj4ELj4294967295EEENS1_37radix_sort_block_sort_config_selectorIiiEEZNS1_21radix_sort_block_sortIS4_Lb0EN6thrust23THRUST_200600_302600_NS6detail15normal_iteratorINS9_10device_ptrIiEEEESE_SE_SE_NS0_19identity_decomposerEEE10hipError_tT1_T2_T3_T4_jRjT5_jjP12ihipStream_tbEUlT_E_NS1_11comp_targetILNS1_3genE3ELNS1_11target_archE908ELNS1_3gpuE7ELNS1_3repE0EEENS1_44radix_sort_block_sort_config_static_selectorELNS0_4arch9wavefront6targetE0EEEvSH_.num_named_barrier, 0
	.set _ZN7rocprim17ROCPRIM_400000_NS6detail17trampoline_kernelINS0_13kernel_configILj256ELj4ELj4294967295EEENS1_37radix_sort_block_sort_config_selectorIiiEEZNS1_21radix_sort_block_sortIS4_Lb0EN6thrust23THRUST_200600_302600_NS6detail15normal_iteratorINS9_10device_ptrIiEEEESE_SE_SE_NS0_19identity_decomposerEEE10hipError_tT1_T2_T3_T4_jRjT5_jjP12ihipStream_tbEUlT_E_NS1_11comp_targetILNS1_3genE3ELNS1_11target_archE908ELNS1_3gpuE7ELNS1_3repE0EEENS1_44radix_sort_block_sort_config_static_selectorELNS0_4arch9wavefront6targetE0EEEvSH_.private_seg_size, 0
	.set _ZN7rocprim17ROCPRIM_400000_NS6detail17trampoline_kernelINS0_13kernel_configILj256ELj4ELj4294967295EEENS1_37radix_sort_block_sort_config_selectorIiiEEZNS1_21radix_sort_block_sortIS4_Lb0EN6thrust23THRUST_200600_302600_NS6detail15normal_iteratorINS9_10device_ptrIiEEEESE_SE_SE_NS0_19identity_decomposerEEE10hipError_tT1_T2_T3_T4_jRjT5_jjP12ihipStream_tbEUlT_E_NS1_11comp_targetILNS1_3genE3ELNS1_11target_archE908ELNS1_3gpuE7ELNS1_3repE0EEENS1_44radix_sort_block_sort_config_static_selectorELNS0_4arch9wavefront6targetE0EEEvSH_.uses_vcc, 0
	.set _ZN7rocprim17ROCPRIM_400000_NS6detail17trampoline_kernelINS0_13kernel_configILj256ELj4ELj4294967295EEENS1_37radix_sort_block_sort_config_selectorIiiEEZNS1_21radix_sort_block_sortIS4_Lb0EN6thrust23THRUST_200600_302600_NS6detail15normal_iteratorINS9_10device_ptrIiEEEESE_SE_SE_NS0_19identity_decomposerEEE10hipError_tT1_T2_T3_T4_jRjT5_jjP12ihipStream_tbEUlT_E_NS1_11comp_targetILNS1_3genE3ELNS1_11target_archE908ELNS1_3gpuE7ELNS1_3repE0EEENS1_44radix_sort_block_sort_config_static_selectorELNS0_4arch9wavefront6targetE0EEEvSH_.uses_flat_scratch, 0
	.set _ZN7rocprim17ROCPRIM_400000_NS6detail17trampoline_kernelINS0_13kernel_configILj256ELj4ELj4294967295EEENS1_37radix_sort_block_sort_config_selectorIiiEEZNS1_21radix_sort_block_sortIS4_Lb0EN6thrust23THRUST_200600_302600_NS6detail15normal_iteratorINS9_10device_ptrIiEEEESE_SE_SE_NS0_19identity_decomposerEEE10hipError_tT1_T2_T3_T4_jRjT5_jjP12ihipStream_tbEUlT_E_NS1_11comp_targetILNS1_3genE3ELNS1_11target_archE908ELNS1_3gpuE7ELNS1_3repE0EEENS1_44radix_sort_block_sort_config_static_selectorELNS0_4arch9wavefront6targetE0EEEvSH_.has_dyn_sized_stack, 0
	.set _ZN7rocprim17ROCPRIM_400000_NS6detail17trampoline_kernelINS0_13kernel_configILj256ELj4ELj4294967295EEENS1_37radix_sort_block_sort_config_selectorIiiEEZNS1_21radix_sort_block_sortIS4_Lb0EN6thrust23THRUST_200600_302600_NS6detail15normal_iteratorINS9_10device_ptrIiEEEESE_SE_SE_NS0_19identity_decomposerEEE10hipError_tT1_T2_T3_T4_jRjT5_jjP12ihipStream_tbEUlT_E_NS1_11comp_targetILNS1_3genE3ELNS1_11target_archE908ELNS1_3gpuE7ELNS1_3repE0EEENS1_44radix_sort_block_sort_config_static_selectorELNS0_4arch9wavefront6targetE0EEEvSH_.has_recursion, 0
	.set _ZN7rocprim17ROCPRIM_400000_NS6detail17trampoline_kernelINS0_13kernel_configILj256ELj4ELj4294967295EEENS1_37radix_sort_block_sort_config_selectorIiiEEZNS1_21radix_sort_block_sortIS4_Lb0EN6thrust23THRUST_200600_302600_NS6detail15normal_iteratorINS9_10device_ptrIiEEEESE_SE_SE_NS0_19identity_decomposerEEE10hipError_tT1_T2_T3_T4_jRjT5_jjP12ihipStream_tbEUlT_E_NS1_11comp_targetILNS1_3genE3ELNS1_11target_archE908ELNS1_3gpuE7ELNS1_3repE0EEENS1_44radix_sort_block_sort_config_static_selectorELNS0_4arch9wavefront6targetE0EEEvSH_.has_indirect_call, 0
	.section	.AMDGPU.csdata,"",@progbits
; Kernel info:
; codeLenInByte = 0
; TotalNumSgprs: 0
; NumVgprs: 0
; ScratchSize: 0
; MemoryBound: 0
; FloatMode: 240
; IeeeMode: 1
; LDSByteSize: 0 bytes/workgroup (compile time only)
; SGPRBlocks: 0
; VGPRBlocks: 0
; NumSGPRsForWavesPerEU: 1
; NumVGPRsForWavesPerEU: 1
; Occupancy: 16
; WaveLimiterHint : 0
; COMPUTE_PGM_RSRC2:SCRATCH_EN: 0
; COMPUTE_PGM_RSRC2:USER_SGPR: 6
; COMPUTE_PGM_RSRC2:TRAP_HANDLER: 0
; COMPUTE_PGM_RSRC2:TGID_X_EN: 1
; COMPUTE_PGM_RSRC2:TGID_Y_EN: 0
; COMPUTE_PGM_RSRC2:TGID_Z_EN: 0
; COMPUTE_PGM_RSRC2:TIDIG_COMP_CNT: 0
	.section	.text._ZN7rocprim17ROCPRIM_400000_NS6detail17trampoline_kernelINS0_13kernel_configILj256ELj4ELj4294967295EEENS1_37radix_sort_block_sort_config_selectorIiiEEZNS1_21radix_sort_block_sortIS4_Lb0EN6thrust23THRUST_200600_302600_NS6detail15normal_iteratorINS9_10device_ptrIiEEEESE_SE_SE_NS0_19identity_decomposerEEE10hipError_tT1_T2_T3_T4_jRjT5_jjP12ihipStream_tbEUlT_E_NS1_11comp_targetILNS1_3genE2ELNS1_11target_archE906ELNS1_3gpuE6ELNS1_3repE0EEENS1_44radix_sort_block_sort_config_static_selectorELNS0_4arch9wavefront6targetE0EEEvSH_,"axG",@progbits,_ZN7rocprim17ROCPRIM_400000_NS6detail17trampoline_kernelINS0_13kernel_configILj256ELj4ELj4294967295EEENS1_37radix_sort_block_sort_config_selectorIiiEEZNS1_21radix_sort_block_sortIS4_Lb0EN6thrust23THRUST_200600_302600_NS6detail15normal_iteratorINS9_10device_ptrIiEEEESE_SE_SE_NS0_19identity_decomposerEEE10hipError_tT1_T2_T3_T4_jRjT5_jjP12ihipStream_tbEUlT_E_NS1_11comp_targetILNS1_3genE2ELNS1_11target_archE906ELNS1_3gpuE6ELNS1_3repE0EEENS1_44radix_sort_block_sort_config_static_selectorELNS0_4arch9wavefront6targetE0EEEvSH_,comdat
	.protected	_ZN7rocprim17ROCPRIM_400000_NS6detail17trampoline_kernelINS0_13kernel_configILj256ELj4ELj4294967295EEENS1_37radix_sort_block_sort_config_selectorIiiEEZNS1_21radix_sort_block_sortIS4_Lb0EN6thrust23THRUST_200600_302600_NS6detail15normal_iteratorINS9_10device_ptrIiEEEESE_SE_SE_NS0_19identity_decomposerEEE10hipError_tT1_T2_T3_T4_jRjT5_jjP12ihipStream_tbEUlT_E_NS1_11comp_targetILNS1_3genE2ELNS1_11target_archE906ELNS1_3gpuE6ELNS1_3repE0EEENS1_44radix_sort_block_sort_config_static_selectorELNS0_4arch9wavefront6targetE0EEEvSH_ ; -- Begin function _ZN7rocprim17ROCPRIM_400000_NS6detail17trampoline_kernelINS0_13kernel_configILj256ELj4ELj4294967295EEENS1_37radix_sort_block_sort_config_selectorIiiEEZNS1_21radix_sort_block_sortIS4_Lb0EN6thrust23THRUST_200600_302600_NS6detail15normal_iteratorINS9_10device_ptrIiEEEESE_SE_SE_NS0_19identity_decomposerEEE10hipError_tT1_T2_T3_T4_jRjT5_jjP12ihipStream_tbEUlT_E_NS1_11comp_targetILNS1_3genE2ELNS1_11target_archE906ELNS1_3gpuE6ELNS1_3repE0EEENS1_44radix_sort_block_sort_config_static_selectorELNS0_4arch9wavefront6targetE0EEEvSH_
	.globl	_ZN7rocprim17ROCPRIM_400000_NS6detail17trampoline_kernelINS0_13kernel_configILj256ELj4ELj4294967295EEENS1_37radix_sort_block_sort_config_selectorIiiEEZNS1_21radix_sort_block_sortIS4_Lb0EN6thrust23THRUST_200600_302600_NS6detail15normal_iteratorINS9_10device_ptrIiEEEESE_SE_SE_NS0_19identity_decomposerEEE10hipError_tT1_T2_T3_T4_jRjT5_jjP12ihipStream_tbEUlT_E_NS1_11comp_targetILNS1_3genE2ELNS1_11target_archE906ELNS1_3gpuE6ELNS1_3repE0EEENS1_44radix_sort_block_sort_config_static_selectorELNS0_4arch9wavefront6targetE0EEEvSH_
	.p2align	8
	.type	_ZN7rocprim17ROCPRIM_400000_NS6detail17trampoline_kernelINS0_13kernel_configILj256ELj4ELj4294967295EEENS1_37radix_sort_block_sort_config_selectorIiiEEZNS1_21radix_sort_block_sortIS4_Lb0EN6thrust23THRUST_200600_302600_NS6detail15normal_iteratorINS9_10device_ptrIiEEEESE_SE_SE_NS0_19identity_decomposerEEE10hipError_tT1_T2_T3_T4_jRjT5_jjP12ihipStream_tbEUlT_E_NS1_11comp_targetILNS1_3genE2ELNS1_11target_archE906ELNS1_3gpuE6ELNS1_3repE0EEENS1_44radix_sort_block_sort_config_static_selectorELNS0_4arch9wavefront6targetE0EEEvSH_,@function
_ZN7rocprim17ROCPRIM_400000_NS6detail17trampoline_kernelINS0_13kernel_configILj256ELj4ELj4294967295EEENS1_37radix_sort_block_sort_config_selectorIiiEEZNS1_21radix_sort_block_sortIS4_Lb0EN6thrust23THRUST_200600_302600_NS6detail15normal_iteratorINS9_10device_ptrIiEEEESE_SE_SE_NS0_19identity_decomposerEEE10hipError_tT1_T2_T3_T4_jRjT5_jjP12ihipStream_tbEUlT_E_NS1_11comp_targetILNS1_3genE2ELNS1_11target_archE906ELNS1_3gpuE6ELNS1_3repE0EEENS1_44radix_sort_block_sort_config_static_selectorELNS0_4arch9wavefront6targetE0EEEvSH_: ; @_ZN7rocprim17ROCPRIM_400000_NS6detail17trampoline_kernelINS0_13kernel_configILj256ELj4ELj4294967295EEENS1_37radix_sort_block_sort_config_selectorIiiEEZNS1_21radix_sort_block_sortIS4_Lb0EN6thrust23THRUST_200600_302600_NS6detail15normal_iteratorINS9_10device_ptrIiEEEESE_SE_SE_NS0_19identity_decomposerEEE10hipError_tT1_T2_T3_T4_jRjT5_jjP12ihipStream_tbEUlT_E_NS1_11comp_targetILNS1_3genE2ELNS1_11target_archE906ELNS1_3gpuE6ELNS1_3repE0EEENS1_44radix_sort_block_sort_config_static_selectorELNS0_4arch9wavefront6targetE0EEEvSH_
; %bb.0:
	.section	.rodata,"a",@progbits
	.p2align	6, 0x0
	.amdhsa_kernel _ZN7rocprim17ROCPRIM_400000_NS6detail17trampoline_kernelINS0_13kernel_configILj256ELj4ELj4294967295EEENS1_37radix_sort_block_sort_config_selectorIiiEEZNS1_21radix_sort_block_sortIS4_Lb0EN6thrust23THRUST_200600_302600_NS6detail15normal_iteratorINS9_10device_ptrIiEEEESE_SE_SE_NS0_19identity_decomposerEEE10hipError_tT1_T2_T3_T4_jRjT5_jjP12ihipStream_tbEUlT_E_NS1_11comp_targetILNS1_3genE2ELNS1_11target_archE906ELNS1_3gpuE6ELNS1_3repE0EEENS1_44radix_sort_block_sort_config_static_selectorELNS0_4arch9wavefront6targetE0EEEvSH_
		.amdhsa_group_segment_fixed_size 0
		.amdhsa_private_segment_fixed_size 0
		.amdhsa_kernarg_size 48
		.amdhsa_user_sgpr_count 6
		.amdhsa_user_sgpr_private_segment_buffer 1
		.amdhsa_user_sgpr_dispatch_ptr 0
		.amdhsa_user_sgpr_queue_ptr 0
		.amdhsa_user_sgpr_kernarg_segment_ptr 1
		.amdhsa_user_sgpr_dispatch_id 0
		.amdhsa_user_sgpr_flat_scratch_init 0
		.amdhsa_user_sgpr_private_segment_size 0
		.amdhsa_wavefront_size32 1
		.amdhsa_uses_dynamic_stack 0
		.amdhsa_system_sgpr_private_segment_wavefront_offset 0
		.amdhsa_system_sgpr_workgroup_id_x 1
		.amdhsa_system_sgpr_workgroup_id_y 0
		.amdhsa_system_sgpr_workgroup_id_z 0
		.amdhsa_system_sgpr_workgroup_info 0
		.amdhsa_system_vgpr_workitem_id 0
		.amdhsa_next_free_vgpr 1
		.amdhsa_next_free_sgpr 1
		.amdhsa_reserve_vcc 0
		.amdhsa_reserve_flat_scratch 0
		.amdhsa_float_round_mode_32 0
		.amdhsa_float_round_mode_16_64 0
		.amdhsa_float_denorm_mode_32 3
		.amdhsa_float_denorm_mode_16_64 3
		.amdhsa_dx10_clamp 1
		.amdhsa_ieee_mode 1
		.amdhsa_fp16_overflow 0
		.amdhsa_workgroup_processor_mode 1
		.amdhsa_memory_ordered 1
		.amdhsa_forward_progress 1
		.amdhsa_shared_vgpr_count 0
		.amdhsa_exception_fp_ieee_invalid_op 0
		.amdhsa_exception_fp_denorm_src 0
		.amdhsa_exception_fp_ieee_div_zero 0
		.amdhsa_exception_fp_ieee_overflow 0
		.amdhsa_exception_fp_ieee_underflow 0
		.amdhsa_exception_fp_ieee_inexact 0
		.amdhsa_exception_int_div_zero 0
	.end_amdhsa_kernel
	.section	.text._ZN7rocprim17ROCPRIM_400000_NS6detail17trampoline_kernelINS0_13kernel_configILj256ELj4ELj4294967295EEENS1_37radix_sort_block_sort_config_selectorIiiEEZNS1_21radix_sort_block_sortIS4_Lb0EN6thrust23THRUST_200600_302600_NS6detail15normal_iteratorINS9_10device_ptrIiEEEESE_SE_SE_NS0_19identity_decomposerEEE10hipError_tT1_T2_T3_T4_jRjT5_jjP12ihipStream_tbEUlT_E_NS1_11comp_targetILNS1_3genE2ELNS1_11target_archE906ELNS1_3gpuE6ELNS1_3repE0EEENS1_44radix_sort_block_sort_config_static_selectorELNS0_4arch9wavefront6targetE0EEEvSH_,"axG",@progbits,_ZN7rocprim17ROCPRIM_400000_NS6detail17trampoline_kernelINS0_13kernel_configILj256ELj4ELj4294967295EEENS1_37radix_sort_block_sort_config_selectorIiiEEZNS1_21radix_sort_block_sortIS4_Lb0EN6thrust23THRUST_200600_302600_NS6detail15normal_iteratorINS9_10device_ptrIiEEEESE_SE_SE_NS0_19identity_decomposerEEE10hipError_tT1_T2_T3_T4_jRjT5_jjP12ihipStream_tbEUlT_E_NS1_11comp_targetILNS1_3genE2ELNS1_11target_archE906ELNS1_3gpuE6ELNS1_3repE0EEENS1_44radix_sort_block_sort_config_static_selectorELNS0_4arch9wavefront6targetE0EEEvSH_,comdat
.Lfunc_end694:
	.size	_ZN7rocprim17ROCPRIM_400000_NS6detail17trampoline_kernelINS0_13kernel_configILj256ELj4ELj4294967295EEENS1_37radix_sort_block_sort_config_selectorIiiEEZNS1_21radix_sort_block_sortIS4_Lb0EN6thrust23THRUST_200600_302600_NS6detail15normal_iteratorINS9_10device_ptrIiEEEESE_SE_SE_NS0_19identity_decomposerEEE10hipError_tT1_T2_T3_T4_jRjT5_jjP12ihipStream_tbEUlT_E_NS1_11comp_targetILNS1_3genE2ELNS1_11target_archE906ELNS1_3gpuE6ELNS1_3repE0EEENS1_44radix_sort_block_sort_config_static_selectorELNS0_4arch9wavefront6targetE0EEEvSH_, .Lfunc_end694-_ZN7rocprim17ROCPRIM_400000_NS6detail17trampoline_kernelINS0_13kernel_configILj256ELj4ELj4294967295EEENS1_37radix_sort_block_sort_config_selectorIiiEEZNS1_21radix_sort_block_sortIS4_Lb0EN6thrust23THRUST_200600_302600_NS6detail15normal_iteratorINS9_10device_ptrIiEEEESE_SE_SE_NS0_19identity_decomposerEEE10hipError_tT1_T2_T3_T4_jRjT5_jjP12ihipStream_tbEUlT_E_NS1_11comp_targetILNS1_3genE2ELNS1_11target_archE906ELNS1_3gpuE6ELNS1_3repE0EEENS1_44radix_sort_block_sort_config_static_selectorELNS0_4arch9wavefront6targetE0EEEvSH_
                                        ; -- End function
	.set _ZN7rocprim17ROCPRIM_400000_NS6detail17trampoline_kernelINS0_13kernel_configILj256ELj4ELj4294967295EEENS1_37radix_sort_block_sort_config_selectorIiiEEZNS1_21radix_sort_block_sortIS4_Lb0EN6thrust23THRUST_200600_302600_NS6detail15normal_iteratorINS9_10device_ptrIiEEEESE_SE_SE_NS0_19identity_decomposerEEE10hipError_tT1_T2_T3_T4_jRjT5_jjP12ihipStream_tbEUlT_E_NS1_11comp_targetILNS1_3genE2ELNS1_11target_archE906ELNS1_3gpuE6ELNS1_3repE0EEENS1_44radix_sort_block_sort_config_static_selectorELNS0_4arch9wavefront6targetE0EEEvSH_.num_vgpr, 0
	.set _ZN7rocprim17ROCPRIM_400000_NS6detail17trampoline_kernelINS0_13kernel_configILj256ELj4ELj4294967295EEENS1_37radix_sort_block_sort_config_selectorIiiEEZNS1_21radix_sort_block_sortIS4_Lb0EN6thrust23THRUST_200600_302600_NS6detail15normal_iteratorINS9_10device_ptrIiEEEESE_SE_SE_NS0_19identity_decomposerEEE10hipError_tT1_T2_T3_T4_jRjT5_jjP12ihipStream_tbEUlT_E_NS1_11comp_targetILNS1_3genE2ELNS1_11target_archE906ELNS1_3gpuE6ELNS1_3repE0EEENS1_44radix_sort_block_sort_config_static_selectorELNS0_4arch9wavefront6targetE0EEEvSH_.num_agpr, 0
	.set _ZN7rocprim17ROCPRIM_400000_NS6detail17trampoline_kernelINS0_13kernel_configILj256ELj4ELj4294967295EEENS1_37radix_sort_block_sort_config_selectorIiiEEZNS1_21radix_sort_block_sortIS4_Lb0EN6thrust23THRUST_200600_302600_NS6detail15normal_iteratorINS9_10device_ptrIiEEEESE_SE_SE_NS0_19identity_decomposerEEE10hipError_tT1_T2_T3_T4_jRjT5_jjP12ihipStream_tbEUlT_E_NS1_11comp_targetILNS1_3genE2ELNS1_11target_archE906ELNS1_3gpuE6ELNS1_3repE0EEENS1_44radix_sort_block_sort_config_static_selectorELNS0_4arch9wavefront6targetE0EEEvSH_.numbered_sgpr, 0
	.set _ZN7rocprim17ROCPRIM_400000_NS6detail17trampoline_kernelINS0_13kernel_configILj256ELj4ELj4294967295EEENS1_37radix_sort_block_sort_config_selectorIiiEEZNS1_21radix_sort_block_sortIS4_Lb0EN6thrust23THRUST_200600_302600_NS6detail15normal_iteratorINS9_10device_ptrIiEEEESE_SE_SE_NS0_19identity_decomposerEEE10hipError_tT1_T2_T3_T4_jRjT5_jjP12ihipStream_tbEUlT_E_NS1_11comp_targetILNS1_3genE2ELNS1_11target_archE906ELNS1_3gpuE6ELNS1_3repE0EEENS1_44radix_sort_block_sort_config_static_selectorELNS0_4arch9wavefront6targetE0EEEvSH_.num_named_barrier, 0
	.set _ZN7rocprim17ROCPRIM_400000_NS6detail17trampoline_kernelINS0_13kernel_configILj256ELj4ELj4294967295EEENS1_37radix_sort_block_sort_config_selectorIiiEEZNS1_21radix_sort_block_sortIS4_Lb0EN6thrust23THRUST_200600_302600_NS6detail15normal_iteratorINS9_10device_ptrIiEEEESE_SE_SE_NS0_19identity_decomposerEEE10hipError_tT1_T2_T3_T4_jRjT5_jjP12ihipStream_tbEUlT_E_NS1_11comp_targetILNS1_3genE2ELNS1_11target_archE906ELNS1_3gpuE6ELNS1_3repE0EEENS1_44radix_sort_block_sort_config_static_selectorELNS0_4arch9wavefront6targetE0EEEvSH_.private_seg_size, 0
	.set _ZN7rocprim17ROCPRIM_400000_NS6detail17trampoline_kernelINS0_13kernel_configILj256ELj4ELj4294967295EEENS1_37radix_sort_block_sort_config_selectorIiiEEZNS1_21radix_sort_block_sortIS4_Lb0EN6thrust23THRUST_200600_302600_NS6detail15normal_iteratorINS9_10device_ptrIiEEEESE_SE_SE_NS0_19identity_decomposerEEE10hipError_tT1_T2_T3_T4_jRjT5_jjP12ihipStream_tbEUlT_E_NS1_11comp_targetILNS1_3genE2ELNS1_11target_archE906ELNS1_3gpuE6ELNS1_3repE0EEENS1_44radix_sort_block_sort_config_static_selectorELNS0_4arch9wavefront6targetE0EEEvSH_.uses_vcc, 0
	.set _ZN7rocprim17ROCPRIM_400000_NS6detail17trampoline_kernelINS0_13kernel_configILj256ELj4ELj4294967295EEENS1_37radix_sort_block_sort_config_selectorIiiEEZNS1_21radix_sort_block_sortIS4_Lb0EN6thrust23THRUST_200600_302600_NS6detail15normal_iteratorINS9_10device_ptrIiEEEESE_SE_SE_NS0_19identity_decomposerEEE10hipError_tT1_T2_T3_T4_jRjT5_jjP12ihipStream_tbEUlT_E_NS1_11comp_targetILNS1_3genE2ELNS1_11target_archE906ELNS1_3gpuE6ELNS1_3repE0EEENS1_44radix_sort_block_sort_config_static_selectorELNS0_4arch9wavefront6targetE0EEEvSH_.uses_flat_scratch, 0
	.set _ZN7rocprim17ROCPRIM_400000_NS6detail17trampoline_kernelINS0_13kernel_configILj256ELj4ELj4294967295EEENS1_37radix_sort_block_sort_config_selectorIiiEEZNS1_21radix_sort_block_sortIS4_Lb0EN6thrust23THRUST_200600_302600_NS6detail15normal_iteratorINS9_10device_ptrIiEEEESE_SE_SE_NS0_19identity_decomposerEEE10hipError_tT1_T2_T3_T4_jRjT5_jjP12ihipStream_tbEUlT_E_NS1_11comp_targetILNS1_3genE2ELNS1_11target_archE906ELNS1_3gpuE6ELNS1_3repE0EEENS1_44radix_sort_block_sort_config_static_selectorELNS0_4arch9wavefront6targetE0EEEvSH_.has_dyn_sized_stack, 0
	.set _ZN7rocprim17ROCPRIM_400000_NS6detail17trampoline_kernelINS0_13kernel_configILj256ELj4ELj4294967295EEENS1_37radix_sort_block_sort_config_selectorIiiEEZNS1_21radix_sort_block_sortIS4_Lb0EN6thrust23THRUST_200600_302600_NS6detail15normal_iteratorINS9_10device_ptrIiEEEESE_SE_SE_NS0_19identity_decomposerEEE10hipError_tT1_T2_T3_T4_jRjT5_jjP12ihipStream_tbEUlT_E_NS1_11comp_targetILNS1_3genE2ELNS1_11target_archE906ELNS1_3gpuE6ELNS1_3repE0EEENS1_44radix_sort_block_sort_config_static_selectorELNS0_4arch9wavefront6targetE0EEEvSH_.has_recursion, 0
	.set _ZN7rocprim17ROCPRIM_400000_NS6detail17trampoline_kernelINS0_13kernel_configILj256ELj4ELj4294967295EEENS1_37radix_sort_block_sort_config_selectorIiiEEZNS1_21radix_sort_block_sortIS4_Lb0EN6thrust23THRUST_200600_302600_NS6detail15normal_iteratorINS9_10device_ptrIiEEEESE_SE_SE_NS0_19identity_decomposerEEE10hipError_tT1_T2_T3_T4_jRjT5_jjP12ihipStream_tbEUlT_E_NS1_11comp_targetILNS1_3genE2ELNS1_11target_archE906ELNS1_3gpuE6ELNS1_3repE0EEENS1_44radix_sort_block_sort_config_static_selectorELNS0_4arch9wavefront6targetE0EEEvSH_.has_indirect_call, 0
	.section	.AMDGPU.csdata,"",@progbits
; Kernel info:
; codeLenInByte = 0
; TotalNumSgprs: 0
; NumVgprs: 0
; ScratchSize: 0
; MemoryBound: 0
; FloatMode: 240
; IeeeMode: 1
; LDSByteSize: 0 bytes/workgroup (compile time only)
; SGPRBlocks: 0
; VGPRBlocks: 0
; NumSGPRsForWavesPerEU: 1
; NumVGPRsForWavesPerEU: 1
; Occupancy: 16
; WaveLimiterHint : 0
; COMPUTE_PGM_RSRC2:SCRATCH_EN: 0
; COMPUTE_PGM_RSRC2:USER_SGPR: 6
; COMPUTE_PGM_RSRC2:TRAP_HANDLER: 0
; COMPUTE_PGM_RSRC2:TGID_X_EN: 1
; COMPUTE_PGM_RSRC2:TGID_Y_EN: 0
; COMPUTE_PGM_RSRC2:TGID_Z_EN: 0
; COMPUTE_PGM_RSRC2:TIDIG_COMP_CNT: 0
	.section	.text._ZN7rocprim17ROCPRIM_400000_NS6detail17trampoline_kernelINS0_13kernel_configILj256ELj4ELj4294967295EEENS1_37radix_sort_block_sort_config_selectorIiiEEZNS1_21radix_sort_block_sortIS4_Lb0EN6thrust23THRUST_200600_302600_NS6detail15normal_iteratorINS9_10device_ptrIiEEEESE_SE_SE_NS0_19identity_decomposerEEE10hipError_tT1_T2_T3_T4_jRjT5_jjP12ihipStream_tbEUlT_E_NS1_11comp_targetILNS1_3genE10ELNS1_11target_archE1201ELNS1_3gpuE5ELNS1_3repE0EEENS1_44radix_sort_block_sort_config_static_selectorELNS0_4arch9wavefront6targetE0EEEvSH_,"axG",@progbits,_ZN7rocprim17ROCPRIM_400000_NS6detail17trampoline_kernelINS0_13kernel_configILj256ELj4ELj4294967295EEENS1_37radix_sort_block_sort_config_selectorIiiEEZNS1_21radix_sort_block_sortIS4_Lb0EN6thrust23THRUST_200600_302600_NS6detail15normal_iteratorINS9_10device_ptrIiEEEESE_SE_SE_NS0_19identity_decomposerEEE10hipError_tT1_T2_T3_T4_jRjT5_jjP12ihipStream_tbEUlT_E_NS1_11comp_targetILNS1_3genE10ELNS1_11target_archE1201ELNS1_3gpuE5ELNS1_3repE0EEENS1_44radix_sort_block_sort_config_static_selectorELNS0_4arch9wavefront6targetE0EEEvSH_,comdat
	.protected	_ZN7rocprim17ROCPRIM_400000_NS6detail17trampoline_kernelINS0_13kernel_configILj256ELj4ELj4294967295EEENS1_37radix_sort_block_sort_config_selectorIiiEEZNS1_21radix_sort_block_sortIS4_Lb0EN6thrust23THRUST_200600_302600_NS6detail15normal_iteratorINS9_10device_ptrIiEEEESE_SE_SE_NS0_19identity_decomposerEEE10hipError_tT1_T2_T3_T4_jRjT5_jjP12ihipStream_tbEUlT_E_NS1_11comp_targetILNS1_3genE10ELNS1_11target_archE1201ELNS1_3gpuE5ELNS1_3repE0EEENS1_44radix_sort_block_sort_config_static_selectorELNS0_4arch9wavefront6targetE0EEEvSH_ ; -- Begin function _ZN7rocprim17ROCPRIM_400000_NS6detail17trampoline_kernelINS0_13kernel_configILj256ELj4ELj4294967295EEENS1_37radix_sort_block_sort_config_selectorIiiEEZNS1_21radix_sort_block_sortIS4_Lb0EN6thrust23THRUST_200600_302600_NS6detail15normal_iteratorINS9_10device_ptrIiEEEESE_SE_SE_NS0_19identity_decomposerEEE10hipError_tT1_T2_T3_T4_jRjT5_jjP12ihipStream_tbEUlT_E_NS1_11comp_targetILNS1_3genE10ELNS1_11target_archE1201ELNS1_3gpuE5ELNS1_3repE0EEENS1_44radix_sort_block_sort_config_static_selectorELNS0_4arch9wavefront6targetE0EEEvSH_
	.globl	_ZN7rocprim17ROCPRIM_400000_NS6detail17trampoline_kernelINS0_13kernel_configILj256ELj4ELj4294967295EEENS1_37radix_sort_block_sort_config_selectorIiiEEZNS1_21radix_sort_block_sortIS4_Lb0EN6thrust23THRUST_200600_302600_NS6detail15normal_iteratorINS9_10device_ptrIiEEEESE_SE_SE_NS0_19identity_decomposerEEE10hipError_tT1_T2_T3_T4_jRjT5_jjP12ihipStream_tbEUlT_E_NS1_11comp_targetILNS1_3genE10ELNS1_11target_archE1201ELNS1_3gpuE5ELNS1_3repE0EEENS1_44radix_sort_block_sort_config_static_selectorELNS0_4arch9wavefront6targetE0EEEvSH_
	.p2align	8
	.type	_ZN7rocprim17ROCPRIM_400000_NS6detail17trampoline_kernelINS0_13kernel_configILj256ELj4ELj4294967295EEENS1_37radix_sort_block_sort_config_selectorIiiEEZNS1_21radix_sort_block_sortIS4_Lb0EN6thrust23THRUST_200600_302600_NS6detail15normal_iteratorINS9_10device_ptrIiEEEESE_SE_SE_NS0_19identity_decomposerEEE10hipError_tT1_T2_T3_T4_jRjT5_jjP12ihipStream_tbEUlT_E_NS1_11comp_targetILNS1_3genE10ELNS1_11target_archE1201ELNS1_3gpuE5ELNS1_3repE0EEENS1_44radix_sort_block_sort_config_static_selectorELNS0_4arch9wavefront6targetE0EEEvSH_,@function
_ZN7rocprim17ROCPRIM_400000_NS6detail17trampoline_kernelINS0_13kernel_configILj256ELj4ELj4294967295EEENS1_37radix_sort_block_sort_config_selectorIiiEEZNS1_21radix_sort_block_sortIS4_Lb0EN6thrust23THRUST_200600_302600_NS6detail15normal_iteratorINS9_10device_ptrIiEEEESE_SE_SE_NS0_19identity_decomposerEEE10hipError_tT1_T2_T3_T4_jRjT5_jjP12ihipStream_tbEUlT_E_NS1_11comp_targetILNS1_3genE10ELNS1_11target_archE1201ELNS1_3gpuE5ELNS1_3repE0EEENS1_44radix_sort_block_sort_config_static_selectorELNS0_4arch9wavefront6targetE0EEEvSH_: ; @_ZN7rocprim17ROCPRIM_400000_NS6detail17trampoline_kernelINS0_13kernel_configILj256ELj4ELj4294967295EEENS1_37radix_sort_block_sort_config_selectorIiiEEZNS1_21radix_sort_block_sortIS4_Lb0EN6thrust23THRUST_200600_302600_NS6detail15normal_iteratorINS9_10device_ptrIiEEEESE_SE_SE_NS0_19identity_decomposerEEE10hipError_tT1_T2_T3_T4_jRjT5_jjP12ihipStream_tbEUlT_E_NS1_11comp_targetILNS1_3genE10ELNS1_11target_archE1201ELNS1_3gpuE5ELNS1_3repE0EEENS1_44radix_sort_block_sort_config_static_selectorELNS0_4arch9wavefront6targetE0EEEvSH_
; %bb.0:
	.section	.rodata,"a",@progbits
	.p2align	6, 0x0
	.amdhsa_kernel _ZN7rocprim17ROCPRIM_400000_NS6detail17trampoline_kernelINS0_13kernel_configILj256ELj4ELj4294967295EEENS1_37radix_sort_block_sort_config_selectorIiiEEZNS1_21radix_sort_block_sortIS4_Lb0EN6thrust23THRUST_200600_302600_NS6detail15normal_iteratorINS9_10device_ptrIiEEEESE_SE_SE_NS0_19identity_decomposerEEE10hipError_tT1_T2_T3_T4_jRjT5_jjP12ihipStream_tbEUlT_E_NS1_11comp_targetILNS1_3genE10ELNS1_11target_archE1201ELNS1_3gpuE5ELNS1_3repE0EEENS1_44radix_sort_block_sort_config_static_selectorELNS0_4arch9wavefront6targetE0EEEvSH_
		.amdhsa_group_segment_fixed_size 0
		.amdhsa_private_segment_fixed_size 0
		.amdhsa_kernarg_size 48
		.amdhsa_user_sgpr_count 6
		.amdhsa_user_sgpr_private_segment_buffer 1
		.amdhsa_user_sgpr_dispatch_ptr 0
		.amdhsa_user_sgpr_queue_ptr 0
		.amdhsa_user_sgpr_kernarg_segment_ptr 1
		.amdhsa_user_sgpr_dispatch_id 0
		.amdhsa_user_sgpr_flat_scratch_init 0
		.amdhsa_user_sgpr_private_segment_size 0
		.amdhsa_wavefront_size32 1
		.amdhsa_uses_dynamic_stack 0
		.amdhsa_system_sgpr_private_segment_wavefront_offset 0
		.amdhsa_system_sgpr_workgroup_id_x 1
		.amdhsa_system_sgpr_workgroup_id_y 0
		.amdhsa_system_sgpr_workgroup_id_z 0
		.amdhsa_system_sgpr_workgroup_info 0
		.amdhsa_system_vgpr_workitem_id 0
		.amdhsa_next_free_vgpr 1
		.amdhsa_next_free_sgpr 1
		.amdhsa_reserve_vcc 0
		.amdhsa_reserve_flat_scratch 0
		.amdhsa_float_round_mode_32 0
		.amdhsa_float_round_mode_16_64 0
		.amdhsa_float_denorm_mode_32 3
		.amdhsa_float_denorm_mode_16_64 3
		.amdhsa_dx10_clamp 1
		.amdhsa_ieee_mode 1
		.amdhsa_fp16_overflow 0
		.amdhsa_workgroup_processor_mode 1
		.amdhsa_memory_ordered 1
		.amdhsa_forward_progress 1
		.amdhsa_shared_vgpr_count 0
		.amdhsa_exception_fp_ieee_invalid_op 0
		.amdhsa_exception_fp_denorm_src 0
		.amdhsa_exception_fp_ieee_div_zero 0
		.amdhsa_exception_fp_ieee_overflow 0
		.amdhsa_exception_fp_ieee_underflow 0
		.amdhsa_exception_fp_ieee_inexact 0
		.amdhsa_exception_int_div_zero 0
	.end_amdhsa_kernel
	.section	.text._ZN7rocprim17ROCPRIM_400000_NS6detail17trampoline_kernelINS0_13kernel_configILj256ELj4ELj4294967295EEENS1_37radix_sort_block_sort_config_selectorIiiEEZNS1_21radix_sort_block_sortIS4_Lb0EN6thrust23THRUST_200600_302600_NS6detail15normal_iteratorINS9_10device_ptrIiEEEESE_SE_SE_NS0_19identity_decomposerEEE10hipError_tT1_T2_T3_T4_jRjT5_jjP12ihipStream_tbEUlT_E_NS1_11comp_targetILNS1_3genE10ELNS1_11target_archE1201ELNS1_3gpuE5ELNS1_3repE0EEENS1_44radix_sort_block_sort_config_static_selectorELNS0_4arch9wavefront6targetE0EEEvSH_,"axG",@progbits,_ZN7rocprim17ROCPRIM_400000_NS6detail17trampoline_kernelINS0_13kernel_configILj256ELj4ELj4294967295EEENS1_37radix_sort_block_sort_config_selectorIiiEEZNS1_21radix_sort_block_sortIS4_Lb0EN6thrust23THRUST_200600_302600_NS6detail15normal_iteratorINS9_10device_ptrIiEEEESE_SE_SE_NS0_19identity_decomposerEEE10hipError_tT1_T2_T3_T4_jRjT5_jjP12ihipStream_tbEUlT_E_NS1_11comp_targetILNS1_3genE10ELNS1_11target_archE1201ELNS1_3gpuE5ELNS1_3repE0EEENS1_44radix_sort_block_sort_config_static_selectorELNS0_4arch9wavefront6targetE0EEEvSH_,comdat
.Lfunc_end695:
	.size	_ZN7rocprim17ROCPRIM_400000_NS6detail17trampoline_kernelINS0_13kernel_configILj256ELj4ELj4294967295EEENS1_37radix_sort_block_sort_config_selectorIiiEEZNS1_21radix_sort_block_sortIS4_Lb0EN6thrust23THRUST_200600_302600_NS6detail15normal_iteratorINS9_10device_ptrIiEEEESE_SE_SE_NS0_19identity_decomposerEEE10hipError_tT1_T2_T3_T4_jRjT5_jjP12ihipStream_tbEUlT_E_NS1_11comp_targetILNS1_3genE10ELNS1_11target_archE1201ELNS1_3gpuE5ELNS1_3repE0EEENS1_44radix_sort_block_sort_config_static_selectorELNS0_4arch9wavefront6targetE0EEEvSH_, .Lfunc_end695-_ZN7rocprim17ROCPRIM_400000_NS6detail17trampoline_kernelINS0_13kernel_configILj256ELj4ELj4294967295EEENS1_37radix_sort_block_sort_config_selectorIiiEEZNS1_21radix_sort_block_sortIS4_Lb0EN6thrust23THRUST_200600_302600_NS6detail15normal_iteratorINS9_10device_ptrIiEEEESE_SE_SE_NS0_19identity_decomposerEEE10hipError_tT1_T2_T3_T4_jRjT5_jjP12ihipStream_tbEUlT_E_NS1_11comp_targetILNS1_3genE10ELNS1_11target_archE1201ELNS1_3gpuE5ELNS1_3repE0EEENS1_44radix_sort_block_sort_config_static_selectorELNS0_4arch9wavefront6targetE0EEEvSH_
                                        ; -- End function
	.set _ZN7rocprim17ROCPRIM_400000_NS6detail17trampoline_kernelINS0_13kernel_configILj256ELj4ELj4294967295EEENS1_37radix_sort_block_sort_config_selectorIiiEEZNS1_21radix_sort_block_sortIS4_Lb0EN6thrust23THRUST_200600_302600_NS6detail15normal_iteratorINS9_10device_ptrIiEEEESE_SE_SE_NS0_19identity_decomposerEEE10hipError_tT1_T2_T3_T4_jRjT5_jjP12ihipStream_tbEUlT_E_NS1_11comp_targetILNS1_3genE10ELNS1_11target_archE1201ELNS1_3gpuE5ELNS1_3repE0EEENS1_44radix_sort_block_sort_config_static_selectorELNS0_4arch9wavefront6targetE0EEEvSH_.num_vgpr, 0
	.set _ZN7rocprim17ROCPRIM_400000_NS6detail17trampoline_kernelINS0_13kernel_configILj256ELj4ELj4294967295EEENS1_37radix_sort_block_sort_config_selectorIiiEEZNS1_21radix_sort_block_sortIS4_Lb0EN6thrust23THRUST_200600_302600_NS6detail15normal_iteratorINS9_10device_ptrIiEEEESE_SE_SE_NS0_19identity_decomposerEEE10hipError_tT1_T2_T3_T4_jRjT5_jjP12ihipStream_tbEUlT_E_NS1_11comp_targetILNS1_3genE10ELNS1_11target_archE1201ELNS1_3gpuE5ELNS1_3repE0EEENS1_44radix_sort_block_sort_config_static_selectorELNS0_4arch9wavefront6targetE0EEEvSH_.num_agpr, 0
	.set _ZN7rocprim17ROCPRIM_400000_NS6detail17trampoline_kernelINS0_13kernel_configILj256ELj4ELj4294967295EEENS1_37radix_sort_block_sort_config_selectorIiiEEZNS1_21radix_sort_block_sortIS4_Lb0EN6thrust23THRUST_200600_302600_NS6detail15normal_iteratorINS9_10device_ptrIiEEEESE_SE_SE_NS0_19identity_decomposerEEE10hipError_tT1_T2_T3_T4_jRjT5_jjP12ihipStream_tbEUlT_E_NS1_11comp_targetILNS1_3genE10ELNS1_11target_archE1201ELNS1_3gpuE5ELNS1_3repE0EEENS1_44radix_sort_block_sort_config_static_selectorELNS0_4arch9wavefront6targetE0EEEvSH_.numbered_sgpr, 0
	.set _ZN7rocprim17ROCPRIM_400000_NS6detail17trampoline_kernelINS0_13kernel_configILj256ELj4ELj4294967295EEENS1_37radix_sort_block_sort_config_selectorIiiEEZNS1_21radix_sort_block_sortIS4_Lb0EN6thrust23THRUST_200600_302600_NS6detail15normal_iteratorINS9_10device_ptrIiEEEESE_SE_SE_NS0_19identity_decomposerEEE10hipError_tT1_T2_T3_T4_jRjT5_jjP12ihipStream_tbEUlT_E_NS1_11comp_targetILNS1_3genE10ELNS1_11target_archE1201ELNS1_3gpuE5ELNS1_3repE0EEENS1_44radix_sort_block_sort_config_static_selectorELNS0_4arch9wavefront6targetE0EEEvSH_.num_named_barrier, 0
	.set _ZN7rocprim17ROCPRIM_400000_NS6detail17trampoline_kernelINS0_13kernel_configILj256ELj4ELj4294967295EEENS1_37radix_sort_block_sort_config_selectorIiiEEZNS1_21radix_sort_block_sortIS4_Lb0EN6thrust23THRUST_200600_302600_NS6detail15normal_iteratorINS9_10device_ptrIiEEEESE_SE_SE_NS0_19identity_decomposerEEE10hipError_tT1_T2_T3_T4_jRjT5_jjP12ihipStream_tbEUlT_E_NS1_11comp_targetILNS1_3genE10ELNS1_11target_archE1201ELNS1_3gpuE5ELNS1_3repE0EEENS1_44radix_sort_block_sort_config_static_selectorELNS0_4arch9wavefront6targetE0EEEvSH_.private_seg_size, 0
	.set _ZN7rocprim17ROCPRIM_400000_NS6detail17trampoline_kernelINS0_13kernel_configILj256ELj4ELj4294967295EEENS1_37radix_sort_block_sort_config_selectorIiiEEZNS1_21radix_sort_block_sortIS4_Lb0EN6thrust23THRUST_200600_302600_NS6detail15normal_iteratorINS9_10device_ptrIiEEEESE_SE_SE_NS0_19identity_decomposerEEE10hipError_tT1_T2_T3_T4_jRjT5_jjP12ihipStream_tbEUlT_E_NS1_11comp_targetILNS1_3genE10ELNS1_11target_archE1201ELNS1_3gpuE5ELNS1_3repE0EEENS1_44radix_sort_block_sort_config_static_selectorELNS0_4arch9wavefront6targetE0EEEvSH_.uses_vcc, 0
	.set _ZN7rocprim17ROCPRIM_400000_NS6detail17trampoline_kernelINS0_13kernel_configILj256ELj4ELj4294967295EEENS1_37radix_sort_block_sort_config_selectorIiiEEZNS1_21radix_sort_block_sortIS4_Lb0EN6thrust23THRUST_200600_302600_NS6detail15normal_iteratorINS9_10device_ptrIiEEEESE_SE_SE_NS0_19identity_decomposerEEE10hipError_tT1_T2_T3_T4_jRjT5_jjP12ihipStream_tbEUlT_E_NS1_11comp_targetILNS1_3genE10ELNS1_11target_archE1201ELNS1_3gpuE5ELNS1_3repE0EEENS1_44radix_sort_block_sort_config_static_selectorELNS0_4arch9wavefront6targetE0EEEvSH_.uses_flat_scratch, 0
	.set _ZN7rocprim17ROCPRIM_400000_NS6detail17trampoline_kernelINS0_13kernel_configILj256ELj4ELj4294967295EEENS1_37radix_sort_block_sort_config_selectorIiiEEZNS1_21radix_sort_block_sortIS4_Lb0EN6thrust23THRUST_200600_302600_NS6detail15normal_iteratorINS9_10device_ptrIiEEEESE_SE_SE_NS0_19identity_decomposerEEE10hipError_tT1_T2_T3_T4_jRjT5_jjP12ihipStream_tbEUlT_E_NS1_11comp_targetILNS1_3genE10ELNS1_11target_archE1201ELNS1_3gpuE5ELNS1_3repE0EEENS1_44radix_sort_block_sort_config_static_selectorELNS0_4arch9wavefront6targetE0EEEvSH_.has_dyn_sized_stack, 0
	.set _ZN7rocprim17ROCPRIM_400000_NS6detail17trampoline_kernelINS0_13kernel_configILj256ELj4ELj4294967295EEENS1_37radix_sort_block_sort_config_selectorIiiEEZNS1_21radix_sort_block_sortIS4_Lb0EN6thrust23THRUST_200600_302600_NS6detail15normal_iteratorINS9_10device_ptrIiEEEESE_SE_SE_NS0_19identity_decomposerEEE10hipError_tT1_T2_T3_T4_jRjT5_jjP12ihipStream_tbEUlT_E_NS1_11comp_targetILNS1_3genE10ELNS1_11target_archE1201ELNS1_3gpuE5ELNS1_3repE0EEENS1_44radix_sort_block_sort_config_static_selectorELNS0_4arch9wavefront6targetE0EEEvSH_.has_recursion, 0
	.set _ZN7rocprim17ROCPRIM_400000_NS6detail17trampoline_kernelINS0_13kernel_configILj256ELj4ELj4294967295EEENS1_37radix_sort_block_sort_config_selectorIiiEEZNS1_21radix_sort_block_sortIS4_Lb0EN6thrust23THRUST_200600_302600_NS6detail15normal_iteratorINS9_10device_ptrIiEEEESE_SE_SE_NS0_19identity_decomposerEEE10hipError_tT1_T2_T3_T4_jRjT5_jjP12ihipStream_tbEUlT_E_NS1_11comp_targetILNS1_3genE10ELNS1_11target_archE1201ELNS1_3gpuE5ELNS1_3repE0EEENS1_44radix_sort_block_sort_config_static_selectorELNS0_4arch9wavefront6targetE0EEEvSH_.has_indirect_call, 0
	.section	.AMDGPU.csdata,"",@progbits
; Kernel info:
; codeLenInByte = 0
; TotalNumSgprs: 0
; NumVgprs: 0
; ScratchSize: 0
; MemoryBound: 0
; FloatMode: 240
; IeeeMode: 1
; LDSByteSize: 0 bytes/workgroup (compile time only)
; SGPRBlocks: 0
; VGPRBlocks: 0
; NumSGPRsForWavesPerEU: 1
; NumVGPRsForWavesPerEU: 1
; Occupancy: 16
; WaveLimiterHint : 0
; COMPUTE_PGM_RSRC2:SCRATCH_EN: 0
; COMPUTE_PGM_RSRC2:USER_SGPR: 6
; COMPUTE_PGM_RSRC2:TRAP_HANDLER: 0
; COMPUTE_PGM_RSRC2:TGID_X_EN: 1
; COMPUTE_PGM_RSRC2:TGID_Y_EN: 0
; COMPUTE_PGM_RSRC2:TGID_Z_EN: 0
; COMPUTE_PGM_RSRC2:TIDIG_COMP_CNT: 0
	.section	.text._ZN7rocprim17ROCPRIM_400000_NS6detail17trampoline_kernelINS0_13kernel_configILj256ELj4ELj4294967295EEENS1_37radix_sort_block_sort_config_selectorIiiEEZNS1_21radix_sort_block_sortIS4_Lb0EN6thrust23THRUST_200600_302600_NS6detail15normal_iteratorINS9_10device_ptrIiEEEESE_SE_SE_NS0_19identity_decomposerEEE10hipError_tT1_T2_T3_T4_jRjT5_jjP12ihipStream_tbEUlT_E_NS1_11comp_targetILNS1_3genE10ELNS1_11target_archE1200ELNS1_3gpuE4ELNS1_3repE0EEENS1_44radix_sort_block_sort_config_static_selectorELNS0_4arch9wavefront6targetE0EEEvSH_,"axG",@progbits,_ZN7rocprim17ROCPRIM_400000_NS6detail17trampoline_kernelINS0_13kernel_configILj256ELj4ELj4294967295EEENS1_37radix_sort_block_sort_config_selectorIiiEEZNS1_21radix_sort_block_sortIS4_Lb0EN6thrust23THRUST_200600_302600_NS6detail15normal_iteratorINS9_10device_ptrIiEEEESE_SE_SE_NS0_19identity_decomposerEEE10hipError_tT1_T2_T3_T4_jRjT5_jjP12ihipStream_tbEUlT_E_NS1_11comp_targetILNS1_3genE10ELNS1_11target_archE1200ELNS1_3gpuE4ELNS1_3repE0EEENS1_44radix_sort_block_sort_config_static_selectorELNS0_4arch9wavefront6targetE0EEEvSH_,comdat
	.protected	_ZN7rocprim17ROCPRIM_400000_NS6detail17trampoline_kernelINS0_13kernel_configILj256ELj4ELj4294967295EEENS1_37radix_sort_block_sort_config_selectorIiiEEZNS1_21radix_sort_block_sortIS4_Lb0EN6thrust23THRUST_200600_302600_NS6detail15normal_iteratorINS9_10device_ptrIiEEEESE_SE_SE_NS0_19identity_decomposerEEE10hipError_tT1_T2_T3_T4_jRjT5_jjP12ihipStream_tbEUlT_E_NS1_11comp_targetILNS1_3genE10ELNS1_11target_archE1200ELNS1_3gpuE4ELNS1_3repE0EEENS1_44radix_sort_block_sort_config_static_selectorELNS0_4arch9wavefront6targetE0EEEvSH_ ; -- Begin function _ZN7rocprim17ROCPRIM_400000_NS6detail17trampoline_kernelINS0_13kernel_configILj256ELj4ELj4294967295EEENS1_37radix_sort_block_sort_config_selectorIiiEEZNS1_21radix_sort_block_sortIS4_Lb0EN6thrust23THRUST_200600_302600_NS6detail15normal_iteratorINS9_10device_ptrIiEEEESE_SE_SE_NS0_19identity_decomposerEEE10hipError_tT1_T2_T3_T4_jRjT5_jjP12ihipStream_tbEUlT_E_NS1_11comp_targetILNS1_3genE10ELNS1_11target_archE1200ELNS1_3gpuE4ELNS1_3repE0EEENS1_44radix_sort_block_sort_config_static_selectorELNS0_4arch9wavefront6targetE0EEEvSH_
	.globl	_ZN7rocprim17ROCPRIM_400000_NS6detail17trampoline_kernelINS0_13kernel_configILj256ELj4ELj4294967295EEENS1_37radix_sort_block_sort_config_selectorIiiEEZNS1_21radix_sort_block_sortIS4_Lb0EN6thrust23THRUST_200600_302600_NS6detail15normal_iteratorINS9_10device_ptrIiEEEESE_SE_SE_NS0_19identity_decomposerEEE10hipError_tT1_T2_T3_T4_jRjT5_jjP12ihipStream_tbEUlT_E_NS1_11comp_targetILNS1_3genE10ELNS1_11target_archE1200ELNS1_3gpuE4ELNS1_3repE0EEENS1_44radix_sort_block_sort_config_static_selectorELNS0_4arch9wavefront6targetE0EEEvSH_
	.p2align	8
	.type	_ZN7rocprim17ROCPRIM_400000_NS6detail17trampoline_kernelINS0_13kernel_configILj256ELj4ELj4294967295EEENS1_37radix_sort_block_sort_config_selectorIiiEEZNS1_21radix_sort_block_sortIS4_Lb0EN6thrust23THRUST_200600_302600_NS6detail15normal_iteratorINS9_10device_ptrIiEEEESE_SE_SE_NS0_19identity_decomposerEEE10hipError_tT1_T2_T3_T4_jRjT5_jjP12ihipStream_tbEUlT_E_NS1_11comp_targetILNS1_3genE10ELNS1_11target_archE1200ELNS1_3gpuE4ELNS1_3repE0EEENS1_44radix_sort_block_sort_config_static_selectorELNS0_4arch9wavefront6targetE0EEEvSH_,@function
_ZN7rocprim17ROCPRIM_400000_NS6detail17trampoline_kernelINS0_13kernel_configILj256ELj4ELj4294967295EEENS1_37radix_sort_block_sort_config_selectorIiiEEZNS1_21radix_sort_block_sortIS4_Lb0EN6thrust23THRUST_200600_302600_NS6detail15normal_iteratorINS9_10device_ptrIiEEEESE_SE_SE_NS0_19identity_decomposerEEE10hipError_tT1_T2_T3_T4_jRjT5_jjP12ihipStream_tbEUlT_E_NS1_11comp_targetILNS1_3genE10ELNS1_11target_archE1200ELNS1_3gpuE4ELNS1_3repE0EEENS1_44radix_sort_block_sort_config_static_selectorELNS0_4arch9wavefront6targetE0EEEvSH_: ; @_ZN7rocprim17ROCPRIM_400000_NS6detail17trampoline_kernelINS0_13kernel_configILj256ELj4ELj4294967295EEENS1_37radix_sort_block_sort_config_selectorIiiEEZNS1_21radix_sort_block_sortIS4_Lb0EN6thrust23THRUST_200600_302600_NS6detail15normal_iteratorINS9_10device_ptrIiEEEESE_SE_SE_NS0_19identity_decomposerEEE10hipError_tT1_T2_T3_T4_jRjT5_jjP12ihipStream_tbEUlT_E_NS1_11comp_targetILNS1_3genE10ELNS1_11target_archE1200ELNS1_3gpuE4ELNS1_3repE0EEENS1_44radix_sort_block_sort_config_static_selectorELNS0_4arch9wavefront6targetE0EEEvSH_
; %bb.0:
	.section	.rodata,"a",@progbits
	.p2align	6, 0x0
	.amdhsa_kernel _ZN7rocprim17ROCPRIM_400000_NS6detail17trampoline_kernelINS0_13kernel_configILj256ELj4ELj4294967295EEENS1_37radix_sort_block_sort_config_selectorIiiEEZNS1_21radix_sort_block_sortIS4_Lb0EN6thrust23THRUST_200600_302600_NS6detail15normal_iteratorINS9_10device_ptrIiEEEESE_SE_SE_NS0_19identity_decomposerEEE10hipError_tT1_T2_T3_T4_jRjT5_jjP12ihipStream_tbEUlT_E_NS1_11comp_targetILNS1_3genE10ELNS1_11target_archE1200ELNS1_3gpuE4ELNS1_3repE0EEENS1_44radix_sort_block_sort_config_static_selectorELNS0_4arch9wavefront6targetE0EEEvSH_
		.amdhsa_group_segment_fixed_size 0
		.amdhsa_private_segment_fixed_size 0
		.amdhsa_kernarg_size 48
		.amdhsa_user_sgpr_count 6
		.amdhsa_user_sgpr_private_segment_buffer 1
		.amdhsa_user_sgpr_dispatch_ptr 0
		.amdhsa_user_sgpr_queue_ptr 0
		.amdhsa_user_sgpr_kernarg_segment_ptr 1
		.amdhsa_user_sgpr_dispatch_id 0
		.amdhsa_user_sgpr_flat_scratch_init 0
		.amdhsa_user_sgpr_private_segment_size 0
		.amdhsa_wavefront_size32 1
		.amdhsa_uses_dynamic_stack 0
		.amdhsa_system_sgpr_private_segment_wavefront_offset 0
		.amdhsa_system_sgpr_workgroup_id_x 1
		.amdhsa_system_sgpr_workgroup_id_y 0
		.amdhsa_system_sgpr_workgroup_id_z 0
		.amdhsa_system_sgpr_workgroup_info 0
		.amdhsa_system_vgpr_workitem_id 0
		.amdhsa_next_free_vgpr 1
		.amdhsa_next_free_sgpr 1
		.amdhsa_reserve_vcc 0
		.amdhsa_reserve_flat_scratch 0
		.amdhsa_float_round_mode_32 0
		.amdhsa_float_round_mode_16_64 0
		.amdhsa_float_denorm_mode_32 3
		.amdhsa_float_denorm_mode_16_64 3
		.amdhsa_dx10_clamp 1
		.amdhsa_ieee_mode 1
		.amdhsa_fp16_overflow 0
		.amdhsa_workgroup_processor_mode 1
		.amdhsa_memory_ordered 1
		.amdhsa_forward_progress 1
		.amdhsa_shared_vgpr_count 0
		.amdhsa_exception_fp_ieee_invalid_op 0
		.amdhsa_exception_fp_denorm_src 0
		.amdhsa_exception_fp_ieee_div_zero 0
		.amdhsa_exception_fp_ieee_overflow 0
		.amdhsa_exception_fp_ieee_underflow 0
		.amdhsa_exception_fp_ieee_inexact 0
		.amdhsa_exception_int_div_zero 0
	.end_amdhsa_kernel
	.section	.text._ZN7rocprim17ROCPRIM_400000_NS6detail17trampoline_kernelINS0_13kernel_configILj256ELj4ELj4294967295EEENS1_37radix_sort_block_sort_config_selectorIiiEEZNS1_21radix_sort_block_sortIS4_Lb0EN6thrust23THRUST_200600_302600_NS6detail15normal_iteratorINS9_10device_ptrIiEEEESE_SE_SE_NS0_19identity_decomposerEEE10hipError_tT1_T2_T3_T4_jRjT5_jjP12ihipStream_tbEUlT_E_NS1_11comp_targetILNS1_3genE10ELNS1_11target_archE1200ELNS1_3gpuE4ELNS1_3repE0EEENS1_44radix_sort_block_sort_config_static_selectorELNS0_4arch9wavefront6targetE0EEEvSH_,"axG",@progbits,_ZN7rocprim17ROCPRIM_400000_NS6detail17trampoline_kernelINS0_13kernel_configILj256ELj4ELj4294967295EEENS1_37radix_sort_block_sort_config_selectorIiiEEZNS1_21radix_sort_block_sortIS4_Lb0EN6thrust23THRUST_200600_302600_NS6detail15normal_iteratorINS9_10device_ptrIiEEEESE_SE_SE_NS0_19identity_decomposerEEE10hipError_tT1_T2_T3_T4_jRjT5_jjP12ihipStream_tbEUlT_E_NS1_11comp_targetILNS1_3genE10ELNS1_11target_archE1200ELNS1_3gpuE4ELNS1_3repE0EEENS1_44radix_sort_block_sort_config_static_selectorELNS0_4arch9wavefront6targetE0EEEvSH_,comdat
.Lfunc_end696:
	.size	_ZN7rocprim17ROCPRIM_400000_NS6detail17trampoline_kernelINS0_13kernel_configILj256ELj4ELj4294967295EEENS1_37radix_sort_block_sort_config_selectorIiiEEZNS1_21radix_sort_block_sortIS4_Lb0EN6thrust23THRUST_200600_302600_NS6detail15normal_iteratorINS9_10device_ptrIiEEEESE_SE_SE_NS0_19identity_decomposerEEE10hipError_tT1_T2_T3_T4_jRjT5_jjP12ihipStream_tbEUlT_E_NS1_11comp_targetILNS1_3genE10ELNS1_11target_archE1200ELNS1_3gpuE4ELNS1_3repE0EEENS1_44radix_sort_block_sort_config_static_selectorELNS0_4arch9wavefront6targetE0EEEvSH_, .Lfunc_end696-_ZN7rocprim17ROCPRIM_400000_NS6detail17trampoline_kernelINS0_13kernel_configILj256ELj4ELj4294967295EEENS1_37radix_sort_block_sort_config_selectorIiiEEZNS1_21radix_sort_block_sortIS4_Lb0EN6thrust23THRUST_200600_302600_NS6detail15normal_iteratorINS9_10device_ptrIiEEEESE_SE_SE_NS0_19identity_decomposerEEE10hipError_tT1_T2_T3_T4_jRjT5_jjP12ihipStream_tbEUlT_E_NS1_11comp_targetILNS1_3genE10ELNS1_11target_archE1200ELNS1_3gpuE4ELNS1_3repE0EEENS1_44radix_sort_block_sort_config_static_selectorELNS0_4arch9wavefront6targetE0EEEvSH_
                                        ; -- End function
	.set _ZN7rocprim17ROCPRIM_400000_NS6detail17trampoline_kernelINS0_13kernel_configILj256ELj4ELj4294967295EEENS1_37radix_sort_block_sort_config_selectorIiiEEZNS1_21radix_sort_block_sortIS4_Lb0EN6thrust23THRUST_200600_302600_NS6detail15normal_iteratorINS9_10device_ptrIiEEEESE_SE_SE_NS0_19identity_decomposerEEE10hipError_tT1_T2_T3_T4_jRjT5_jjP12ihipStream_tbEUlT_E_NS1_11comp_targetILNS1_3genE10ELNS1_11target_archE1200ELNS1_3gpuE4ELNS1_3repE0EEENS1_44radix_sort_block_sort_config_static_selectorELNS0_4arch9wavefront6targetE0EEEvSH_.num_vgpr, 0
	.set _ZN7rocprim17ROCPRIM_400000_NS6detail17trampoline_kernelINS0_13kernel_configILj256ELj4ELj4294967295EEENS1_37radix_sort_block_sort_config_selectorIiiEEZNS1_21radix_sort_block_sortIS4_Lb0EN6thrust23THRUST_200600_302600_NS6detail15normal_iteratorINS9_10device_ptrIiEEEESE_SE_SE_NS0_19identity_decomposerEEE10hipError_tT1_T2_T3_T4_jRjT5_jjP12ihipStream_tbEUlT_E_NS1_11comp_targetILNS1_3genE10ELNS1_11target_archE1200ELNS1_3gpuE4ELNS1_3repE0EEENS1_44radix_sort_block_sort_config_static_selectorELNS0_4arch9wavefront6targetE0EEEvSH_.num_agpr, 0
	.set _ZN7rocprim17ROCPRIM_400000_NS6detail17trampoline_kernelINS0_13kernel_configILj256ELj4ELj4294967295EEENS1_37radix_sort_block_sort_config_selectorIiiEEZNS1_21radix_sort_block_sortIS4_Lb0EN6thrust23THRUST_200600_302600_NS6detail15normal_iteratorINS9_10device_ptrIiEEEESE_SE_SE_NS0_19identity_decomposerEEE10hipError_tT1_T2_T3_T4_jRjT5_jjP12ihipStream_tbEUlT_E_NS1_11comp_targetILNS1_3genE10ELNS1_11target_archE1200ELNS1_3gpuE4ELNS1_3repE0EEENS1_44radix_sort_block_sort_config_static_selectorELNS0_4arch9wavefront6targetE0EEEvSH_.numbered_sgpr, 0
	.set _ZN7rocprim17ROCPRIM_400000_NS6detail17trampoline_kernelINS0_13kernel_configILj256ELj4ELj4294967295EEENS1_37radix_sort_block_sort_config_selectorIiiEEZNS1_21radix_sort_block_sortIS4_Lb0EN6thrust23THRUST_200600_302600_NS6detail15normal_iteratorINS9_10device_ptrIiEEEESE_SE_SE_NS0_19identity_decomposerEEE10hipError_tT1_T2_T3_T4_jRjT5_jjP12ihipStream_tbEUlT_E_NS1_11comp_targetILNS1_3genE10ELNS1_11target_archE1200ELNS1_3gpuE4ELNS1_3repE0EEENS1_44radix_sort_block_sort_config_static_selectorELNS0_4arch9wavefront6targetE0EEEvSH_.num_named_barrier, 0
	.set _ZN7rocprim17ROCPRIM_400000_NS6detail17trampoline_kernelINS0_13kernel_configILj256ELj4ELj4294967295EEENS1_37radix_sort_block_sort_config_selectorIiiEEZNS1_21radix_sort_block_sortIS4_Lb0EN6thrust23THRUST_200600_302600_NS6detail15normal_iteratorINS9_10device_ptrIiEEEESE_SE_SE_NS0_19identity_decomposerEEE10hipError_tT1_T2_T3_T4_jRjT5_jjP12ihipStream_tbEUlT_E_NS1_11comp_targetILNS1_3genE10ELNS1_11target_archE1200ELNS1_3gpuE4ELNS1_3repE0EEENS1_44radix_sort_block_sort_config_static_selectorELNS0_4arch9wavefront6targetE0EEEvSH_.private_seg_size, 0
	.set _ZN7rocprim17ROCPRIM_400000_NS6detail17trampoline_kernelINS0_13kernel_configILj256ELj4ELj4294967295EEENS1_37radix_sort_block_sort_config_selectorIiiEEZNS1_21radix_sort_block_sortIS4_Lb0EN6thrust23THRUST_200600_302600_NS6detail15normal_iteratorINS9_10device_ptrIiEEEESE_SE_SE_NS0_19identity_decomposerEEE10hipError_tT1_T2_T3_T4_jRjT5_jjP12ihipStream_tbEUlT_E_NS1_11comp_targetILNS1_3genE10ELNS1_11target_archE1200ELNS1_3gpuE4ELNS1_3repE0EEENS1_44radix_sort_block_sort_config_static_selectorELNS0_4arch9wavefront6targetE0EEEvSH_.uses_vcc, 0
	.set _ZN7rocprim17ROCPRIM_400000_NS6detail17trampoline_kernelINS0_13kernel_configILj256ELj4ELj4294967295EEENS1_37radix_sort_block_sort_config_selectorIiiEEZNS1_21radix_sort_block_sortIS4_Lb0EN6thrust23THRUST_200600_302600_NS6detail15normal_iteratorINS9_10device_ptrIiEEEESE_SE_SE_NS0_19identity_decomposerEEE10hipError_tT1_T2_T3_T4_jRjT5_jjP12ihipStream_tbEUlT_E_NS1_11comp_targetILNS1_3genE10ELNS1_11target_archE1200ELNS1_3gpuE4ELNS1_3repE0EEENS1_44radix_sort_block_sort_config_static_selectorELNS0_4arch9wavefront6targetE0EEEvSH_.uses_flat_scratch, 0
	.set _ZN7rocprim17ROCPRIM_400000_NS6detail17trampoline_kernelINS0_13kernel_configILj256ELj4ELj4294967295EEENS1_37radix_sort_block_sort_config_selectorIiiEEZNS1_21radix_sort_block_sortIS4_Lb0EN6thrust23THRUST_200600_302600_NS6detail15normal_iteratorINS9_10device_ptrIiEEEESE_SE_SE_NS0_19identity_decomposerEEE10hipError_tT1_T2_T3_T4_jRjT5_jjP12ihipStream_tbEUlT_E_NS1_11comp_targetILNS1_3genE10ELNS1_11target_archE1200ELNS1_3gpuE4ELNS1_3repE0EEENS1_44radix_sort_block_sort_config_static_selectorELNS0_4arch9wavefront6targetE0EEEvSH_.has_dyn_sized_stack, 0
	.set _ZN7rocprim17ROCPRIM_400000_NS6detail17trampoline_kernelINS0_13kernel_configILj256ELj4ELj4294967295EEENS1_37radix_sort_block_sort_config_selectorIiiEEZNS1_21radix_sort_block_sortIS4_Lb0EN6thrust23THRUST_200600_302600_NS6detail15normal_iteratorINS9_10device_ptrIiEEEESE_SE_SE_NS0_19identity_decomposerEEE10hipError_tT1_T2_T3_T4_jRjT5_jjP12ihipStream_tbEUlT_E_NS1_11comp_targetILNS1_3genE10ELNS1_11target_archE1200ELNS1_3gpuE4ELNS1_3repE0EEENS1_44radix_sort_block_sort_config_static_selectorELNS0_4arch9wavefront6targetE0EEEvSH_.has_recursion, 0
	.set _ZN7rocprim17ROCPRIM_400000_NS6detail17trampoline_kernelINS0_13kernel_configILj256ELj4ELj4294967295EEENS1_37radix_sort_block_sort_config_selectorIiiEEZNS1_21radix_sort_block_sortIS4_Lb0EN6thrust23THRUST_200600_302600_NS6detail15normal_iteratorINS9_10device_ptrIiEEEESE_SE_SE_NS0_19identity_decomposerEEE10hipError_tT1_T2_T3_T4_jRjT5_jjP12ihipStream_tbEUlT_E_NS1_11comp_targetILNS1_3genE10ELNS1_11target_archE1200ELNS1_3gpuE4ELNS1_3repE0EEENS1_44radix_sort_block_sort_config_static_selectorELNS0_4arch9wavefront6targetE0EEEvSH_.has_indirect_call, 0
	.section	.AMDGPU.csdata,"",@progbits
; Kernel info:
; codeLenInByte = 0
; TotalNumSgprs: 0
; NumVgprs: 0
; ScratchSize: 0
; MemoryBound: 0
; FloatMode: 240
; IeeeMode: 1
; LDSByteSize: 0 bytes/workgroup (compile time only)
; SGPRBlocks: 0
; VGPRBlocks: 0
; NumSGPRsForWavesPerEU: 1
; NumVGPRsForWavesPerEU: 1
; Occupancy: 16
; WaveLimiterHint : 0
; COMPUTE_PGM_RSRC2:SCRATCH_EN: 0
; COMPUTE_PGM_RSRC2:USER_SGPR: 6
; COMPUTE_PGM_RSRC2:TRAP_HANDLER: 0
; COMPUTE_PGM_RSRC2:TGID_X_EN: 1
; COMPUTE_PGM_RSRC2:TGID_Y_EN: 0
; COMPUTE_PGM_RSRC2:TGID_Z_EN: 0
; COMPUTE_PGM_RSRC2:TIDIG_COMP_CNT: 0
	.section	.text._ZN7rocprim17ROCPRIM_400000_NS6detail17trampoline_kernelINS0_13kernel_configILj256ELj4ELj4294967295EEENS1_37radix_sort_block_sort_config_selectorIiiEEZNS1_21radix_sort_block_sortIS4_Lb0EN6thrust23THRUST_200600_302600_NS6detail15normal_iteratorINS9_10device_ptrIiEEEESE_SE_SE_NS0_19identity_decomposerEEE10hipError_tT1_T2_T3_T4_jRjT5_jjP12ihipStream_tbEUlT_E_NS1_11comp_targetILNS1_3genE9ELNS1_11target_archE1100ELNS1_3gpuE3ELNS1_3repE0EEENS1_44radix_sort_block_sort_config_static_selectorELNS0_4arch9wavefront6targetE0EEEvSH_,"axG",@progbits,_ZN7rocprim17ROCPRIM_400000_NS6detail17trampoline_kernelINS0_13kernel_configILj256ELj4ELj4294967295EEENS1_37radix_sort_block_sort_config_selectorIiiEEZNS1_21radix_sort_block_sortIS4_Lb0EN6thrust23THRUST_200600_302600_NS6detail15normal_iteratorINS9_10device_ptrIiEEEESE_SE_SE_NS0_19identity_decomposerEEE10hipError_tT1_T2_T3_T4_jRjT5_jjP12ihipStream_tbEUlT_E_NS1_11comp_targetILNS1_3genE9ELNS1_11target_archE1100ELNS1_3gpuE3ELNS1_3repE0EEENS1_44radix_sort_block_sort_config_static_selectorELNS0_4arch9wavefront6targetE0EEEvSH_,comdat
	.protected	_ZN7rocprim17ROCPRIM_400000_NS6detail17trampoline_kernelINS0_13kernel_configILj256ELj4ELj4294967295EEENS1_37radix_sort_block_sort_config_selectorIiiEEZNS1_21radix_sort_block_sortIS4_Lb0EN6thrust23THRUST_200600_302600_NS6detail15normal_iteratorINS9_10device_ptrIiEEEESE_SE_SE_NS0_19identity_decomposerEEE10hipError_tT1_T2_T3_T4_jRjT5_jjP12ihipStream_tbEUlT_E_NS1_11comp_targetILNS1_3genE9ELNS1_11target_archE1100ELNS1_3gpuE3ELNS1_3repE0EEENS1_44radix_sort_block_sort_config_static_selectorELNS0_4arch9wavefront6targetE0EEEvSH_ ; -- Begin function _ZN7rocprim17ROCPRIM_400000_NS6detail17trampoline_kernelINS0_13kernel_configILj256ELj4ELj4294967295EEENS1_37radix_sort_block_sort_config_selectorIiiEEZNS1_21radix_sort_block_sortIS4_Lb0EN6thrust23THRUST_200600_302600_NS6detail15normal_iteratorINS9_10device_ptrIiEEEESE_SE_SE_NS0_19identity_decomposerEEE10hipError_tT1_T2_T3_T4_jRjT5_jjP12ihipStream_tbEUlT_E_NS1_11comp_targetILNS1_3genE9ELNS1_11target_archE1100ELNS1_3gpuE3ELNS1_3repE0EEENS1_44radix_sort_block_sort_config_static_selectorELNS0_4arch9wavefront6targetE0EEEvSH_
	.globl	_ZN7rocprim17ROCPRIM_400000_NS6detail17trampoline_kernelINS0_13kernel_configILj256ELj4ELj4294967295EEENS1_37radix_sort_block_sort_config_selectorIiiEEZNS1_21radix_sort_block_sortIS4_Lb0EN6thrust23THRUST_200600_302600_NS6detail15normal_iteratorINS9_10device_ptrIiEEEESE_SE_SE_NS0_19identity_decomposerEEE10hipError_tT1_T2_T3_T4_jRjT5_jjP12ihipStream_tbEUlT_E_NS1_11comp_targetILNS1_3genE9ELNS1_11target_archE1100ELNS1_3gpuE3ELNS1_3repE0EEENS1_44radix_sort_block_sort_config_static_selectorELNS0_4arch9wavefront6targetE0EEEvSH_
	.p2align	8
	.type	_ZN7rocprim17ROCPRIM_400000_NS6detail17trampoline_kernelINS0_13kernel_configILj256ELj4ELj4294967295EEENS1_37radix_sort_block_sort_config_selectorIiiEEZNS1_21radix_sort_block_sortIS4_Lb0EN6thrust23THRUST_200600_302600_NS6detail15normal_iteratorINS9_10device_ptrIiEEEESE_SE_SE_NS0_19identity_decomposerEEE10hipError_tT1_T2_T3_T4_jRjT5_jjP12ihipStream_tbEUlT_E_NS1_11comp_targetILNS1_3genE9ELNS1_11target_archE1100ELNS1_3gpuE3ELNS1_3repE0EEENS1_44radix_sort_block_sort_config_static_selectorELNS0_4arch9wavefront6targetE0EEEvSH_,@function
_ZN7rocprim17ROCPRIM_400000_NS6detail17trampoline_kernelINS0_13kernel_configILj256ELj4ELj4294967295EEENS1_37radix_sort_block_sort_config_selectorIiiEEZNS1_21radix_sort_block_sortIS4_Lb0EN6thrust23THRUST_200600_302600_NS6detail15normal_iteratorINS9_10device_ptrIiEEEESE_SE_SE_NS0_19identity_decomposerEEE10hipError_tT1_T2_T3_T4_jRjT5_jjP12ihipStream_tbEUlT_E_NS1_11comp_targetILNS1_3genE9ELNS1_11target_archE1100ELNS1_3gpuE3ELNS1_3repE0EEENS1_44radix_sort_block_sort_config_static_selectorELNS0_4arch9wavefront6targetE0EEEvSH_: ; @_ZN7rocprim17ROCPRIM_400000_NS6detail17trampoline_kernelINS0_13kernel_configILj256ELj4ELj4294967295EEENS1_37radix_sort_block_sort_config_selectorIiiEEZNS1_21radix_sort_block_sortIS4_Lb0EN6thrust23THRUST_200600_302600_NS6detail15normal_iteratorINS9_10device_ptrIiEEEESE_SE_SE_NS0_19identity_decomposerEEE10hipError_tT1_T2_T3_T4_jRjT5_jjP12ihipStream_tbEUlT_E_NS1_11comp_targetILNS1_3genE9ELNS1_11target_archE1100ELNS1_3gpuE3ELNS1_3repE0EEENS1_44radix_sort_block_sort_config_static_selectorELNS0_4arch9wavefront6targetE0EEEvSH_
; %bb.0:
	.section	.rodata,"a",@progbits
	.p2align	6, 0x0
	.amdhsa_kernel _ZN7rocprim17ROCPRIM_400000_NS6detail17trampoline_kernelINS0_13kernel_configILj256ELj4ELj4294967295EEENS1_37radix_sort_block_sort_config_selectorIiiEEZNS1_21radix_sort_block_sortIS4_Lb0EN6thrust23THRUST_200600_302600_NS6detail15normal_iteratorINS9_10device_ptrIiEEEESE_SE_SE_NS0_19identity_decomposerEEE10hipError_tT1_T2_T3_T4_jRjT5_jjP12ihipStream_tbEUlT_E_NS1_11comp_targetILNS1_3genE9ELNS1_11target_archE1100ELNS1_3gpuE3ELNS1_3repE0EEENS1_44radix_sort_block_sort_config_static_selectorELNS0_4arch9wavefront6targetE0EEEvSH_
		.amdhsa_group_segment_fixed_size 0
		.amdhsa_private_segment_fixed_size 0
		.amdhsa_kernarg_size 48
		.amdhsa_user_sgpr_count 6
		.amdhsa_user_sgpr_private_segment_buffer 1
		.amdhsa_user_sgpr_dispatch_ptr 0
		.amdhsa_user_sgpr_queue_ptr 0
		.amdhsa_user_sgpr_kernarg_segment_ptr 1
		.amdhsa_user_sgpr_dispatch_id 0
		.amdhsa_user_sgpr_flat_scratch_init 0
		.amdhsa_user_sgpr_private_segment_size 0
		.amdhsa_wavefront_size32 1
		.amdhsa_uses_dynamic_stack 0
		.amdhsa_system_sgpr_private_segment_wavefront_offset 0
		.amdhsa_system_sgpr_workgroup_id_x 1
		.amdhsa_system_sgpr_workgroup_id_y 0
		.amdhsa_system_sgpr_workgroup_id_z 0
		.amdhsa_system_sgpr_workgroup_info 0
		.amdhsa_system_vgpr_workitem_id 0
		.amdhsa_next_free_vgpr 1
		.amdhsa_next_free_sgpr 1
		.amdhsa_reserve_vcc 0
		.amdhsa_reserve_flat_scratch 0
		.amdhsa_float_round_mode_32 0
		.amdhsa_float_round_mode_16_64 0
		.amdhsa_float_denorm_mode_32 3
		.amdhsa_float_denorm_mode_16_64 3
		.amdhsa_dx10_clamp 1
		.amdhsa_ieee_mode 1
		.amdhsa_fp16_overflow 0
		.amdhsa_workgroup_processor_mode 1
		.amdhsa_memory_ordered 1
		.amdhsa_forward_progress 1
		.amdhsa_shared_vgpr_count 0
		.amdhsa_exception_fp_ieee_invalid_op 0
		.amdhsa_exception_fp_denorm_src 0
		.amdhsa_exception_fp_ieee_div_zero 0
		.amdhsa_exception_fp_ieee_overflow 0
		.amdhsa_exception_fp_ieee_underflow 0
		.amdhsa_exception_fp_ieee_inexact 0
		.amdhsa_exception_int_div_zero 0
	.end_amdhsa_kernel
	.section	.text._ZN7rocprim17ROCPRIM_400000_NS6detail17trampoline_kernelINS0_13kernel_configILj256ELj4ELj4294967295EEENS1_37radix_sort_block_sort_config_selectorIiiEEZNS1_21radix_sort_block_sortIS4_Lb0EN6thrust23THRUST_200600_302600_NS6detail15normal_iteratorINS9_10device_ptrIiEEEESE_SE_SE_NS0_19identity_decomposerEEE10hipError_tT1_T2_T3_T4_jRjT5_jjP12ihipStream_tbEUlT_E_NS1_11comp_targetILNS1_3genE9ELNS1_11target_archE1100ELNS1_3gpuE3ELNS1_3repE0EEENS1_44radix_sort_block_sort_config_static_selectorELNS0_4arch9wavefront6targetE0EEEvSH_,"axG",@progbits,_ZN7rocprim17ROCPRIM_400000_NS6detail17trampoline_kernelINS0_13kernel_configILj256ELj4ELj4294967295EEENS1_37radix_sort_block_sort_config_selectorIiiEEZNS1_21radix_sort_block_sortIS4_Lb0EN6thrust23THRUST_200600_302600_NS6detail15normal_iteratorINS9_10device_ptrIiEEEESE_SE_SE_NS0_19identity_decomposerEEE10hipError_tT1_T2_T3_T4_jRjT5_jjP12ihipStream_tbEUlT_E_NS1_11comp_targetILNS1_3genE9ELNS1_11target_archE1100ELNS1_3gpuE3ELNS1_3repE0EEENS1_44radix_sort_block_sort_config_static_selectorELNS0_4arch9wavefront6targetE0EEEvSH_,comdat
.Lfunc_end697:
	.size	_ZN7rocprim17ROCPRIM_400000_NS6detail17trampoline_kernelINS0_13kernel_configILj256ELj4ELj4294967295EEENS1_37radix_sort_block_sort_config_selectorIiiEEZNS1_21radix_sort_block_sortIS4_Lb0EN6thrust23THRUST_200600_302600_NS6detail15normal_iteratorINS9_10device_ptrIiEEEESE_SE_SE_NS0_19identity_decomposerEEE10hipError_tT1_T2_T3_T4_jRjT5_jjP12ihipStream_tbEUlT_E_NS1_11comp_targetILNS1_3genE9ELNS1_11target_archE1100ELNS1_3gpuE3ELNS1_3repE0EEENS1_44radix_sort_block_sort_config_static_selectorELNS0_4arch9wavefront6targetE0EEEvSH_, .Lfunc_end697-_ZN7rocprim17ROCPRIM_400000_NS6detail17trampoline_kernelINS0_13kernel_configILj256ELj4ELj4294967295EEENS1_37radix_sort_block_sort_config_selectorIiiEEZNS1_21radix_sort_block_sortIS4_Lb0EN6thrust23THRUST_200600_302600_NS6detail15normal_iteratorINS9_10device_ptrIiEEEESE_SE_SE_NS0_19identity_decomposerEEE10hipError_tT1_T2_T3_T4_jRjT5_jjP12ihipStream_tbEUlT_E_NS1_11comp_targetILNS1_3genE9ELNS1_11target_archE1100ELNS1_3gpuE3ELNS1_3repE0EEENS1_44radix_sort_block_sort_config_static_selectorELNS0_4arch9wavefront6targetE0EEEvSH_
                                        ; -- End function
	.set _ZN7rocprim17ROCPRIM_400000_NS6detail17trampoline_kernelINS0_13kernel_configILj256ELj4ELj4294967295EEENS1_37radix_sort_block_sort_config_selectorIiiEEZNS1_21radix_sort_block_sortIS4_Lb0EN6thrust23THRUST_200600_302600_NS6detail15normal_iteratorINS9_10device_ptrIiEEEESE_SE_SE_NS0_19identity_decomposerEEE10hipError_tT1_T2_T3_T4_jRjT5_jjP12ihipStream_tbEUlT_E_NS1_11comp_targetILNS1_3genE9ELNS1_11target_archE1100ELNS1_3gpuE3ELNS1_3repE0EEENS1_44radix_sort_block_sort_config_static_selectorELNS0_4arch9wavefront6targetE0EEEvSH_.num_vgpr, 0
	.set _ZN7rocprim17ROCPRIM_400000_NS6detail17trampoline_kernelINS0_13kernel_configILj256ELj4ELj4294967295EEENS1_37radix_sort_block_sort_config_selectorIiiEEZNS1_21radix_sort_block_sortIS4_Lb0EN6thrust23THRUST_200600_302600_NS6detail15normal_iteratorINS9_10device_ptrIiEEEESE_SE_SE_NS0_19identity_decomposerEEE10hipError_tT1_T2_T3_T4_jRjT5_jjP12ihipStream_tbEUlT_E_NS1_11comp_targetILNS1_3genE9ELNS1_11target_archE1100ELNS1_3gpuE3ELNS1_3repE0EEENS1_44radix_sort_block_sort_config_static_selectorELNS0_4arch9wavefront6targetE0EEEvSH_.num_agpr, 0
	.set _ZN7rocprim17ROCPRIM_400000_NS6detail17trampoline_kernelINS0_13kernel_configILj256ELj4ELj4294967295EEENS1_37radix_sort_block_sort_config_selectorIiiEEZNS1_21radix_sort_block_sortIS4_Lb0EN6thrust23THRUST_200600_302600_NS6detail15normal_iteratorINS9_10device_ptrIiEEEESE_SE_SE_NS0_19identity_decomposerEEE10hipError_tT1_T2_T3_T4_jRjT5_jjP12ihipStream_tbEUlT_E_NS1_11comp_targetILNS1_3genE9ELNS1_11target_archE1100ELNS1_3gpuE3ELNS1_3repE0EEENS1_44radix_sort_block_sort_config_static_selectorELNS0_4arch9wavefront6targetE0EEEvSH_.numbered_sgpr, 0
	.set _ZN7rocprim17ROCPRIM_400000_NS6detail17trampoline_kernelINS0_13kernel_configILj256ELj4ELj4294967295EEENS1_37radix_sort_block_sort_config_selectorIiiEEZNS1_21radix_sort_block_sortIS4_Lb0EN6thrust23THRUST_200600_302600_NS6detail15normal_iteratorINS9_10device_ptrIiEEEESE_SE_SE_NS0_19identity_decomposerEEE10hipError_tT1_T2_T3_T4_jRjT5_jjP12ihipStream_tbEUlT_E_NS1_11comp_targetILNS1_3genE9ELNS1_11target_archE1100ELNS1_3gpuE3ELNS1_3repE0EEENS1_44radix_sort_block_sort_config_static_selectorELNS0_4arch9wavefront6targetE0EEEvSH_.num_named_barrier, 0
	.set _ZN7rocprim17ROCPRIM_400000_NS6detail17trampoline_kernelINS0_13kernel_configILj256ELj4ELj4294967295EEENS1_37radix_sort_block_sort_config_selectorIiiEEZNS1_21radix_sort_block_sortIS4_Lb0EN6thrust23THRUST_200600_302600_NS6detail15normal_iteratorINS9_10device_ptrIiEEEESE_SE_SE_NS0_19identity_decomposerEEE10hipError_tT1_T2_T3_T4_jRjT5_jjP12ihipStream_tbEUlT_E_NS1_11comp_targetILNS1_3genE9ELNS1_11target_archE1100ELNS1_3gpuE3ELNS1_3repE0EEENS1_44radix_sort_block_sort_config_static_selectorELNS0_4arch9wavefront6targetE0EEEvSH_.private_seg_size, 0
	.set _ZN7rocprim17ROCPRIM_400000_NS6detail17trampoline_kernelINS0_13kernel_configILj256ELj4ELj4294967295EEENS1_37radix_sort_block_sort_config_selectorIiiEEZNS1_21radix_sort_block_sortIS4_Lb0EN6thrust23THRUST_200600_302600_NS6detail15normal_iteratorINS9_10device_ptrIiEEEESE_SE_SE_NS0_19identity_decomposerEEE10hipError_tT1_T2_T3_T4_jRjT5_jjP12ihipStream_tbEUlT_E_NS1_11comp_targetILNS1_3genE9ELNS1_11target_archE1100ELNS1_3gpuE3ELNS1_3repE0EEENS1_44radix_sort_block_sort_config_static_selectorELNS0_4arch9wavefront6targetE0EEEvSH_.uses_vcc, 0
	.set _ZN7rocprim17ROCPRIM_400000_NS6detail17trampoline_kernelINS0_13kernel_configILj256ELj4ELj4294967295EEENS1_37radix_sort_block_sort_config_selectorIiiEEZNS1_21radix_sort_block_sortIS4_Lb0EN6thrust23THRUST_200600_302600_NS6detail15normal_iteratorINS9_10device_ptrIiEEEESE_SE_SE_NS0_19identity_decomposerEEE10hipError_tT1_T2_T3_T4_jRjT5_jjP12ihipStream_tbEUlT_E_NS1_11comp_targetILNS1_3genE9ELNS1_11target_archE1100ELNS1_3gpuE3ELNS1_3repE0EEENS1_44radix_sort_block_sort_config_static_selectorELNS0_4arch9wavefront6targetE0EEEvSH_.uses_flat_scratch, 0
	.set _ZN7rocprim17ROCPRIM_400000_NS6detail17trampoline_kernelINS0_13kernel_configILj256ELj4ELj4294967295EEENS1_37radix_sort_block_sort_config_selectorIiiEEZNS1_21radix_sort_block_sortIS4_Lb0EN6thrust23THRUST_200600_302600_NS6detail15normal_iteratorINS9_10device_ptrIiEEEESE_SE_SE_NS0_19identity_decomposerEEE10hipError_tT1_T2_T3_T4_jRjT5_jjP12ihipStream_tbEUlT_E_NS1_11comp_targetILNS1_3genE9ELNS1_11target_archE1100ELNS1_3gpuE3ELNS1_3repE0EEENS1_44radix_sort_block_sort_config_static_selectorELNS0_4arch9wavefront6targetE0EEEvSH_.has_dyn_sized_stack, 0
	.set _ZN7rocprim17ROCPRIM_400000_NS6detail17trampoline_kernelINS0_13kernel_configILj256ELj4ELj4294967295EEENS1_37radix_sort_block_sort_config_selectorIiiEEZNS1_21radix_sort_block_sortIS4_Lb0EN6thrust23THRUST_200600_302600_NS6detail15normal_iteratorINS9_10device_ptrIiEEEESE_SE_SE_NS0_19identity_decomposerEEE10hipError_tT1_T2_T3_T4_jRjT5_jjP12ihipStream_tbEUlT_E_NS1_11comp_targetILNS1_3genE9ELNS1_11target_archE1100ELNS1_3gpuE3ELNS1_3repE0EEENS1_44radix_sort_block_sort_config_static_selectorELNS0_4arch9wavefront6targetE0EEEvSH_.has_recursion, 0
	.set _ZN7rocprim17ROCPRIM_400000_NS6detail17trampoline_kernelINS0_13kernel_configILj256ELj4ELj4294967295EEENS1_37radix_sort_block_sort_config_selectorIiiEEZNS1_21radix_sort_block_sortIS4_Lb0EN6thrust23THRUST_200600_302600_NS6detail15normal_iteratorINS9_10device_ptrIiEEEESE_SE_SE_NS0_19identity_decomposerEEE10hipError_tT1_T2_T3_T4_jRjT5_jjP12ihipStream_tbEUlT_E_NS1_11comp_targetILNS1_3genE9ELNS1_11target_archE1100ELNS1_3gpuE3ELNS1_3repE0EEENS1_44radix_sort_block_sort_config_static_selectorELNS0_4arch9wavefront6targetE0EEEvSH_.has_indirect_call, 0
	.section	.AMDGPU.csdata,"",@progbits
; Kernel info:
; codeLenInByte = 0
; TotalNumSgprs: 0
; NumVgprs: 0
; ScratchSize: 0
; MemoryBound: 0
; FloatMode: 240
; IeeeMode: 1
; LDSByteSize: 0 bytes/workgroup (compile time only)
; SGPRBlocks: 0
; VGPRBlocks: 0
; NumSGPRsForWavesPerEU: 1
; NumVGPRsForWavesPerEU: 1
; Occupancy: 16
; WaveLimiterHint : 0
; COMPUTE_PGM_RSRC2:SCRATCH_EN: 0
; COMPUTE_PGM_RSRC2:USER_SGPR: 6
; COMPUTE_PGM_RSRC2:TRAP_HANDLER: 0
; COMPUTE_PGM_RSRC2:TGID_X_EN: 1
; COMPUTE_PGM_RSRC2:TGID_Y_EN: 0
; COMPUTE_PGM_RSRC2:TGID_Z_EN: 0
; COMPUTE_PGM_RSRC2:TIDIG_COMP_CNT: 0
	.section	.text._ZN7rocprim17ROCPRIM_400000_NS6detail17trampoline_kernelINS0_13kernel_configILj256ELj4ELj4294967295EEENS1_37radix_sort_block_sort_config_selectorIiiEEZNS1_21radix_sort_block_sortIS4_Lb0EN6thrust23THRUST_200600_302600_NS6detail15normal_iteratorINS9_10device_ptrIiEEEESE_SE_SE_NS0_19identity_decomposerEEE10hipError_tT1_T2_T3_T4_jRjT5_jjP12ihipStream_tbEUlT_E_NS1_11comp_targetILNS1_3genE8ELNS1_11target_archE1030ELNS1_3gpuE2ELNS1_3repE0EEENS1_44radix_sort_block_sort_config_static_selectorELNS0_4arch9wavefront6targetE0EEEvSH_,"axG",@progbits,_ZN7rocprim17ROCPRIM_400000_NS6detail17trampoline_kernelINS0_13kernel_configILj256ELj4ELj4294967295EEENS1_37radix_sort_block_sort_config_selectorIiiEEZNS1_21radix_sort_block_sortIS4_Lb0EN6thrust23THRUST_200600_302600_NS6detail15normal_iteratorINS9_10device_ptrIiEEEESE_SE_SE_NS0_19identity_decomposerEEE10hipError_tT1_T2_T3_T4_jRjT5_jjP12ihipStream_tbEUlT_E_NS1_11comp_targetILNS1_3genE8ELNS1_11target_archE1030ELNS1_3gpuE2ELNS1_3repE0EEENS1_44radix_sort_block_sort_config_static_selectorELNS0_4arch9wavefront6targetE0EEEvSH_,comdat
	.protected	_ZN7rocprim17ROCPRIM_400000_NS6detail17trampoline_kernelINS0_13kernel_configILj256ELj4ELj4294967295EEENS1_37radix_sort_block_sort_config_selectorIiiEEZNS1_21radix_sort_block_sortIS4_Lb0EN6thrust23THRUST_200600_302600_NS6detail15normal_iteratorINS9_10device_ptrIiEEEESE_SE_SE_NS0_19identity_decomposerEEE10hipError_tT1_T2_T3_T4_jRjT5_jjP12ihipStream_tbEUlT_E_NS1_11comp_targetILNS1_3genE8ELNS1_11target_archE1030ELNS1_3gpuE2ELNS1_3repE0EEENS1_44radix_sort_block_sort_config_static_selectorELNS0_4arch9wavefront6targetE0EEEvSH_ ; -- Begin function _ZN7rocprim17ROCPRIM_400000_NS6detail17trampoline_kernelINS0_13kernel_configILj256ELj4ELj4294967295EEENS1_37radix_sort_block_sort_config_selectorIiiEEZNS1_21radix_sort_block_sortIS4_Lb0EN6thrust23THRUST_200600_302600_NS6detail15normal_iteratorINS9_10device_ptrIiEEEESE_SE_SE_NS0_19identity_decomposerEEE10hipError_tT1_T2_T3_T4_jRjT5_jjP12ihipStream_tbEUlT_E_NS1_11comp_targetILNS1_3genE8ELNS1_11target_archE1030ELNS1_3gpuE2ELNS1_3repE0EEENS1_44radix_sort_block_sort_config_static_selectorELNS0_4arch9wavefront6targetE0EEEvSH_
	.globl	_ZN7rocprim17ROCPRIM_400000_NS6detail17trampoline_kernelINS0_13kernel_configILj256ELj4ELj4294967295EEENS1_37radix_sort_block_sort_config_selectorIiiEEZNS1_21radix_sort_block_sortIS4_Lb0EN6thrust23THRUST_200600_302600_NS6detail15normal_iteratorINS9_10device_ptrIiEEEESE_SE_SE_NS0_19identity_decomposerEEE10hipError_tT1_T2_T3_T4_jRjT5_jjP12ihipStream_tbEUlT_E_NS1_11comp_targetILNS1_3genE8ELNS1_11target_archE1030ELNS1_3gpuE2ELNS1_3repE0EEENS1_44radix_sort_block_sort_config_static_selectorELNS0_4arch9wavefront6targetE0EEEvSH_
	.p2align	8
	.type	_ZN7rocprim17ROCPRIM_400000_NS6detail17trampoline_kernelINS0_13kernel_configILj256ELj4ELj4294967295EEENS1_37radix_sort_block_sort_config_selectorIiiEEZNS1_21radix_sort_block_sortIS4_Lb0EN6thrust23THRUST_200600_302600_NS6detail15normal_iteratorINS9_10device_ptrIiEEEESE_SE_SE_NS0_19identity_decomposerEEE10hipError_tT1_T2_T3_T4_jRjT5_jjP12ihipStream_tbEUlT_E_NS1_11comp_targetILNS1_3genE8ELNS1_11target_archE1030ELNS1_3gpuE2ELNS1_3repE0EEENS1_44radix_sort_block_sort_config_static_selectorELNS0_4arch9wavefront6targetE0EEEvSH_,@function
_ZN7rocprim17ROCPRIM_400000_NS6detail17trampoline_kernelINS0_13kernel_configILj256ELj4ELj4294967295EEENS1_37radix_sort_block_sort_config_selectorIiiEEZNS1_21radix_sort_block_sortIS4_Lb0EN6thrust23THRUST_200600_302600_NS6detail15normal_iteratorINS9_10device_ptrIiEEEESE_SE_SE_NS0_19identity_decomposerEEE10hipError_tT1_T2_T3_T4_jRjT5_jjP12ihipStream_tbEUlT_E_NS1_11comp_targetILNS1_3genE8ELNS1_11target_archE1030ELNS1_3gpuE2ELNS1_3repE0EEENS1_44radix_sort_block_sort_config_static_selectorELNS0_4arch9wavefront6targetE0EEEvSH_: ; @_ZN7rocprim17ROCPRIM_400000_NS6detail17trampoline_kernelINS0_13kernel_configILj256ELj4ELj4294967295EEENS1_37radix_sort_block_sort_config_selectorIiiEEZNS1_21radix_sort_block_sortIS4_Lb0EN6thrust23THRUST_200600_302600_NS6detail15normal_iteratorINS9_10device_ptrIiEEEESE_SE_SE_NS0_19identity_decomposerEEE10hipError_tT1_T2_T3_T4_jRjT5_jjP12ihipStream_tbEUlT_E_NS1_11comp_targetILNS1_3genE8ELNS1_11target_archE1030ELNS1_3gpuE2ELNS1_3repE0EEENS1_44radix_sort_block_sort_config_static_selectorELNS0_4arch9wavefront6targetE0EEEvSH_
; %bb.0:
	s_clause 0x1
	s_load_dword s0, s[4:5], 0x20
	s_load_dwordx8 s[12:19], s[4:5], 0x0
	v_lshlrev_b32_e32 v17, 2, v0
	v_mbcnt_lo_u32_b32 v13, -1, 0
	s_lshl_b32 s2, s6, 10
	s_mov_b32 s3, 0
                                        ; implicit-def: $vgpr9_vgpr10_vgpr11_vgpr12
                                        ; implicit-def: $vgpr5_vgpr6_vgpr7_vgpr8
	v_and_b32_e32 v16, 0x380, v17
	v_lshlrev_b32_e32 v15, 2, v13
	v_lshlrev_b32_e32 v14, 2, v16
	s_waitcnt lgkmcnt(0)
	s_lshr_b32 s1, s0, 10
	s_cmp_lg_u32 s6, s1
	s_cselect_b32 s25, -1, 0
	s_lshl_b64 s[20:21], s[2:3], 2
	s_add_u32 s7, s12, s20
	s_addc_u32 s8, s13, s21
	v_add_co_u32 v3, s7, s7, v15
	v_add_co_ci_u32_e64 v4, null, s8, 0, s7
	s_cmp_eq_u32 s6, s1
	v_add_co_u32 v3, vcc_lo, v3, v14
	v_add_co_ci_u32_e64 v4, null, 0, v4, vcc_lo
	s_mov_b32 s1, -1
	s_cbranch_scc0 .LBB698_24
; %bb.1:
	s_load_dwordx2 s[22:23], s[4:5], 0x28
	s_andn2_b32 vcc_lo, exec_lo, s1
	s_sub_i32 s24, s0, s2
	s_cbranch_vccz .LBB698_25
.LBB698_2:
	s_and_saveexec_b32 s0, s3
	s_cbranch_execz .LBB698_4
.LBB698_3:
	s_add_u32 s1, s16, s20
	s_addc_u32 s2, s17, s21
	v_add_co_u32 v3, s1, s1, v15
	v_add_co_ci_u32_e64 v4, null, s2, 0, s1
	v_add_co_u32 v3, vcc_lo, v3, v14
	v_add_co_ci_u32_e64 v4, null, 0, v4, vcc_lo
	global_load_dword v8, v[3:4], off offset:384
.LBB698_4:
	s_or_b32 exec_lo, exec_lo, s0
	s_load_dword s7, s[4:5], 0x3c
	s_getpc_b64 s[4:5]
	s_add_u32 s4, s4, _ZN7rocprim17ROCPRIM_400000_NS16block_radix_sortIiLj256ELj4EiLj1ELj1ELj0ELNS0_26block_radix_rank_algorithmE1ELNS0_18block_padding_hintE2ELNS0_4arch9wavefront6targetE0EE19radix_bits_per_passE@rel32@lo+4
	s_addc_u32 s5, s5, _ZN7rocprim17ROCPRIM_400000_NS16block_radix_sortIiLj256ELj4EiLj1ELj1ELj0ELNS0_26block_radix_rank_algorithmE1ELNS0_18block_padding_hintE2ELNS0_4arch9wavefront6targetE0EE19radix_bits_per_passE@rel32@hi+12
	v_sub_co_u32 v16, s2, v13, 1
	s_load_dword s16, s[4:5], 0x0
	v_lshrrev_b32_e32 v19, 3, v0
	v_or_b32_e32 v15, 31, v0
	v_cmp_gt_i32_e32 vcc_lo, 0, v16
	v_lshlrev_b32_e32 v18, 5, v0
	v_and_b32_e32 v3, 15, v13
	s_mov_b32 s26, 0
	v_and_b32_e32 v4, 16, v13
	v_mul_i32_i24_e32 v25, 0xffffffe4, v0
	v_and_b32_e32 v21, 7, v13
	v_and_b32_e32 v20, 28, v19
	s_mov_b32 s28, s26
	s_mov_b32 s27, s26
	;; [unrolled: 1-line block ×3, first 2 shown]
	v_cmp_eq_u32_e64 s9, v0, v15
	v_lshl_add_u32 v24, v13, 2, v14
	s_waitcnt lgkmcnt(0)
	s_lshr_b32 s5, s7, 16
	s_and_b32 s7, s7, 0xffff
	v_mad_u32_u24 v1, v2, s5, v1
	s_waitcnt vmcnt(6)
	v_xor_b32_e32 v9, 0x80000000, v9
	s_waitcnt vmcnt(5)
	v_xor_b32_e32 v10, 0x80000000, v10
	;; [unrolled: 2-line block ×4, first 2 shown]
	v_mad_u64_u32 v[1:2], null, v1, s7, v[0:1]
	v_cndmask_b32_e32 v2, v16, v13, vcc_lo
	v_mov_b32_e32 v13, s26
	v_mov_b32_e32 v15, s28
	v_cmp_gt_u32_e64 s0, 8, v0
	v_cmp_lt_u32_e64 s1, 31, v0
	v_cmp_eq_u32_e64 s3, 0, v0
	v_lshrrev_b32_e32 v1, 3, v1
	v_cmp_eq_u32_e64 s4, 0, v3
	v_cmp_lt_u32_e64 s5, 1, v3
	v_cmp_lt_u32_e64 s6, 3, v3
	;; [unrolled: 1-line block ×3, first 2 shown]
	v_cmp_eq_u32_e64 s8, 0, v4
	v_cmp_eq_u32_e64 s10, 0, v21
	v_cmp_lt_u32_e64 s11, 1, v21
	v_cmp_lt_u32_e64 s12, 3, v21
	v_lshlrev_b32_e32 v21, 2, v2
	v_add_nc_u32_e32 v22, -4, v20
	v_and_b32_e32 v23, 0x1ffffffc, v1
	v_mov_b32_e32 v14, s27
	v_mov_b32_e32 v16, s29
	v_add_nc_u32_e32 v19, v18, v25
	s_add_i32 s17, s23, s22
	s_branch .LBB698_6
.LBB698_5:                              ;   in Loop: Header=BB698_6 Depth=1
	s_andn2_b32 vcc_lo, exec_lo, s26
	s_mov_b32 s23, s13
	s_cbranch_vccz .LBB698_22
.LBB698_6:                              ; =>This Inner Loop Header: Depth=1
	v_mov_b32_e32 v25, v9
	s_min_u32 s13, s16, s23
	ds_write2_b64 v18, v[13:14], v[15:16] offset0:4 offset1:5
	ds_write2_b64 v18, v[13:14], v[15:16] offset0:6 offset1:7
	s_lshl_b32 s13, -1, s13
	s_waitcnt vmcnt(0) lgkmcnt(0)
	v_lshrrev_b32_e32 v1, s22, v25
	s_not_b32 s26, s13
	s_barrier
	buffer_gl0_inv
	v_and_b32_e32 v30, s26, v1
	; wave barrier
	v_and_b32_e32 v1, 1, v30
	v_lshlrev_b32_e32 v2, 30, v30
	v_lshlrev_b32_e32 v3, 29, v30
	;; [unrolled: 1-line block ×4, first 2 shown]
	v_add_co_u32 v1, s13, v1, -1
	v_cndmask_b32_e64 v9, 0, 1, s13
	v_not_b32_e32 v29, v2
	v_cmp_gt_i32_e64 s13, 0, v2
	v_not_b32_e32 v2, v3
	v_lshlrev_b32_e32 v27, 26, v30
	v_cmp_ne_u32_e32 vcc_lo, 0, v9
	v_ashrrev_i32_e32 v29, 31, v29
	v_lshlrev_b32_e32 v28, 25, v30
	v_ashrrev_i32_e32 v2, 31, v2
	v_lshlrev_b32_e32 v9, 24, v30
	v_xor_b32_e32 v1, vcc_lo, v1
	v_cmp_gt_i32_e32 vcc_lo, 0, v3
	v_not_b32_e32 v3, v4
	v_xor_b32_e32 v29, s13, v29
	v_cmp_gt_i32_e64 s13, 0, v4
	v_and_b32_e32 v1, exec_lo, v1
	v_not_b32_e32 v4, v26
	v_ashrrev_i32_e32 v3, 31, v3
	v_xor_b32_e32 v2, vcc_lo, v2
	v_cmp_gt_i32_e32 vcc_lo, 0, v26
	v_and_b32_e32 v1, v1, v29
	v_not_b32_e32 v26, v27
	v_ashrrev_i32_e32 v4, 31, v4
	v_xor_b32_e32 v3, s13, v3
	v_cmp_gt_i32_e64 s13, 0, v27
	v_and_b32_e32 v1, v1, v2
	v_not_b32_e32 v2, v28
	v_ashrrev_i32_e32 v26, 31, v26
	v_xor_b32_e32 v4, vcc_lo, v4
	v_cmp_gt_i32_e32 vcc_lo, 0, v28
	v_and_b32_e32 v1, v1, v3
	v_not_b32_e32 v3, v9
	v_ashrrev_i32_e32 v2, 31, v2
	v_xor_b32_e32 v26, s13, v26
	v_cmp_gt_i32_e64 s13, 0, v9
	v_and_b32_e32 v1, v1, v4
	v_ashrrev_i32_e32 v3, 31, v3
	v_xor_b32_e32 v2, vcc_lo, v2
	v_mov_b32_e32 v27, v11
	v_mov_b32_e32 v28, v10
	v_and_b32_e32 v1, v1, v26
	v_xor_b32_e32 v3, s13, v3
	v_mov_b32_e32 v26, v12
	v_and_b32_e32 v1, v1, v2
	v_and_b32_e32 v9, v1, v3
	v_mov_b32_e32 v1, v5
	v_mov_b32_e32 v2, v6
	;; [unrolled: 1-line block ×4, first 2 shown]
	v_mbcnt_lo_u32_b32 v29, v9, 0
	v_lshlrev_b32_e32 v5, 5, v30
	v_cmp_ne_u32_e64 s13, 0, v9
	v_cmp_eq_u32_e32 vcc_lo, 0, v29
	v_add_nc_u32_e32 v30, v23, v5
	s_and_b32 s27, s13, vcc_lo
	s_and_saveexec_b32 s13, s27
; %bb.7:                                ;   in Loop: Header=BB698_6 Depth=1
	v_bcnt_u32_b32 v5, v9, 0
	ds_write_b32 v30, v5 offset:32
; %bb.8:                                ;   in Loop: Header=BB698_6 Depth=1
	s_or_b32 exec_lo, exec_lo, s13
	v_lshrrev_b32_e32 v5, s22, v28
	; wave barrier
	v_and_b32_e32 v5, s26, v5
	v_and_b32_e32 v6, 1, v5
	v_lshlrev_b32_e32 v7, 30, v5
	v_lshlrev_b32_e32 v8, 29, v5
	;; [unrolled: 1-line block ×4, first 2 shown]
	v_add_co_u32 v6, s13, v6, -1
	v_cndmask_b32_e64 v10, 0, 1, s13
	v_not_b32_e32 v32, v7
	v_cmp_gt_i32_e64 s13, 0, v7
	v_not_b32_e32 v7, v8
	v_lshlrev_b32_e32 v12, 26, v5
	v_cmp_ne_u32_e32 vcc_lo, 0, v10
	v_ashrrev_i32_e32 v32, 31, v32
	v_lshlrev_b32_e32 v31, 25, v5
	v_ashrrev_i32_e32 v7, 31, v7
	v_lshlrev_b32_e32 v10, 24, v5
	v_xor_b32_e32 v6, vcc_lo, v6
	v_cmp_gt_i32_e32 vcc_lo, 0, v8
	v_not_b32_e32 v8, v9
	v_xor_b32_e32 v32, s13, v32
	v_cmp_gt_i32_e64 s13, 0, v9
	v_and_b32_e32 v6, exec_lo, v6
	v_not_b32_e32 v9, v11
	v_ashrrev_i32_e32 v8, 31, v8
	v_xor_b32_e32 v7, vcc_lo, v7
	v_cmp_gt_i32_e32 vcc_lo, 0, v11
	v_and_b32_e32 v6, v6, v32
	v_not_b32_e32 v11, v12
	v_ashrrev_i32_e32 v9, 31, v9
	v_xor_b32_e32 v8, s13, v8
	v_cmp_gt_i32_e64 s13, 0, v12
	v_and_b32_e32 v6, v6, v7
	v_not_b32_e32 v7, v31
	v_ashrrev_i32_e32 v11, 31, v11
	v_xor_b32_e32 v9, vcc_lo, v9
	v_cmp_gt_i32_e32 vcc_lo, 0, v31
	v_and_b32_e32 v6, v6, v8
	v_not_b32_e32 v8, v10
	v_ashrrev_i32_e32 v7, 31, v7
	v_xor_b32_e32 v11, s13, v11
	v_lshlrev_b32_e32 v5, 5, v5
	v_and_b32_e32 v6, v6, v9
	v_cmp_gt_i32_e64 s13, 0, v10
	v_ashrrev_i32_e32 v8, 31, v8
	v_xor_b32_e32 v7, vcc_lo, v7
	v_add_nc_u32_e32 v32, v23, v5
	v_and_b32_e32 v6, v6, v11
	v_xor_b32_e32 v5, s13, v8
	ds_read_b32 v31, v32 offset:32
	v_and_b32_e32 v6, v6, v7
	; wave barrier
	v_and_b32_e32 v5, v6, v5
	v_mbcnt_lo_u32_b32 v33, v5, 0
	v_cmp_ne_u32_e64 s13, 0, v5
	v_cmp_eq_u32_e32 vcc_lo, 0, v33
	s_and_b32 s27, s13, vcc_lo
	s_and_saveexec_b32 s13, s27
	s_cbranch_execz .LBB698_10
; %bb.9:                                ;   in Loop: Header=BB698_6 Depth=1
	s_waitcnt lgkmcnt(0)
	v_bcnt_u32_b32 v5, v5, v31
	ds_write_b32 v32, v5 offset:32
.LBB698_10:                             ;   in Loop: Header=BB698_6 Depth=1
	s_or_b32 exec_lo, exec_lo, s13
	v_lshrrev_b32_e32 v5, s22, v27
	; wave barrier
	v_and_b32_e32 v5, s26, v5
	v_and_b32_e32 v6, 1, v5
	v_lshlrev_b32_e32 v7, 30, v5
	v_lshlrev_b32_e32 v8, 29, v5
	;; [unrolled: 1-line block ×4, first 2 shown]
	v_add_co_u32 v6, s13, v6, -1
	v_cndmask_b32_e64 v10, 0, 1, s13
	v_not_b32_e32 v35, v7
	v_cmp_gt_i32_e64 s13, 0, v7
	v_not_b32_e32 v7, v8
	v_lshlrev_b32_e32 v12, 26, v5
	v_cmp_ne_u32_e32 vcc_lo, 0, v10
	v_ashrrev_i32_e32 v35, 31, v35
	v_lshlrev_b32_e32 v34, 25, v5
	v_ashrrev_i32_e32 v7, 31, v7
	v_lshlrev_b32_e32 v10, 24, v5
	v_xor_b32_e32 v6, vcc_lo, v6
	v_cmp_gt_i32_e32 vcc_lo, 0, v8
	v_not_b32_e32 v8, v9
	v_xor_b32_e32 v35, s13, v35
	v_cmp_gt_i32_e64 s13, 0, v9
	v_and_b32_e32 v6, exec_lo, v6
	v_not_b32_e32 v9, v11
	v_ashrrev_i32_e32 v8, 31, v8
	v_xor_b32_e32 v7, vcc_lo, v7
	v_cmp_gt_i32_e32 vcc_lo, 0, v11
	v_and_b32_e32 v6, v6, v35
	v_not_b32_e32 v11, v12
	v_ashrrev_i32_e32 v9, 31, v9
	v_xor_b32_e32 v8, s13, v8
	v_cmp_gt_i32_e64 s13, 0, v12
	v_and_b32_e32 v6, v6, v7
	v_not_b32_e32 v7, v34
	v_ashrrev_i32_e32 v11, 31, v11
	v_xor_b32_e32 v9, vcc_lo, v9
	v_cmp_gt_i32_e32 vcc_lo, 0, v34
	v_and_b32_e32 v6, v6, v8
	v_not_b32_e32 v8, v10
	v_ashrrev_i32_e32 v7, 31, v7
	v_xor_b32_e32 v11, s13, v11
	v_lshlrev_b32_e32 v5, 5, v5
	v_and_b32_e32 v6, v6, v9
	v_cmp_gt_i32_e64 s13, 0, v10
	v_ashrrev_i32_e32 v8, 31, v8
	v_xor_b32_e32 v7, vcc_lo, v7
	v_add_nc_u32_e32 v36, v23, v5
	v_and_b32_e32 v6, v6, v11
	v_xor_b32_e32 v5, s13, v8
	ds_read_b32 v34, v36 offset:32
	v_and_b32_e32 v6, v6, v7
	; wave barrier
	v_and_b32_e32 v5, v6, v5
	v_mbcnt_lo_u32_b32 v35, v5, 0
	v_cmp_ne_u32_e64 s13, 0, v5
	v_cmp_eq_u32_e32 vcc_lo, 0, v35
	s_and_b32 s27, s13, vcc_lo
	s_and_saveexec_b32 s13, s27
	s_cbranch_execz .LBB698_12
; %bb.11:                               ;   in Loop: Header=BB698_6 Depth=1
	s_waitcnt lgkmcnt(0)
	v_bcnt_u32_b32 v5, v5, v34
	ds_write_b32 v36, v5 offset:32
.LBB698_12:                             ;   in Loop: Header=BB698_6 Depth=1
	s_or_b32 exec_lo, exec_lo, s13
	v_lshrrev_b32_e32 v5, s22, v26
	; wave barrier
	v_and_b32_e32 v5, s26, v5
	v_and_b32_e32 v6, 1, v5
	v_lshlrev_b32_e32 v7, 30, v5
	v_lshlrev_b32_e32 v8, 29, v5
	;; [unrolled: 1-line block ×4, first 2 shown]
	v_add_co_u32 v6, s13, v6, -1
	v_cndmask_b32_e64 v10, 0, 1, s13
	v_not_b32_e32 v38, v7
	v_cmp_gt_i32_e64 s13, 0, v7
	v_not_b32_e32 v7, v8
	v_lshlrev_b32_e32 v12, 26, v5
	v_cmp_ne_u32_e32 vcc_lo, 0, v10
	v_ashrrev_i32_e32 v38, 31, v38
	v_lshlrev_b32_e32 v37, 25, v5
	v_ashrrev_i32_e32 v7, 31, v7
	v_lshlrev_b32_e32 v10, 24, v5
	v_xor_b32_e32 v6, vcc_lo, v6
	v_cmp_gt_i32_e32 vcc_lo, 0, v8
	v_not_b32_e32 v8, v9
	v_xor_b32_e32 v38, s13, v38
	v_cmp_gt_i32_e64 s13, 0, v9
	v_and_b32_e32 v6, exec_lo, v6
	v_not_b32_e32 v9, v11
	v_ashrrev_i32_e32 v8, 31, v8
	v_xor_b32_e32 v7, vcc_lo, v7
	v_cmp_gt_i32_e32 vcc_lo, 0, v11
	v_and_b32_e32 v6, v6, v38
	v_not_b32_e32 v11, v12
	v_ashrrev_i32_e32 v9, 31, v9
	v_xor_b32_e32 v8, s13, v8
	v_cmp_gt_i32_e64 s13, 0, v12
	v_and_b32_e32 v6, v6, v7
	v_not_b32_e32 v7, v37
	v_ashrrev_i32_e32 v11, 31, v11
	v_xor_b32_e32 v9, vcc_lo, v9
	v_cmp_gt_i32_e32 vcc_lo, 0, v37
	v_and_b32_e32 v6, v6, v8
	v_not_b32_e32 v8, v10
	v_ashrrev_i32_e32 v7, 31, v7
	v_xor_b32_e32 v11, s13, v11
	v_lshlrev_b32_e32 v5, 5, v5
	v_and_b32_e32 v6, v6, v9
	v_cmp_gt_i32_e64 s13, 0, v10
	v_ashrrev_i32_e32 v8, 31, v8
	v_xor_b32_e32 v7, vcc_lo, v7
	v_add_nc_u32_e32 v39, v23, v5
	v_and_b32_e32 v6, v6, v11
	v_xor_b32_e32 v5, s13, v8
	ds_read_b32 v37, v39 offset:32
	v_and_b32_e32 v6, v6, v7
	; wave barrier
	v_and_b32_e32 v5, v6, v5
	v_mbcnt_lo_u32_b32 v38, v5, 0
	v_cmp_ne_u32_e64 s13, 0, v5
	v_cmp_eq_u32_e32 vcc_lo, 0, v38
	s_and_b32 s26, s13, vcc_lo
	s_and_saveexec_b32 s13, s26
	s_cbranch_execz .LBB698_14
; %bb.13:                               ;   in Loop: Header=BB698_6 Depth=1
	s_waitcnt lgkmcnt(0)
	v_bcnt_u32_b32 v5, v5, v37
	ds_write_b32 v39, v5 offset:32
.LBB698_14:                             ;   in Loop: Header=BB698_6 Depth=1
	s_or_b32 exec_lo, exec_lo, s13
	; wave barrier
	s_waitcnt lgkmcnt(0)
	s_barrier
	buffer_gl0_inv
	ds_read2_b64 v[9:12], v18 offset0:4 offset1:5
	ds_read2_b64 v[5:8], v18 offset0:6 offset1:7
	s_waitcnt lgkmcnt(1)
	v_add_nc_u32_e32 v40, v10, v9
	v_add3_u32 v40, v40, v11, v12
	s_waitcnt lgkmcnt(0)
	v_add3_u32 v40, v40, v5, v6
	v_add3_u32 v8, v40, v7, v8
	v_mov_b32_dpp v40, v8 row_shr:1 row_mask:0xf bank_mask:0xf
	v_cndmask_b32_e64 v40, v40, 0, s4
	v_add_nc_u32_e32 v8, v40, v8
	v_mov_b32_dpp v40, v8 row_shr:2 row_mask:0xf bank_mask:0xf
	v_cndmask_b32_e64 v40, 0, v40, s5
	v_add_nc_u32_e32 v8, v8, v40
	v_mov_b32_dpp v40, v8 row_shr:4 row_mask:0xf bank_mask:0xf
	v_cndmask_b32_e64 v40, 0, v40, s6
	v_add_nc_u32_e32 v8, v8, v40
	v_mov_b32_dpp v40, v8 row_shr:8 row_mask:0xf bank_mask:0xf
	v_cndmask_b32_e64 v40, 0, v40, s7
	v_add_nc_u32_e32 v8, v8, v40
	ds_swizzle_b32 v40, v8 offset:swizzle(BROADCAST,32,15)
	s_waitcnt lgkmcnt(0)
	v_cndmask_b32_e64 v40, v40, 0, s8
	v_add_nc_u32_e32 v8, v8, v40
	s_and_saveexec_b32 s13, s9
; %bb.15:                               ;   in Loop: Header=BB698_6 Depth=1
	ds_write_b32 v20, v8
; %bb.16:                               ;   in Loop: Header=BB698_6 Depth=1
	s_or_b32 exec_lo, exec_lo, s13
	s_waitcnt lgkmcnt(0)
	s_barrier
	buffer_gl0_inv
	s_and_saveexec_b32 s13, s0
	s_cbranch_execz .LBB698_18
; %bb.17:                               ;   in Loop: Header=BB698_6 Depth=1
	ds_read_b32 v40, v19
	s_waitcnt lgkmcnt(0)
	v_mov_b32_dpp v41, v40 row_shr:1 row_mask:0xf bank_mask:0xf
	v_cndmask_b32_e64 v41, v41, 0, s10
	v_add_nc_u32_e32 v40, v41, v40
	v_mov_b32_dpp v41, v40 row_shr:2 row_mask:0xf bank_mask:0xf
	v_cndmask_b32_e64 v41, 0, v41, s11
	v_add_nc_u32_e32 v40, v40, v41
	v_mov_b32_dpp v41, v40 row_shr:4 row_mask:0xf bank_mask:0xf
	v_cndmask_b32_e64 v41, 0, v41, s12
	v_add_nc_u32_e32 v40, v40, v41
	ds_write_b32 v19, v40
.LBB698_18:                             ;   in Loop: Header=BB698_6 Depth=1
	s_or_b32 exec_lo, exec_lo, s13
	v_mov_b32_e32 v40, 0
	s_waitcnt lgkmcnt(0)
	s_barrier
	buffer_gl0_inv
	s_and_saveexec_b32 s13, s1
; %bb.19:                               ;   in Loop: Header=BB698_6 Depth=1
	ds_read_b32 v40, v22
; %bb.20:                               ;   in Loop: Header=BB698_6 Depth=1
	s_or_b32 exec_lo, exec_lo, s13
	s_waitcnt lgkmcnt(0)
	v_add_nc_u32_e32 v8, v40, v8
	v_readfirstlane_b32 s13, v0
	s_add_i32 s22, s22, 8
	s_mov_b32 s26, -1
	s_cmp_ge_u32 s22, s17
	ds_bpermute_b32 v8, v21, v8
	s_waitcnt lgkmcnt(0)
	v_cndmask_b32_e64 v8, v8, v40, s2
	v_cndmask_b32_e64 v8, v8, 0, s3
	v_add_nc_u32_e32 v9, v8, v9
	v_add_nc_u32_e32 v10, v9, v10
	;; [unrolled: 1-line block ×4, first 2 shown]
	v_lshlrev_b32_e32 v12, 2, v35
	v_add_nc_u32_e32 v41, v40, v5
	v_add_nc_u32_e32 v5, v41, v6
	;; [unrolled: 1-line block ×3, first 2 shown]
	ds_write2_b64 v18, v[8:9], v[10:11] offset0:4 offset1:5
	ds_write2_b64 v18, v[40:41], v[5:6] offset0:6 offset1:7
	s_waitcnt lgkmcnt(0)
	s_barrier
	buffer_gl0_inv
	ds_read_b32 v5, v32 offset:32
	ds_read_b32 v6, v36 offset:32
	;; [unrolled: 1-line block ×4, first 2 shown]
	v_lshlrev_b32_e32 v9, 2, v29
	v_lshlrev_b32_e32 v10, 2, v33
	;; [unrolled: 1-line block ×6, first 2 shown]
	s_waitcnt lgkmcnt(0)
	v_lshlrev_b32_e32 v5, 2, v5
	v_lshlrev_b32_e32 v6, 2, v6
	v_lshlrev_b32_e32 v7, 2, v7
	v_lshl_add_u32 v29, v8, 2, v9
	v_add3_u32 v30, v10, v11, v5
	v_add3_u32 v31, v12, v31, v6
	;; [unrolled: 1-line block ×3, first 2 shown]
                                        ; implicit-def: $vgpr12
                                        ; implicit-def: $vgpr10
                                        ; implicit-def: $vgpr5_vgpr6_vgpr7_vgpr8
	s_cbranch_scc1 .LBB698_5
; %bb.21:                               ;   in Loop: Header=BB698_6 Depth=1
	s_barrier
	buffer_gl0_inv
	ds_write_b32 v29, v25
	ds_write_b32 v30, v28
	;; [unrolled: 1-line block ×4, first 2 shown]
	s_waitcnt lgkmcnt(0)
	s_barrier
	buffer_gl0_inv
	ds_read2_b32 v[9:10], v24 offset1:32
	ds_read2_b32 v[11:12], v24 offset0:64 offset1:96
	s_waitcnt lgkmcnt(0)
	s_barrier
	buffer_gl0_inv
	ds_write_b32 v29, v1
	ds_write_b32 v30, v2
	;; [unrolled: 1-line block ×4, first 2 shown]
	s_waitcnt lgkmcnt(0)
	s_barrier
	buffer_gl0_inv
	ds_read2_b32 v[5:6], v24 offset1:32
	ds_read2_b32 v[7:8], v24 offset0:64 offset1:96
	s_add_i32 s13, s23, -8
	s_mov_b32 s26, 0
	s_waitcnt lgkmcnt(0)
	s_barrier
	buffer_gl0_inv
	s_branch .LBB698_5
.LBB698_22:
	s_barrier
	buffer_gl0_inv
	ds_write_b32 v29, v25
	ds_write_b32 v30, v28
	;; [unrolled: 1-line block ×4, first 2 shown]
	s_waitcnt lgkmcnt(0)
	s_barrier
	buffer_gl0_inv
	ds_read2st64_b32 v[5:6], v19 offset1:4
	ds_read2st64_b32 v[11:12], v19 offset0:8 offset1:12
	s_waitcnt lgkmcnt(0)
	s_barrier
	buffer_gl0_inv
	ds_write_b32 v29, v1
	ds_write_b32 v30, v2
	;; [unrolled: 1-line block ×4, first 2 shown]
	s_waitcnt lgkmcnt(0)
	s_barrier
	buffer_gl0_inv
	ds_read2st64_b32 v[3:4], v19 offset1:4
	ds_read2st64_b32 v[1:2], v19 offset0:8 offset1:12
	s_add_u32 s0, s14, s20
	s_addc_u32 s1, s15, s21
	s_andn2_b32 vcc_lo, exec_lo, s25
	v_xor_b32_e32 v10, 0x80000000, v5
	v_add_co_u32 v5, s0, s0, v17
	v_xor_b32_e32 v9, 0x80000000, v6
	v_xor_b32_e32 v8, 0x80000000, v11
	;; [unrolled: 1-line block ×3, first 2 shown]
	v_add_co_ci_u32_e64 v6, null, s1, 0, s0
	s_cbranch_vccnz .LBB698_38
; %bb.23:
	s_add_u32 s2, s18, s20
	s_addc_u32 s3, s19, s21
	v_add_co_u32 v13, s1, s2, v17
	v_add_co_ci_u32_e64 v14, null, s3, 0, s1
	v_add_co_u32 v11, vcc_lo, 0x800, v5
	v_add_co_ci_u32_e64 v12, null, 0, v6, vcc_lo
	v_add_co_u32 v13, vcc_lo, 0x800, v13
	v_add_co_ci_u32_e64 v14, null, 0, v14, vcc_lo
	global_store_dword v[5:6], v10, off
	global_store_dword v[5:6], v9, off offset:1024
	global_store_dword v[11:12], v8, off
	global_store_dword v[11:12], v7, off offset:1024
	s_waitcnt lgkmcnt(1)
	global_store_dword v17, v3, s[2:3]
	global_store_dword v17, v4, s[2:3] offset:1024
	s_mov_b32 s3, -1
	s_waitcnt lgkmcnt(0)
	global_store_dword v[13:14], v1, off
	s_cbranch_execz .LBB698_39
	s_branch .LBB698_52
.LBB698_24:
	s_add_u32 s1, s16, s20
	s_addc_u32 s3, s17, s21
	v_add_co_u32 v5, s1, s1, v15
	v_add_co_ci_u32_e64 v6, null, s3, 0, s1
	v_add_co_u32 v7, vcc_lo, v5, v14
	v_add_co_ci_u32_e64 v8, null, 0, v6, vcc_lo
	s_clause 0x3
	global_load_dword v9, v[3:4], off
	global_load_dword v10, v[3:4], off offset:128
	global_load_dword v11, v[3:4], off offset:256
	;; [unrolled: 1-line block ×3, first 2 shown]
	s_clause 0x2
	global_load_dword v5, v[7:8], off
	global_load_dword v6, v[7:8], off offset:128
	global_load_dword v7, v[7:8], off offset:256
	s_mov_b32 s3, -1
	s_load_dwordx2 s[22:23], s[4:5], 0x28
	s_sub_i32 s24, s0, s2
	s_cbranch_execnz .LBB698_2
.LBB698_25:
	s_waitcnt vmcnt(2)
	v_or_b32_e32 v5, v13, v16
	v_bfrev_b32_e32 v9, -2
	v_cmp_gt_u32_e32 vcc_lo, s24, v5
	v_mov_b32_e32 v10, v9
	v_mov_b32_e32 v11, v9
	;; [unrolled: 1-line block ×3, first 2 shown]
	s_and_saveexec_b32 s0, vcc_lo
	s_cbranch_execz .LBB698_27
; %bb.26:
	global_load_dword v6, v[3:4], off
	s_waitcnt vmcnt(1)
	v_mov_b32_e32 v7, v9
	v_mov_b32_e32 v8, v9
	s_waitcnt vmcnt(0)
	v_mov_b32_e32 v12, v9
	v_mov_b32_e32 v10, v7
	;; [unrolled: 1-line block ×4, first 2 shown]
.LBB698_27:
	s_or_b32 exec_lo, exec_lo, s0
	s_waitcnt vmcnt(1)
	v_or_b32_e32 v6, 32, v5
	v_cmp_gt_u32_e64 s0, s24, v6
	s_and_saveexec_b32 s1, s0
	s_cbranch_execz .LBB698_29
; %bb.28:
	global_load_dword v10, v[3:4], off offset:128
.LBB698_29:
	s_or_b32 exec_lo, exec_lo, s1
	v_or_b32_e32 v6, 64, v5
	v_cmp_gt_u32_e64 s1, s24, v6
	s_and_saveexec_b32 s2, s1
	s_cbranch_execz .LBB698_31
; %bb.30:
	global_load_dword v11, v[3:4], off offset:256
.LBB698_31:
	s_or_b32 exec_lo, exec_lo, s2
	;; [unrolled: 8-line block ×3, first 2 shown]
	s_add_u32 s2, s16, s20
	s_addc_u32 s6, s17, s21
	v_add_co_u32 v3, s2, s2, v15
	v_add_co_ci_u32_e64 v4, null, s6, 0, s2
	v_mov_b32_e32 v5, 0
	v_add_co_u32 v3, s2, v3, v14
	v_add_co_ci_u32_e64 v4, null, 0, v4, s2
	v_mov_b32_e32 v6, v5
	s_waitcnt vmcnt(0)
	v_mov_b32_e32 v7, v5
	v_mov_b32_e32 v8, v5
	s_and_saveexec_b32 s2, vcc_lo
	s_cbranch_execnz .LBB698_55
; %bb.34:
	s_or_b32 exec_lo, exec_lo, s2
	s_and_saveexec_b32 s2, s0
	s_cbranch_execnz .LBB698_56
.LBB698_35:
	s_or_b32 exec_lo, exec_lo, s2
	s_and_saveexec_b32 s0, s1
	s_cbranch_execz .LBB698_37
.LBB698_36:
	global_load_dword v7, v[3:4], off offset:256
.LBB698_37:
	s_or_b32 exec_lo, exec_lo, s0
	s_and_saveexec_b32 s0, s3
	s_cbranch_execnz .LBB698_3
	s_branch .LBB698_4
.LBB698_38:
	s_mov_b32 s3, 0
.LBB698_39:
	v_cmp_gt_u32_e32 vcc_lo, s24, v0
	s_and_saveexec_b32 s0, vcc_lo
	s_cbranch_execz .LBB698_41
; %bb.40:
	global_store_dword v[5:6], v10, off
.LBB698_41:
	s_or_b32 exec_lo, exec_lo, s0
	v_or_b32_e32 v10, 0x100, v0
	v_cmp_gt_u32_e64 s0, s24, v10
	s_and_saveexec_b32 s1, s0
	s_cbranch_execz .LBB698_43
; %bb.42:
	global_store_dword v[5:6], v9, off offset:1024
.LBB698_43:
	s_or_b32 exec_lo, exec_lo, s1
	v_or_b32_e32 v9, 0x200, v0
	v_cmp_gt_u32_e64 s1, s24, v9
	s_and_saveexec_b32 s3, s1
	s_cbranch_execz .LBB698_45
; %bb.44:
	v_add_co_u32 v9, s2, 0x800, v5
	v_add_co_ci_u32_e64 v10, null, 0, v6, s2
	global_store_dword v[9:10], v8, off
.LBB698_45:
	s_or_b32 exec_lo, exec_lo, s3
	v_or_b32_e32 v0, 0x300, v0
	v_cmp_gt_u32_e64 s3, s24, v0
	s_and_saveexec_b32 s4, s3
	s_cbranch_execz .LBB698_47
; %bb.46:
	v_add_co_u32 v5, s2, 0x800, v5
	v_add_co_ci_u32_e64 v6, null, 0, v6, s2
	global_store_dword v[5:6], v7, off offset:1024
.LBB698_47:
	s_or_b32 exec_lo, exec_lo, s4
	s_add_u32 s2, s18, s20
	s_addc_u32 s4, s19, s21
	v_add_co_u32 v5, s2, s2, v17
	v_add_co_ci_u32_e64 v6, null, s4, 0, s2
	s_and_saveexec_b32 s2, vcc_lo
	s_cbranch_execnz .LBB698_57
; %bb.48:
	s_or_b32 exec_lo, exec_lo, s2
	s_and_saveexec_b32 s2, s0
	s_cbranch_execnz .LBB698_58
.LBB698_49:
	s_or_b32 exec_lo, exec_lo, s2
	s_and_saveexec_b32 s0, s1
	s_cbranch_execz .LBB698_51
.LBB698_50:
	s_waitcnt lgkmcnt(1)
	v_add_co_u32 v3, vcc_lo, 0x800, v5
	v_add_co_ci_u32_e64 v4, null, 0, v6, vcc_lo
	s_waitcnt lgkmcnt(0)
	global_store_dword v[3:4], v1, off
.LBB698_51:
	s_or_b32 exec_lo, exec_lo, s0
.LBB698_52:
	s_and_saveexec_b32 s0, s3
	s_cbranch_execnz .LBB698_54
; %bb.53:
	s_endpgm
.LBB698_54:
	s_add_u32 s0, s18, s20
	s_addc_u32 s1, s19, s21
	v_add_co_u32 v0, s0, s0, v17
	s_waitcnt lgkmcnt(0)
	v_add_co_ci_u32_e64 v1, null, s1, 0, s0
	v_add_co_u32 v0, vcc_lo, 0x800, v0
	v_add_co_ci_u32_e64 v1, null, 0, v1, vcc_lo
	global_store_dword v[0:1], v2, off offset:1024
	s_endpgm
.LBB698_55:
	global_load_dword v18, v[3:4], off
	v_mov_b32_e32 v19, v5
	v_mov_b32_e32 v20, v5
	;; [unrolled: 1-line block ×3, first 2 shown]
	s_waitcnt vmcnt(0)
	v_mov_b32_e32 v5, v18
	v_mov_b32_e32 v6, v19
	;; [unrolled: 1-line block ×4, first 2 shown]
	s_or_b32 exec_lo, exec_lo, s2
	s_and_saveexec_b32 s2, s0
	s_cbranch_execz .LBB698_35
.LBB698_56:
	global_load_dword v6, v[3:4], off offset:128
	s_or_b32 exec_lo, exec_lo, s2
	s_and_saveexec_b32 s0, s1
	s_cbranch_execnz .LBB698_36
	s_branch .LBB698_37
.LBB698_57:
	s_waitcnt lgkmcnt(1)
	global_store_dword v[5:6], v3, off
	s_or_b32 exec_lo, exec_lo, s2
	s_and_saveexec_b32 s2, s0
	s_cbranch_execz .LBB698_49
.LBB698_58:
	s_waitcnt lgkmcnt(1)
	global_store_dword v[5:6], v4, off offset:1024
	s_or_b32 exec_lo, exec_lo, s2
	s_and_saveexec_b32 s0, s1
	s_cbranch_execnz .LBB698_50
	s_branch .LBB698_51
	.section	.rodata,"a",@progbits
	.p2align	6, 0x0
	.amdhsa_kernel _ZN7rocprim17ROCPRIM_400000_NS6detail17trampoline_kernelINS0_13kernel_configILj256ELj4ELj4294967295EEENS1_37radix_sort_block_sort_config_selectorIiiEEZNS1_21radix_sort_block_sortIS4_Lb0EN6thrust23THRUST_200600_302600_NS6detail15normal_iteratorINS9_10device_ptrIiEEEESE_SE_SE_NS0_19identity_decomposerEEE10hipError_tT1_T2_T3_T4_jRjT5_jjP12ihipStream_tbEUlT_E_NS1_11comp_targetILNS1_3genE8ELNS1_11target_archE1030ELNS1_3gpuE2ELNS1_3repE0EEENS1_44radix_sort_block_sort_config_static_selectorELNS0_4arch9wavefront6targetE0EEEvSH_
		.amdhsa_group_segment_fixed_size 8224
		.amdhsa_private_segment_fixed_size 0
		.amdhsa_kernarg_size 304
		.amdhsa_user_sgpr_count 6
		.amdhsa_user_sgpr_private_segment_buffer 1
		.amdhsa_user_sgpr_dispatch_ptr 0
		.amdhsa_user_sgpr_queue_ptr 0
		.amdhsa_user_sgpr_kernarg_segment_ptr 1
		.amdhsa_user_sgpr_dispatch_id 0
		.amdhsa_user_sgpr_flat_scratch_init 0
		.amdhsa_user_sgpr_private_segment_size 0
		.amdhsa_wavefront_size32 1
		.amdhsa_uses_dynamic_stack 0
		.amdhsa_system_sgpr_private_segment_wavefront_offset 0
		.amdhsa_system_sgpr_workgroup_id_x 1
		.amdhsa_system_sgpr_workgroup_id_y 0
		.amdhsa_system_sgpr_workgroup_id_z 0
		.amdhsa_system_sgpr_workgroup_info 0
		.amdhsa_system_vgpr_workitem_id 2
		.amdhsa_next_free_vgpr 42
		.amdhsa_next_free_sgpr 30
		.amdhsa_reserve_vcc 1
		.amdhsa_reserve_flat_scratch 0
		.amdhsa_float_round_mode_32 0
		.amdhsa_float_round_mode_16_64 0
		.amdhsa_float_denorm_mode_32 3
		.amdhsa_float_denorm_mode_16_64 3
		.amdhsa_dx10_clamp 1
		.amdhsa_ieee_mode 1
		.amdhsa_fp16_overflow 0
		.amdhsa_workgroup_processor_mode 1
		.amdhsa_memory_ordered 1
		.amdhsa_forward_progress 1
		.amdhsa_shared_vgpr_count 0
		.amdhsa_exception_fp_ieee_invalid_op 0
		.amdhsa_exception_fp_denorm_src 0
		.amdhsa_exception_fp_ieee_div_zero 0
		.amdhsa_exception_fp_ieee_overflow 0
		.amdhsa_exception_fp_ieee_underflow 0
		.amdhsa_exception_fp_ieee_inexact 0
		.amdhsa_exception_int_div_zero 0
	.end_amdhsa_kernel
	.section	.text._ZN7rocprim17ROCPRIM_400000_NS6detail17trampoline_kernelINS0_13kernel_configILj256ELj4ELj4294967295EEENS1_37radix_sort_block_sort_config_selectorIiiEEZNS1_21radix_sort_block_sortIS4_Lb0EN6thrust23THRUST_200600_302600_NS6detail15normal_iteratorINS9_10device_ptrIiEEEESE_SE_SE_NS0_19identity_decomposerEEE10hipError_tT1_T2_T3_T4_jRjT5_jjP12ihipStream_tbEUlT_E_NS1_11comp_targetILNS1_3genE8ELNS1_11target_archE1030ELNS1_3gpuE2ELNS1_3repE0EEENS1_44radix_sort_block_sort_config_static_selectorELNS0_4arch9wavefront6targetE0EEEvSH_,"axG",@progbits,_ZN7rocprim17ROCPRIM_400000_NS6detail17trampoline_kernelINS0_13kernel_configILj256ELj4ELj4294967295EEENS1_37radix_sort_block_sort_config_selectorIiiEEZNS1_21radix_sort_block_sortIS4_Lb0EN6thrust23THRUST_200600_302600_NS6detail15normal_iteratorINS9_10device_ptrIiEEEESE_SE_SE_NS0_19identity_decomposerEEE10hipError_tT1_T2_T3_T4_jRjT5_jjP12ihipStream_tbEUlT_E_NS1_11comp_targetILNS1_3genE8ELNS1_11target_archE1030ELNS1_3gpuE2ELNS1_3repE0EEENS1_44radix_sort_block_sort_config_static_selectorELNS0_4arch9wavefront6targetE0EEEvSH_,comdat
.Lfunc_end698:
	.size	_ZN7rocprim17ROCPRIM_400000_NS6detail17trampoline_kernelINS0_13kernel_configILj256ELj4ELj4294967295EEENS1_37radix_sort_block_sort_config_selectorIiiEEZNS1_21radix_sort_block_sortIS4_Lb0EN6thrust23THRUST_200600_302600_NS6detail15normal_iteratorINS9_10device_ptrIiEEEESE_SE_SE_NS0_19identity_decomposerEEE10hipError_tT1_T2_T3_T4_jRjT5_jjP12ihipStream_tbEUlT_E_NS1_11comp_targetILNS1_3genE8ELNS1_11target_archE1030ELNS1_3gpuE2ELNS1_3repE0EEENS1_44radix_sort_block_sort_config_static_selectorELNS0_4arch9wavefront6targetE0EEEvSH_, .Lfunc_end698-_ZN7rocprim17ROCPRIM_400000_NS6detail17trampoline_kernelINS0_13kernel_configILj256ELj4ELj4294967295EEENS1_37radix_sort_block_sort_config_selectorIiiEEZNS1_21radix_sort_block_sortIS4_Lb0EN6thrust23THRUST_200600_302600_NS6detail15normal_iteratorINS9_10device_ptrIiEEEESE_SE_SE_NS0_19identity_decomposerEEE10hipError_tT1_T2_T3_T4_jRjT5_jjP12ihipStream_tbEUlT_E_NS1_11comp_targetILNS1_3genE8ELNS1_11target_archE1030ELNS1_3gpuE2ELNS1_3repE0EEENS1_44radix_sort_block_sort_config_static_selectorELNS0_4arch9wavefront6targetE0EEEvSH_
                                        ; -- End function
	.set _ZN7rocprim17ROCPRIM_400000_NS6detail17trampoline_kernelINS0_13kernel_configILj256ELj4ELj4294967295EEENS1_37radix_sort_block_sort_config_selectorIiiEEZNS1_21radix_sort_block_sortIS4_Lb0EN6thrust23THRUST_200600_302600_NS6detail15normal_iteratorINS9_10device_ptrIiEEEESE_SE_SE_NS0_19identity_decomposerEEE10hipError_tT1_T2_T3_T4_jRjT5_jjP12ihipStream_tbEUlT_E_NS1_11comp_targetILNS1_3genE8ELNS1_11target_archE1030ELNS1_3gpuE2ELNS1_3repE0EEENS1_44radix_sort_block_sort_config_static_selectorELNS0_4arch9wavefront6targetE0EEEvSH_.num_vgpr, 42
	.set _ZN7rocprim17ROCPRIM_400000_NS6detail17trampoline_kernelINS0_13kernel_configILj256ELj4ELj4294967295EEENS1_37radix_sort_block_sort_config_selectorIiiEEZNS1_21radix_sort_block_sortIS4_Lb0EN6thrust23THRUST_200600_302600_NS6detail15normal_iteratorINS9_10device_ptrIiEEEESE_SE_SE_NS0_19identity_decomposerEEE10hipError_tT1_T2_T3_T4_jRjT5_jjP12ihipStream_tbEUlT_E_NS1_11comp_targetILNS1_3genE8ELNS1_11target_archE1030ELNS1_3gpuE2ELNS1_3repE0EEENS1_44radix_sort_block_sort_config_static_selectorELNS0_4arch9wavefront6targetE0EEEvSH_.num_agpr, 0
	.set _ZN7rocprim17ROCPRIM_400000_NS6detail17trampoline_kernelINS0_13kernel_configILj256ELj4ELj4294967295EEENS1_37radix_sort_block_sort_config_selectorIiiEEZNS1_21radix_sort_block_sortIS4_Lb0EN6thrust23THRUST_200600_302600_NS6detail15normal_iteratorINS9_10device_ptrIiEEEESE_SE_SE_NS0_19identity_decomposerEEE10hipError_tT1_T2_T3_T4_jRjT5_jjP12ihipStream_tbEUlT_E_NS1_11comp_targetILNS1_3genE8ELNS1_11target_archE1030ELNS1_3gpuE2ELNS1_3repE0EEENS1_44radix_sort_block_sort_config_static_selectorELNS0_4arch9wavefront6targetE0EEEvSH_.numbered_sgpr, 30
	.set _ZN7rocprim17ROCPRIM_400000_NS6detail17trampoline_kernelINS0_13kernel_configILj256ELj4ELj4294967295EEENS1_37radix_sort_block_sort_config_selectorIiiEEZNS1_21radix_sort_block_sortIS4_Lb0EN6thrust23THRUST_200600_302600_NS6detail15normal_iteratorINS9_10device_ptrIiEEEESE_SE_SE_NS0_19identity_decomposerEEE10hipError_tT1_T2_T3_T4_jRjT5_jjP12ihipStream_tbEUlT_E_NS1_11comp_targetILNS1_3genE8ELNS1_11target_archE1030ELNS1_3gpuE2ELNS1_3repE0EEENS1_44radix_sort_block_sort_config_static_selectorELNS0_4arch9wavefront6targetE0EEEvSH_.num_named_barrier, 0
	.set _ZN7rocprim17ROCPRIM_400000_NS6detail17trampoline_kernelINS0_13kernel_configILj256ELj4ELj4294967295EEENS1_37radix_sort_block_sort_config_selectorIiiEEZNS1_21radix_sort_block_sortIS4_Lb0EN6thrust23THRUST_200600_302600_NS6detail15normal_iteratorINS9_10device_ptrIiEEEESE_SE_SE_NS0_19identity_decomposerEEE10hipError_tT1_T2_T3_T4_jRjT5_jjP12ihipStream_tbEUlT_E_NS1_11comp_targetILNS1_3genE8ELNS1_11target_archE1030ELNS1_3gpuE2ELNS1_3repE0EEENS1_44radix_sort_block_sort_config_static_selectorELNS0_4arch9wavefront6targetE0EEEvSH_.private_seg_size, 0
	.set _ZN7rocprim17ROCPRIM_400000_NS6detail17trampoline_kernelINS0_13kernel_configILj256ELj4ELj4294967295EEENS1_37radix_sort_block_sort_config_selectorIiiEEZNS1_21radix_sort_block_sortIS4_Lb0EN6thrust23THRUST_200600_302600_NS6detail15normal_iteratorINS9_10device_ptrIiEEEESE_SE_SE_NS0_19identity_decomposerEEE10hipError_tT1_T2_T3_T4_jRjT5_jjP12ihipStream_tbEUlT_E_NS1_11comp_targetILNS1_3genE8ELNS1_11target_archE1030ELNS1_3gpuE2ELNS1_3repE0EEENS1_44radix_sort_block_sort_config_static_selectorELNS0_4arch9wavefront6targetE0EEEvSH_.uses_vcc, 1
	.set _ZN7rocprim17ROCPRIM_400000_NS6detail17trampoline_kernelINS0_13kernel_configILj256ELj4ELj4294967295EEENS1_37radix_sort_block_sort_config_selectorIiiEEZNS1_21radix_sort_block_sortIS4_Lb0EN6thrust23THRUST_200600_302600_NS6detail15normal_iteratorINS9_10device_ptrIiEEEESE_SE_SE_NS0_19identity_decomposerEEE10hipError_tT1_T2_T3_T4_jRjT5_jjP12ihipStream_tbEUlT_E_NS1_11comp_targetILNS1_3genE8ELNS1_11target_archE1030ELNS1_3gpuE2ELNS1_3repE0EEENS1_44radix_sort_block_sort_config_static_selectorELNS0_4arch9wavefront6targetE0EEEvSH_.uses_flat_scratch, 0
	.set _ZN7rocprim17ROCPRIM_400000_NS6detail17trampoline_kernelINS0_13kernel_configILj256ELj4ELj4294967295EEENS1_37radix_sort_block_sort_config_selectorIiiEEZNS1_21radix_sort_block_sortIS4_Lb0EN6thrust23THRUST_200600_302600_NS6detail15normal_iteratorINS9_10device_ptrIiEEEESE_SE_SE_NS0_19identity_decomposerEEE10hipError_tT1_T2_T3_T4_jRjT5_jjP12ihipStream_tbEUlT_E_NS1_11comp_targetILNS1_3genE8ELNS1_11target_archE1030ELNS1_3gpuE2ELNS1_3repE0EEENS1_44radix_sort_block_sort_config_static_selectorELNS0_4arch9wavefront6targetE0EEEvSH_.has_dyn_sized_stack, 0
	.set _ZN7rocprim17ROCPRIM_400000_NS6detail17trampoline_kernelINS0_13kernel_configILj256ELj4ELj4294967295EEENS1_37radix_sort_block_sort_config_selectorIiiEEZNS1_21radix_sort_block_sortIS4_Lb0EN6thrust23THRUST_200600_302600_NS6detail15normal_iteratorINS9_10device_ptrIiEEEESE_SE_SE_NS0_19identity_decomposerEEE10hipError_tT1_T2_T3_T4_jRjT5_jjP12ihipStream_tbEUlT_E_NS1_11comp_targetILNS1_3genE8ELNS1_11target_archE1030ELNS1_3gpuE2ELNS1_3repE0EEENS1_44radix_sort_block_sort_config_static_selectorELNS0_4arch9wavefront6targetE0EEEvSH_.has_recursion, 0
	.set _ZN7rocprim17ROCPRIM_400000_NS6detail17trampoline_kernelINS0_13kernel_configILj256ELj4ELj4294967295EEENS1_37radix_sort_block_sort_config_selectorIiiEEZNS1_21radix_sort_block_sortIS4_Lb0EN6thrust23THRUST_200600_302600_NS6detail15normal_iteratorINS9_10device_ptrIiEEEESE_SE_SE_NS0_19identity_decomposerEEE10hipError_tT1_T2_T3_T4_jRjT5_jjP12ihipStream_tbEUlT_E_NS1_11comp_targetILNS1_3genE8ELNS1_11target_archE1030ELNS1_3gpuE2ELNS1_3repE0EEENS1_44radix_sort_block_sort_config_static_selectorELNS0_4arch9wavefront6targetE0EEEvSH_.has_indirect_call, 0
	.section	.AMDGPU.csdata,"",@progbits
; Kernel info:
; codeLenInByte = 3796
; TotalNumSgprs: 32
; NumVgprs: 42
; ScratchSize: 0
; MemoryBound: 0
; FloatMode: 240
; IeeeMode: 1
; LDSByteSize: 8224 bytes/workgroup (compile time only)
; SGPRBlocks: 0
; VGPRBlocks: 5
; NumSGPRsForWavesPerEU: 32
; NumVGPRsForWavesPerEU: 42
; Occupancy: 16
; WaveLimiterHint : 1
; COMPUTE_PGM_RSRC2:SCRATCH_EN: 0
; COMPUTE_PGM_RSRC2:USER_SGPR: 6
; COMPUTE_PGM_RSRC2:TRAP_HANDLER: 0
; COMPUTE_PGM_RSRC2:TGID_X_EN: 1
; COMPUTE_PGM_RSRC2:TGID_Y_EN: 0
; COMPUTE_PGM_RSRC2:TGID_Z_EN: 0
; COMPUTE_PGM_RSRC2:TIDIG_COMP_CNT: 2
	.section	.text._ZN7rocprim17ROCPRIM_400000_NS6detail44device_merge_sort_compile_time_verifier_archINS1_11comp_targetILNS1_3genE0ELNS1_11target_archE4294967295ELNS1_3gpuE0ELNS1_3repE0EEES8_NS1_28merge_sort_block_sort_configILj256ELj4ELNS0_20block_sort_algorithmE0EEENS0_14default_configENS1_37merge_sort_block_sort_config_selectorIiiEENS1_38merge_sort_block_merge_config_selectorIiiEEEEvv,"axG",@progbits,_ZN7rocprim17ROCPRIM_400000_NS6detail44device_merge_sort_compile_time_verifier_archINS1_11comp_targetILNS1_3genE0ELNS1_11target_archE4294967295ELNS1_3gpuE0ELNS1_3repE0EEES8_NS1_28merge_sort_block_sort_configILj256ELj4ELNS0_20block_sort_algorithmE0EEENS0_14default_configENS1_37merge_sort_block_sort_config_selectorIiiEENS1_38merge_sort_block_merge_config_selectorIiiEEEEvv,comdat
	.protected	_ZN7rocprim17ROCPRIM_400000_NS6detail44device_merge_sort_compile_time_verifier_archINS1_11comp_targetILNS1_3genE0ELNS1_11target_archE4294967295ELNS1_3gpuE0ELNS1_3repE0EEES8_NS1_28merge_sort_block_sort_configILj256ELj4ELNS0_20block_sort_algorithmE0EEENS0_14default_configENS1_37merge_sort_block_sort_config_selectorIiiEENS1_38merge_sort_block_merge_config_selectorIiiEEEEvv ; -- Begin function _ZN7rocprim17ROCPRIM_400000_NS6detail44device_merge_sort_compile_time_verifier_archINS1_11comp_targetILNS1_3genE0ELNS1_11target_archE4294967295ELNS1_3gpuE0ELNS1_3repE0EEES8_NS1_28merge_sort_block_sort_configILj256ELj4ELNS0_20block_sort_algorithmE0EEENS0_14default_configENS1_37merge_sort_block_sort_config_selectorIiiEENS1_38merge_sort_block_merge_config_selectorIiiEEEEvv
	.globl	_ZN7rocprim17ROCPRIM_400000_NS6detail44device_merge_sort_compile_time_verifier_archINS1_11comp_targetILNS1_3genE0ELNS1_11target_archE4294967295ELNS1_3gpuE0ELNS1_3repE0EEES8_NS1_28merge_sort_block_sort_configILj256ELj4ELNS0_20block_sort_algorithmE0EEENS0_14default_configENS1_37merge_sort_block_sort_config_selectorIiiEENS1_38merge_sort_block_merge_config_selectorIiiEEEEvv
	.p2align	8
	.type	_ZN7rocprim17ROCPRIM_400000_NS6detail44device_merge_sort_compile_time_verifier_archINS1_11comp_targetILNS1_3genE0ELNS1_11target_archE4294967295ELNS1_3gpuE0ELNS1_3repE0EEES8_NS1_28merge_sort_block_sort_configILj256ELj4ELNS0_20block_sort_algorithmE0EEENS0_14default_configENS1_37merge_sort_block_sort_config_selectorIiiEENS1_38merge_sort_block_merge_config_selectorIiiEEEEvv,@function
_ZN7rocprim17ROCPRIM_400000_NS6detail44device_merge_sort_compile_time_verifier_archINS1_11comp_targetILNS1_3genE0ELNS1_11target_archE4294967295ELNS1_3gpuE0ELNS1_3repE0EEES8_NS1_28merge_sort_block_sort_configILj256ELj4ELNS0_20block_sort_algorithmE0EEENS0_14default_configENS1_37merge_sort_block_sort_config_selectorIiiEENS1_38merge_sort_block_merge_config_selectorIiiEEEEvv: ; @_ZN7rocprim17ROCPRIM_400000_NS6detail44device_merge_sort_compile_time_verifier_archINS1_11comp_targetILNS1_3genE0ELNS1_11target_archE4294967295ELNS1_3gpuE0ELNS1_3repE0EEES8_NS1_28merge_sort_block_sort_configILj256ELj4ELNS0_20block_sort_algorithmE0EEENS0_14default_configENS1_37merge_sort_block_sort_config_selectorIiiEENS1_38merge_sort_block_merge_config_selectorIiiEEEEvv
; %bb.0:
	s_endpgm
	.section	.rodata,"a",@progbits
	.p2align	6, 0x0
	.amdhsa_kernel _ZN7rocprim17ROCPRIM_400000_NS6detail44device_merge_sort_compile_time_verifier_archINS1_11comp_targetILNS1_3genE0ELNS1_11target_archE4294967295ELNS1_3gpuE0ELNS1_3repE0EEES8_NS1_28merge_sort_block_sort_configILj256ELj4ELNS0_20block_sort_algorithmE0EEENS0_14default_configENS1_37merge_sort_block_sort_config_selectorIiiEENS1_38merge_sort_block_merge_config_selectorIiiEEEEvv
		.amdhsa_group_segment_fixed_size 0
		.amdhsa_private_segment_fixed_size 0
		.amdhsa_kernarg_size 0
		.amdhsa_user_sgpr_count 4
		.amdhsa_user_sgpr_private_segment_buffer 1
		.amdhsa_user_sgpr_dispatch_ptr 0
		.amdhsa_user_sgpr_queue_ptr 0
		.amdhsa_user_sgpr_kernarg_segment_ptr 0
		.amdhsa_user_sgpr_dispatch_id 0
		.amdhsa_user_sgpr_flat_scratch_init 0
		.amdhsa_user_sgpr_private_segment_size 0
		.amdhsa_wavefront_size32 1
		.amdhsa_uses_dynamic_stack 0
		.amdhsa_system_sgpr_private_segment_wavefront_offset 0
		.amdhsa_system_sgpr_workgroup_id_x 1
		.amdhsa_system_sgpr_workgroup_id_y 0
		.amdhsa_system_sgpr_workgroup_id_z 0
		.amdhsa_system_sgpr_workgroup_info 0
		.amdhsa_system_vgpr_workitem_id 0
		.amdhsa_next_free_vgpr 1
		.amdhsa_next_free_sgpr 1
		.amdhsa_reserve_vcc 0
		.amdhsa_reserve_flat_scratch 0
		.amdhsa_float_round_mode_32 0
		.amdhsa_float_round_mode_16_64 0
		.amdhsa_float_denorm_mode_32 3
		.amdhsa_float_denorm_mode_16_64 3
		.amdhsa_dx10_clamp 1
		.amdhsa_ieee_mode 1
		.amdhsa_fp16_overflow 0
		.amdhsa_workgroup_processor_mode 1
		.amdhsa_memory_ordered 1
		.amdhsa_forward_progress 1
		.amdhsa_shared_vgpr_count 0
		.amdhsa_exception_fp_ieee_invalid_op 0
		.amdhsa_exception_fp_denorm_src 0
		.amdhsa_exception_fp_ieee_div_zero 0
		.amdhsa_exception_fp_ieee_overflow 0
		.amdhsa_exception_fp_ieee_underflow 0
		.amdhsa_exception_fp_ieee_inexact 0
		.amdhsa_exception_int_div_zero 0
	.end_amdhsa_kernel
	.section	.text._ZN7rocprim17ROCPRIM_400000_NS6detail44device_merge_sort_compile_time_verifier_archINS1_11comp_targetILNS1_3genE0ELNS1_11target_archE4294967295ELNS1_3gpuE0ELNS1_3repE0EEES8_NS1_28merge_sort_block_sort_configILj256ELj4ELNS0_20block_sort_algorithmE0EEENS0_14default_configENS1_37merge_sort_block_sort_config_selectorIiiEENS1_38merge_sort_block_merge_config_selectorIiiEEEEvv,"axG",@progbits,_ZN7rocprim17ROCPRIM_400000_NS6detail44device_merge_sort_compile_time_verifier_archINS1_11comp_targetILNS1_3genE0ELNS1_11target_archE4294967295ELNS1_3gpuE0ELNS1_3repE0EEES8_NS1_28merge_sort_block_sort_configILj256ELj4ELNS0_20block_sort_algorithmE0EEENS0_14default_configENS1_37merge_sort_block_sort_config_selectorIiiEENS1_38merge_sort_block_merge_config_selectorIiiEEEEvv,comdat
.Lfunc_end699:
	.size	_ZN7rocprim17ROCPRIM_400000_NS6detail44device_merge_sort_compile_time_verifier_archINS1_11comp_targetILNS1_3genE0ELNS1_11target_archE4294967295ELNS1_3gpuE0ELNS1_3repE0EEES8_NS1_28merge_sort_block_sort_configILj256ELj4ELNS0_20block_sort_algorithmE0EEENS0_14default_configENS1_37merge_sort_block_sort_config_selectorIiiEENS1_38merge_sort_block_merge_config_selectorIiiEEEEvv, .Lfunc_end699-_ZN7rocprim17ROCPRIM_400000_NS6detail44device_merge_sort_compile_time_verifier_archINS1_11comp_targetILNS1_3genE0ELNS1_11target_archE4294967295ELNS1_3gpuE0ELNS1_3repE0EEES8_NS1_28merge_sort_block_sort_configILj256ELj4ELNS0_20block_sort_algorithmE0EEENS0_14default_configENS1_37merge_sort_block_sort_config_selectorIiiEENS1_38merge_sort_block_merge_config_selectorIiiEEEEvv
                                        ; -- End function
	.set _ZN7rocprim17ROCPRIM_400000_NS6detail44device_merge_sort_compile_time_verifier_archINS1_11comp_targetILNS1_3genE0ELNS1_11target_archE4294967295ELNS1_3gpuE0ELNS1_3repE0EEES8_NS1_28merge_sort_block_sort_configILj256ELj4ELNS0_20block_sort_algorithmE0EEENS0_14default_configENS1_37merge_sort_block_sort_config_selectorIiiEENS1_38merge_sort_block_merge_config_selectorIiiEEEEvv.num_vgpr, 0
	.set _ZN7rocprim17ROCPRIM_400000_NS6detail44device_merge_sort_compile_time_verifier_archINS1_11comp_targetILNS1_3genE0ELNS1_11target_archE4294967295ELNS1_3gpuE0ELNS1_3repE0EEES8_NS1_28merge_sort_block_sort_configILj256ELj4ELNS0_20block_sort_algorithmE0EEENS0_14default_configENS1_37merge_sort_block_sort_config_selectorIiiEENS1_38merge_sort_block_merge_config_selectorIiiEEEEvv.num_agpr, 0
	.set _ZN7rocprim17ROCPRIM_400000_NS6detail44device_merge_sort_compile_time_verifier_archINS1_11comp_targetILNS1_3genE0ELNS1_11target_archE4294967295ELNS1_3gpuE0ELNS1_3repE0EEES8_NS1_28merge_sort_block_sort_configILj256ELj4ELNS0_20block_sort_algorithmE0EEENS0_14default_configENS1_37merge_sort_block_sort_config_selectorIiiEENS1_38merge_sort_block_merge_config_selectorIiiEEEEvv.numbered_sgpr, 0
	.set _ZN7rocprim17ROCPRIM_400000_NS6detail44device_merge_sort_compile_time_verifier_archINS1_11comp_targetILNS1_3genE0ELNS1_11target_archE4294967295ELNS1_3gpuE0ELNS1_3repE0EEES8_NS1_28merge_sort_block_sort_configILj256ELj4ELNS0_20block_sort_algorithmE0EEENS0_14default_configENS1_37merge_sort_block_sort_config_selectorIiiEENS1_38merge_sort_block_merge_config_selectorIiiEEEEvv.num_named_barrier, 0
	.set _ZN7rocprim17ROCPRIM_400000_NS6detail44device_merge_sort_compile_time_verifier_archINS1_11comp_targetILNS1_3genE0ELNS1_11target_archE4294967295ELNS1_3gpuE0ELNS1_3repE0EEES8_NS1_28merge_sort_block_sort_configILj256ELj4ELNS0_20block_sort_algorithmE0EEENS0_14default_configENS1_37merge_sort_block_sort_config_selectorIiiEENS1_38merge_sort_block_merge_config_selectorIiiEEEEvv.private_seg_size, 0
	.set _ZN7rocprim17ROCPRIM_400000_NS6detail44device_merge_sort_compile_time_verifier_archINS1_11comp_targetILNS1_3genE0ELNS1_11target_archE4294967295ELNS1_3gpuE0ELNS1_3repE0EEES8_NS1_28merge_sort_block_sort_configILj256ELj4ELNS0_20block_sort_algorithmE0EEENS0_14default_configENS1_37merge_sort_block_sort_config_selectorIiiEENS1_38merge_sort_block_merge_config_selectorIiiEEEEvv.uses_vcc, 0
	.set _ZN7rocprim17ROCPRIM_400000_NS6detail44device_merge_sort_compile_time_verifier_archINS1_11comp_targetILNS1_3genE0ELNS1_11target_archE4294967295ELNS1_3gpuE0ELNS1_3repE0EEES8_NS1_28merge_sort_block_sort_configILj256ELj4ELNS0_20block_sort_algorithmE0EEENS0_14default_configENS1_37merge_sort_block_sort_config_selectorIiiEENS1_38merge_sort_block_merge_config_selectorIiiEEEEvv.uses_flat_scratch, 0
	.set _ZN7rocprim17ROCPRIM_400000_NS6detail44device_merge_sort_compile_time_verifier_archINS1_11comp_targetILNS1_3genE0ELNS1_11target_archE4294967295ELNS1_3gpuE0ELNS1_3repE0EEES8_NS1_28merge_sort_block_sort_configILj256ELj4ELNS0_20block_sort_algorithmE0EEENS0_14default_configENS1_37merge_sort_block_sort_config_selectorIiiEENS1_38merge_sort_block_merge_config_selectorIiiEEEEvv.has_dyn_sized_stack, 0
	.set _ZN7rocprim17ROCPRIM_400000_NS6detail44device_merge_sort_compile_time_verifier_archINS1_11comp_targetILNS1_3genE0ELNS1_11target_archE4294967295ELNS1_3gpuE0ELNS1_3repE0EEES8_NS1_28merge_sort_block_sort_configILj256ELj4ELNS0_20block_sort_algorithmE0EEENS0_14default_configENS1_37merge_sort_block_sort_config_selectorIiiEENS1_38merge_sort_block_merge_config_selectorIiiEEEEvv.has_recursion, 0
	.set _ZN7rocprim17ROCPRIM_400000_NS6detail44device_merge_sort_compile_time_verifier_archINS1_11comp_targetILNS1_3genE0ELNS1_11target_archE4294967295ELNS1_3gpuE0ELNS1_3repE0EEES8_NS1_28merge_sort_block_sort_configILj256ELj4ELNS0_20block_sort_algorithmE0EEENS0_14default_configENS1_37merge_sort_block_sort_config_selectorIiiEENS1_38merge_sort_block_merge_config_selectorIiiEEEEvv.has_indirect_call, 0
	.section	.AMDGPU.csdata,"",@progbits
; Kernel info:
; codeLenInByte = 4
; TotalNumSgprs: 0
; NumVgprs: 0
; ScratchSize: 0
; MemoryBound: 0
; FloatMode: 240
; IeeeMode: 1
; LDSByteSize: 0 bytes/workgroup (compile time only)
; SGPRBlocks: 0
; VGPRBlocks: 0
; NumSGPRsForWavesPerEU: 1
; NumVGPRsForWavesPerEU: 1
; Occupancy: 16
; WaveLimiterHint : 0
; COMPUTE_PGM_RSRC2:SCRATCH_EN: 0
; COMPUTE_PGM_RSRC2:USER_SGPR: 4
; COMPUTE_PGM_RSRC2:TRAP_HANDLER: 0
; COMPUTE_PGM_RSRC2:TGID_X_EN: 1
; COMPUTE_PGM_RSRC2:TGID_Y_EN: 0
; COMPUTE_PGM_RSRC2:TGID_Z_EN: 0
; COMPUTE_PGM_RSRC2:TIDIG_COMP_CNT: 0
	.section	.text._ZN7rocprim17ROCPRIM_400000_NS6detail44device_merge_sort_compile_time_verifier_archINS1_11comp_targetILNS1_3genE5ELNS1_11target_archE942ELNS1_3gpuE9ELNS1_3repE0EEES8_NS1_28merge_sort_block_sort_configILj256ELj4ELNS0_20block_sort_algorithmE0EEENS0_14default_configENS1_37merge_sort_block_sort_config_selectorIiiEENS1_38merge_sort_block_merge_config_selectorIiiEEEEvv,"axG",@progbits,_ZN7rocprim17ROCPRIM_400000_NS6detail44device_merge_sort_compile_time_verifier_archINS1_11comp_targetILNS1_3genE5ELNS1_11target_archE942ELNS1_3gpuE9ELNS1_3repE0EEES8_NS1_28merge_sort_block_sort_configILj256ELj4ELNS0_20block_sort_algorithmE0EEENS0_14default_configENS1_37merge_sort_block_sort_config_selectorIiiEENS1_38merge_sort_block_merge_config_selectorIiiEEEEvv,comdat
	.protected	_ZN7rocprim17ROCPRIM_400000_NS6detail44device_merge_sort_compile_time_verifier_archINS1_11comp_targetILNS1_3genE5ELNS1_11target_archE942ELNS1_3gpuE9ELNS1_3repE0EEES8_NS1_28merge_sort_block_sort_configILj256ELj4ELNS0_20block_sort_algorithmE0EEENS0_14default_configENS1_37merge_sort_block_sort_config_selectorIiiEENS1_38merge_sort_block_merge_config_selectorIiiEEEEvv ; -- Begin function _ZN7rocprim17ROCPRIM_400000_NS6detail44device_merge_sort_compile_time_verifier_archINS1_11comp_targetILNS1_3genE5ELNS1_11target_archE942ELNS1_3gpuE9ELNS1_3repE0EEES8_NS1_28merge_sort_block_sort_configILj256ELj4ELNS0_20block_sort_algorithmE0EEENS0_14default_configENS1_37merge_sort_block_sort_config_selectorIiiEENS1_38merge_sort_block_merge_config_selectorIiiEEEEvv
	.globl	_ZN7rocprim17ROCPRIM_400000_NS6detail44device_merge_sort_compile_time_verifier_archINS1_11comp_targetILNS1_3genE5ELNS1_11target_archE942ELNS1_3gpuE9ELNS1_3repE0EEES8_NS1_28merge_sort_block_sort_configILj256ELj4ELNS0_20block_sort_algorithmE0EEENS0_14default_configENS1_37merge_sort_block_sort_config_selectorIiiEENS1_38merge_sort_block_merge_config_selectorIiiEEEEvv
	.p2align	8
	.type	_ZN7rocprim17ROCPRIM_400000_NS6detail44device_merge_sort_compile_time_verifier_archINS1_11comp_targetILNS1_3genE5ELNS1_11target_archE942ELNS1_3gpuE9ELNS1_3repE0EEES8_NS1_28merge_sort_block_sort_configILj256ELj4ELNS0_20block_sort_algorithmE0EEENS0_14default_configENS1_37merge_sort_block_sort_config_selectorIiiEENS1_38merge_sort_block_merge_config_selectorIiiEEEEvv,@function
_ZN7rocprim17ROCPRIM_400000_NS6detail44device_merge_sort_compile_time_verifier_archINS1_11comp_targetILNS1_3genE5ELNS1_11target_archE942ELNS1_3gpuE9ELNS1_3repE0EEES8_NS1_28merge_sort_block_sort_configILj256ELj4ELNS0_20block_sort_algorithmE0EEENS0_14default_configENS1_37merge_sort_block_sort_config_selectorIiiEENS1_38merge_sort_block_merge_config_selectorIiiEEEEvv: ; @_ZN7rocprim17ROCPRIM_400000_NS6detail44device_merge_sort_compile_time_verifier_archINS1_11comp_targetILNS1_3genE5ELNS1_11target_archE942ELNS1_3gpuE9ELNS1_3repE0EEES8_NS1_28merge_sort_block_sort_configILj256ELj4ELNS0_20block_sort_algorithmE0EEENS0_14default_configENS1_37merge_sort_block_sort_config_selectorIiiEENS1_38merge_sort_block_merge_config_selectorIiiEEEEvv
; %bb.0:
	s_endpgm
	.section	.rodata,"a",@progbits
	.p2align	6, 0x0
	.amdhsa_kernel _ZN7rocprim17ROCPRIM_400000_NS6detail44device_merge_sort_compile_time_verifier_archINS1_11comp_targetILNS1_3genE5ELNS1_11target_archE942ELNS1_3gpuE9ELNS1_3repE0EEES8_NS1_28merge_sort_block_sort_configILj256ELj4ELNS0_20block_sort_algorithmE0EEENS0_14default_configENS1_37merge_sort_block_sort_config_selectorIiiEENS1_38merge_sort_block_merge_config_selectorIiiEEEEvv
		.amdhsa_group_segment_fixed_size 0
		.amdhsa_private_segment_fixed_size 0
		.amdhsa_kernarg_size 0
		.amdhsa_user_sgpr_count 4
		.amdhsa_user_sgpr_private_segment_buffer 1
		.amdhsa_user_sgpr_dispatch_ptr 0
		.amdhsa_user_sgpr_queue_ptr 0
		.amdhsa_user_sgpr_kernarg_segment_ptr 0
		.amdhsa_user_sgpr_dispatch_id 0
		.amdhsa_user_sgpr_flat_scratch_init 0
		.amdhsa_user_sgpr_private_segment_size 0
		.amdhsa_wavefront_size32 1
		.amdhsa_uses_dynamic_stack 0
		.amdhsa_system_sgpr_private_segment_wavefront_offset 0
		.amdhsa_system_sgpr_workgroup_id_x 1
		.amdhsa_system_sgpr_workgroup_id_y 0
		.amdhsa_system_sgpr_workgroup_id_z 0
		.amdhsa_system_sgpr_workgroup_info 0
		.amdhsa_system_vgpr_workitem_id 0
		.amdhsa_next_free_vgpr 1
		.amdhsa_next_free_sgpr 1
		.amdhsa_reserve_vcc 0
		.amdhsa_reserve_flat_scratch 0
		.amdhsa_float_round_mode_32 0
		.amdhsa_float_round_mode_16_64 0
		.amdhsa_float_denorm_mode_32 3
		.amdhsa_float_denorm_mode_16_64 3
		.amdhsa_dx10_clamp 1
		.amdhsa_ieee_mode 1
		.amdhsa_fp16_overflow 0
		.amdhsa_workgroup_processor_mode 1
		.amdhsa_memory_ordered 1
		.amdhsa_forward_progress 1
		.amdhsa_shared_vgpr_count 0
		.amdhsa_exception_fp_ieee_invalid_op 0
		.amdhsa_exception_fp_denorm_src 0
		.amdhsa_exception_fp_ieee_div_zero 0
		.amdhsa_exception_fp_ieee_overflow 0
		.amdhsa_exception_fp_ieee_underflow 0
		.amdhsa_exception_fp_ieee_inexact 0
		.amdhsa_exception_int_div_zero 0
	.end_amdhsa_kernel
	.section	.text._ZN7rocprim17ROCPRIM_400000_NS6detail44device_merge_sort_compile_time_verifier_archINS1_11comp_targetILNS1_3genE5ELNS1_11target_archE942ELNS1_3gpuE9ELNS1_3repE0EEES8_NS1_28merge_sort_block_sort_configILj256ELj4ELNS0_20block_sort_algorithmE0EEENS0_14default_configENS1_37merge_sort_block_sort_config_selectorIiiEENS1_38merge_sort_block_merge_config_selectorIiiEEEEvv,"axG",@progbits,_ZN7rocprim17ROCPRIM_400000_NS6detail44device_merge_sort_compile_time_verifier_archINS1_11comp_targetILNS1_3genE5ELNS1_11target_archE942ELNS1_3gpuE9ELNS1_3repE0EEES8_NS1_28merge_sort_block_sort_configILj256ELj4ELNS0_20block_sort_algorithmE0EEENS0_14default_configENS1_37merge_sort_block_sort_config_selectorIiiEENS1_38merge_sort_block_merge_config_selectorIiiEEEEvv,comdat
.Lfunc_end700:
	.size	_ZN7rocprim17ROCPRIM_400000_NS6detail44device_merge_sort_compile_time_verifier_archINS1_11comp_targetILNS1_3genE5ELNS1_11target_archE942ELNS1_3gpuE9ELNS1_3repE0EEES8_NS1_28merge_sort_block_sort_configILj256ELj4ELNS0_20block_sort_algorithmE0EEENS0_14default_configENS1_37merge_sort_block_sort_config_selectorIiiEENS1_38merge_sort_block_merge_config_selectorIiiEEEEvv, .Lfunc_end700-_ZN7rocprim17ROCPRIM_400000_NS6detail44device_merge_sort_compile_time_verifier_archINS1_11comp_targetILNS1_3genE5ELNS1_11target_archE942ELNS1_3gpuE9ELNS1_3repE0EEES8_NS1_28merge_sort_block_sort_configILj256ELj4ELNS0_20block_sort_algorithmE0EEENS0_14default_configENS1_37merge_sort_block_sort_config_selectorIiiEENS1_38merge_sort_block_merge_config_selectorIiiEEEEvv
                                        ; -- End function
	.set _ZN7rocprim17ROCPRIM_400000_NS6detail44device_merge_sort_compile_time_verifier_archINS1_11comp_targetILNS1_3genE5ELNS1_11target_archE942ELNS1_3gpuE9ELNS1_3repE0EEES8_NS1_28merge_sort_block_sort_configILj256ELj4ELNS0_20block_sort_algorithmE0EEENS0_14default_configENS1_37merge_sort_block_sort_config_selectorIiiEENS1_38merge_sort_block_merge_config_selectorIiiEEEEvv.num_vgpr, 0
	.set _ZN7rocprim17ROCPRIM_400000_NS6detail44device_merge_sort_compile_time_verifier_archINS1_11comp_targetILNS1_3genE5ELNS1_11target_archE942ELNS1_3gpuE9ELNS1_3repE0EEES8_NS1_28merge_sort_block_sort_configILj256ELj4ELNS0_20block_sort_algorithmE0EEENS0_14default_configENS1_37merge_sort_block_sort_config_selectorIiiEENS1_38merge_sort_block_merge_config_selectorIiiEEEEvv.num_agpr, 0
	.set _ZN7rocprim17ROCPRIM_400000_NS6detail44device_merge_sort_compile_time_verifier_archINS1_11comp_targetILNS1_3genE5ELNS1_11target_archE942ELNS1_3gpuE9ELNS1_3repE0EEES8_NS1_28merge_sort_block_sort_configILj256ELj4ELNS0_20block_sort_algorithmE0EEENS0_14default_configENS1_37merge_sort_block_sort_config_selectorIiiEENS1_38merge_sort_block_merge_config_selectorIiiEEEEvv.numbered_sgpr, 0
	.set _ZN7rocprim17ROCPRIM_400000_NS6detail44device_merge_sort_compile_time_verifier_archINS1_11comp_targetILNS1_3genE5ELNS1_11target_archE942ELNS1_3gpuE9ELNS1_3repE0EEES8_NS1_28merge_sort_block_sort_configILj256ELj4ELNS0_20block_sort_algorithmE0EEENS0_14default_configENS1_37merge_sort_block_sort_config_selectorIiiEENS1_38merge_sort_block_merge_config_selectorIiiEEEEvv.num_named_barrier, 0
	.set _ZN7rocprim17ROCPRIM_400000_NS6detail44device_merge_sort_compile_time_verifier_archINS1_11comp_targetILNS1_3genE5ELNS1_11target_archE942ELNS1_3gpuE9ELNS1_3repE0EEES8_NS1_28merge_sort_block_sort_configILj256ELj4ELNS0_20block_sort_algorithmE0EEENS0_14default_configENS1_37merge_sort_block_sort_config_selectorIiiEENS1_38merge_sort_block_merge_config_selectorIiiEEEEvv.private_seg_size, 0
	.set _ZN7rocprim17ROCPRIM_400000_NS6detail44device_merge_sort_compile_time_verifier_archINS1_11comp_targetILNS1_3genE5ELNS1_11target_archE942ELNS1_3gpuE9ELNS1_3repE0EEES8_NS1_28merge_sort_block_sort_configILj256ELj4ELNS0_20block_sort_algorithmE0EEENS0_14default_configENS1_37merge_sort_block_sort_config_selectorIiiEENS1_38merge_sort_block_merge_config_selectorIiiEEEEvv.uses_vcc, 0
	.set _ZN7rocprim17ROCPRIM_400000_NS6detail44device_merge_sort_compile_time_verifier_archINS1_11comp_targetILNS1_3genE5ELNS1_11target_archE942ELNS1_3gpuE9ELNS1_3repE0EEES8_NS1_28merge_sort_block_sort_configILj256ELj4ELNS0_20block_sort_algorithmE0EEENS0_14default_configENS1_37merge_sort_block_sort_config_selectorIiiEENS1_38merge_sort_block_merge_config_selectorIiiEEEEvv.uses_flat_scratch, 0
	.set _ZN7rocprim17ROCPRIM_400000_NS6detail44device_merge_sort_compile_time_verifier_archINS1_11comp_targetILNS1_3genE5ELNS1_11target_archE942ELNS1_3gpuE9ELNS1_3repE0EEES8_NS1_28merge_sort_block_sort_configILj256ELj4ELNS0_20block_sort_algorithmE0EEENS0_14default_configENS1_37merge_sort_block_sort_config_selectorIiiEENS1_38merge_sort_block_merge_config_selectorIiiEEEEvv.has_dyn_sized_stack, 0
	.set _ZN7rocprim17ROCPRIM_400000_NS6detail44device_merge_sort_compile_time_verifier_archINS1_11comp_targetILNS1_3genE5ELNS1_11target_archE942ELNS1_3gpuE9ELNS1_3repE0EEES8_NS1_28merge_sort_block_sort_configILj256ELj4ELNS0_20block_sort_algorithmE0EEENS0_14default_configENS1_37merge_sort_block_sort_config_selectorIiiEENS1_38merge_sort_block_merge_config_selectorIiiEEEEvv.has_recursion, 0
	.set _ZN7rocprim17ROCPRIM_400000_NS6detail44device_merge_sort_compile_time_verifier_archINS1_11comp_targetILNS1_3genE5ELNS1_11target_archE942ELNS1_3gpuE9ELNS1_3repE0EEES8_NS1_28merge_sort_block_sort_configILj256ELj4ELNS0_20block_sort_algorithmE0EEENS0_14default_configENS1_37merge_sort_block_sort_config_selectorIiiEENS1_38merge_sort_block_merge_config_selectorIiiEEEEvv.has_indirect_call, 0
	.section	.AMDGPU.csdata,"",@progbits
; Kernel info:
; codeLenInByte = 4
; TotalNumSgprs: 0
; NumVgprs: 0
; ScratchSize: 0
; MemoryBound: 0
; FloatMode: 240
; IeeeMode: 1
; LDSByteSize: 0 bytes/workgroup (compile time only)
; SGPRBlocks: 0
; VGPRBlocks: 0
; NumSGPRsForWavesPerEU: 1
; NumVGPRsForWavesPerEU: 1
; Occupancy: 16
; WaveLimiterHint : 0
; COMPUTE_PGM_RSRC2:SCRATCH_EN: 0
; COMPUTE_PGM_RSRC2:USER_SGPR: 4
; COMPUTE_PGM_RSRC2:TRAP_HANDLER: 0
; COMPUTE_PGM_RSRC2:TGID_X_EN: 1
; COMPUTE_PGM_RSRC2:TGID_Y_EN: 0
; COMPUTE_PGM_RSRC2:TGID_Z_EN: 0
; COMPUTE_PGM_RSRC2:TIDIG_COMP_CNT: 0
	.section	.text._ZN7rocprim17ROCPRIM_400000_NS6detail44device_merge_sort_compile_time_verifier_archINS1_11comp_targetILNS1_3genE4ELNS1_11target_archE910ELNS1_3gpuE8ELNS1_3repE0EEES8_NS1_28merge_sort_block_sort_configILj256ELj4ELNS0_20block_sort_algorithmE0EEENS0_14default_configENS1_37merge_sort_block_sort_config_selectorIiiEENS1_38merge_sort_block_merge_config_selectorIiiEEEEvv,"axG",@progbits,_ZN7rocprim17ROCPRIM_400000_NS6detail44device_merge_sort_compile_time_verifier_archINS1_11comp_targetILNS1_3genE4ELNS1_11target_archE910ELNS1_3gpuE8ELNS1_3repE0EEES8_NS1_28merge_sort_block_sort_configILj256ELj4ELNS0_20block_sort_algorithmE0EEENS0_14default_configENS1_37merge_sort_block_sort_config_selectorIiiEENS1_38merge_sort_block_merge_config_selectorIiiEEEEvv,comdat
	.protected	_ZN7rocprim17ROCPRIM_400000_NS6detail44device_merge_sort_compile_time_verifier_archINS1_11comp_targetILNS1_3genE4ELNS1_11target_archE910ELNS1_3gpuE8ELNS1_3repE0EEES8_NS1_28merge_sort_block_sort_configILj256ELj4ELNS0_20block_sort_algorithmE0EEENS0_14default_configENS1_37merge_sort_block_sort_config_selectorIiiEENS1_38merge_sort_block_merge_config_selectorIiiEEEEvv ; -- Begin function _ZN7rocprim17ROCPRIM_400000_NS6detail44device_merge_sort_compile_time_verifier_archINS1_11comp_targetILNS1_3genE4ELNS1_11target_archE910ELNS1_3gpuE8ELNS1_3repE0EEES8_NS1_28merge_sort_block_sort_configILj256ELj4ELNS0_20block_sort_algorithmE0EEENS0_14default_configENS1_37merge_sort_block_sort_config_selectorIiiEENS1_38merge_sort_block_merge_config_selectorIiiEEEEvv
	.globl	_ZN7rocprim17ROCPRIM_400000_NS6detail44device_merge_sort_compile_time_verifier_archINS1_11comp_targetILNS1_3genE4ELNS1_11target_archE910ELNS1_3gpuE8ELNS1_3repE0EEES8_NS1_28merge_sort_block_sort_configILj256ELj4ELNS0_20block_sort_algorithmE0EEENS0_14default_configENS1_37merge_sort_block_sort_config_selectorIiiEENS1_38merge_sort_block_merge_config_selectorIiiEEEEvv
	.p2align	8
	.type	_ZN7rocprim17ROCPRIM_400000_NS6detail44device_merge_sort_compile_time_verifier_archINS1_11comp_targetILNS1_3genE4ELNS1_11target_archE910ELNS1_3gpuE8ELNS1_3repE0EEES8_NS1_28merge_sort_block_sort_configILj256ELj4ELNS0_20block_sort_algorithmE0EEENS0_14default_configENS1_37merge_sort_block_sort_config_selectorIiiEENS1_38merge_sort_block_merge_config_selectorIiiEEEEvv,@function
_ZN7rocprim17ROCPRIM_400000_NS6detail44device_merge_sort_compile_time_verifier_archINS1_11comp_targetILNS1_3genE4ELNS1_11target_archE910ELNS1_3gpuE8ELNS1_3repE0EEES8_NS1_28merge_sort_block_sort_configILj256ELj4ELNS0_20block_sort_algorithmE0EEENS0_14default_configENS1_37merge_sort_block_sort_config_selectorIiiEENS1_38merge_sort_block_merge_config_selectorIiiEEEEvv: ; @_ZN7rocprim17ROCPRIM_400000_NS6detail44device_merge_sort_compile_time_verifier_archINS1_11comp_targetILNS1_3genE4ELNS1_11target_archE910ELNS1_3gpuE8ELNS1_3repE0EEES8_NS1_28merge_sort_block_sort_configILj256ELj4ELNS0_20block_sort_algorithmE0EEENS0_14default_configENS1_37merge_sort_block_sort_config_selectorIiiEENS1_38merge_sort_block_merge_config_selectorIiiEEEEvv
; %bb.0:
	s_endpgm
	.section	.rodata,"a",@progbits
	.p2align	6, 0x0
	.amdhsa_kernel _ZN7rocprim17ROCPRIM_400000_NS6detail44device_merge_sort_compile_time_verifier_archINS1_11comp_targetILNS1_3genE4ELNS1_11target_archE910ELNS1_3gpuE8ELNS1_3repE0EEES8_NS1_28merge_sort_block_sort_configILj256ELj4ELNS0_20block_sort_algorithmE0EEENS0_14default_configENS1_37merge_sort_block_sort_config_selectorIiiEENS1_38merge_sort_block_merge_config_selectorIiiEEEEvv
		.amdhsa_group_segment_fixed_size 0
		.amdhsa_private_segment_fixed_size 0
		.amdhsa_kernarg_size 0
		.amdhsa_user_sgpr_count 4
		.amdhsa_user_sgpr_private_segment_buffer 1
		.amdhsa_user_sgpr_dispatch_ptr 0
		.amdhsa_user_sgpr_queue_ptr 0
		.amdhsa_user_sgpr_kernarg_segment_ptr 0
		.amdhsa_user_sgpr_dispatch_id 0
		.amdhsa_user_sgpr_flat_scratch_init 0
		.amdhsa_user_sgpr_private_segment_size 0
		.amdhsa_wavefront_size32 1
		.amdhsa_uses_dynamic_stack 0
		.amdhsa_system_sgpr_private_segment_wavefront_offset 0
		.amdhsa_system_sgpr_workgroup_id_x 1
		.amdhsa_system_sgpr_workgroup_id_y 0
		.amdhsa_system_sgpr_workgroup_id_z 0
		.amdhsa_system_sgpr_workgroup_info 0
		.amdhsa_system_vgpr_workitem_id 0
		.amdhsa_next_free_vgpr 1
		.amdhsa_next_free_sgpr 1
		.amdhsa_reserve_vcc 0
		.amdhsa_reserve_flat_scratch 0
		.amdhsa_float_round_mode_32 0
		.amdhsa_float_round_mode_16_64 0
		.amdhsa_float_denorm_mode_32 3
		.amdhsa_float_denorm_mode_16_64 3
		.amdhsa_dx10_clamp 1
		.amdhsa_ieee_mode 1
		.amdhsa_fp16_overflow 0
		.amdhsa_workgroup_processor_mode 1
		.amdhsa_memory_ordered 1
		.amdhsa_forward_progress 1
		.amdhsa_shared_vgpr_count 0
		.amdhsa_exception_fp_ieee_invalid_op 0
		.amdhsa_exception_fp_denorm_src 0
		.amdhsa_exception_fp_ieee_div_zero 0
		.amdhsa_exception_fp_ieee_overflow 0
		.amdhsa_exception_fp_ieee_underflow 0
		.amdhsa_exception_fp_ieee_inexact 0
		.amdhsa_exception_int_div_zero 0
	.end_amdhsa_kernel
	.section	.text._ZN7rocprim17ROCPRIM_400000_NS6detail44device_merge_sort_compile_time_verifier_archINS1_11comp_targetILNS1_3genE4ELNS1_11target_archE910ELNS1_3gpuE8ELNS1_3repE0EEES8_NS1_28merge_sort_block_sort_configILj256ELj4ELNS0_20block_sort_algorithmE0EEENS0_14default_configENS1_37merge_sort_block_sort_config_selectorIiiEENS1_38merge_sort_block_merge_config_selectorIiiEEEEvv,"axG",@progbits,_ZN7rocprim17ROCPRIM_400000_NS6detail44device_merge_sort_compile_time_verifier_archINS1_11comp_targetILNS1_3genE4ELNS1_11target_archE910ELNS1_3gpuE8ELNS1_3repE0EEES8_NS1_28merge_sort_block_sort_configILj256ELj4ELNS0_20block_sort_algorithmE0EEENS0_14default_configENS1_37merge_sort_block_sort_config_selectorIiiEENS1_38merge_sort_block_merge_config_selectorIiiEEEEvv,comdat
.Lfunc_end701:
	.size	_ZN7rocprim17ROCPRIM_400000_NS6detail44device_merge_sort_compile_time_verifier_archINS1_11comp_targetILNS1_3genE4ELNS1_11target_archE910ELNS1_3gpuE8ELNS1_3repE0EEES8_NS1_28merge_sort_block_sort_configILj256ELj4ELNS0_20block_sort_algorithmE0EEENS0_14default_configENS1_37merge_sort_block_sort_config_selectorIiiEENS1_38merge_sort_block_merge_config_selectorIiiEEEEvv, .Lfunc_end701-_ZN7rocprim17ROCPRIM_400000_NS6detail44device_merge_sort_compile_time_verifier_archINS1_11comp_targetILNS1_3genE4ELNS1_11target_archE910ELNS1_3gpuE8ELNS1_3repE0EEES8_NS1_28merge_sort_block_sort_configILj256ELj4ELNS0_20block_sort_algorithmE0EEENS0_14default_configENS1_37merge_sort_block_sort_config_selectorIiiEENS1_38merge_sort_block_merge_config_selectorIiiEEEEvv
                                        ; -- End function
	.set _ZN7rocprim17ROCPRIM_400000_NS6detail44device_merge_sort_compile_time_verifier_archINS1_11comp_targetILNS1_3genE4ELNS1_11target_archE910ELNS1_3gpuE8ELNS1_3repE0EEES8_NS1_28merge_sort_block_sort_configILj256ELj4ELNS0_20block_sort_algorithmE0EEENS0_14default_configENS1_37merge_sort_block_sort_config_selectorIiiEENS1_38merge_sort_block_merge_config_selectorIiiEEEEvv.num_vgpr, 0
	.set _ZN7rocprim17ROCPRIM_400000_NS6detail44device_merge_sort_compile_time_verifier_archINS1_11comp_targetILNS1_3genE4ELNS1_11target_archE910ELNS1_3gpuE8ELNS1_3repE0EEES8_NS1_28merge_sort_block_sort_configILj256ELj4ELNS0_20block_sort_algorithmE0EEENS0_14default_configENS1_37merge_sort_block_sort_config_selectorIiiEENS1_38merge_sort_block_merge_config_selectorIiiEEEEvv.num_agpr, 0
	.set _ZN7rocprim17ROCPRIM_400000_NS6detail44device_merge_sort_compile_time_verifier_archINS1_11comp_targetILNS1_3genE4ELNS1_11target_archE910ELNS1_3gpuE8ELNS1_3repE0EEES8_NS1_28merge_sort_block_sort_configILj256ELj4ELNS0_20block_sort_algorithmE0EEENS0_14default_configENS1_37merge_sort_block_sort_config_selectorIiiEENS1_38merge_sort_block_merge_config_selectorIiiEEEEvv.numbered_sgpr, 0
	.set _ZN7rocprim17ROCPRIM_400000_NS6detail44device_merge_sort_compile_time_verifier_archINS1_11comp_targetILNS1_3genE4ELNS1_11target_archE910ELNS1_3gpuE8ELNS1_3repE0EEES8_NS1_28merge_sort_block_sort_configILj256ELj4ELNS0_20block_sort_algorithmE0EEENS0_14default_configENS1_37merge_sort_block_sort_config_selectorIiiEENS1_38merge_sort_block_merge_config_selectorIiiEEEEvv.num_named_barrier, 0
	.set _ZN7rocprim17ROCPRIM_400000_NS6detail44device_merge_sort_compile_time_verifier_archINS1_11comp_targetILNS1_3genE4ELNS1_11target_archE910ELNS1_3gpuE8ELNS1_3repE0EEES8_NS1_28merge_sort_block_sort_configILj256ELj4ELNS0_20block_sort_algorithmE0EEENS0_14default_configENS1_37merge_sort_block_sort_config_selectorIiiEENS1_38merge_sort_block_merge_config_selectorIiiEEEEvv.private_seg_size, 0
	.set _ZN7rocprim17ROCPRIM_400000_NS6detail44device_merge_sort_compile_time_verifier_archINS1_11comp_targetILNS1_3genE4ELNS1_11target_archE910ELNS1_3gpuE8ELNS1_3repE0EEES8_NS1_28merge_sort_block_sort_configILj256ELj4ELNS0_20block_sort_algorithmE0EEENS0_14default_configENS1_37merge_sort_block_sort_config_selectorIiiEENS1_38merge_sort_block_merge_config_selectorIiiEEEEvv.uses_vcc, 0
	.set _ZN7rocprim17ROCPRIM_400000_NS6detail44device_merge_sort_compile_time_verifier_archINS1_11comp_targetILNS1_3genE4ELNS1_11target_archE910ELNS1_3gpuE8ELNS1_3repE0EEES8_NS1_28merge_sort_block_sort_configILj256ELj4ELNS0_20block_sort_algorithmE0EEENS0_14default_configENS1_37merge_sort_block_sort_config_selectorIiiEENS1_38merge_sort_block_merge_config_selectorIiiEEEEvv.uses_flat_scratch, 0
	.set _ZN7rocprim17ROCPRIM_400000_NS6detail44device_merge_sort_compile_time_verifier_archINS1_11comp_targetILNS1_3genE4ELNS1_11target_archE910ELNS1_3gpuE8ELNS1_3repE0EEES8_NS1_28merge_sort_block_sort_configILj256ELj4ELNS0_20block_sort_algorithmE0EEENS0_14default_configENS1_37merge_sort_block_sort_config_selectorIiiEENS1_38merge_sort_block_merge_config_selectorIiiEEEEvv.has_dyn_sized_stack, 0
	.set _ZN7rocprim17ROCPRIM_400000_NS6detail44device_merge_sort_compile_time_verifier_archINS1_11comp_targetILNS1_3genE4ELNS1_11target_archE910ELNS1_3gpuE8ELNS1_3repE0EEES8_NS1_28merge_sort_block_sort_configILj256ELj4ELNS0_20block_sort_algorithmE0EEENS0_14default_configENS1_37merge_sort_block_sort_config_selectorIiiEENS1_38merge_sort_block_merge_config_selectorIiiEEEEvv.has_recursion, 0
	.set _ZN7rocprim17ROCPRIM_400000_NS6detail44device_merge_sort_compile_time_verifier_archINS1_11comp_targetILNS1_3genE4ELNS1_11target_archE910ELNS1_3gpuE8ELNS1_3repE0EEES8_NS1_28merge_sort_block_sort_configILj256ELj4ELNS0_20block_sort_algorithmE0EEENS0_14default_configENS1_37merge_sort_block_sort_config_selectorIiiEENS1_38merge_sort_block_merge_config_selectorIiiEEEEvv.has_indirect_call, 0
	.section	.AMDGPU.csdata,"",@progbits
; Kernel info:
; codeLenInByte = 4
; TotalNumSgprs: 0
; NumVgprs: 0
; ScratchSize: 0
; MemoryBound: 0
; FloatMode: 240
; IeeeMode: 1
; LDSByteSize: 0 bytes/workgroup (compile time only)
; SGPRBlocks: 0
; VGPRBlocks: 0
; NumSGPRsForWavesPerEU: 1
; NumVGPRsForWavesPerEU: 1
; Occupancy: 16
; WaveLimiterHint : 0
; COMPUTE_PGM_RSRC2:SCRATCH_EN: 0
; COMPUTE_PGM_RSRC2:USER_SGPR: 4
; COMPUTE_PGM_RSRC2:TRAP_HANDLER: 0
; COMPUTE_PGM_RSRC2:TGID_X_EN: 1
; COMPUTE_PGM_RSRC2:TGID_Y_EN: 0
; COMPUTE_PGM_RSRC2:TGID_Z_EN: 0
; COMPUTE_PGM_RSRC2:TIDIG_COMP_CNT: 0
	.section	.text._ZN7rocprim17ROCPRIM_400000_NS6detail44device_merge_sort_compile_time_verifier_archINS1_11comp_targetILNS1_3genE3ELNS1_11target_archE908ELNS1_3gpuE7ELNS1_3repE0EEES8_NS1_28merge_sort_block_sort_configILj256ELj4ELNS0_20block_sort_algorithmE0EEENS0_14default_configENS1_37merge_sort_block_sort_config_selectorIiiEENS1_38merge_sort_block_merge_config_selectorIiiEEEEvv,"axG",@progbits,_ZN7rocprim17ROCPRIM_400000_NS6detail44device_merge_sort_compile_time_verifier_archINS1_11comp_targetILNS1_3genE3ELNS1_11target_archE908ELNS1_3gpuE7ELNS1_3repE0EEES8_NS1_28merge_sort_block_sort_configILj256ELj4ELNS0_20block_sort_algorithmE0EEENS0_14default_configENS1_37merge_sort_block_sort_config_selectorIiiEENS1_38merge_sort_block_merge_config_selectorIiiEEEEvv,comdat
	.protected	_ZN7rocprim17ROCPRIM_400000_NS6detail44device_merge_sort_compile_time_verifier_archINS1_11comp_targetILNS1_3genE3ELNS1_11target_archE908ELNS1_3gpuE7ELNS1_3repE0EEES8_NS1_28merge_sort_block_sort_configILj256ELj4ELNS0_20block_sort_algorithmE0EEENS0_14default_configENS1_37merge_sort_block_sort_config_selectorIiiEENS1_38merge_sort_block_merge_config_selectorIiiEEEEvv ; -- Begin function _ZN7rocprim17ROCPRIM_400000_NS6detail44device_merge_sort_compile_time_verifier_archINS1_11comp_targetILNS1_3genE3ELNS1_11target_archE908ELNS1_3gpuE7ELNS1_3repE0EEES8_NS1_28merge_sort_block_sort_configILj256ELj4ELNS0_20block_sort_algorithmE0EEENS0_14default_configENS1_37merge_sort_block_sort_config_selectorIiiEENS1_38merge_sort_block_merge_config_selectorIiiEEEEvv
	.globl	_ZN7rocprim17ROCPRIM_400000_NS6detail44device_merge_sort_compile_time_verifier_archINS1_11comp_targetILNS1_3genE3ELNS1_11target_archE908ELNS1_3gpuE7ELNS1_3repE0EEES8_NS1_28merge_sort_block_sort_configILj256ELj4ELNS0_20block_sort_algorithmE0EEENS0_14default_configENS1_37merge_sort_block_sort_config_selectorIiiEENS1_38merge_sort_block_merge_config_selectorIiiEEEEvv
	.p2align	8
	.type	_ZN7rocprim17ROCPRIM_400000_NS6detail44device_merge_sort_compile_time_verifier_archINS1_11comp_targetILNS1_3genE3ELNS1_11target_archE908ELNS1_3gpuE7ELNS1_3repE0EEES8_NS1_28merge_sort_block_sort_configILj256ELj4ELNS0_20block_sort_algorithmE0EEENS0_14default_configENS1_37merge_sort_block_sort_config_selectorIiiEENS1_38merge_sort_block_merge_config_selectorIiiEEEEvv,@function
_ZN7rocprim17ROCPRIM_400000_NS6detail44device_merge_sort_compile_time_verifier_archINS1_11comp_targetILNS1_3genE3ELNS1_11target_archE908ELNS1_3gpuE7ELNS1_3repE0EEES8_NS1_28merge_sort_block_sort_configILj256ELj4ELNS0_20block_sort_algorithmE0EEENS0_14default_configENS1_37merge_sort_block_sort_config_selectorIiiEENS1_38merge_sort_block_merge_config_selectorIiiEEEEvv: ; @_ZN7rocprim17ROCPRIM_400000_NS6detail44device_merge_sort_compile_time_verifier_archINS1_11comp_targetILNS1_3genE3ELNS1_11target_archE908ELNS1_3gpuE7ELNS1_3repE0EEES8_NS1_28merge_sort_block_sort_configILj256ELj4ELNS0_20block_sort_algorithmE0EEENS0_14default_configENS1_37merge_sort_block_sort_config_selectorIiiEENS1_38merge_sort_block_merge_config_selectorIiiEEEEvv
; %bb.0:
	s_endpgm
	.section	.rodata,"a",@progbits
	.p2align	6, 0x0
	.amdhsa_kernel _ZN7rocprim17ROCPRIM_400000_NS6detail44device_merge_sort_compile_time_verifier_archINS1_11comp_targetILNS1_3genE3ELNS1_11target_archE908ELNS1_3gpuE7ELNS1_3repE0EEES8_NS1_28merge_sort_block_sort_configILj256ELj4ELNS0_20block_sort_algorithmE0EEENS0_14default_configENS1_37merge_sort_block_sort_config_selectorIiiEENS1_38merge_sort_block_merge_config_selectorIiiEEEEvv
		.amdhsa_group_segment_fixed_size 0
		.amdhsa_private_segment_fixed_size 0
		.amdhsa_kernarg_size 0
		.amdhsa_user_sgpr_count 4
		.amdhsa_user_sgpr_private_segment_buffer 1
		.amdhsa_user_sgpr_dispatch_ptr 0
		.amdhsa_user_sgpr_queue_ptr 0
		.amdhsa_user_sgpr_kernarg_segment_ptr 0
		.amdhsa_user_sgpr_dispatch_id 0
		.amdhsa_user_sgpr_flat_scratch_init 0
		.amdhsa_user_sgpr_private_segment_size 0
		.amdhsa_wavefront_size32 1
		.amdhsa_uses_dynamic_stack 0
		.amdhsa_system_sgpr_private_segment_wavefront_offset 0
		.amdhsa_system_sgpr_workgroup_id_x 1
		.amdhsa_system_sgpr_workgroup_id_y 0
		.amdhsa_system_sgpr_workgroup_id_z 0
		.amdhsa_system_sgpr_workgroup_info 0
		.amdhsa_system_vgpr_workitem_id 0
		.amdhsa_next_free_vgpr 1
		.amdhsa_next_free_sgpr 1
		.amdhsa_reserve_vcc 0
		.amdhsa_reserve_flat_scratch 0
		.amdhsa_float_round_mode_32 0
		.amdhsa_float_round_mode_16_64 0
		.amdhsa_float_denorm_mode_32 3
		.amdhsa_float_denorm_mode_16_64 3
		.amdhsa_dx10_clamp 1
		.amdhsa_ieee_mode 1
		.amdhsa_fp16_overflow 0
		.amdhsa_workgroup_processor_mode 1
		.amdhsa_memory_ordered 1
		.amdhsa_forward_progress 1
		.amdhsa_shared_vgpr_count 0
		.amdhsa_exception_fp_ieee_invalid_op 0
		.amdhsa_exception_fp_denorm_src 0
		.amdhsa_exception_fp_ieee_div_zero 0
		.amdhsa_exception_fp_ieee_overflow 0
		.amdhsa_exception_fp_ieee_underflow 0
		.amdhsa_exception_fp_ieee_inexact 0
		.amdhsa_exception_int_div_zero 0
	.end_amdhsa_kernel
	.section	.text._ZN7rocprim17ROCPRIM_400000_NS6detail44device_merge_sort_compile_time_verifier_archINS1_11comp_targetILNS1_3genE3ELNS1_11target_archE908ELNS1_3gpuE7ELNS1_3repE0EEES8_NS1_28merge_sort_block_sort_configILj256ELj4ELNS0_20block_sort_algorithmE0EEENS0_14default_configENS1_37merge_sort_block_sort_config_selectorIiiEENS1_38merge_sort_block_merge_config_selectorIiiEEEEvv,"axG",@progbits,_ZN7rocprim17ROCPRIM_400000_NS6detail44device_merge_sort_compile_time_verifier_archINS1_11comp_targetILNS1_3genE3ELNS1_11target_archE908ELNS1_3gpuE7ELNS1_3repE0EEES8_NS1_28merge_sort_block_sort_configILj256ELj4ELNS0_20block_sort_algorithmE0EEENS0_14default_configENS1_37merge_sort_block_sort_config_selectorIiiEENS1_38merge_sort_block_merge_config_selectorIiiEEEEvv,comdat
.Lfunc_end702:
	.size	_ZN7rocprim17ROCPRIM_400000_NS6detail44device_merge_sort_compile_time_verifier_archINS1_11comp_targetILNS1_3genE3ELNS1_11target_archE908ELNS1_3gpuE7ELNS1_3repE0EEES8_NS1_28merge_sort_block_sort_configILj256ELj4ELNS0_20block_sort_algorithmE0EEENS0_14default_configENS1_37merge_sort_block_sort_config_selectorIiiEENS1_38merge_sort_block_merge_config_selectorIiiEEEEvv, .Lfunc_end702-_ZN7rocprim17ROCPRIM_400000_NS6detail44device_merge_sort_compile_time_verifier_archINS1_11comp_targetILNS1_3genE3ELNS1_11target_archE908ELNS1_3gpuE7ELNS1_3repE0EEES8_NS1_28merge_sort_block_sort_configILj256ELj4ELNS0_20block_sort_algorithmE0EEENS0_14default_configENS1_37merge_sort_block_sort_config_selectorIiiEENS1_38merge_sort_block_merge_config_selectorIiiEEEEvv
                                        ; -- End function
	.set _ZN7rocprim17ROCPRIM_400000_NS6detail44device_merge_sort_compile_time_verifier_archINS1_11comp_targetILNS1_3genE3ELNS1_11target_archE908ELNS1_3gpuE7ELNS1_3repE0EEES8_NS1_28merge_sort_block_sort_configILj256ELj4ELNS0_20block_sort_algorithmE0EEENS0_14default_configENS1_37merge_sort_block_sort_config_selectorIiiEENS1_38merge_sort_block_merge_config_selectorIiiEEEEvv.num_vgpr, 0
	.set _ZN7rocprim17ROCPRIM_400000_NS6detail44device_merge_sort_compile_time_verifier_archINS1_11comp_targetILNS1_3genE3ELNS1_11target_archE908ELNS1_3gpuE7ELNS1_3repE0EEES8_NS1_28merge_sort_block_sort_configILj256ELj4ELNS0_20block_sort_algorithmE0EEENS0_14default_configENS1_37merge_sort_block_sort_config_selectorIiiEENS1_38merge_sort_block_merge_config_selectorIiiEEEEvv.num_agpr, 0
	.set _ZN7rocprim17ROCPRIM_400000_NS6detail44device_merge_sort_compile_time_verifier_archINS1_11comp_targetILNS1_3genE3ELNS1_11target_archE908ELNS1_3gpuE7ELNS1_3repE0EEES8_NS1_28merge_sort_block_sort_configILj256ELj4ELNS0_20block_sort_algorithmE0EEENS0_14default_configENS1_37merge_sort_block_sort_config_selectorIiiEENS1_38merge_sort_block_merge_config_selectorIiiEEEEvv.numbered_sgpr, 0
	.set _ZN7rocprim17ROCPRIM_400000_NS6detail44device_merge_sort_compile_time_verifier_archINS1_11comp_targetILNS1_3genE3ELNS1_11target_archE908ELNS1_3gpuE7ELNS1_3repE0EEES8_NS1_28merge_sort_block_sort_configILj256ELj4ELNS0_20block_sort_algorithmE0EEENS0_14default_configENS1_37merge_sort_block_sort_config_selectorIiiEENS1_38merge_sort_block_merge_config_selectorIiiEEEEvv.num_named_barrier, 0
	.set _ZN7rocprim17ROCPRIM_400000_NS6detail44device_merge_sort_compile_time_verifier_archINS1_11comp_targetILNS1_3genE3ELNS1_11target_archE908ELNS1_3gpuE7ELNS1_3repE0EEES8_NS1_28merge_sort_block_sort_configILj256ELj4ELNS0_20block_sort_algorithmE0EEENS0_14default_configENS1_37merge_sort_block_sort_config_selectorIiiEENS1_38merge_sort_block_merge_config_selectorIiiEEEEvv.private_seg_size, 0
	.set _ZN7rocprim17ROCPRIM_400000_NS6detail44device_merge_sort_compile_time_verifier_archINS1_11comp_targetILNS1_3genE3ELNS1_11target_archE908ELNS1_3gpuE7ELNS1_3repE0EEES8_NS1_28merge_sort_block_sort_configILj256ELj4ELNS0_20block_sort_algorithmE0EEENS0_14default_configENS1_37merge_sort_block_sort_config_selectorIiiEENS1_38merge_sort_block_merge_config_selectorIiiEEEEvv.uses_vcc, 0
	.set _ZN7rocprim17ROCPRIM_400000_NS6detail44device_merge_sort_compile_time_verifier_archINS1_11comp_targetILNS1_3genE3ELNS1_11target_archE908ELNS1_3gpuE7ELNS1_3repE0EEES8_NS1_28merge_sort_block_sort_configILj256ELj4ELNS0_20block_sort_algorithmE0EEENS0_14default_configENS1_37merge_sort_block_sort_config_selectorIiiEENS1_38merge_sort_block_merge_config_selectorIiiEEEEvv.uses_flat_scratch, 0
	.set _ZN7rocprim17ROCPRIM_400000_NS6detail44device_merge_sort_compile_time_verifier_archINS1_11comp_targetILNS1_3genE3ELNS1_11target_archE908ELNS1_3gpuE7ELNS1_3repE0EEES8_NS1_28merge_sort_block_sort_configILj256ELj4ELNS0_20block_sort_algorithmE0EEENS0_14default_configENS1_37merge_sort_block_sort_config_selectorIiiEENS1_38merge_sort_block_merge_config_selectorIiiEEEEvv.has_dyn_sized_stack, 0
	.set _ZN7rocprim17ROCPRIM_400000_NS6detail44device_merge_sort_compile_time_verifier_archINS1_11comp_targetILNS1_3genE3ELNS1_11target_archE908ELNS1_3gpuE7ELNS1_3repE0EEES8_NS1_28merge_sort_block_sort_configILj256ELj4ELNS0_20block_sort_algorithmE0EEENS0_14default_configENS1_37merge_sort_block_sort_config_selectorIiiEENS1_38merge_sort_block_merge_config_selectorIiiEEEEvv.has_recursion, 0
	.set _ZN7rocprim17ROCPRIM_400000_NS6detail44device_merge_sort_compile_time_verifier_archINS1_11comp_targetILNS1_3genE3ELNS1_11target_archE908ELNS1_3gpuE7ELNS1_3repE0EEES8_NS1_28merge_sort_block_sort_configILj256ELj4ELNS0_20block_sort_algorithmE0EEENS0_14default_configENS1_37merge_sort_block_sort_config_selectorIiiEENS1_38merge_sort_block_merge_config_selectorIiiEEEEvv.has_indirect_call, 0
	.section	.AMDGPU.csdata,"",@progbits
; Kernel info:
; codeLenInByte = 4
; TotalNumSgprs: 0
; NumVgprs: 0
; ScratchSize: 0
; MemoryBound: 0
; FloatMode: 240
; IeeeMode: 1
; LDSByteSize: 0 bytes/workgroup (compile time only)
; SGPRBlocks: 0
; VGPRBlocks: 0
; NumSGPRsForWavesPerEU: 1
; NumVGPRsForWavesPerEU: 1
; Occupancy: 16
; WaveLimiterHint : 0
; COMPUTE_PGM_RSRC2:SCRATCH_EN: 0
; COMPUTE_PGM_RSRC2:USER_SGPR: 4
; COMPUTE_PGM_RSRC2:TRAP_HANDLER: 0
; COMPUTE_PGM_RSRC2:TGID_X_EN: 1
; COMPUTE_PGM_RSRC2:TGID_Y_EN: 0
; COMPUTE_PGM_RSRC2:TGID_Z_EN: 0
; COMPUTE_PGM_RSRC2:TIDIG_COMP_CNT: 0
	.section	.text._ZN7rocprim17ROCPRIM_400000_NS6detail44device_merge_sort_compile_time_verifier_archINS1_11comp_targetILNS1_3genE2ELNS1_11target_archE906ELNS1_3gpuE6ELNS1_3repE0EEES8_NS1_28merge_sort_block_sort_configILj256ELj4ELNS0_20block_sort_algorithmE0EEENS0_14default_configENS1_37merge_sort_block_sort_config_selectorIiiEENS1_38merge_sort_block_merge_config_selectorIiiEEEEvv,"axG",@progbits,_ZN7rocprim17ROCPRIM_400000_NS6detail44device_merge_sort_compile_time_verifier_archINS1_11comp_targetILNS1_3genE2ELNS1_11target_archE906ELNS1_3gpuE6ELNS1_3repE0EEES8_NS1_28merge_sort_block_sort_configILj256ELj4ELNS0_20block_sort_algorithmE0EEENS0_14default_configENS1_37merge_sort_block_sort_config_selectorIiiEENS1_38merge_sort_block_merge_config_selectorIiiEEEEvv,comdat
	.protected	_ZN7rocprim17ROCPRIM_400000_NS6detail44device_merge_sort_compile_time_verifier_archINS1_11comp_targetILNS1_3genE2ELNS1_11target_archE906ELNS1_3gpuE6ELNS1_3repE0EEES8_NS1_28merge_sort_block_sort_configILj256ELj4ELNS0_20block_sort_algorithmE0EEENS0_14default_configENS1_37merge_sort_block_sort_config_selectorIiiEENS1_38merge_sort_block_merge_config_selectorIiiEEEEvv ; -- Begin function _ZN7rocprim17ROCPRIM_400000_NS6detail44device_merge_sort_compile_time_verifier_archINS1_11comp_targetILNS1_3genE2ELNS1_11target_archE906ELNS1_3gpuE6ELNS1_3repE0EEES8_NS1_28merge_sort_block_sort_configILj256ELj4ELNS0_20block_sort_algorithmE0EEENS0_14default_configENS1_37merge_sort_block_sort_config_selectorIiiEENS1_38merge_sort_block_merge_config_selectorIiiEEEEvv
	.globl	_ZN7rocprim17ROCPRIM_400000_NS6detail44device_merge_sort_compile_time_verifier_archINS1_11comp_targetILNS1_3genE2ELNS1_11target_archE906ELNS1_3gpuE6ELNS1_3repE0EEES8_NS1_28merge_sort_block_sort_configILj256ELj4ELNS0_20block_sort_algorithmE0EEENS0_14default_configENS1_37merge_sort_block_sort_config_selectorIiiEENS1_38merge_sort_block_merge_config_selectorIiiEEEEvv
	.p2align	8
	.type	_ZN7rocprim17ROCPRIM_400000_NS6detail44device_merge_sort_compile_time_verifier_archINS1_11comp_targetILNS1_3genE2ELNS1_11target_archE906ELNS1_3gpuE6ELNS1_3repE0EEES8_NS1_28merge_sort_block_sort_configILj256ELj4ELNS0_20block_sort_algorithmE0EEENS0_14default_configENS1_37merge_sort_block_sort_config_selectorIiiEENS1_38merge_sort_block_merge_config_selectorIiiEEEEvv,@function
_ZN7rocprim17ROCPRIM_400000_NS6detail44device_merge_sort_compile_time_verifier_archINS1_11comp_targetILNS1_3genE2ELNS1_11target_archE906ELNS1_3gpuE6ELNS1_3repE0EEES8_NS1_28merge_sort_block_sort_configILj256ELj4ELNS0_20block_sort_algorithmE0EEENS0_14default_configENS1_37merge_sort_block_sort_config_selectorIiiEENS1_38merge_sort_block_merge_config_selectorIiiEEEEvv: ; @_ZN7rocprim17ROCPRIM_400000_NS6detail44device_merge_sort_compile_time_verifier_archINS1_11comp_targetILNS1_3genE2ELNS1_11target_archE906ELNS1_3gpuE6ELNS1_3repE0EEES8_NS1_28merge_sort_block_sort_configILj256ELj4ELNS0_20block_sort_algorithmE0EEENS0_14default_configENS1_37merge_sort_block_sort_config_selectorIiiEENS1_38merge_sort_block_merge_config_selectorIiiEEEEvv
; %bb.0:
	s_endpgm
	.section	.rodata,"a",@progbits
	.p2align	6, 0x0
	.amdhsa_kernel _ZN7rocprim17ROCPRIM_400000_NS6detail44device_merge_sort_compile_time_verifier_archINS1_11comp_targetILNS1_3genE2ELNS1_11target_archE906ELNS1_3gpuE6ELNS1_3repE0EEES8_NS1_28merge_sort_block_sort_configILj256ELj4ELNS0_20block_sort_algorithmE0EEENS0_14default_configENS1_37merge_sort_block_sort_config_selectorIiiEENS1_38merge_sort_block_merge_config_selectorIiiEEEEvv
		.amdhsa_group_segment_fixed_size 0
		.amdhsa_private_segment_fixed_size 0
		.amdhsa_kernarg_size 0
		.amdhsa_user_sgpr_count 4
		.amdhsa_user_sgpr_private_segment_buffer 1
		.amdhsa_user_sgpr_dispatch_ptr 0
		.amdhsa_user_sgpr_queue_ptr 0
		.amdhsa_user_sgpr_kernarg_segment_ptr 0
		.amdhsa_user_sgpr_dispatch_id 0
		.amdhsa_user_sgpr_flat_scratch_init 0
		.amdhsa_user_sgpr_private_segment_size 0
		.amdhsa_wavefront_size32 1
		.amdhsa_uses_dynamic_stack 0
		.amdhsa_system_sgpr_private_segment_wavefront_offset 0
		.amdhsa_system_sgpr_workgroup_id_x 1
		.amdhsa_system_sgpr_workgroup_id_y 0
		.amdhsa_system_sgpr_workgroup_id_z 0
		.amdhsa_system_sgpr_workgroup_info 0
		.amdhsa_system_vgpr_workitem_id 0
		.amdhsa_next_free_vgpr 1
		.amdhsa_next_free_sgpr 1
		.amdhsa_reserve_vcc 0
		.amdhsa_reserve_flat_scratch 0
		.amdhsa_float_round_mode_32 0
		.amdhsa_float_round_mode_16_64 0
		.amdhsa_float_denorm_mode_32 3
		.amdhsa_float_denorm_mode_16_64 3
		.amdhsa_dx10_clamp 1
		.amdhsa_ieee_mode 1
		.amdhsa_fp16_overflow 0
		.amdhsa_workgroup_processor_mode 1
		.amdhsa_memory_ordered 1
		.amdhsa_forward_progress 1
		.amdhsa_shared_vgpr_count 0
		.amdhsa_exception_fp_ieee_invalid_op 0
		.amdhsa_exception_fp_denorm_src 0
		.amdhsa_exception_fp_ieee_div_zero 0
		.amdhsa_exception_fp_ieee_overflow 0
		.amdhsa_exception_fp_ieee_underflow 0
		.amdhsa_exception_fp_ieee_inexact 0
		.amdhsa_exception_int_div_zero 0
	.end_amdhsa_kernel
	.section	.text._ZN7rocprim17ROCPRIM_400000_NS6detail44device_merge_sort_compile_time_verifier_archINS1_11comp_targetILNS1_3genE2ELNS1_11target_archE906ELNS1_3gpuE6ELNS1_3repE0EEES8_NS1_28merge_sort_block_sort_configILj256ELj4ELNS0_20block_sort_algorithmE0EEENS0_14default_configENS1_37merge_sort_block_sort_config_selectorIiiEENS1_38merge_sort_block_merge_config_selectorIiiEEEEvv,"axG",@progbits,_ZN7rocprim17ROCPRIM_400000_NS6detail44device_merge_sort_compile_time_verifier_archINS1_11comp_targetILNS1_3genE2ELNS1_11target_archE906ELNS1_3gpuE6ELNS1_3repE0EEES8_NS1_28merge_sort_block_sort_configILj256ELj4ELNS0_20block_sort_algorithmE0EEENS0_14default_configENS1_37merge_sort_block_sort_config_selectorIiiEENS1_38merge_sort_block_merge_config_selectorIiiEEEEvv,comdat
.Lfunc_end703:
	.size	_ZN7rocprim17ROCPRIM_400000_NS6detail44device_merge_sort_compile_time_verifier_archINS1_11comp_targetILNS1_3genE2ELNS1_11target_archE906ELNS1_3gpuE6ELNS1_3repE0EEES8_NS1_28merge_sort_block_sort_configILj256ELj4ELNS0_20block_sort_algorithmE0EEENS0_14default_configENS1_37merge_sort_block_sort_config_selectorIiiEENS1_38merge_sort_block_merge_config_selectorIiiEEEEvv, .Lfunc_end703-_ZN7rocprim17ROCPRIM_400000_NS6detail44device_merge_sort_compile_time_verifier_archINS1_11comp_targetILNS1_3genE2ELNS1_11target_archE906ELNS1_3gpuE6ELNS1_3repE0EEES8_NS1_28merge_sort_block_sort_configILj256ELj4ELNS0_20block_sort_algorithmE0EEENS0_14default_configENS1_37merge_sort_block_sort_config_selectorIiiEENS1_38merge_sort_block_merge_config_selectorIiiEEEEvv
                                        ; -- End function
	.set _ZN7rocprim17ROCPRIM_400000_NS6detail44device_merge_sort_compile_time_verifier_archINS1_11comp_targetILNS1_3genE2ELNS1_11target_archE906ELNS1_3gpuE6ELNS1_3repE0EEES8_NS1_28merge_sort_block_sort_configILj256ELj4ELNS0_20block_sort_algorithmE0EEENS0_14default_configENS1_37merge_sort_block_sort_config_selectorIiiEENS1_38merge_sort_block_merge_config_selectorIiiEEEEvv.num_vgpr, 0
	.set _ZN7rocprim17ROCPRIM_400000_NS6detail44device_merge_sort_compile_time_verifier_archINS1_11comp_targetILNS1_3genE2ELNS1_11target_archE906ELNS1_3gpuE6ELNS1_3repE0EEES8_NS1_28merge_sort_block_sort_configILj256ELj4ELNS0_20block_sort_algorithmE0EEENS0_14default_configENS1_37merge_sort_block_sort_config_selectorIiiEENS1_38merge_sort_block_merge_config_selectorIiiEEEEvv.num_agpr, 0
	.set _ZN7rocprim17ROCPRIM_400000_NS6detail44device_merge_sort_compile_time_verifier_archINS1_11comp_targetILNS1_3genE2ELNS1_11target_archE906ELNS1_3gpuE6ELNS1_3repE0EEES8_NS1_28merge_sort_block_sort_configILj256ELj4ELNS0_20block_sort_algorithmE0EEENS0_14default_configENS1_37merge_sort_block_sort_config_selectorIiiEENS1_38merge_sort_block_merge_config_selectorIiiEEEEvv.numbered_sgpr, 0
	.set _ZN7rocprim17ROCPRIM_400000_NS6detail44device_merge_sort_compile_time_verifier_archINS1_11comp_targetILNS1_3genE2ELNS1_11target_archE906ELNS1_3gpuE6ELNS1_3repE0EEES8_NS1_28merge_sort_block_sort_configILj256ELj4ELNS0_20block_sort_algorithmE0EEENS0_14default_configENS1_37merge_sort_block_sort_config_selectorIiiEENS1_38merge_sort_block_merge_config_selectorIiiEEEEvv.num_named_barrier, 0
	.set _ZN7rocprim17ROCPRIM_400000_NS6detail44device_merge_sort_compile_time_verifier_archINS1_11comp_targetILNS1_3genE2ELNS1_11target_archE906ELNS1_3gpuE6ELNS1_3repE0EEES8_NS1_28merge_sort_block_sort_configILj256ELj4ELNS0_20block_sort_algorithmE0EEENS0_14default_configENS1_37merge_sort_block_sort_config_selectorIiiEENS1_38merge_sort_block_merge_config_selectorIiiEEEEvv.private_seg_size, 0
	.set _ZN7rocprim17ROCPRIM_400000_NS6detail44device_merge_sort_compile_time_verifier_archINS1_11comp_targetILNS1_3genE2ELNS1_11target_archE906ELNS1_3gpuE6ELNS1_3repE0EEES8_NS1_28merge_sort_block_sort_configILj256ELj4ELNS0_20block_sort_algorithmE0EEENS0_14default_configENS1_37merge_sort_block_sort_config_selectorIiiEENS1_38merge_sort_block_merge_config_selectorIiiEEEEvv.uses_vcc, 0
	.set _ZN7rocprim17ROCPRIM_400000_NS6detail44device_merge_sort_compile_time_verifier_archINS1_11comp_targetILNS1_3genE2ELNS1_11target_archE906ELNS1_3gpuE6ELNS1_3repE0EEES8_NS1_28merge_sort_block_sort_configILj256ELj4ELNS0_20block_sort_algorithmE0EEENS0_14default_configENS1_37merge_sort_block_sort_config_selectorIiiEENS1_38merge_sort_block_merge_config_selectorIiiEEEEvv.uses_flat_scratch, 0
	.set _ZN7rocprim17ROCPRIM_400000_NS6detail44device_merge_sort_compile_time_verifier_archINS1_11comp_targetILNS1_3genE2ELNS1_11target_archE906ELNS1_3gpuE6ELNS1_3repE0EEES8_NS1_28merge_sort_block_sort_configILj256ELj4ELNS0_20block_sort_algorithmE0EEENS0_14default_configENS1_37merge_sort_block_sort_config_selectorIiiEENS1_38merge_sort_block_merge_config_selectorIiiEEEEvv.has_dyn_sized_stack, 0
	.set _ZN7rocprim17ROCPRIM_400000_NS6detail44device_merge_sort_compile_time_verifier_archINS1_11comp_targetILNS1_3genE2ELNS1_11target_archE906ELNS1_3gpuE6ELNS1_3repE0EEES8_NS1_28merge_sort_block_sort_configILj256ELj4ELNS0_20block_sort_algorithmE0EEENS0_14default_configENS1_37merge_sort_block_sort_config_selectorIiiEENS1_38merge_sort_block_merge_config_selectorIiiEEEEvv.has_recursion, 0
	.set _ZN7rocprim17ROCPRIM_400000_NS6detail44device_merge_sort_compile_time_verifier_archINS1_11comp_targetILNS1_3genE2ELNS1_11target_archE906ELNS1_3gpuE6ELNS1_3repE0EEES8_NS1_28merge_sort_block_sort_configILj256ELj4ELNS0_20block_sort_algorithmE0EEENS0_14default_configENS1_37merge_sort_block_sort_config_selectorIiiEENS1_38merge_sort_block_merge_config_selectorIiiEEEEvv.has_indirect_call, 0
	.section	.AMDGPU.csdata,"",@progbits
; Kernel info:
; codeLenInByte = 4
; TotalNumSgprs: 0
; NumVgprs: 0
; ScratchSize: 0
; MemoryBound: 0
; FloatMode: 240
; IeeeMode: 1
; LDSByteSize: 0 bytes/workgroup (compile time only)
; SGPRBlocks: 0
; VGPRBlocks: 0
; NumSGPRsForWavesPerEU: 1
; NumVGPRsForWavesPerEU: 1
; Occupancy: 16
; WaveLimiterHint : 0
; COMPUTE_PGM_RSRC2:SCRATCH_EN: 0
; COMPUTE_PGM_RSRC2:USER_SGPR: 4
; COMPUTE_PGM_RSRC2:TRAP_HANDLER: 0
; COMPUTE_PGM_RSRC2:TGID_X_EN: 1
; COMPUTE_PGM_RSRC2:TGID_Y_EN: 0
; COMPUTE_PGM_RSRC2:TGID_Z_EN: 0
; COMPUTE_PGM_RSRC2:TIDIG_COMP_CNT: 0
	.section	.text._ZN7rocprim17ROCPRIM_400000_NS6detail44device_merge_sort_compile_time_verifier_archINS1_11comp_targetILNS1_3genE10ELNS1_11target_archE1201ELNS1_3gpuE5ELNS1_3repE0EEES8_NS1_28merge_sort_block_sort_configILj256ELj4ELNS0_20block_sort_algorithmE0EEENS0_14default_configENS1_37merge_sort_block_sort_config_selectorIiiEENS1_38merge_sort_block_merge_config_selectorIiiEEEEvv,"axG",@progbits,_ZN7rocprim17ROCPRIM_400000_NS6detail44device_merge_sort_compile_time_verifier_archINS1_11comp_targetILNS1_3genE10ELNS1_11target_archE1201ELNS1_3gpuE5ELNS1_3repE0EEES8_NS1_28merge_sort_block_sort_configILj256ELj4ELNS0_20block_sort_algorithmE0EEENS0_14default_configENS1_37merge_sort_block_sort_config_selectorIiiEENS1_38merge_sort_block_merge_config_selectorIiiEEEEvv,comdat
	.protected	_ZN7rocprim17ROCPRIM_400000_NS6detail44device_merge_sort_compile_time_verifier_archINS1_11comp_targetILNS1_3genE10ELNS1_11target_archE1201ELNS1_3gpuE5ELNS1_3repE0EEES8_NS1_28merge_sort_block_sort_configILj256ELj4ELNS0_20block_sort_algorithmE0EEENS0_14default_configENS1_37merge_sort_block_sort_config_selectorIiiEENS1_38merge_sort_block_merge_config_selectorIiiEEEEvv ; -- Begin function _ZN7rocprim17ROCPRIM_400000_NS6detail44device_merge_sort_compile_time_verifier_archINS1_11comp_targetILNS1_3genE10ELNS1_11target_archE1201ELNS1_3gpuE5ELNS1_3repE0EEES8_NS1_28merge_sort_block_sort_configILj256ELj4ELNS0_20block_sort_algorithmE0EEENS0_14default_configENS1_37merge_sort_block_sort_config_selectorIiiEENS1_38merge_sort_block_merge_config_selectorIiiEEEEvv
	.globl	_ZN7rocprim17ROCPRIM_400000_NS6detail44device_merge_sort_compile_time_verifier_archINS1_11comp_targetILNS1_3genE10ELNS1_11target_archE1201ELNS1_3gpuE5ELNS1_3repE0EEES8_NS1_28merge_sort_block_sort_configILj256ELj4ELNS0_20block_sort_algorithmE0EEENS0_14default_configENS1_37merge_sort_block_sort_config_selectorIiiEENS1_38merge_sort_block_merge_config_selectorIiiEEEEvv
	.p2align	8
	.type	_ZN7rocprim17ROCPRIM_400000_NS6detail44device_merge_sort_compile_time_verifier_archINS1_11comp_targetILNS1_3genE10ELNS1_11target_archE1201ELNS1_3gpuE5ELNS1_3repE0EEES8_NS1_28merge_sort_block_sort_configILj256ELj4ELNS0_20block_sort_algorithmE0EEENS0_14default_configENS1_37merge_sort_block_sort_config_selectorIiiEENS1_38merge_sort_block_merge_config_selectorIiiEEEEvv,@function
_ZN7rocprim17ROCPRIM_400000_NS6detail44device_merge_sort_compile_time_verifier_archINS1_11comp_targetILNS1_3genE10ELNS1_11target_archE1201ELNS1_3gpuE5ELNS1_3repE0EEES8_NS1_28merge_sort_block_sort_configILj256ELj4ELNS0_20block_sort_algorithmE0EEENS0_14default_configENS1_37merge_sort_block_sort_config_selectorIiiEENS1_38merge_sort_block_merge_config_selectorIiiEEEEvv: ; @_ZN7rocprim17ROCPRIM_400000_NS6detail44device_merge_sort_compile_time_verifier_archINS1_11comp_targetILNS1_3genE10ELNS1_11target_archE1201ELNS1_3gpuE5ELNS1_3repE0EEES8_NS1_28merge_sort_block_sort_configILj256ELj4ELNS0_20block_sort_algorithmE0EEENS0_14default_configENS1_37merge_sort_block_sort_config_selectorIiiEENS1_38merge_sort_block_merge_config_selectorIiiEEEEvv
; %bb.0:
	s_endpgm
	.section	.rodata,"a",@progbits
	.p2align	6, 0x0
	.amdhsa_kernel _ZN7rocprim17ROCPRIM_400000_NS6detail44device_merge_sort_compile_time_verifier_archINS1_11comp_targetILNS1_3genE10ELNS1_11target_archE1201ELNS1_3gpuE5ELNS1_3repE0EEES8_NS1_28merge_sort_block_sort_configILj256ELj4ELNS0_20block_sort_algorithmE0EEENS0_14default_configENS1_37merge_sort_block_sort_config_selectorIiiEENS1_38merge_sort_block_merge_config_selectorIiiEEEEvv
		.amdhsa_group_segment_fixed_size 0
		.amdhsa_private_segment_fixed_size 0
		.amdhsa_kernarg_size 0
		.amdhsa_user_sgpr_count 4
		.amdhsa_user_sgpr_private_segment_buffer 1
		.amdhsa_user_sgpr_dispatch_ptr 0
		.amdhsa_user_sgpr_queue_ptr 0
		.amdhsa_user_sgpr_kernarg_segment_ptr 0
		.amdhsa_user_sgpr_dispatch_id 0
		.amdhsa_user_sgpr_flat_scratch_init 0
		.amdhsa_user_sgpr_private_segment_size 0
		.amdhsa_wavefront_size32 1
		.amdhsa_uses_dynamic_stack 0
		.amdhsa_system_sgpr_private_segment_wavefront_offset 0
		.amdhsa_system_sgpr_workgroup_id_x 1
		.amdhsa_system_sgpr_workgroup_id_y 0
		.amdhsa_system_sgpr_workgroup_id_z 0
		.amdhsa_system_sgpr_workgroup_info 0
		.amdhsa_system_vgpr_workitem_id 0
		.amdhsa_next_free_vgpr 1
		.amdhsa_next_free_sgpr 1
		.amdhsa_reserve_vcc 0
		.amdhsa_reserve_flat_scratch 0
		.amdhsa_float_round_mode_32 0
		.amdhsa_float_round_mode_16_64 0
		.amdhsa_float_denorm_mode_32 3
		.amdhsa_float_denorm_mode_16_64 3
		.amdhsa_dx10_clamp 1
		.amdhsa_ieee_mode 1
		.amdhsa_fp16_overflow 0
		.amdhsa_workgroup_processor_mode 1
		.amdhsa_memory_ordered 1
		.amdhsa_forward_progress 1
		.amdhsa_shared_vgpr_count 0
		.amdhsa_exception_fp_ieee_invalid_op 0
		.amdhsa_exception_fp_denorm_src 0
		.amdhsa_exception_fp_ieee_div_zero 0
		.amdhsa_exception_fp_ieee_overflow 0
		.amdhsa_exception_fp_ieee_underflow 0
		.amdhsa_exception_fp_ieee_inexact 0
		.amdhsa_exception_int_div_zero 0
	.end_amdhsa_kernel
	.section	.text._ZN7rocprim17ROCPRIM_400000_NS6detail44device_merge_sort_compile_time_verifier_archINS1_11comp_targetILNS1_3genE10ELNS1_11target_archE1201ELNS1_3gpuE5ELNS1_3repE0EEES8_NS1_28merge_sort_block_sort_configILj256ELj4ELNS0_20block_sort_algorithmE0EEENS0_14default_configENS1_37merge_sort_block_sort_config_selectorIiiEENS1_38merge_sort_block_merge_config_selectorIiiEEEEvv,"axG",@progbits,_ZN7rocprim17ROCPRIM_400000_NS6detail44device_merge_sort_compile_time_verifier_archINS1_11comp_targetILNS1_3genE10ELNS1_11target_archE1201ELNS1_3gpuE5ELNS1_3repE0EEES8_NS1_28merge_sort_block_sort_configILj256ELj4ELNS0_20block_sort_algorithmE0EEENS0_14default_configENS1_37merge_sort_block_sort_config_selectorIiiEENS1_38merge_sort_block_merge_config_selectorIiiEEEEvv,comdat
.Lfunc_end704:
	.size	_ZN7rocprim17ROCPRIM_400000_NS6detail44device_merge_sort_compile_time_verifier_archINS1_11comp_targetILNS1_3genE10ELNS1_11target_archE1201ELNS1_3gpuE5ELNS1_3repE0EEES8_NS1_28merge_sort_block_sort_configILj256ELj4ELNS0_20block_sort_algorithmE0EEENS0_14default_configENS1_37merge_sort_block_sort_config_selectorIiiEENS1_38merge_sort_block_merge_config_selectorIiiEEEEvv, .Lfunc_end704-_ZN7rocprim17ROCPRIM_400000_NS6detail44device_merge_sort_compile_time_verifier_archINS1_11comp_targetILNS1_3genE10ELNS1_11target_archE1201ELNS1_3gpuE5ELNS1_3repE0EEES8_NS1_28merge_sort_block_sort_configILj256ELj4ELNS0_20block_sort_algorithmE0EEENS0_14default_configENS1_37merge_sort_block_sort_config_selectorIiiEENS1_38merge_sort_block_merge_config_selectorIiiEEEEvv
                                        ; -- End function
	.set _ZN7rocprim17ROCPRIM_400000_NS6detail44device_merge_sort_compile_time_verifier_archINS1_11comp_targetILNS1_3genE10ELNS1_11target_archE1201ELNS1_3gpuE5ELNS1_3repE0EEES8_NS1_28merge_sort_block_sort_configILj256ELj4ELNS0_20block_sort_algorithmE0EEENS0_14default_configENS1_37merge_sort_block_sort_config_selectorIiiEENS1_38merge_sort_block_merge_config_selectorIiiEEEEvv.num_vgpr, 0
	.set _ZN7rocprim17ROCPRIM_400000_NS6detail44device_merge_sort_compile_time_verifier_archINS1_11comp_targetILNS1_3genE10ELNS1_11target_archE1201ELNS1_3gpuE5ELNS1_3repE0EEES8_NS1_28merge_sort_block_sort_configILj256ELj4ELNS0_20block_sort_algorithmE0EEENS0_14default_configENS1_37merge_sort_block_sort_config_selectorIiiEENS1_38merge_sort_block_merge_config_selectorIiiEEEEvv.num_agpr, 0
	.set _ZN7rocprim17ROCPRIM_400000_NS6detail44device_merge_sort_compile_time_verifier_archINS1_11comp_targetILNS1_3genE10ELNS1_11target_archE1201ELNS1_3gpuE5ELNS1_3repE0EEES8_NS1_28merge_sort_block_sort_configILj256ELj4ELNS0_20block_sort_algorithmE0EEENS0_14default_configENS1_37merge_sort_block_sort_config_selectorIiiEENS1_38merge_sort_block_merge_config_selectorIiiEEEEvv.numbered_sgpr, 0
	.set _ZN7rocprim17ROCPRIM_400000_NS6detail44device_merge_sort_compile_time_verifier_archINS1_11comp_targetILNS1_3genE10ELNS1_11target_archE1201ELNS1_3gpuE5ELNS1_3repE0EEES8_NS1_28merge_sort_block_sort_configILj256ELj4ELNS0_20block_sort_algorithmE0EEENS0_14default_configENS1_37merge_sort_block_sort_config_selectorIiiEENS1_38merge_sort_block_merge_config_selectorIiiEEEEvv.num_named_barrier, 0
	.set _ZN7rocprim17ROCPRIM_400000_NS6detail44device_merge_sort_compile_time_verifier_archINS1_11comp_targetILNS1_3genE10ELNS1_11target_archE1201ELNS1_3gpuE5ELNS1_3repE0EEES8_NS1_28merge_sort_block_sort_configILj256ELj4ELNS0_20block_sort_algorithmE0EEENS0_14default_configENS1_37merge_sort_block_sort_config_selectorIiiEENS1_38merge_sort_block_merge_config_selectorIiiEEEEvv.private_seg_size, 0
	.set _ZN7rocprim17ROCPRIM_400000_NS6detail44device_merge_sort_compile_time_verifier_archINS1_11comp_targetILNS1_3genE10ELNS1_11target_archE1201ELNS1_3gpuE5ELNS1_3repE0EEES8_NS1_28merge_sort_block_sort_configILj256ELj4ELNS0_20block_sort_algorithmE0EEENS0_14default_configENS1_37merge_sort_block_sort_config_selectorIiiEENS1_38merge_sort_block_merge_config_selectorIiiEEEEvv.uses_vcc, 0
	.set _ZN7rocprim17ROCPRIM_400000_NS6detail44device_merge_sort_compile_time_verifier_archINS1_11comp_targetILNS1_3genE10ELNS1_11target_archE1201ELNS1_3gpuE5ELNS1_3repE0EEES8_NS1_28merge_sort_block_sort_configILj256ELj4ELNS0_20block_sort_algorithmE0EEENS0_14default_configENS1_37merge_sort_block_sort_config_selectorIiiEENS1_38merge_sort_block_merge_config_selectorIiiEEEEvv.uses_flat_scratch, 0
	.set _ZN7rocprim17ROCPRIM_400000_NS6detail44device_merge_sort_compile_time_verifier_archINS1_11comp_targetILNS1_3genE10ELNS1_11target_archE1201ELNS1_3gpuE5ELNS1_3repE0EEES8_NS1_28merge_sort_block_sort_configILj256ELj4ELNS0_20block_sort_algorithmE0EEENS0_14default_configENS1_37merge_sort_block_sort_config_selectorIiiEENS1_38merge_sort_block_merge_config_selectorIiiEEEEvv.has_dyn_sized_stack, 0
	.set _ZN7rocprim17ROCPRIM_400000_NS6detail44device_merge_sort_compile_time_verifier_archINS1_11comp_targetILNS1_3genE10ELNS1_11target_archE1201ELNS1_3gpuE5ELNS1_3repE0EEES8_NS1_28merge_sort_block_sort_configILj256ELj4ELNS0_20block_sort_algorithmE0EEENS0_14default_configENS1_37merge_sort_block_sort_config_selectorIiiEENS1_38merge_sort_block_merge_config_selectorIiiEEEEvv.has_recursion, 0
	.set _ZN7rocprim17ROCPRIM_400000_NS6detail44device_merge_sort_compile_time_verifier_archINS1_11comp_targetILNS1_3genE10ELNS1_11target_archE1201ELNS1_3gpuE5ELNS1_3repE0EEES8_NS1_28merge_sort_block_sort_configILj256ELj4ELNS0_20block_sort_algorithmE0EEENS0_14default_configENS1_37merge_sort_block_sort_config_selectorIiiEENS1_38merge_sort_block_merge_config_selectorIiiEEEEvv.has_indirect_call, 0
	.section	.AMDGPU.csdata,"",@progbits
; Kernel info:
; codeLenInByte = 4
; TotalNumSgprs: 0
; NumVgprs: 0
; ScratchSize: 0
; MemoryBound: 0
; FloatMode: 240
; IeeeMode: 1
; LDSByteSize: 0 bytes/workgroup (compile time only)
; SGPRBlocks: 0
; VGPRBlocks: 0
; NumSGPRsForWavesPerEU: 1
; NumVGPRsForWavesPerEU: 1
; Occupancy: 16
; WaveLimiterHint : 0
; COMPUTE_PGM_RSRC2:SCRATCH_EN: 0
; COMPUTE_PGM_RSRC2:USER_SGPR: 4
; COMPUTE_PGM_RSRC2:TRAP_HANDLER: 0
; COMPUTE_PGM_RSRC2:TGID_X_EN: 1
; COMPUTE_PGM_RSRC2:TGID_Y_EN: 0
; COMPUTE_PGM_RSRC2:TGID_Z_EN: 0
; COMPUTE_PGM_RSRC2:TIDIG_COMP_CNT: 0
	.section	.text._ZN7rocprim17ROCPRIM_400000_NS6detail44device_merge_sort_compile_time_verifier_archINS1_11comp_targetILNS1_3genE10ELNS1_11target_archE1200ELNS1_3gpuE4ELNS1_3repE0EEENS3_ILS4_10ELS5_1201ELS6_5ELS7_0EEENS1_28merge_sort_block_sort_configILj256ELj4ELNS0_20block_sort_algorithmE0EEENS0_14default_configENS1_37merge_sort_block_sort_config_selectorIiiEENS1_38merge_sort_block_merge_config_selectorIiiEEEEvv,"axG",@progbits,_ZN7rocprim17ROCPRIM_400000_NS6detail44device_merge_sort_compile_time_verifier_archINS1_11comp_targetILNS1_3genE10ELNS1_11target_archE1200ELNS1_3gpuE4ELNS1_3repE0EEENS3_ILS4_10ELS5_1201ELS6_5ELS7_0EEENS1_28merge_sort_block_sort_configILj256ELj4ELNS0_20block_sort_algorithmE0EEENS0_14default_configENS1_37merge_sort_block_sort_config_selectorIiiEENS1_38merge_sort_block_merge_config_selectorIiiEEEEvv,comdat
	.protected	_ZN7rocprim17ROCPRIM_400000_NS6detail44device_merge_sort_compile_time_verifier_archINS1_11comp_targetILNS1_3genE10ELNS1_11target_archE1200ELNS1_3gpuE4ELNS1_3repE0EEENS3_ILS4_10ELS5_1201ELS6_5ELS7_0EEENS1_28merge_sort_block_sort_configILj256ELj4ELNS0_20block_sort_algorithmE0EEENS0_14default_configENS1_37merge_sort_block_sort_config_selectorIiiEENS1_38merge_sort_block_merge_config_selectorIiiEEEEvv ; -- Begin function _ZN7rocprim17ROCPRIM_400000_NS6detail44device_merge_sort_compile_time_verifier_archINS1_11comp_targetILNS1_3genE10ELNS1_11target_archE1200ELNS1_3gpuE4ELNS1_3repE0EEENS3_ILS4_10ELS5_1201ELS6_5ELS7_0EEENS1_28merge_sort_block_sort_configILj256ELj4ELNS0_20block_sort_algorithmE0EEENS0_14default_configENS1_37merge_sort_block_sort_config_selectorIiiEENS1_38merge_sort_block_merge_config_selectorIiiEEEEvv
	.globl	_ZN7rocprim17ROCPRIM_400000_NS6detail44device_merge_sort_compile_time_verifier_archINS1_11comp_targetILNS1_3genE10ELNS1_11target_archE1200ELNS1_3gpuE4ELNS1_3repE0EEENS3_ILS4_10ELS5_1201ELS6_5ELS7_0EEENS1_28merge_sort_block_sort_configILj256ELj4ELNS0_20block_sort_algorithmE0EEENS0_14default_configENS1_37merge_sort_block_sort_config_selectorIiiEENS1_38merge_sort_block_merge_config_selectorIiiEEEEvv
	.p2align	8
	.type	_ZN7rocprim17ROCPRIM_400000_NS6detail44device_merge_sort_compile_time_verifier_archINS1_11comp_targetILNS1_3genE10ELNS1_11target_archE1200ELNS1_3gpuE4ELNS1_3repE0EEENS3_ILS4_10ELS5_1201ELS6_5ELS7_0EEENS1_28merge_sort_block_sort_configILj256ELj4ELNS0_20block_sort_algorithmE0EEENS0_14default_configENS1_37merge_sort_block_sort_config_selectorIiiEENS1_38merge_sort_block_merge_config_selectorIiiEEEEvv,@function
_ZN7rocprim17ROCPRIM_400000_NS6detail44device_merge_sort_compile_time_verifier_archINS1_11comp_targetILNS1_3genE10ELNS1_11target_archE1200ELNS1_3gpuE4ELNS1_3repE0EEENS3_ILS4_10ELS5_1201ELS6_5ELS7_0EEENS1_28merge_sort_block_sort_configILj256ELj4ELNS0_20block_sort_algorithmE0EEENS0_14default_configENS1_37merge_sort_block_sort_config_selectorIiiEENS1_38merge_sort_block_merge_config_selectorIiiEEEEvv: ; @_ZN7rocprim17ROCPRIM_400000_NS6detail44device_merge_sort_compile_time_verifier_archINS1_11comp_targetILNS1_3genE10ELNS1_11target_archE1200ELNS1_3gpuE4ELNS1_3repE0EEENS3_ILS4_10ELS5_1201ELS6_5ELS7_0EEENS1_28merge_sort_block_sort_configILj256ELj4ELNS0_20block_sort_algorithmE0EEENS0_14default_configENS1_37merge_sort_block_sort_config_selectorIiiEENS1_38merge_sort_block_merge_config_selectorIiiEEEEvv
; %bb.0:
	s_endpgm
	.section	.rodata,"a",@progbits
	.p2align	6, 0x0
	.amdhsa_kernel _ZN7rocprim17ROCPRIM_400000_NS6detail44device_merge_sort_compile_time_verifier_archINS1_11comp_targetILNS1_3genE10ELNS1_11target_archE1200ELNS1_3gpuE4ELNS1_3repE0EEENS3_ILS4_10ELS5_1201ELS6_5ELS7_0EEENS1_28merge_sort_block_sort_configILj256ELj4ELNS0_20block_sort_algorithmE0EEENS0_14default_configENS1_37merge_sort_block_sort_config_selectorIiiEENS1_38merge_sort_block_merge_config_selectorIiiEEEEvv
		.amdhsa_group_segment_fixed_size 0
		.amdhsa_private_segment_fixed_size 0
		.amdhsa_kernarg_size 0
		.amdhsa_user_sgpr_count 4
		.amdhsa_user_sgpr_private_segment_buffer 1
		.amdhsa_user_sgpr_dispatch_ptr 0
		.amdhsa_user_sgpr_queue_ptr 0
		.amdhsa_user_sgpr_kernarg_segment_ptr 0
		.amdhsa_user_sgpr_dispatch_id 0
		.amdhsa_user_sgpr_flat_scratch_init 0
		.amdhsa_user_sgpr_private_segment_size 0
		.amdhsa_wavefront_size32 1
		.amdhsa_uses_dynamic_stack 0
		.amdhsa_system_sgpr_private_segment_wavefront_offset 0
		.amdhsa_system_sgpr_workgroup_id_x 1
		.amdhsa_system_sgpr_workgroup_id_y 0
		.amdhsa_system_sgpr_workgroup_id_z 0
		.amdhsa_system_sgpr_workgroup_info 0
		.amdhsa_system_vgpr_workitem_id 0
		.amdhsa_next_free_vgpr 1
		.amdhsa_next_free_sgpr 1
		.amdhsa_reserve_vcc 0
		.amdhsa_reserve_flat_scratch 0
		.amdhsa_float_round_mode_32 0
		.amdhsa_float_round_mode_16_64 0
		.amdhsa_float_denorm_mode_32 3
		.amdhsa_float_denorm_mode_16_64 3
		.amdhsa_dx10_clamp 1
		.amdhsa_ieee_mode 1
		.amdhsa_fp16_overflow 0
		.amdhsa_workgroup_processor_mode 1
		.amdhsa_memory_ordered 1
		.amdhsa_forward_progress 1
		.amdhsa_shared_vgpr_count 0
		.amdhsa_exception_fp_ieee_invalid_op 0
		.amdhsa_exception_fp_denorm_src 0
		.amdhsa_exception_fp_ieee_div_zero 0
		.amdhsa_exception_fp_ieee_overflow 0
		.amdhsa_exception_fp_ieee_underflow 0
		.amdhsa_exception_fp_ieee_inexact 0
		.amdhsa_exception_int_div_zero 0
	.end_amdhsa_kernel
	.section	.text._ZN7rocprim17ROCPRIM_400000_NS6detail44device_merge_sort_compile_time_verifier_archINS1_11comp_targetILNS1_3genE10ELNS1_11target_archE1200ELNS1_3gpuE4ELNS1_3repE0EEENS3_ILS4_10ELS5_1201ELS6_5ELS7_0EEENS1_28merge_sort_block_sort_configILj256ELj4ELNS0_20block_sort_algorithmE0EEENS0_14default_configENS1_37merge_sort_block_sort_config_selectorIiiEENS1_38merge_sort_block_merge_config_selectorIiiEEEEvv,"axG",@progbits,_ZN7rocprim17ROCPRIM_400000_NS6detail44device_merge_sort_compile_time_verifier_archINS1_11comp_targetILNS1_3genE10ELNS1_11target_archE1200ELNS1_3gpuE4ELNS1_3repE0EEENS3_ILS4_10ELS5_1201ELS6_5ELS7_0EEENS1_28merge_sort_block_sort_configILj256ELj4ELNS0_20block_sort_algorithmE0EEENS0_14default_configENS1_37merge_sort_block_sort_config_selectorIiiEENS1_38merge_sort_block_merge_config_selectorIiiEEEEvv,comdat
.Lfunc_end705:
	.size	_ZN7rocprim17ROCPRIM_400000_NS6detail44device_merge_sort_compile_time_verifier_archINS1_11comp_targetILNS1_3genE10ELNS1_11target_archE1200ELNS1_3gpuE4ELNS1_3repE0EEENS3_ILS4_10ELS5_1201ELS6_5ELS7_0EEENS1_28merge_sort_block_sort_configILj256ELj4ELNS0_20block_sort_algorithmE0EEENS0_14default_configENS1_37merge_sort_block_sort_config_selectorIiiEENS1_38merge_sort_block_merge_config_selectorIiiEEEEvv, .Lfunc_end705-_ZN7rocprim17ROCPRIM_400000_NS6detail44device_merge_sort_compile_time_verifier_archINS1_11comp_targetILNS1_3genE10ELNS1_11target_archE1200ELNS1_3gpuE4ELNS1_3repE0EEENS3_ILS4_10ELS5_1201ELS6_5ELS7_0EEENS1_28merge_sort_block_sort_configILj256ELj4ELNS0_20block_sort_algorithmE0EEENS0_14default_configENS1_37merge_sort_block_sort_config_selectorIiiEENS1_38merge_sort_block_merge_config_selectorIiiEEEEvv
                                        ; -- End function
	.set _ZN7rocprim17ROCPRIM_400000_NS6detail44device_merge_sort_compile_time_verifier_archINS1_11comp_targetILNS1_3genE10ELNS1_11target_archE1200ELNS1_3gpuE4ELNS1_3repE0EEENS3_ILS4_10ELS5_1201ELS6_5ELS7_0EEENS1_28merge_sort_block_sort_configILj256ELj4ELNS0_20block_sort_algorithmE0EEENS0_14default_configENS1_37merge_sort_block_sort_config_selectorIiiEENS1_38merge_sort_block_merge_config_selectorIiiEEEEvv.num_vgpr, 0
	.set _ZN7rocprim17ROCPRIM_400000_NS6detail44device_merge_sort_compile_time_verifier_archINS1_11comp_targetILNS1_3genE10ELNS1_11target_archE1200ELNS1_3gpuE4ELNS1_3repE0EEENS3_ILS4_10ELS5_1201ELS6_5ELS7_0EEENS1_28merge_sort_block_sort_configILj256ELj4ELNS0_20block_sort_algorithmE0EEENS0_14default_configENS1_37merge_sort_block_sort_config_selectorIiiEENS1_38merge_sort_block_merge_config_selectorIiiEEEEvv.num_agpr, 0
	.set _ZN7rocprim17ROCPRIM_400000_NS6detail44device_merge_sort_compile_time_verifier_archINS1_11comp_targetILNS1_3genE10ELNS1_11target_archE1200ELNS1_3gpuE4ELNS1_3repE0EEENS3_ILS4_10ELS5_1201ELS6_5ELS7_0EEENS1_28merge_sort_block_sort_configILj256ELj4ELNS0_20block_sort_algorithmE0EEENS0_14default_configENS1_37merge_sort_block_sort_config_selectorIiiEENS1_38merge_sort_block_merge_config_selectorIiiEEEEvv.numbered_sgpr, 0
	.set _ZN7rocprim17ROCPRIM_400000_NS6detail44device_merge_sort_compile_time_verifier_archINS1_11comp_targetILNS1_3genE10ELNS1_11target_archE1200ELNS1_3gpuE4ELNS1_3repE0EEENS3_ILS4_10ELS5_1201ELS6_5ELS7_0EEENS1_28merge_sort_block_sort_configILj256ELj4ELNS0_20block_sort_algorithmE0EEENS0_14default_configENS1_37merge_sort_block_sort_config_selectorIiiEENS1_38merge_sort_block_merge_config_selectorIiiEEEEvv.num_named_barrier, 0
	.set _ZN7rocprim17ROCPRIM_400000_NS6detail44device_merge_sort_compile_time_verifier_archINS1_11comp_targetILNS1_3genE10ELNS1_11target_archE1200ELNS1_3gpuE4ELNS1_3repE0EEENS3_ILS4_10ELS5_1201ELS6_5ELS7_0EEENS1_28merge_sort_block_sort_configILj256ELj4ELNS0_20block_sort_algorithmE0EEENS0_14default_configENS1_37merge_sort_block_sort_config_selectorIiiEENS1_38merge_sort_block_merge_config_selectorIiiEEEEvv.private_seg_size, 0
	.set _ZN7rocprim17ROCPRIM_400000_NS6detail44device_merge_sort_compile_time_verifier_archINS1_11comp_targetILNS1_3genE10ELNS1_11target_archE1200ELNS1_3gpuE4ELNS1_3repE0EEENS3_ILS4_10ELS5_1201ELS6_5ELS7_0EEENS1_28merge_sort_block_sort_configILj256ELj4ELNS0_20block_sort_algorithmE0EEENS0_14default_configENS1_37merge_sort_block_sort_config_selectorIiiEENS1_38merge_sort_block_merge_config_selectorIiiEEEEvv.uses_vcc, 0
	.set _ZN7rocprim17ROCPRIM_400000_NS6detail44device_merge_sort_compile_time_verifier_archINS1_11comp_targetILNS1_3genE10ELNS1_11target_archE1200ELNS1_3gpuE4ELNS1_3repE0EEENS3_ILS4_10ELS5_1201ELS6_5ELS7_0EEENS1_28merge_sort_block_sort_configILj256ELj4ELNS0_20block_sort_algorithmE0EEENS0_14default_configENS1_37merge_sort_block_sort_config_selectorIiiEENS1_38merge_sort_block_merge_config_selectorIiiEEEEvv.uses_flat_scratch, 0
	.set _ZN7rocprim17ROCPRIM_400000_NS6detail44device_merge_sort_compile_time_verifier_archINS1_11comp_targetILNS1_3genE10ELNS1_11target_archE1200ELNS1_3gpuE4ELNS1_3repE0EEENS3_ILS4_10ELS5_1201ELS6_5ELS7_0EEENS1_28merge_sort_block_sort_configILj256ELj4ELNS0_20block_sort_algorithmE0EEENS0_14default_configENS1_37merge_sort_block_sort_config_selectorIiiEENS1_38merge_sort_block_merge_config_selectorIiiEEEEvv.has_dyn_sized_stack, 0
	.set _ZN7rocprim17ROCPRIM_400000_NS6detail44device_merge_sort_compile_time_verifier_archINS1_11comp_targetILNS1_3genE10ELNS1_11target_archE1200ELNS1_3gpuE4ELNS1_3repE0EEENS3_ILS4_10ELS5_1201ELS6_5ELS7_0EEENS1_28merge_sort_block_sort_configILj256ELj4ELNS0_20block_sort_algorithmE0EEENS0_14default_configENS1_37merge_sort_block_sort_config_selectorIiiEENS1_38merge_sort_block_merge_config_selectorIiiEEEEvv.has_recursion, 0
	.set _ZN7rocprim17ROCPRIM_400000_NS6detail44device_merge_sort_compile_time_verifier_archINS1_11comp_targetILNS1_3genE10ELNS1_11target_archE1200ELNS1_3gpuE4ELNS1_3repE0EEENS3_ILS4_10ELS5_1201ELS6_5ELS7_0EEENS1_28merge_sort_block_sort_configILj256ELj4ELNS0_20block_sort_algorithmE0EEENS0_14default_configENS1_37merge_sort_block_sort_config_selectorIiiEENS1_38merge_sort_block_merge_config_selectorIiiEEEEvv.has_indirect_call, 0
	.section	.AMDGPU.csdata,"",@progbits
; Kernel info:
; codeLenInByte = 4
; TotalNumSgprs: 0
; NumVgprs: 0
; ScratchSize: 0
; MemoryBound: 0
; FloatMode: 240
; IeeeMode: 1
; LDSByteSize: 0 bytes/workgroup (compile time only)
; SGPRBlocks: 0
; VGPRBlocks: 0
; NumSGPRsForWavesPerEU: 1
; NumVGPRsForWavesPerEU: 1
; Occupancy: 16
; WaveLimiterHint : 0
; COMPUTE_PGM_RSRC2:SCRATCH_EN: 0
; COMPUTE_PGM_RSRC2:USER_SGPR: 4
; COMPUTE_PGM_RSRC2:TRAP_HANDLER: 0
; COMPUTE_PGM_RSRC2:TGID_X_EN: 1
; COMPUTE_PGM_RSRC2:TGID_Y_EN: 0
; COMPUTE_PGM_RSRC2:TGID_Z_EN: 0
; COMPUTE_PGM_RSRC2:TIDIG_COMP_CNT: 0
	.section	.text._ZN7rocprim17ROCPRIM_400000_NS6detail44device_merge_sort_compile_time_verifier_archINS1_11comp_targetILNS1_3genE9ELNS1_11target_archE1100ELNS1_3gpuE3ELNS1_3repE0EEES8_NS1_28merge_sort_block_sort_configILj256ELj4ELNS0_20block_sort_algorithmE0EEENS0_14default_configENS1_37merge_sort_block_sort_config_selectorIiiEENS1_38merge_sort_block_merge_config_selectorIiiEEEEvv,"axG",@progbits,_ZN7rocprim17ROCPRIM_400000_NS6detail44device_merge_sort_compile_time_verifier_archINS1_11comp_targetILNS1_3genE9ELNS1_11target_archE1100ELNS1_3gpuE3ELNS1_3repE0EEES8_NS1_28merge_sort_block_sort_configILj256ELj4ELNS0_20block_sort_algorithmE0EEENS0_14default_configENS1_37merge_sort_block_sort_config_selectorIiiEENS1_38merge_sort_block_merge_config_selectorIiiEEEEvv,comdat
	.protected	_ZN7rocprim17ROCPRIM_400000_NS6detail44device_merge_sort_compile_time_verifier_archINS1_11comp_targetILNS1_3genE9ELNS1_11target_archE1100ELNS1_3gpuE3ELNS1_3repE0EEES8_NS1_28merge_sort_block_sort_configILj256ELj4ELNS0_20block_sort_algorithmE0EEENS0_14default_configENS1_37merge_sort_block_sort_config_selectorIiiEENS1_38merge_sort_block_merge_config_selectorIiiEEEEvv ; -- Begin function _ZN7rocprim17ROCPRIM_400000_NS6detail44device_merge_sort_compile_time_verifier_archINS1_11comp_targetILNS1_3genE9ELNS1_11target_archE1100ELNS1_3gpuE3ELNS1_3repE0EEES8_NS1_28merge_sort_block_sort_configILj256ELj4ELNS0_20block_sort_algorithmE0EEENS0_14default_configENS1_37merge_sort_block_sort_config_selectorIiiEENS1_38merge_sort_block_merge_config_selectorIiiEEEEvv
	.globl	_ZN7rocprim17ROCPRIM_400000_NS6detail44device_merge_sort_compile_time_verifier_archINS1_11comp_targetILNS1_3genE9ELNS1_11target_archE1100ELNS1_3gpuE3ELNS1_3repE0EEES8_NS1_28merge_sort_block_sort_configILj256ELj4ELNS0_20block_sort_algorithmE0EEENS0_14default_configENS1_37merge_sort_block_sort_config_selectorIiiEENS1_38merge_sort_block_merge_config_selectorIiiEEEEvv
	.p2align	8
	.type	_ZN7rocprim17ROCPRIM_400000_NS6detail44device_merge_sort_compile_time_verifier_archINS1_11comp_targetILNS1_3genE9ELNS1_11target_archE1100ELNS1_3gpuE3ELNS1_3repE0EEES8_NS1_28merge_sort_block_sort_configILj256ELj4ELNS0_20block_sort_algorithmE0EEENS0_14default_configENS1_37merge_sort_block_sort_config_selectorIiiEENS1_38merge_sort_block_merge_config_selectorIiiEEEEvv,@function
_ZN7rocprim17ROCPRIM_400000_NS6detail44device_merge_sort_compile_time_verifier_archINS1_11comp_targetILNS1_3genE9ELNS1_11target_archE1100ELNS1_3gpuE3ELNS1_3repE0EEES8_NS1_28merge_sort_block_sort_configILj256ELj4ELNS0_20block_sort_algorithmE0EEENS0_14default_configENS1_37merge_sort_block_sort_config_selectorIiiEENS1_38merge_sort_block_merge_config_selectorIiiEEEEvv: ; @_ZN7rocprim17ROCPRIM_400000_NS6detail44device_merge_sort_compile_time_verifier_archINS1_11comp_targetILNS1_3genE9ELNS1_11target_archE1100ELNS1_3gpuE3ELNS1_3repE0EEES8_NS1_28merge_sort_block_sort_configILj256ELj4ELNS0_20block_sort_algorithmE0EEENS0_14default_configENS1_37merge_sort_block_sort_config_selectorIiiEENS1_38merge_sort_block_merge_config_selectorIiiEEEEvv
; %bb.0:
	s_endpgm
	.section	.rodata,"a",@progbits
	.p2align	6, 0x0
	.amdhsa_kernel _ZN7rocprim17ROCPRIM_400000_NS6detail44device_merge_sort_compile_time_verifier_archINS1_11comp_targetILNS1_3genE9ELNS1_11target_archE1100ELNS1_3gpuE3ELNS1_3repE0EEES8_NS1_28merge_sort_block_sort_configILj256ELj4ELNS0_20block_sort_algorithmE0EEENS0_14default_configENS1_37merge_sort_block_sort_config_selectorIiiEENS1_38merge_sort_block_merge_config_selectorIiiEEEEvv
		.amdhsa_group_segment_fixed_size 0
		.amdhsa_private_segment_fixed_size 0
		.amdhsa_kernarg_size 0
		.amdhsa_user_sgpr_count 4
		.amdhsa_user_sgpr_private_segment_buffer 1
		.amdhsa_user_sgpr_dispatch_ptr 0
		.amdhsa_user_sgpr_queue_ptr 0
		.amdhsa_user_sgpr_kernarg_segment_ptr 0
		.amdhsa_user_sgpr_dispatch_id 0
		.amdhsa_user_sgpr_flat_scratch_init 0
		.amdhsa_user_sgpr_private_segment_size 0
		.amdhsa_wavefront_size32 1
		.amdhsa_uses_dynamic_stack 0
		.amdhsa_system_sgpr_private_segment_wavefront_offset 0
		.amdhsa_system_sgpr_workgroup_id_x 1
		.amdhsa_system_sgpr_workgroup_id_y 0
		.amdhsa_system_sgpr_workgroup_id_z 0
		.amdhsa_system_sgpr_workgroup_info 0
		.amdhsa_system_vgpr_workitem_id 0
		.amdhsa_next_free_vgpr 1
		.amdhsa_next_free_sgpr 1
		.amdhsa_reserve_vcc 0
		.amdhsa_reserve_flat_scratch 0
		.amdhsa_float_round_mode_32 0
		.amdhsa_float_round_mode_16_64 0
		.amdhsa_float_denorm_mode_32 3
		.amdhsa_float_denorm_mode_16_64 3
		.amdhsa_dx10_clamp 1
		.amdhsa_ieee_mode 1
		.amdhsa_fp16_overflow 0
		.amdhsa_workgroup_processor_mode 1
		.amdhsa_memory_ordered 1
		.amdhsa_forward_progress 1
		.amdhsa_shared_vgpr_count 0
		.amdhsa_exception_fp_ieee_invalid_op 0
		.amdhsa_exception_fp_denorm_src 0
		.amdhsa_exception_fp_ieee_div_zero 0
		.amdhsa_exception_fp_ieee_overflow 0
		.amdhsa_exception_fp_ieee_underflow 0
		.amdhsa_exception_fp_ieee_inexact 0
		.amdhsa_exception_int_div_zero 0
	.end_amdhsa_kernel
	.section	.text._ZN7rocprim17ROCPRIM_400000_NS6detail44device_merge_sort_compile_time_verifier_archINS1_11comp_targetILNS1_3genE9ELNS1_11target_archE1100ELNS1_3gpuE3ELNS1_3repE0EEES8_NS1_28merge_sort_block_sort_configILj256ELj4ELNS0_20block_sort_algorithmE0EEENS0_14default_configENS1_37merge_sort_block_sort_config_selectorIiiEENS1_38merge_sort_block_merge_config_selectorIiiEEEEvv,"axG",@progbits,_ZN7rocprim17ROCPRIM_400000_NS6detail44device_merge_sort_compile_time_verifier_archINS1_11comp_targetILNS1_3genE9ELNS1_11target_archE1100ELNS1_3gpuE3ELNS1_3repE0EEES8_NS1_28merge_sort_block_sort_configILj256ELj4ELNS0_20block_sort_algorithmE0EEENS0_14default_configENS1_37merge_sort_block_sort_config_selectorIiiEENS1_38merge_sort_block_merge_config_selectorIiiEEEEvv,comdat
.Lfunc_end706:
	.size	_ZN7rocprim17ROCPRIM_400000_NS6detail44device_merge_sort_compile_time_verifier_archINS1_11comp_targetILNS1_3genE9ELNS1_11target_archE1100ELNS1_3gpuE3ELNS1_3repE0EEES8_NS1_28merge_sort_block_sort_configILj256ELj4ELNS0_20block_sort_algorithmE0EEENS0_14default_configENS1_37merge_sort_block_sort_config_selectorIiiEENS1_38merge_sort_block_merge_config_selectorIiiEEEEvv, .Lfunc_end706-_ZN7rocprim17ROCPRIM_400000_NS6detail44device_merge_sort_compile_time_verifier_archINS1_11comp_targetILNS1_3genE9ELNS1_11target_archE1100ELNS1_3gpuE3ELNS1_3repE0EEES8_NS1_28merge_sort_block_sort_configILj256ELj4ELNS0_20block_sort_algorithmE0EEENS0_14default_configENS1_37merge_sort_block_sort_config_selectorIiiEENS1_38merge_sort_block_merge_config_selectorIiiEEEEvv
                                        ; -- End function
	.set _ZN7rocprim17ROCPRIM_400000_NS6detail44device_merge_sort_compile_time_verifier_archINS1_11comp_targetILNS1_3genE9ELNS1_11target_archE1100ELNS1_3gpuE3ELNS1_3repE0EEES8_NS1_28merge_sort_block_sort_configILj256ELj4ELNS0_20block_sort_algorithmE0EEENS0_14default_configENS1_37merge_sort_block_sort_config_selectorIiiEENS1_38merge_sort_block_merge_config_selectorIiiEEEEvv.num_vgpr, 0
	.set _ZN7rocprim17ROCPRIM_400000_NS6detail44device_merge_sort_compile_time_verifier_archINS1_11comp_targetILNS1_3genE9ELNS1_11target_archE1100ELNS1_3gpuE3ELNS1_3repE0EEES8_NS1_28merge_sort_block_sort_configILj256ELj4ELNS0_20block_sort_algorithmE0EEENS0_14default_configENS1_37merge_sort_block_sort_config_selectorIiiEENS1_38merge_sort_block_merge_config_selectorIiiEEEEvv.num_agpr, 0
	.set _ZN7rocprim17ROCPRIM_400000_NS6detail44device_merge_sort_compile_time_verifier_archINS1_11comp_targetILNS1_3genE9ELNS1_11target_archE1100ELNS1_3gpuE3ELNS1_3repE0EEES8_NS1_28merge_sort_block_sort_configILj256ELj4ELNS0_20block_sort_algorithmE0EEENS0_14default_configENS1_37merge_sort_block_sort_config_selectorIiiEENS1_38merge_sort_block_merge_config_selectorIiiEEEEvv.numbered_sgpr, 0
	.set _ZN7rocprim17ROCPRIM_400000_NS6detail44device_merge_sort_compile_time_verifier_archINS1_11comp_targetILNS1_3genE9ELNS1_11target_archE1100ELNS1_3gpuE3ELNS1_3repE0EEES8_NS1_28merge_sort_block_sort_configILj256ELj4ELNS0_20block_sort_algorithmE0EEENS0_14default_configENS1_37merge_sort_block_sort_config_selectorIiiEENS1_38merge_sort_block_merge_config_selectorIiiEEEEvv.num_named_barrier, 0
	.set _ZN7rocprim17ROCPRIM_400000_NS6detail44device_merge_sort_compile_time_verifier_archINS1_11comp_targetILNS1_3genE9ELNS1_11target_archE1100ELNS1_3gpuE3ELNS1_3repE0EEES8_NS1_28merge_sort_block_sort_configILj256ELj4ELNS0_20block_sort_algorithmE0EEENS0_14default_configENS1_37merge_sort_block_sort_config_selectorIiiEENS1_38merge_sort_block_merge_config_selectorIiiEEEEvv.private_seg_size, 0
	.set _ZN7rocprim17ROCPRIM_400000_NS6detail44device_merge_sort_compile_time_verifier_archINS1_11comp_targetILNS1_3genE9ELNS1_11target_archE1100ELNS1_3gpuE3ELNS1_3repE0EEES8_NS1_28merge_sort_block_sort_configILj256ELj4ELNS0_20block_sort_algorithmE0EEENS0_14default_configENS1_37merge_sort_block_sort_config_selectorIiiEENS1_38merge_sort_block_merge_config_selectorIiiEEEEvv.uses_vcc, 0
	.set _ZN7rocprim17ROCPRIM_400000_NS6detail44device_merge_sort_compile_time_verifier_archINS1_11comp_targetILNS1_3genE9ELNS1_11target_archE1100ELNS1_3gpuE3ELNS1_3repE0EEES8_NS1_28merge_sort_block_sort_configILj256ELj4ELNS0_20block_sort_algorithmE0EEENS0_14default_configENS1_37merge_sort_block_sort_config_selectorIiiEENS1_38merge_sort_block_merge_config_selectorIiiEEEEvv.uses_flat_scratch, 0
	.set _ZN7rocprim17ROCPRIM_400000_NS6detail44device_merge_sort_compile_time_verifier_archINS1_11comp_targetILNS1_3genE9ELNS1_11target_archE1100ELNS1_3gpuE3ELNS1_3repE0EEES8_NS1_28merge_sort_block_sort_configILj256ELj4ELNS0_20block_sort_algorithmE0EEENS0_14default_configENS1_37merge_sort_block_sort_config_selectorIiiEENS1_38merge_sort_block_merge_config_selectorIiiEEEEvv.has_dyn_sized_stack, 0
	.set _ZN7rocprim17ROCPRIM_400000_NS6detail44device_merge_sort_compile_time_verifier_archINS1_11comp_targetILNS1_3genE9ELNS1_11target_archE1100ELNS1_3gpuE3ELNS1_3repE0EEES8_NS1_28merge_sort_block_sort_configILj256ELj4ELNS0_20block_sort_algorithmE0EEENS0_14default_configENS1_37merge_sort_block_sort_config_selectorIiiEENS1_38merge_sort_block_merge_config_selectorIiiEEEEvv.has_recursion, 0
	.set _ZN7rocprim17ROCPRIM_400000_NS6detail44device_merge_sort_compile_time_verifier_archINS1_11comp_targetILNS1_3genE9ELNS1_11target_archE1100ELNS1_3gpuE3ELNS1_3repE0EEES8_NS1_28merge_sort_block_sort_configILj256ELj4ELNS0_20block_sort_algorithmE0EEENS0_14default_configENS1_37merge_sort_block_sort_config_selectorIiiEENS1_38merge_sort_block_merge_config_selectorIiiEEEEvv.has_indirect_call, 0
	.section	.AMDGPU.csdata,"",@progbits
; Kernel info:
; codeLenInByte = 4
; TotalNumSgprs: 0
; NumVgprs: 0
; ScratchSize: 0
; MemoryBound: 0
; FloatMode: 240
; IeeeMode: 1
; LDSByteSize: 0 bytes/workgroup (compile time only)
; SGPRBlocks: 0
; VGPRBlocks: 0
; NumSGPRsForWavesPerEU: 1
; NumVGPRsForWavesPerEU: 1
; Occupancy: 16
; WaveLimiterHint : 0
; COMPUTE_PGM_RSRC2:SCRATCH_EN: 0
; COMPUTE_PGM_RSRC2:USER_SGPR: 4
; COMPUTE_PGM_RSRC2:TRAP_HANDLER: 0
; COMPUTE_PGM_RSRC2:TGID_X_EN: 1
; COMPUTE_PGM_RSRC2:TGID_Y_EN: 0
; COMPUTE_PGM_RSRC2:TGID_Z_EN: 0
; COMPUTE_PGM_RSRC2:TIDIG_COMP_CNT: 0
	.section	.text._ZN7rocprim17ROCPRIM_400000_NS6detail44device_merge_sort_compile_time_verifier_archINS1_11comp_targetILNS1_3genE8ELNS1_11target_archE1030ELNS1_3gpuE2ELNS1_3repE0EEES8_NS1_28merge_sort_block_sort_configILj256ELj4ELNS0_20block_sort_algorithmE0EEENS0_14default_configENS1_37merge_sort_block_sort_config_selectorIiiEENS1_38merge_sort_block_merge_config_selectorIiiEEEEvv,"axG",@progbits,_ZN7rocprim17ROCPRIM_400000_NS6detail44device_merge_sort_compile_time_verifier_archINS1_11comp_targetILNS1_3genE8ELNS1_11target_archE1030ELNS1_3gpuE2ELNS1_3repE0EEES8_NS1_28merge_sort_block_sort_configILj256ELj4ELNS0_20block_sort_algorithmE0EEENS0_14default_configENS1_37merge_sort_block_sort_config_selectorIiiEENS1_38merge_sort_block_merge_config_selectorIiiEEEEvv,comdat
	.protected	_ZN7rocprim17ROCPRIM_400000_NS6detail44device_merge_sort_compile_time_verifier_archINS1_11comp_targetILNS1_3genE8ELNS1_11target_archE1030ELNS1_3gpuE2ELNS1_3repE0EEES8_NS1_28merge_sort_block_sort_configILj256ELj4ELNS0_20block_sort_algorithmE0EEENS0_14default_configENS1_37merge_sort_block_sort_config_selectorIiiEENS1_38merge_sort_block_merge_config_selectorIiiEEEEvv ; -- Begin function _ZN7rocprim17ROCPRIM_400000_NS6detail44device_merge_sort_compile_time_verifier_archINS1_11comp_targetILNS1_3genE8ELNS1_11target_archE1030ELNS1_3gpuE2ELNS1_3repE0EEES8_NS1_28merge_sort_block_sort_configILj256ELj4ELNS0_20block_sort_algorithmE0EEENS0_14default_configENS1_37merge_sort_block_sort_config_selectorIiiEENS1_38merge_sort_block_merge_config_selectorIiiEEEEvv
	.globl	_ZN7rocprim17ROCPRIM_400000_NS6detail44device_merge_sort_compile_time_verifier_archINS1_11comp_targetILNS1_3genE8ELNS1_11target_archE1030ELNS1_3gpuE2ELNS1_3repE0EEES8_NS1_28merge_sort_block_sort_configILj256ELj4ELNS0_20block_sort_algorithmE0EEENS0_14default_configENS1_37merge_sort_block_sort_config_selectorIiiEENS1_38merge_sort_block_merge_config_selectorIiiEEEEvv
	.p2align	8
	.type	_ZN7rocprim17ROCPRIM_400000_NS6detail44device_merge_sort_compile_time_verifier_archINS1_11comp_targetILNS1_3genE8ELNS1_11target_archE1030ELNS1_3gpuE2ELNS1_3repE0EEES8_NS1_28merge_sort_block_sort_configILj256ELj4ELNS0_20block_sort_algorithmE0EEENS0_14default_configENS1_37merge_sort_block_sort_config_selectorIiiEENS1_38merge_sort_block_merge_config_selectorIiiEEEEvv,@function
_ZN7rocprim17ROCPRIM_400000_NS6detail44device_merge_sort_compile_time_verifier_archINS1_11comp_targetILNS1_3genE8ELNS1_11target_archE1030ELNS1_3gpuE2ELNS1_3repE0EEES8_NS1_28merge_sort_block_sort_configILj256ELj4ELNS0_20block_sort_algorithmE0EEENS0_14default_configENS1_37merge_sort_block_sort_config_selectorIiiEENS1_38merge_sort_block_merge_config_selectorIiiEEEEvv: ; @_ZN7rocprim17ROCPRIM_400000_NS6detail44device_merge_sort_compile_time_verifier_archINS1_11comp_targetILNS1_3genE8ELNS1_11target_archE1030ELNS1_3gpuE2ELNS1_3repE0EEES8_NS1_28merge_sort_block_sort_configILj256ELj4ELNS0_20block_sort_algorithmE0EEENS0_14default_configENS1_37merge_sort_block_sort_config_selectorIiiEENS1_38merge_sort_block_merge_config_selectorIiiEEEEvv
; %bb.0:
	s_endpgm
	.section	.rodata,"a",@progbits
	.p2align	6, 0x0
	.amdhsa_kernel _ZN7rocprim17ROCPRIM_400000_NS6detail44device_merge_sort_compile_time_verifier_archINS1_11comp_targetILNS1_3genE8ELNS1_11target_archE1030ELNS1_3gpuE2ELNS1_3repE0EEES8_NS1_28merge_sort_block_sort_configILj256ELj4ELNS0_20block_sort_algorithmE0EEENS0_14default_configENS1_37merge_sort_block_sort_config_selectorIiiEENS1_38merge_sort_block_merge_config_selectorIiiEEEEvv
		.amdhsa_group_segment_fixed_size 0
		.amdhsa_private_segment_fixed_size 0
		.amdhsa_kernarg_size 0
		.amdhsa_user_sgpr_count 4
		.amdhsa_user_sgpr_private_segment_buffer 1
		.amdhsa_user_sgpr_dispatch_ptr 0
		.amdhsa_user_sgpr_queue_ptr 0
		.amdhsa_user_sgpr_kernarg_segment_ptr 0
		.amdhsa_user_sgpr_dispatch_id 0
		.amdhsa_user_sgpr_flat_scratch_init 0
		.amdhsa_user_sgpr_private_segment_size 0
		.amdhsa_wavefront_size32 1
		.amdhsa_uses_dynamic_stack 0
		.amdhsa_system_sgpr_private_segment_wavefront_offset 0
		.amdhsa_system_sgpr_workgroup_id_x 1
		.amdhsa_system_sgpr_workgroup_id_y 0
		.amdhsa_system_sgpr_workgroup_id_z 0
		.amdhsa_system_sgpr_workgroup_info 0
		.amdhsa_system_vgpr_workitem_id 0
		.amdhsa_next_free_vgpr 1
		.amdhsa_next_free_sgpr 1
		.amdhsa_reserve_vcc 0
		.amdhsa_reserve_flat_scratch 0
		.amdhsa_float_round_mode_32 0
		.amdhsa_float_round_mode_16_64 0
		.amdhsa_float_denorm_mode_32 3
		.amdhsa_float_denorm_mode_16_64 3
		.amdhsa_dx10_clamp 1
		.amdhsa_ieee_mode 1
		.amdhsa_fp16_overflow 0
		.amdhsa_workgroup_processor_mode 1
		.amdhsa_memory_ordered 1
		.amdhsa_forward_progress 1
		.amdhsa_shared_vgpr_count 0
		.amdhsa_exception_fp_ieee_invalid_op 0
		.amdhsa_exception_fp_denorm_src 0
		.amdhsa_exception_fp_ieee_div_zero 0
		.amdhsa_exception_fp_ieee_overflow 0
		.amdhsa_exception_fp_ieee_underflow 0
		.amdhsa_exception_fp_ieee_inexact 0
		.amdhsa_exception_int_div_zero 0
	.end_amdhsa_kernel
	.section	.text._ZN7rocprim17ROCPRIM_400000_NS6detail44device_merge_sort_compile_time_verifier_archINS1_11comp_targetILNS1_3genE8ELNS1_11target_archE1030ELNS1_3gpuE2ELNS1_3repE0EEES8_NS1_28merge_sort_block_sort_configILj256ELj4ELNS0_20block_sort_algorithmE0EEENS0_14default_configENS1_37merge_sort_block_sort_config_selectorIiiEENS1_38merge_sort_block_merge_config_selectorIiiEEEEvv,"axG",@progbits,_ZN7rocprim17ROCPRIM_400000_NS6detail44device_merge_sort_compile_time_verifier_archINS1_11comp_targetILNS1_3genE8ELNS1_11target_archE1030ELNS1_3gpuE2ELNS1_3repE0EEES8_NS1_28merge_sort_block_sort_configILj256ELj4ELNS0_20block_sort_algorithmE0EEENS0_14default_configENS1_37merge_sort_block_sort_config_selectorIiiEENS1_38merge_sort_block_merge_config_selectorIiiEEEEvv,comdat
.Lfunc_end707:
	.size	_ZN7rocprim17ROCPRIM_400000_NS6detail44device_merge_sort_compile_time_verifier_archINS1_11comp_targetILNS1_3genE8ELNS1_11target_archE1030ELNS1_3gpuE2ELNS1_3repE0EEES8_NS1_28merge_sort_block_sort_configILj256ELj4ELNS0_20block_sort_algorithmE0EEENS0_14default_configENS1_37merge_sort_block_sort_config_selectorIiiEENS1_38merge_sort_block_merge_config_selectorIiiEEEEvv, .Lfunc_end707-_ZN7rocprim17ROCPRIM_400000_NS6detail44device_merge_sort_compile_time_verifier_archINS1_11comp_targetILNS1_3genE8ELNS1_11target_archE1030ELNS1_3gpuE2ELNS1_3repE0EEES8_NS1_28merge_sort_block_sort_configILj256ELj4ELNS0_20block_sort_algorithmE0EEENS0_14default_configENS1_37merge_sort_block_sort_config_selectorIiiEENS1_38merge_sort_block_merge_config_selectorIiiEEEEvv
                                        ; -- End function
	.set _ZN7rocprim17ROCPRIM_400000_NS6detail44device_merge_sort_compile_time_verifier_archINS1_11comp_targetILNS1_3genE8ELNS1_11target_archE1030ELNS1_3gpuE2ELNS1_3repE0EEES8_NS1_28merge_sort_block_sort_configILj256ELj4ELNS0_20block_sort_algorithmE0EEENS0_14default_configENS1_37merge_sort_block_sort_config_selectorIiiEENS1_38merge_sort_block_merge_config_selectorIiiEEEEvv.num_vgpr, 0
	.set _ZN7rocprim17ROCPRIM_400000_NS6detail44device_merge_sort_compile_time_verifier_archINS1_11comp_targetILNS1_3genE8ELNS1_11target_archE1030ELNS1_3gpuE2ELNS1_3repE0EEES8_NS1_28merge_sort_block_sort_configILj256ELj4ELNS0_20block_sort_algorithmE0EEENS0_14default_configENS1_37merge_sort_block_sort_config_selectorIiiEENS1_38merge_sort_block_merge_config_selectorIiiEEEEvv.num_agpr, 0
	.set _ZN7rocprim17ROCPRIM_400000_NS6detail44device_merge_sort_compile_time_verifier_archINS1_11comp_targetILNS1_3genE8ELNS1_11target_archE1030ELNS1_3gpuE2ELNS1_3repE0EEES8_NS1_28merge_sort_block_sort_configILj256ELj4ELNS0_20block_sort_algorithmE0EEENS0_14default_configENS1_37merge_sort_block_sort_config_selectorIiiEENS1_38merge_sort_block_merge_config_selectorIiiEEEEvv.numbered_sgpr, 0
	.set _ZN7rocprim17ROCPRIM_400000_NS6detail44device_merge_sort_compile_time_verifier_archINS1_11comp_targetILNS1_3genE8ELNS1_11target_archE1030ELNS1_3gpuE2ELNS1_3repE0EEES8_NS1_28merge_sort_block_sort_configILj256ELj4ELNS0_20block_sort_algorithmE0EEENS0_14default_configENS1_37merge_sort_block_sort_config_selectorIiiEENS1_38merge_sort_block_merge_config_selectorIiiEEEEvv.num_named_barrier, 0
	.set _ZN7rocprim17ROCPRIM_400000_NS6detail44device_merge_sort_compile_time_verifier_archINS1_11comp_targetILNS1_3genE8ELNS1_11target_archE1030ELNS1_3gpuE2ELNS1_3repE0EEES8_NS1_28merge_sort_block_sort_configILj256ELj4ELNS0_20block_sort_algorithmE0EEENS0_14default_configENS1_37merge_sort_block_sort_config_selectorIiiEENS1_38merge_sort_block_merge_config_selectorIiiEEEEvv.private_seg_size, 0
	.set _ZN7rocprim17ROCPRIM_400000_NS6detail44device_merge_sort_compile_time_verifier_archINS1_11comp_targetILNS1_3genE8ELNS1_11target_archE1030ELNS1_3gpuE2ELNS1_3repE0EEES8_NS1_28merge_sort_block_sort_configILj256ELj4ELNS0_20block_sort_algorithmE0EEENS0_14default_configENS1_37merge_sort_block_sort_config_selectorIiiEENS1_38merge_sort_block_merge_config_selectorIiiEEEEvv.uses_vcc, 0
	.set _ZN7rocprim17ROCPRIM_400000_NS6detail44device_merge_sort_compile_time_verifier_archINS1_11comp_targetILNS1_3genE8ELNS1_11target_archE1030ELNS1_3gpuE2ELNS1_3repE0EEES8_NS1_28merge_sort_block_sort_configILj256ELj4ELNS0_20block_sort_algorithmE0EEENS0_14default_configENS1_37merge_sort_block_sort_config_selectorIiiEENS1_38merge_sort_block_merge_config_selectorIiiEEEEvv.uses_flat_scratch, 0
	.set _ZN7rocprim17ROCPRIM_400000_NS6detail44device_merge_sort_compile_time_verifier_archINS1_11comp_targetILNS1_3genE8ELNS1_11target_archE1030ELNS1_3gpuE2ELNS1_3repE0EEES8_NS1_28merge_sort_block_sort_configILj256ELj4ELNS0_20block_sort_algorithmE0EEENS0_14default_configENS1_37merge_sort_block_sort_config_selectorIiiEENS1_38merge_sort_block_merge_config_selectorIiiEEEEvv.has_dyn_sized_stack, 0
	.set _ZN7rocprim17ROCPRIM_400000_NS6detail44device_merge_sort_compile_time_verifier_archINS1_11comp_targetILNS1_3genE8ELNS1_11target_archE1030ELNS1_3gpuE2ELNS1_3repE0EEES8_NS1_28merge_sort_block_sort_configILj256ELj4ELNS0_20block_sort_algorithmE0EEENS0_14default_configENS1_37merge_sort_block_sort_config_selectorIiiEENS1_38merge_sort_block_merge_config_selectorIiiEEEEvv.has_recursion, 0
	.set _ZN7rocprim17ROCPRIM_400000_NS6detail44device_merge_sort_compile_time_verifier_archINS1_11comp_targetILNS1_3genE8ELNS1_11target_archE1030ELNS1_3gpuE2ELNS1_3repE0EEES8_NS1_28merge_sort_block_sort_configILj256ELj4ELNS0_20block_sort_algorithmE0EEENS0_14default_configENS1_37merge_sort_block_sort_config_selectorIiiEENS1_38merge_sort_block_merge_config_selectorIiiEEEEvv.has_indirect_call, 0
	.section	.AMDGPU.csdata,"",@progbits
; Kernel info:
; codeLenInByte = 4
; TotalNumSgprs: 0
; NumVgprs: 0
; ScratchSize: 0
; MemoryBound: 0
; FloatMode: 240
; IeeeMode: 1
; LDSByteSize: 0 bytes/workgroup (compile time only)
; SGPRBlocks: 0
; VGPRBlocks: 0
; NumSGPRsForWavesPerEU: 1
; NumVGPRsForWavesPerEU: 1
; Occupancy: 16
; WaveLimiterHint : 0
; COMPUTE_PGM_RSRC2:SCRATCH_EN: 0
; COMPUTE_PGM_RSRC2:USER_SGPR: 4
; COMPUTE_PGM_RSRC2:TRAP_HANDLER: 0
; COMPUTE_PGM_RSRC2:TGID_X_EN: 1
; COMPUTE_PGM_RSRC2:TGID_Y_EN: 0
; COMPUTE_PGM_RSRC2:TGID_Z_EN: 0
; COMPUTE_PGM_RSRC2:TIDIG_COMP_CNT: 0
	.section	.text._ZN7rocprim17ROCPRIM_400000_NS6detail17trampoline_kernelINS0_14default_configENS1_38merge_sort_block_merge_config_selectorIiiEEZZNS1_27merge_sort_block_merge_implIS3_N6thrust23THRUST_200600_302600_NS6detail15normal_iteratorINS8_10device_ptrIiEEEESD_jNS1_19radix_merge_compareILb0ELb0EiNS0_19identity_decomposerEEEEE10hipError_tT0_T1_T2_jT3_P12ihipStream_tbPNSt15iterator_traitsISI_E10value_typeEPNSO_ISJ_E10value_typeEPSK_NS1_7vsmem_tEENKUlT_SI_SJ_SK_E_clIPiSD_S10_SD_EESH_SX_SI_SJ_SK_EUlSX_E_NS1_11comp_targetILNS1_3genE0ELNS1_11target_archE4294967295ELNS1_3gpuE0ELNS1_3repE0EEENS1_48merge_mergepath_partition_config_static_selectorELNS0_4arch9wavefront6targetE0EEEvSJ_,"axG",@progbits,_ZN7rocprim17ROCPRIM_400000_NS6detail17trampoline_kernelINS0_14default_configENS1_38merge_sort_block_merge_config_selectorIiiEEZZNS1_27merge_sort_block_merge_implIS3_N6thrust23THRUST_200600_302600_NS6detail15normal_iteratorINS8_10device_ptrIiEEEESD_jNS1_19radix_merge_compareILb0ELb0EiNS0_19identity_decomposerEEEEE10hipError_tT0_T1_T2_jT3_P12ihipStream_tbPNSt15iterator_traitsISI_E10value_typeEPNSO_ISJ_E10value_typeEPSK_NS1_7vsmem_tEENKUlT_SI_SJ_SK_E_clIPiSD_S10_SD_EESH_SX_SI_SJ_SK_EUlSX_E_NS1_11comp_targetILNS1_3genE0ELNS1_11target_archE4294967295ELNS1_3gpuE0ELNS1_3repE0EEENS1_48merge_mergepath_partition_config_static_selectorELNS0_4arch9wavefront6targetE0EEEvSJ_,comdat
	.protected	_ZN7rocprim17ROCPRIM_400000_NS6detail17trampoline_kernelINS0_14default_configENS1_38merge_sort_block_merge_config_selectorIiiEEZZNS1_27merge_sort_block_merge_implIS3_N6thrust23THRUST_200600_302600_NS6detail15normal_iteratorINS8_10device_ptrIiEEEESD_jNS1_19radix_merge_compareILb0ELb0EiNS0_19identity_decomposerEEEEE10hipError_tT0_T1_T2_jT3_P12ihipStream_tbPNSt15iterator_traitsISI_E10value_typeEPNSO_ISJ_E10value_typeEPSK_NS1_7vsmem_tEENKUlT_SI_SJ_SK_E_clIPiSD_S10_SD_EESH_SX_SI_SJ_SK_EUlSX_E_NS1_11comp_targetILNS1_3genE0ELNS1_11target_archE4294967295ELNS1_3gpuE0ELNS1_3repE0EEENS1_48merge_mergepath_partition_config_static_selectorELNS0_4arch9wavefront6targetE0EEEvSJ_ ; -- Begin function _ZN7rocprim17ROCPRIM_400000_NS6detail17trampoline_kernelINS0_14default_configENS1_38merge_sort_block_merge_config_selectorIiiEEZZNS1_27merge_sort_block_merge_implIS3_N6thrust23THRUST_200600_302600_NS6detail15normal_iteratorINS8_10device_ptrIiEEEESD_jNS1_19radix_merge_compareILb0ELb0EiNS0_19identity_decomposerEEEEE10hipError_tT0_T1_T2_jT3_P12ihipStream_tbPNSt15iterator_traitsISI_E10value_typeEPNSO_ISJ_E10value_typeEPSK_NS1_7vsmem_tEENKUlT_SI_SJ_SK_E_clIPiSD_S10_SD_EESH_SX_SI_SJ_SK_EUlSX_E_NS1_11comp_targetILNS1_3genE0ELNS1_11target_archE4294967295ELNS1_3gpuE0ELNS1_3repE0EEENS1_48merge_mergepath_partition_config_static_selectorELNS0_4arch9wavefront6targetE0EEEvSJ_
	.globl	_ZN7rocprim17ROCPRIM_400000_NS6detail17trampoline_kernelINS0_14default_configENS1_38merge_sort_block_merge_config_selectorIiiEEZZNS1_27merge_sort_block_merge_implIS3_N6thrust23THRUST_200600_302600_NS6detail15normal_iteratorINS8_10device_ptrIiEEEESD_jNS1_19radix_merge_compareILb0ELb0EiNS0_19identity_decomposerEEEEE10hipError_tT0_T1_T2_jT3_P12ihipStream_tbPNSt15iterator_traitsISI_E10value_typeEPNSO_ISJ_E10value_typeEPSK_NS1_7vsmem_tEENKUlT_SI_SJ_SK_E_clIPiSD_S10_SD_EESH_SX_SI_SJ_SK_EUlSX_E_NS1_11comp_targetILNS1_3genE0ELNS1_11target_archE4294967295ELNS1_3gpuE0ELNS1_3repE0EEENS1_48merge_mergepath_partition_config_static_selectorELNS0_4arch9wavefront6targetE0EEEvSJ_
	.p2align	8
	.type	_ZN7rocprim17ROCPRIM_400000_NS6detail17trampoline_kernelINS0_14default_configENS1_38merge_sort_block_merge_config_selectorIiiEEZZNS1_27merge_sort_block_merge_implIS3_N6thrust23THRUST_200600_302600_NS6detail15normal_iteratorINS8_10device_ptrIiEEEESD_jNS1_19radix_merge_compareILb0ELb0EiNS0_19identity_decomposerEEEEE10hipError_tT0_T1_T2_jT3_P12ihipStream_tbPNSt15iterator_traitsISI_E10value_typeEPNSO_ISJ_E10value_typeEPSK_NS1_7vsmem_tEENKUlT_SI_SJ_SK_E_clIPiSD_S10_SD_EESH_SX_SI_SJ_SK_EUlSX_E_NS1_11comp_targetILNS1_3genE0ELNS1_11target_archE4294967295ELNS1_3gpuE0ELNS1_3repE0EEENS1_48merge_mergepath_partition_config_static_selectorELNS0_4arch9wavefront6targetE0EEEvSJ_,@function
_ZN7rocprim17ROCPRIM_400000_NS6detail17trampoline_kernelINS0_14default_configENS1_38merge_sort_block_merge_config_selectorIiiEEZZNS1_27merge_sort_block_merge_implIS3_N6thrust23THRUST_200600_302600_NS6detail15normal_iteratorINS8_10device_ptrIiEEEESD_jNS1_19radix_merge_compareILb0ELb0EiNS0_19identity_decomposerEEEEE10hipError_tT0_T1_T2_jT3_P12ihipStream_tbPNSt15iterator_traitsISI_E10value_typeEPNSO_ISJ_E10value_typeEPSK_NS1_7vsmem_tEENKUlT_SI_SJ_SK_E_clIPiSD_S10_SD_EESH_SX_SI_SJ_SK_EUlSX_E_NS1_11comp_targetILNS1_3genE0ELNS1_11target_archE4294967295ELNS1_3gpuE0ELNS1_3repE0EEENS1_48merge_mergepath_partition_config_static_selectorELNS0_4arch9wavefront6targetE0EEEvSJ_: ; @_ZN7rocprim17ROCPRIM_400000_NS6detail17trampoline_kernelINS0_14default_configENS1_38merge_sort_block_merge_config_selectorIiiEEZZNS1_27merge_sort_block_merge_implIS3_N6thrust23THRUST_200600_302600_NS6detail15normal_iteratorINS8_10device_ptrIiEEEESD_jNS1_19radix_merge_compareILb0ELb0EiNS0_19identity_decomposerEEEEE10hipError_tT0_T1_T2_jT3_P12ihipStream_tbPNSt15iterator_traitsISI_E10value_typeEPNSO_ISJ_E10value_typeEPSK_NS1_7vsmem_tEENKUlT_SI_SJ_SK_E_clIPiSD_S10_SD_EESH_SX_SI_SJ_SK_EUlSX_E_NS1_11comp_targetILNS1_3genE0ELNS1_11target_archE4294967295ELNS1_3gpuE0ELNS1_3repE0EEENS1_48merge_mergepath_partition_config_static_selectorELNS0_4arch9wavefront6targetE0EEEvSJ_
; %bb.0:
	.section	.rodata,"a",@progbits
	.p2align	6, 0x0
	.amdhsa_kernel _ZN7rocprim17ROCPRIM_400000_NS6detail17trampoline_kernelINS0_14default_configENS1_38merge_sort_block_merge_config_selectorIiiEEZZNS1_27merge_sort_block_merge_implIS3_N6thrust23THRUST_200600_302600_NS6detail15normal_iteratorINS8_10device_ptrIiEEEESD_jNS1_19radix_merge_compareILb0ELb0EiNS0_19identity_decomposerEEEEE10hipError_tT0_T1_T2_jT3_P12ihipStream_tbPNSt15iterator_traitsISI_E10value_typeEPNSO_ISJ_E10value_typeEPSK_NS1_7vsmem_tEENKUlT_SI_SJ_SK_E_clIPiSD_S10_SD_EESH_SX_SI_SJ_SK_EUlSX_E_NS1_11comp_targetILNS1_3genE0ELNS1_11target_archE4294967295ELNS1_3gpuE0ELNS1_3repE0EEENS1_48merge_mergepath_partition_config_static_selectorELNS0_4arch9wavefront6targetE0EEEvSJ_
		.amdhsa_group_segment_fixed_size 0
		.amdhsa_private_segment_fixed_size 0
		.amdhsa_kernarg_size 40
		.amdhsa_user_sgpr_count 6
		.amdhsa_user_sgpr_private_segment_buffer 1
		.amdhsa_user_sgpr_dispatch_ptr 0
		.amdhsa_user_sgpr_queue_ptr 0
		.amdhsa_user_sgpr_kernarg_segment_ptr 1
		.amdhsa_user_sgpr_dispatch_id 0
		.amdhsa_user_sgpr_flat_scratch_init 0
		.amdhsa_user_sgpr_private_segment_size 0
		.amdhsa_wavefront_size32 1
		.amdhsa_uses_dynamic_stack 0
		.amdhsa_system_sgpr_private_segment_wavefront_offset 0
		.amdhsa_system_sgpr_workgroup_id_x 1
		.amdhsa_system_sgpr_workgroup_id_y 0
		.amdhsa_system_sgpr_workgroup_id_z 0
		.amdhsa_system_sgpr_workgroup_info 0
		.amdhsa_system_vgpr_workitem_id 0
		.amdhsa_next_free_vgpr 1
		.amdhsa_next_free_sgpr 1
		.amdhsa_reserve_vcc 0
		.amdhsa_reserve_flat_scratch 0
		.amdhsa_float_round_mode_32 0
		.amdhsa_float_round_mode_16_64 0
		.amdhsa_float_denorm_mode_32 3
		.amdhsa_float_denorm_mode_16_64 3
		.amdhsa_dx10_clamp 1
		.amdhsa_ieee_mode 1
		.amdhsa_fp16_overflow 0
		.amdhsa_workgroup_processor_mode 1
		.amdhsa_memory_ordered 1
		.amdhsa_forward_progress 1
		.amdhsa_shared_vgpr_count 0
		.amdhsa_exception_fp_ieee_invalid_op 0
		.amdhsa_exception_fp_denorm_src 0
		.amdhsa_exception_fp_ieee_div_zero 0
		.amdhsa_exception_fp_ieee_overflow 0
		.amdhsa_exception_fp_ieee_underflow 0
		.amdhsa_exception_fp_ieee_inexact 0
		.amdhsa_exception_int_div_zero 0
	.end_amdhsa_kernel
	.section	.text._ZN7rocprim17ROCPRIM_400000_NS6detail17trampoline_kernelINS0_14default_configENS1_38merge_sort_block_merge_config_selectorIiiEEZZNS1_27merge_sort_block_merge_implIS3_N6thrust23THRUST_200600_302600_NS6detail15normal_iteratorINS8_10device_ptrIiEEEESD_jNS1_19radix_merge_compareILb0ELb0EiNS0_19identity_decomposerEEEEE10hipError_tT0_T1_T2_jT3_P12ihipStream_tbPNSt15iterator_traitsISI_E10value_typeEPNSO_ISJ_E10value_typeEPSK_NS1_7vsmem_tEENKUlT_SI_SJ_SK_E_clIPiSD_S10_SD_EESH_SX_SI_SJ_SK_EUlSX_E_NS1_11comp_targetILNS1_3genE0ELNS1_11target_archE4294967295ELNS1_3gpuE0ELNS1_3repE0EEENS1_48merge_mergepath_partition_config_static_selectorELNS0_4arch9wavefront6targetE0EEEvSJ_,"axG",@progbits,_ZN7rocprim17ROCPRIM_400000_NS6detail17trampoline_kernelINS0_14default_configENS1_38merge_sort_block_merge_config_selectorIiiEEZZNS1_27merge_sort_block_merge_implIS3_N6thrust23THRUST_200600_302600_NS6detail15normal_iteratorINS8_10device_ptrIiEEEESD_jNS1_19radix_merge_compareILb0ELb0EiNS0_19identity_decomposerEEEEE10hipError_tT0_T1_T2_jT3_P12ihipStream_tbPNSt15iterator_traitsISI_E10value_typeEPNSO_ISJ_E10value_typeEPSK_NS1_7vsmem_tEENKUlT_SI_SJ_SK_E_clIPiSD_S10_SD_EESH_SX_SI_SJ_SK_EUlSX_E_NS1_11comp_targetILNS1_3genE0ELNS1_11target_archE4294967295ELNS1_3gpuE0ELNS1_3repE0EEENS1_48merge_mergepath_partition_config_static_selectorELNS0_4arch9wavefront6targetE0EEEvSJ_,comdat
.Lfunc_end708:
	.size	_ZN7rocprim17ROCPRIM_400000_NS6detail17trampoline_kernelINS0_14default_configENS1_38merge_sort_block_merge_config_selectorIiiEEZZNS1_27merge_sort_block_merge_implIS3_N6thrust23THRUST_200600_302600_NS6detail15normal_iteratorINS8_10device_ptrIiEEEESD_jNS1_19radix_merge_compareILb0ELb0EiNS0_19identity_decomposerEEEEE10hipError_tT0_T1_T2_jT3_P12ihipStream_tbPNSt15iterator_traitsISI_E10value_typeEPNSO_ISJ_E10value_typeEPSK_NS1_7vsmem_tEENKUlT_SI_SJ_SK_E_clIPiSD_S10_SD_EESH_SX_SI_SJ_SK_EUlSX_E_NS1_11comp_targetILNS1_3genE0ELNS1_11target_archE4294967295ELNS1_3gpuE0ELNS1_3repE0EEENS1_48merge_mergepath_partition_config_static_selectorELNS0_4arch9wavefront6targetE0EEEvSJ_, .Lfunc_end708-_ZN7rocprim17ROCPRIM_400000_NS6detail17trampoline_kernelINS0_14default_configENS1_38merge_sort_block_merge_config_selectorIiiEEZZNS1_27merge_sort_block_merge_implIS3_N6thrust23THRUST_200600_302600_NS6detail15normal_iteratorINS8_10device_ptrIiEEEESD_jNS1_19radix_merge_compareILb0ELb0EiNS0_19identity_decomposerEEEEE10hipError_tT0_T1_T2_jT3_P12ihipStream_tbPNSt15iterator_traitsISI_E10value_typeEPNSO_ISJ_E10value_typeEPSK_NS1_7vsmem_tEENKUlT_SI_SJ_SK_E_clIPiSD_S10_SD_EESH_SX_SI_SJ_SK_EUlSX_E_NS1_11comp_targetILNS1_3genE0ELNS1_11target_archE4294967295ELNS1_3gpuE0ELNS1_3repE0EEENS1_48merge_mergepath_partition_config_static_selectorELNS0_4arch9wavefront6targetE0EEEvSJ_
                                        ; -- End function
	.set _ZN7rocprim17ROCPRIM_400000_NS6detail17trampoline_kernelINS0_14default_configENS1_38merge_sort_block_merge_config_selectorIiiEEZZNS1_27merge_sort_block_merge_implIS3_N6thrust23THRUST_200600_302600_NS6detail15normal_iteratorINS8_10device_ptrIiEEEESD_jNS1_19radix_merge_compareILb0ELb0EiNS0_19identity_decomposerEEEEE10hipError_tT0_T1_T2_jT3_P12ihipStream_tbPNSt15iterator_traitsISI_E10value_typeEPNSO_ISJ_E10value_typeEPSK_NS1_7vsmem_tEENKUlT_SI_SJ_SK_E_clIPiSD_S10_SD_EESH_SX_SI_SJ_SK_EUlSX_E_NS1_11comp_targetILNS1_3genE0ELNS1_11target_archE4294967295ELNS1_3gpuE0ELNS1_3repE0EEENS1_48merge_mergepath_partition_config_static_selectorELNS0_4arch9wavefront6targetE0EEEvSJ_.num_vgpr, 0
	.set _ZN7rocprim17ROCPRIM_400000_NS6detail17trampoline_kernelINS0_14default_configENS1_38merge_sort_block_merge_config_selectorIiiEEZZNS1_27merge_sort_block_merge_implIS3_N6thrust23THRUST_200600_302600_NS6detail15normal_iteratorINS8_10device_ptrIiEEEESD_jNS1_19radix_merge_compareILb0ELb0EiNS0_19identity_decomposerEEEEE10hipError_tT0_T1_T2_jT3_P12ihipStream_tbPNSt15iterator_traitsISI_E10value_typeEPNSO_ISJ_E10value_typeEPSK_NS1_7vsmem_tEENKUlT_SI_SJ_SK_E_clIPiSD_S10_SD_EESH_SX_SI_SJ_SK_EUlSX_E_NS1_11comp_targetILNS1_3genE0ELNS1_11target_archE4294967295ELNS1_3gpuE0ELNS1_3repE0EEENS1_48merge_mergepath_partition_config_static_selectorELNS0_4arch9wavefront6targetE0EEEvSJ_.num_agpr, 0
	.set _ZN7rocprim17ROCPRIM_400000_NS6detail17trampoline_kernelINS0_14default_configENS1_38merge_sort_block_merge_config_selectorIiiEEZZNS1_27merge_sort_block_merge_implIS3_N6thrust23THRUST_200600_302600_NS6detail15normal_iteratorINS8_10device_ptrIiEEEESD_jNS1_19radix_merge_compareILb0ELb0EiNS0_19identity_decomposerEEEEE10hipError_tT0_T1_T2_jT3_P12ihipStream_tbPNSt15iterator_traitsISI_E10value_typeEPNSO_ISJ_E10value_typeEPSK_NS1_7vsmem_tEENKUlT_SI_SJ_SK_E_clIPiSD_S10_SD_EESH_SX_SI_SJ_SK_EUlSX_E_NS1_11comp_targetILNS1_3genE0ELNS1_11target_archE4294967295ELNS1_3gpuE0ELNS1_3repE0EEENS1_48merge_mergepath_partition_config_static_selectorELNS0_4arch9wavefront6targetE0EEEvSJ_.numbered_sgpr, 0
	.set _ZN7rocprim17ROCPRIM_400000_NS6detail17trampoline_kernelINS0_14default_configENS1_38merge_sort_block_merge_config_selectorIiiEEZZNS1_27merge_sort_block_merge_implIS3_N6thrust23THRUST_200600_302600_NS6detail15normal_iteratorINS8_10device_ptrIiEEEESD_jNS1_19radix_merge_compareILb0ELb0EiNS0_19identity_decomposerEEEEE10hipError_tT0_T1_T2_jT3_P12ihipStream_tbPNSt15iterator_traitsISI_E10value_typeEPNSO_ISJ_E10value_typeEPSK_NS1_7vsmem_tEENKUlT_SI_SJ_SK_E_clIPiSD_S10_SD_EESH_SX_SI_SJ_SK_EUlSX_E_NS1_11comp_targetILNS1_3genE0ELNS1_11target_archE4294967295ELNS1_3gpuE0ELNS1_3repE0EEENS1_48merge_mergepath_partition_config_static_selectorELNS0_4arch9wavefront6targetE0EEEvSJ_.num_named_barrier, 0
	.set _ZN7rocprim17ROCPRIM_400000_NS6detail17trampoline_kernelINS0_14default_configENS1_38merge_sort_block_merge_config_selectorIiiEEZZNS1_27merge_sort_block_merge_implIS3_N6thrust23THRUST_200600_302600_NS6detail15normal_iteratorINS8_10device_ptrIiEEEESD_jNS1_19radix_merge_compareILb0ELb0EiNS0_19identity_decomposerEEEEE10hipError_tT0_T1_T2_jT3_P12ihipStream_tbPNSt15iterator_traitsISI_E10value_typeEPNSO_ISJ_E10value_typeEPSK_NS1_7vsmem_tEENKUlT_SI_SJ_SK_E_clIPiSD_S10_SD_EESH_SX_SI_SJ_SK_EUlSX_E_NS1_11comp_targetILNS1_3genE0ELNS1_11target_archE4294967295ELNS1_3gpuE0ELNS1_3repE0EEENS1_48merge_mergepath_partition_config_static_selectorELNS0_4arch9wavefront6targetE0EEEvSJ_.private_seg_size, 0
	.set _ZN7rocprim17ROCPRIM_400000_NS6detail17trampoline_kernelINS0_14default_configENS1_38merge_sort_block_merge_config_selectorIiiEEZZNS1_27merge_sort_block_merge_implIS3_N6thrust23THRUST_200600_302600_NS6detail15normal_iteratorINS8_10device_ptrIiEEEESD_jNS1_19radix_merge_compareILb0ELb0EiNS0_19identity_decomposerEEEEE10hipError_tT0_T1_T2_jT3_P12ihipStream_tbPNSt15iterator_traitsISI_E10value_typeEPNSO_ISJ_E10value_typeEPSK_NS1_7vsmem_tEENKUlT_SI_SJ_SK_E_clIPiSD_S10_SD_EESH_SX_SI_SJ_SK_EUlSX_E_NS1_11comp_targetILNS1_3genE0ELNS1_11target_archE4294967295ELNS1_3gpuE0ELNS1_3repE0EEENS1_48merge_mergepath_partition_config_static_selectorELNS0_4arch9wavefront6targetE0EEEvSJ_.uses_vcc, 0
	.set _ZN7rocprim17ROCPRIM_400000_NS6detail17trampoline_kernelINS0_14default_configENS1_38merge_sort_block_merge_config_selectorIiiEEZZNS1_27merge_sort_block_merge_implIS3_N6thrust23THRUST_200600_302600_NS6detail15normal_iteratorINS8_10device_ptrIiEEEESD_jNS1_19radix_merge_compareILb0ELb0EiNS0_19identity_decomposerEEEEE10hipError_tT0_T1_T2_jT3_P12ihipStream_tbPNSt15iterator_traitsISI_E10value_typeEPNSO_ISJ_E10value_typeEPSK_NS1_7vsmem_tEENKUlT_SI_SJ_SK_E_clIPiSD_S10_SD_EESH_SX_SI_SJ_SK_EUlSX_E_NS1_11comp_targetILNS1_3genE0ELNS1_11target_archE4294967295ELNS1_3gpuE0ELNS1_3repE0EEENS1_48merge_mergepath_partition_config_static_selectorELNS0_4arch9wavefront6targetE0EEEvSJ_.uses_flat_scratch, 0
	.set _ZN7rocprim17ROCPRIM_400000_NS6detail17trampoline_kernelINS0_14default_configENS1_38merge_sort_block_merge_config_selectorIiiEEZZNS1_27merge_sort_block_merge_implIS3_N6thrust23THRUST_200600_302600_NS6detail15normal_iteratorINS8_10device_ptrIiEEEESD_jNS1_19radix_merge_compareILb0ELb0EiNS0_19identity_decomposerEEEEE10hipError_tT0_T1_T2_jT3_P12ihipStream_tbPNSt15iterator_traitsISI_E10value_typeEPNSO_ISJ_E10value_typeEPSK_NS1_7vsmem_tEENKUlT_SI_SJ_SK_E_clIPiSD_S10_SD_EESH_SX_SI_SJ_SK_EUlSX_E_NS1_11comp_targetILNS1_3genE0ELNS1_11target_archE4294967295ELNS1_3gpuE0ELNS1_3repE0EEENS1_48merge_mergepath_partition_config_static_selectorELNS0_4arch9wavefront6targetE0EEEvSJ_.has_dyn_sized_stack, 0
	.set _ZN7rocprim17ROCPRIM_400000_NS6detail17trampoline_kernelINS0_14default_configENS1_38merge_sort_block_merge_config_selectorIiiEEZZNS1_27merge_sort_block_merge_implIS3_N6thrust23THRUST_200600_302600_NS6detail15normal_iteratorINS8_10device_ptrIiEEEESD_jNS1_19radix_merge_compareILb0ELb0EiNS0_19identity_decomposerEEEEE10hipError_tT0_T1_T2_jT3_P12ihipStream_tbPNSt15iterator_traitsISI_E10value_typeEPNSO_ISJ_E10value_typeEPSK_NS1_7vsmem_tEENKUlT_SI_SJ_SK_E_clIPiSD_S10_SD_EESH_SX_SI_SJ_SK_EUlSX_E_NS1_11comp_targetILNS1_3genE0ELNS1_11target_archE4294967295ELNS1_3gpuE0ELNS1_3repE0EEENS1_48merge_mergepath_partition_config_static_selectorELNS0_4arch9wavefront6targetE0EEEvSJ_.has_recursion, 0
	.set _ZN7rocprim17ROCPRIM_400000_NS6detail17trampoline_kernelINS0_14default_configENS1_38merge_sort_block_merge_config_selectorIiiEEZZNS1_27merge_sort_block_merge_implIS3_N6thrust23THRUST_200600_302600_NS6detail15normal_iteratorINS8_10device_ptrIiEEEESD_jNS1_19radix_merge_compareILb0ELb0EiNS0_19identity_decomposerEEEEE10hipError_tT0_T1_T2_jT3_P12ihipStream_tbPNSt15iterator_traitsISI_E10value_typeEPNSO_ISJ_E10value_typeEPSK_NS1_7vsmem_tEENKUlT_SI_SJ_SK_E_clIPiSD_S10_SD_EESH_SX_SI_SJ_SK_EUlSX_E_NS1_11comp_targetILNS1_3genE0ELNS1_11target_archE4294967295ELNS1_3gpuE0ELNS1_3repE0EEENS1_48merge_mergepath_partition_config_static_selectorELNS0_4arch9wavefront6targetE0EEEvSJ_.has_indirect_call, 0
	.section	.AMDGPU.csdata,"",@progbits
; Kernel info:
; codeLenInByte = 0
; TotalNumSgprs: 0
; NumVgprs: 0
; ScratchSize: 0
; MemoryBound: 0
; FloatMode: 240
; IeeeMode: 1
; LDSByteSize: 0 bytes/workgroup (compile time only)
; SGPRBlocks: 0
; VGPRBlocks: 0
; NumSGPRsForWavesPerEU: 1
; NumVGPRsForWavesPerEU: 1
; Occupancy: 16
; WaveLimiterHint : 0
; COMPUTE_PGM_RSRC2:SCRATCH_EN: 0
; COMPUTE_PGM_RSRC2:USER_SGPR: 6
; COMPUTE_PGM_RSRC2:TRAP_HANDLER: 0
; COMPUTE_PGM_RSRC2:TGID_X_EN: 1
; COMPUTE_PGM_RSRC2:TGID_Y_EN: 0
; COMPUTE_PGM_RSRC2:TGID_Z_EN: 0
; COMPUTE_PGM_RSRC2:TIDIG_COMP_CNT: 0
	.section	.text._ZN7rocprim17ROCPRIM_400000_NS6detail17trampoline_kernelINS0_14default_configENS1_38merge_sort_block_merge_config_selectorIiiEEZZNS1_27merge_sort_block_merge_implIS3_N6thrust23THRUST_200600_302600_NS6detail15normal_iteratorINS8_10device_ptrIiEEEESD_jNS1_19radix_merge_compareILb0ELb0EiNS0_19identity_decomposerEEEEE10hipError_tT0_T1_T2_jT3_P12ihipStream_tbPNSt15iterator_traitsISI_E10value_typeEPNSO_ISJ_E10value_typeEPSK_NS1_7vsmem_tEENKUlT_SI_SJ_SK_E_clIPiSD_S10_SD_EESH_SX_SI_SJ_SK_EUlSX_E_NS1_11comp_targetILNS1_3genE10ELNS1_11target_archE1201ELNS1_3gpuE5ELNS1_3repE0EEENS1_48merge_mergepath_partition_config_static_selectorELNS0_4arch9wavefront6targetE0EEEvSJ_,"axG",@progbits,_ZN7rocprim17ROCPRIM_400000_NS6detail17trampoline_kernelINS0_14default_configENS1_38merge_sort_block_merge_config_selectorIiiEEZZNS1_27merge_sort_block_merge_implIS3_N6thrust23THRUST_200600_302600_NS6detail15normal_iteratorINS8_10device_ptrIiEEEESD_jNS1_19radix_merge_compareILb0ELb0EiNS0_19identity_decomposerEEEEE10hipError_tT0_T1_T2_jT3_P12ihipStream_tbPNSt15iterator_traitsISI_E10value_typeEPNSO_ISJ_E10value_typeEPSK_NS1_7vsmem_tEENKUlT_SI_SJ_SK_E_clIPiSD_S10_SD_EESH_SX_SI_SJ_SK_EUlSX_E_NS1_11comp_targetILNS1_3genE10ELNS1_11target_archE1201ELNS1_3gpuE5ELNS1_3repE0EEENS1_48merge_mergepath_partition_config_static_selectorELNS0_4arch9wavefront6targetE0EEEvSJ_,comdat
	.protected	_ZN7rocprim17ROCPRIM_400000_NS6detail17trampoline_kernelINS0_14default_configENS1_38merge_sort_block_merge_config_selectorIiiEEZZNS1_27merge_sort_block_merge_implIS3_N6thrust23THRUST_200600_302600_NS6detail15normal_iteratorINS8_10device_ptrIiEEEESD_jNS1_19radix_merge_compareILb0ELb0EiNS0_19identity_decomposerEEEEE10hipError_tT0_T1_T2_jT3_P12ihipStream_tbPNSt15iterator_traitsISI_E10value_typeEPNSO_ISJ_E10value_typeEPSK_NS1_7vsmem_tEENKUlT_SI_SJ_SK_E_clIPiSD_S10_SD_EESH_SX_SI_SJ_SK_EUlSX_E_NS1_11comp_targetILNS1_3genE10ELNS1_11target_archE1201ELNS1_3gpuE5ELNS1_3repE0EEENS1_48merge_mergepath_partition_config_static_selectorELNS0_4arch9wavefront6targetE0EEEvSJ_ ; -- Begin function _ZN7rocprim17ROCPRIM_400000_NS6detail17trampoline_kernelINS0_14default_configENS1_38merge_sort_block_merge_config_selectorIiiEEZZNS1_27merge_sort_block_merge_implIS3_N6thrust23THRUST_200600_302600_NS6detail15normal_iteratorINS8_10device_ptrIiEEEESD_jNS1_19radix_merge_compareILb0ELb0EiNS0_19identity_decomposerEEEEE10hipError_tT0_T1_T2_jT3_P12ihipStream_tbPNSt15iterator_traitsISI_E10value_typeEPNSO_ISJ_E10value_typeEPSK_NS1_7vsmem_tEENKUlT_SI_SJ_SK_E_clIPiSD_S10_SD_EESH_SX_SI_SJ_SK_EUlSX_E_NS1_11comp_targetILNS1_3genE10ELNS1_11target_archE1201ELNS1_3gpuE5ELNS1_3repE0EEENS1_48merge_mergepath_partition_config_static_selectorELNS0_4arch9wavefront6targetE0EEEvSJ_
	.globl	_ZN7rocprim17ROCPRIM_400000_NS6detail17trampoline_kernelINS0_14default_configENS1_38merge_sort_block_merge_config_selectorIiiEEZZNS1_27merge_sort_block_merge_implIS3_N6thrust23THRUST_200600_302600_NS6detail15normal_iteratorINS8_10device_ptrIiEEEESD_jNS1_19radix_merge_compareILb0ELb0EiNS0_19identity_decomposerEEEEE10hipError_tT0_T1_T2_jT3_P12ihipStream_tbPNSt15iterator_traitsISI_E10value_typeEPNSO_ISJ_E10value_typeEPSK_NS1_7vsmem_tEENKUlT_SI_SJ_SK_E_clIPiSD_S10_SD_EESH_SX_SI_SJ_SK_EUlSX_E_NS1_11comp_targetILNS1_3genE10ELNS1_11target_archE1201ELNS1_3gpuE5ELNS1_3repE0EEENS1_48merge_mergepath_partition_config_static_selectorELNS0_4arch9wavefront6targetE0EEEvSJ_
	.p2align	8
	.type	_ZN7rocprim17ROCPRIM_400000_NS6detail17trampoline_kernelINS0_14default_configENS1_38merge_sort_block_merge_config_selectorIiiEEZZNS1_27merge_sort_block_merge_implIS3_N6thrust23THRUST_200600_302600_NS6detail15normal_iteratorINS8_10device_ptrIiEEEESD_jNS1_19radix_merge_compareILb0ELb0EiNS0_19identity_decomposerEEEEE10hipError_tT0_T1_T2_jT3_P12ihipStream_tbPNSt15iterator_traitsISI_E10value_typeEPNSO_ISJ_E10value_typeEPSK_NS1_7vsmem_tEENKUlT_SI_SJ_SK_E_clIPiSD_S10_SD_EESH_SX_SI_SJ_SK_EUlSX_E_NS1_11comp_targetILNS1_3genE10ELNS1_11target_archE1201ELNS1_3gpuE5ELNS1_3repE0EEENS1_48merge_mergepath_partition_config_static_selectorELNS0_4arch9wavefront6targetE0EEEvSJ_,@function
_ZN7rocprim17ROCPRIM_400000_NS6detail17trampoline_kernelINS0_14default_configENS1_38merge_sort_block_merge_config_selectorIiiEEZZNS1_27merge_sort_block_merge_implIS3_N6thrust23THRUST_200600_302600_NS6detail15normal_iteratorINS8_10device_ptrIiEEEESD_jNS1_19radix_merge_compareILb0ELb0EiNS0_19identity_decomposerEEEEE10hipError_tT0_T1_T2_jT3_P12ihipStream_tbPNSt15iterator_traitsISI_E10value_typeEPNSO_ISJ_E10value_typeEPSK_NS1_7vsmem_tEENKUlT_SI_SJ_SK_E_clIPiSD_S10_SD_EESH_SX_SI_SJ_SK_EUlSX_E_NS1_11comp_targetILNS1_3genE10ELNS1_11target_archE1201ELNS1_3gpuE5ELNS1_3repE0EEENS1_48merge_mergepath_partition_config_static_selectorELNS0_4arch9wavefront6targetE0EEEvSJ_: ; @_ZN7rocprim17ROCPRIM_400000_NS6detail17trampoline_kernelINS0_14default_configENS1_38merge_sort_block_merge_config_selectorIiiEEZZNS1_27merge_sort_block_merge_implIS3_N6thrust23THRUST_200600_302600_NS6detail15normal_iteratorINS8_10device_ptrIiEEEESD_jNS1_19radix_merge_compareILb0ELb0EiNS0_19identity_decomposerEEEEE10hipError_tT0_T1_T2_jT3_P12ihipStream_tbPNSt15iterator_traitsISI_E10value_typeEPNSO_ISJ_E10value_typeEPSK_NS1_7vsmem_tEENKUlT_SI_SJ_SK_E_clIPiSD_S10_SD_EESH_SX_SI_SJ_SK_EUlSX_E_NS1_11comp_targetILNS1_3genE10ELNS1_11target_archE1201ELNS1_3gpuE5ELNS1_3repE0EEENS1_48merge_mergepath_partition_config_static_selectorELNS0_4arch9wavefront6targetE0EEEvSJ_
; %bb.0:
	.section	.rodata,"a",@progbits
	.p2align	6, 0x0
	.amdhsa_kernel _ZN7rocprim17ROCPRIM_400000_NS6detail17trampoline_kernelINS0_14default_configENS1_38merge_sort_block_merge_config_selectorIiiEEZZNS1_27merge_sort_block_merge_implIS3_N6thrust23THRUST_200600_302600_NS6detail15normal_iteratorINS8_10device_ptrIiEEEESD_jNS1_19radix_merge_compareILb0ELb0EiNS0_19identity_decomposerEEEEE10hipError_tT0_T1_T2_jT3_P12ihipStream_tbPNSt15iterator_traitsISI_E10value_typeEPNSO_ISJ_E10value_typeEPSK_NS1_7vsmem_tEENKUlT_SI_SJ_SK_E_clIPiSD_S10_SD_EESH_SX_SI_SJ_SK_EUlSX_E_NS1_11comp_targetILNS1_3genE10ELNS1_11target_archE1201ELNS1_3gpuE5ELNS1_3repE0EEENS1_48merge_mergepath_partition_config_static_selectorELNS0_4arch9wavefront6targetE0EEEvSJ_
		.amdhsa_group_segment_fixed_size 0
		.amdhsa_private_segment_fixed_size 0
		.amdhsa_kernarg_size 40
		.amdhsa_user_sgpr_count 6
		.amdhsa_user_sgpr_private_segment_buffer 1
		.amdhsa_user_sgpr_dispatch_ptr 0
		.amdhsa_user_sgpr_queue_ptr 0
		.amdhsa_user_sgpr_kernarg_segment_ptr 1
		.amdhsa_user_sgpr_dispatch_id 0
		.amdhsa_user_sgpr_flat_scratch_init 0
		.amdhsa_user_sgpr_private_segment_size 0
		.amdhsa_wavefront_size32 1
		.amdhsa_uses_dynamic_stack 0
		.amdhsa_system_sgpr_private_segment_wavefront_offset 0
		.amdhsa_system_sgpr_workgroup_id_x 1
		.amdhsa_system_sgpr_workgroup_id_y 0
		.amdhsa_system_sgpr_workgroup_id_z 0
		.amdhsa_system_sgpr_workgroup_info 0
		.amdhsa_system_vgpr_workitem_id 0
		.amdhsa_next_free_vgpr 1
		.amdhsa_next_free_sgpr 1
		.amdhsa_reserve_vcc 0
		.amdhsa_reserve_flat_scratch 0
		.amdhsa_float_round_mode_32 0
		.amdhsa_float_round_mode_16_64 0
		.amdhsa_float_denorm_mode_32 3
		.amdhsa_float_denorm_mode_16_64 3
		.amdhsa_dx10_clamp 1
		.amdhsa_ieee_mode 1
		.amdhsa_fp16_overflow 0
		.amdhsa_workgroup_processor_mode 1
		.amdhsa_memory_ordered 1
		.amdhsa_forward_progress 1
		.amdhsa_shared_vgpr_count 0
		.amdhsa_exception_fp_ieee_invalid_op 0
		.amdhsa_exception_fp_denorm_src 0
		.amdhsa_exception_fp_ieee_div_zero 0
		.amdhsa_exception_fp_ieee_overflow 0
		.amdhsa_exception_fp_ieee_underflow 0
		.amdhsa_exception_fp_ieee_inexact 0
		.amdhsa_exception_int_div_zero 0
	.end_amdhsa_kernel
	.section	.text._ZN7rocprim17ROCPRIM_400000_NS6detail17trampoline_kernelINS0_14default_configENS1_38merge_sort_block_merge_config_selectorIiiEEZZNS1_27merge_sort_block_merge_implIS3_N6thrust23THRUST_200600_302600_NS6detail15normal_iteratorINS8_10device_ptrIiEEEESD_jNS1_19radix_merge_compareILb0ELb0EiNS0_19identity_decomposerEEEEE10hipError_tT0_T1_T2_jT3_P12ihipStream_tbPNSt15iterator_traitsISI_E10value_typeEPNSO_ISJ_E10value_typeEPSK_NS1_7vsmem_tEENKUlT_SI_SJ_SK_E_clIPiSD_S10_SD_EESH_SX_SI_SJ_SK_EUlSX_E_NS1_11comp_targetILNS1_3genE10ELNS1_11target_archE1201ELNS1_3gpuE5ELNS1_3repE0EEENS1_48merge_mergepath_partition_config_static_selectorELNS0_4arch9wavefront6targetE0EEEvSJ_,"axG",@progbits,_ZN7rocprim17ROCPRIM_400000_NS6detail17trampoline_kernelINS0_14default_configENS1_38merge_sort_block_merge_config_selectorIiiEEZZNS1_27merge_sort_block_merge_implIS3_N6thrust23THRUST_200600_302600_NS6detail15normal_iteratorINS8_10device_ptrIiEEEESD_jNS1_19radix_merge_compareILb0ELb0EiNS0_19identity_decomposerEEEEE10hipError_tT0_T1_T2_jT3_P12ihipStream_tbPNSt15iterator_traitsISI_E10value_typeEPNSO_ISJ_E10value_typeEPSK_NS1_7vsmem_tEENKUlT_SI_SJ_SK_E_clIPiSD_S10_SD_EESH_SX_SI_SJ_SK_EUlSX_E_NS1_11comp_targetILNS1_3genE10ELNS1_11target_archE1201ELNS1_3gpuE5ELNS1_3repE0EEENS1_48merge_mergepath_partition_config_static_selectorELNS0_4arch9wavefront6targetE0EEEvSJ_,comdat
.Lfunc_end709:
	.size	_ZN7rocprim17ROCPRIM_400000_NS6detail17trampoline_kernelINS0_14default_configENS1_38merge_sort_block_merge_config_selectorIiiEEZZNS1_27merge_sort_block_merge_implIS3_N6thrust23THRUST_200600_302600_NS6detail15normal_iteratorINS8_10device_ptrIiEEEESD_jNS1_19radix_merge_compareILb0ELb0EiNS0_19identity_decomposerEEEEE10hipError_tT0_T1_T2_jT3_P12ihipStream_tbPNSt15iterator_traitsISI_E10value_typeEPNSO_ISJ_E10value_typeEPSK_NS1_7vsmem_tEENKUlT_SI_SJ_SK_E_clIPiSD_S10_SD_EESH_SX_SI_SJ_SK_EUlSX_E_NS1_11comp_targetILNS1_3genE10ELNS1_11target_archE1201ELNS1_3gpuE5ELNS1_3repE0EEENS1_48merge_mergepath_partition_config_static_selectorELNS0_4arch9wavefront6targetE0EEEvSJ_, .Lfunc_end709-_ZN7rocprim17ROCPRIM_400000_NS6detail17trampoline_kernelINS0_14default_configENS1_38merge_sort_block_merge_config_selectorIiiEEZZNS1_27merge_sort_block_merge_implIS3_N6thrust23THRUST_200600_302600_NS6detail15normal_iteratorINS8_10device_ptrIiEEEESD_jNS1_19radix_merge_compareILb0ELb0EiNS0_19identity_decomposerEEEEE10hipError_tT0_T1_T2_jT3_P12ihipStream_tbPNSt15iterator_traitsISI_E10value_typeEPNSO_ISJ_E10value_typeEPSK_NS1_7vsmem_tEENKUlT_SI_SJ_SK_E_clIPiSD_S10_SD_EESH_SX_SI_SJ_SK_EUlSX_E_NS1_11comp_targetILNS1_3genE10ELNS1_11target_archE1201ELNS1_3gpuE5ELNS1_3repE0EEENS1_48merge_mergepath_partition_config_static_selectorELNS0_4arch9wavefront6targetE0EEEvSJ_
                                        ; -- End function
	.set _ZN7rocprim17ROCPRIM_400000_NS6detail17trampoline_kernelINS0_14default_configENS1_38merge_sort_block_merge_config_selectorIiiEEZZNS1_27merge_sort_block_merge_implIS3_N6thrust23THRUST_200600_302600_NS6detail15normal_iteratorINS8_10device_ptrIiEEEESD_jNS1_19radix_merge_compareILb0ELb0EiNS0_19identity_decomposerEEEEE10hipError_tT0_T1_T2_jT3_P12ihipStream_tbPNSt15iterator_traitsISI_E10value_typeEPNSO_ISJ_E10value_typeEPSK_NS1_7vsmem_tEENKUlT_SI_SJ_SK_E_clIPiSD_S10_SD_EESH_SX_SI_SJ_SK_EUlSX_E_NS1_11comp_targetILNS1_3genE10ELNS1_11target_archE1201ELNS1_3gpuE5ELNS1_3repE0EEENS1_48merge_mergepath_partition_config_static_selectorELNS0_4arch9wavefront6targetE0EEEvSJ_.num_vgpr, 0
	.set _ZN7rocprim17ROCPRIM_400000_NS6detail17trampoline_kernelINS0_14default_configENS1_38merge_sort_block_merge_config_selectorIiiEEZZNS1_27merge_sort_block_merge_implIS3_N6thrust23THRUST_200600_302600_NS6detail15normal_iteratorINS8_10device_ptrIiEEEESD_jNS1_19radix_merge_compareILb0ELb0EiNS0_19identity_decomposerEEEEE10hipError_tT0_T1_T2_jT3_P12ihipStream_tbPNSt15iterator_traitsISI_E10value_typeEPNSO_ISJ_E10value_typeEPSK_NS1_7vsmem_tEENKUlT_SI_SJ_SK_E_clIPiSD_S10_SD_EESH_SX_SI_SJ_SK_EUlSX_E_NS1_11comp_targetILNS1_3genE10ELNS1_11target_archE1201ELNS1_3gpuE5ELNS1_3repE0EEENS1_48merge_mergepath_partition_config_static_selectorELNS0_4arch9wavefront6targetE0EEEvSJ_.num_agpr, 0
	.set _ZN7rocprim17ROCPRIM_400000_NS6detail17trampoline_kernelINS0_14default_configENS1_38merge_sort_block_merge_config_selectorIiiEEZZNS1_27merge_sort_block_merge_implIS3_N6thrust23THRUST_200600_302600_NS6detail15normal_iteratorINS8_10device_ptrIiEEEESD_jNS1_19radix_merge_compareILb0ELb0EiNS0_19identity_decomposerEEEEE10hipError_tT0_T1_T2_jT3_P12ihipStream_tbPNSt15iterator_traitsISI_E10value_typeEPNSO_ISJ_E10value_typeEPSK_NS1_7vsmem_tEENKUlT_SI_SJ_SK_E_clIPiSD_S10_SD_EESH_SX_SI_SJ_SK_EUlSX_E_NS1_11comp_targetILNS1_3genE10ELNS1_11target_archE1201ELNS1_3gpuE5ELNS1_3repE0EEENS1_48merge_mergepath_partition_config_static_selectorELNS0_4arch9wavefront6targetE0EEEvSJ_.numbered_sgpr, 0
	.set _ZN7rocprim17ROCPRIM_400000_NS6detail17trampoline_kernelINS0_14default_configENS1_38merge_sort_block_merge_config_selectorIiiEEZZNS1_27merge_sort_block_merge_implIS3_N6thrust23THRUST_200600_302600_NS6detail15normal_iteratorINS8_10device_ptrIiEEEESD_jNS1_19radix_merge_compareILb0ELb0EiNS0_19identity_decomposerEEEEE10hipError_tT0_T1_T2_jT3_P12ihipStream_tbPNSt15iterator_traitsISI_E10value_typeEPNSO_ISJ_E10value_typeEPSK_NS1_7vsmem_tEENKUlT_SI_SJ_SK_E_clIPiSD_S10_SD_EESH_SX_SI_SJ_SK_EUlSX_E_NS1_11comp_targetILNS1_3genE10ELNS1_11target_archE1201ELNS1_3gpuE5ELNS1_3repE0EEENS1_48merge_mergepath_partition_config_static_selectorELNS0_4arch9wavefront6targetE0EEEvSJ_.num_named_barrier, 0
	.set _ZN7rocprim17ROCPRIM_400000_NS6detail17trampoline_kernelINS0_14default_configENS1_38merge_sort_block_merge_config_selectorIiiEEZZNS1_27merge_sort_block_merge_implIS3_N6thrust23THRUST_200600_302600_NS6detail15normal_iteratorINS8_10device_ptrIiEEEESD_jNS1_19radix_merge_compareILb0ELb0EiNS0_19identity_decomposerEEEEE10hipError_tT0_T1_T2_jT3_P12ihipStream_tbPNSt15iterator_traitsISI_E10value_typeEPNSO_ISJ_E10value_typeEPSK_NS1_7vsmem_tEENKUlT_SI_SJ_SK_E_clIPiSD_S10_SD_EESH_SX_SI_SJ_SK_EUlSX_E_NS1_11comp_targetILNS1_3genE10ELNS1_11target_archE1201ELNS1_3gpuE5ELNS1_3repE0EEENS1_48merge_mergepath_partition_config_static_selectorELNS0_4arch9wavefront6targetE0EEEvSJ_.private_seg_size, 0
	.set _ZN7rocprim17ROCPRIM_400000_NS6detail17trampoline_kernelINS0_14default_configENS1_38merge_sort_block_merge_config_selectorIiiEEZZNS1_27merge_sort_block_merge_implIS3_N6thrust23THRUST_200600_302600_NS6detail15normal_iteratorINS8_10device_ptrIiEEEESD_jNS1_19radix_merge_compareILb0ELb0EiNS0_19identity_decomposerEEEEE10hipError_tT0_T1_T2_jT3_P12ihipStream_tbPNSt15iterator_traitsISI_E10value_typeEPNSO_ISJ_E10value_typeEPSK_NS1_7vsmem_tEENKUlT_SI_SJ_SK_E_clIPiSD_S10_SD_EESH_SX_SI_SJ_SK_EUlSX_E_NS1_11comp_targetILNS1_3genE10ELNS1_11target_archE1201ELNS1_3gpuE5ELNS1_3repE0EEENS1_48merge_mergepath_partition_config_static_selectorELNS0_4arch9wavefront6targetE0EEEvSJ_.uses_vcc, 0
	.set _ZN7rocprim17ROCPRIM_400000_NS6detail17trampoline_kernelINS0_14default_configENS1_38merge_sort_block_merge_config_selectorIiiEEZZNS1_27merge_sort_block_merge_implIS3_N6thrust23THRUST_200600_302600_NS6detail15normal_iteratorINS8_10device_ptrIiEEEESD_jNS1_19radix_merge_compareILb0ELb0EiNS0_19identity_decomposerEEEEE10hipError_tT0_T1_T2_jT3_P12ihipStream_tbPNSt15iterator_traitsISI_E10value_typeEPNSO_ISJ_E10value_typeEPSK_NS1_7vsmem_tEENKUlT_SI_SJ_SK_E_clIPiSD_S10_SD_EESH_SX_SI_SJ_SK_EUlSX_E_NS1_11comp_targetILNS1_3genE10ELNS1_11target_archE1201ELNS1_3gpuE5ELNS1_3repE0EEENS1_48merge_mergepath_partition_config_static_selectorELNS0_4arch9wavefront6targetE0EEEvSJ_.uses_flat_scratch, 0
	.set _ZN7rocprim17ROCPRIM_400000_NS6detail17trampoline_kernelINS0_14default_configENS1_38merge_sort_block_merge_config_selectorIiiEEZZNS1_27merge_sort_block_merge_implIS3_N6thrust23THRUST_200600_302600_NS6detail15normal_iteratorINS8_10device_ptrIiEEEESD_jNS1_19radix_merge_compareILb0ELb0EiNS0_19identity_decomposerEEEEE10hipError_tT0_T1_T2_jT3_P12ihipStream_tbPNSt15iterator_traitsISI_E10value_typeEPNSO_ISJ_E10value_typeEPSK_NS1_7vsmem_tEENKUlT_SI_SJ_SK_E_clIPiSD_S10_SD_EESH_SX_SI_SJ_SK_EUlSX_E_NS1_11comp_targetILNS1_3genE10ELNS1_11target_archE1201ELNS1_3gpuE5ELNS1_3repE0EEENS1_48merge_mergepath_partition_config_static_selectorELNS0_4arch9wavefront6targetE0EEEvSJ_.has_dyn_sized_stack, 0
	.set _ZN7rocprim17ROCPRIM_400000_NS6detail17trampoline_kernelINS0_14default_configENS1_38merge_sort_block_merge_config_selectorIiiEEZZNS1_27merge_sort_block_merge_implIS3_N6thrust23THRUST_200600_302600_NS6detail15normal_iteratorINS8_10device_ptrIiEEEESD_jNS1_19radix_merge_compareILb0ELb0EiNS0_19identity_decomposerEEEEE10hipError_tT0_T1_T2_jT3_P12ihipStream_tbPNSt15iterator_traitsISI_E10value_typeEPNSO_ISJ_E10value_typeEPSK_NS1_7vsmem_tEENKUlT_SI_SJ_SK_E_clIPiSD_S10_SD_EESH_SX_SI_SJ_SK_EUlSX_E_NS1_11comp_targetILNS1_3genE10ELNS1_11target_archE1201ELNS1_3gpuE5ELNS1_3repE0EEENS1_48merge_mergepath_partition_config_static_selectorELNS0_4arch9wavefront6targetE0EEEvSJ_.has_recursion, 0
	.set _ZN7rocprim17ROCPRIM_400000_NS6detail17trampoline_kernelINS0_14default_configENS1_38merge_sort_block_merge_config_selectorIiiEEZZNS1_27merge_sort_block_merge_implIS3_N6thrust23THRUST_200600_302600_NS6detail15normal_iteratorINS8_10device_ptrIiEEEESD_jNS1_19radix_merge_compareILb0ELb0EiNS0_19identity_decomposerEEEEE10hipError_tT0_T1_T2_jT3_P12ihipStream_tbPNSt15iterator_traitsISI_E10value_typeEPNSO_ISJ_E10value_typeEPSK_NS1_7vsmem_tEENKUlT_SI_SJ_SK_E_clIPiSD_S10_SD_EESH_SX_SI_SJ_SK_EUlSX_E_NS1_11comp_targetILNS1_3genE10ELNS1_11target_archE1201ELNS1_3gpuE5ELNS1_3repE0EEENS1_48merge_mergepath_partition_config_static_selectorELNS0_4arch9wavefront6targetE0EEEvSJ_.has_indirect_call, 0
	.section	.AMDGPU.csdata,"",@progbits
; Kernel info:
; codeLenInByte = 0
; TotalNumSgprs: 0
; NumVgprs: 0
; ScratchSize: 0
; MemoryBound: 0
; FloatMode: 240
; IeeeMode: 1
; LDSByteSize: 0 bytes/workgroup (compile time only)
; SGPRBlocks: 0
; VGPRBlocks: 0
; NumSGPRsForWavesPerEU: 1
; NumVGPRsForWavesPerEU: 1
; Occupancy: 16
; WaveLimiterHint : 0
; COMPUTE_PGM_RSRC2:SCRATCH_EN: 0
; COMPUTE_PGM_RSRC2:USER_SGPR: 6
; COMPUTE_PGM_RSRC2:TRAP_HANDLER: 0
; COMPUTE_PGM_RSRC2:TGID_X_EN: 1
; COMPUTE_PGM_RSRC2:TGID_Y_EN: 0
; COMPUTE_PGM_RSRC2:TGID_Z_EN: 0
; COMPUTE_PGM_RSRC2:TIDIG_COMP_CNT: 0
	.section	.text._ZN7rocprim17ROCPRIM_400000_NS6detail17trampoline_kernelINS0_14default_configENS1_38merge_sort_block_merge_config_selectorIiiEEZZNS1_27merge_sort_block_merge_implIS3_N6thrust23THRUST_200600_302600_NS6detail15normal_iteratorINS8_10device_ptrIiEEEESD_jNS1_19radix_merge_compareILb0ELb0EiNS0_19identity_decomposerEEEEE10hipError_tT0_T1_T2_jT3_P12ihipStream_tbPNSt15iterator_traitsISI_E10value_typeEPNSO_ISJ_E10value_typeEPSK_NS1_7vsmem_tEENKUlT_SI_SJ_SK_E_clIPiSD_S10_SD_EESH_SX_SI_SJ_SK_EUlSX_E_NS1_11comp_targetILNS1_3genE5ELNS1_11target_archE942ELNS1_3gpuE9ELNS1_3repE0EEENS1_48merge_mergepath_partition_config_static_selectorELNS0_4arch9wavefront6targetE0EEEvSJ_,"axG",@progbits,_ZN7rocprim17ROCPRIM_400000_NS6detail17trampoline_kernelINS0_14default_configENS1_38merge_sort_block_merge_config_selectorIiiEEZZNS1_27merge_sort_block_merge_implIS3_N6thrust23THRUST_200600_302600_NS6detail15normal_iteratorINS8_10device_ptrIiEEEESD_jNS1_19radix_merge_compareILb0ELb0EiNS0_19identity_decomposerEEEEE10hipError_tT0_T1_T2_jT3_P12ihipStream_tbPNSt15iterator_traitsISI_E10value_typeEPNSO_ISJ_E10value_typeEPSK_NS1_7vsmem_tEENKUlT_SI_SJ_SK_E_clIPiSD_S10_SD_EESH_SX_SI_SJ_SK_EUlSX_E_NS1_11comp_targetILNS1_3genE5ELNS1_11target_archE942ELNS1_3gpuE9ELNS1_3repE0EEENS1_48merge_mergepath_partition_config_static_selectorELNS0_4arch9wavefront6targetE0EEEvSJ_,comdat
	.protected	_ZN7rocprim17ROCPRIM_400000_NS6detail17trampoline_kernelINS0_14default_configENS1_38merge_sort_block_merge_config_selectorIiiEEZZNS1_27merge_sort_block_merge_implIS3_N6thrust23THRUST_200600_302600_NS6detail15normal_iteratorINS8_10device_ptrIiEEEESD_jNS1_19radix_merge_compareILb0ELb0EiNS0_19identity_decomposerEEEEE10hipError_tT0_T1_T2_jT3_P12ihipStream_tbPNSt15iterator_traitsISI_E10value_typeEPNSO_ISJ_E10value_typeEPSK_NS1_7vsmem_tEENKUlT_SI_SJ_SK_E_clIPiSD_S10_SD_EESH_SX_SI_SJ_SK_EUlSX_E_NS1_11comp_targetILNS1_3genE5ELNS1_11target_archE942ELNS1_3gpuE9ELNS1_3repE0EEENS1_48merge_mergepath_partition_config_static_selectorELNS0_4arch9wavefront6targetE0EEEvSJ_ ; -- Begin function _ZN7rocprim17ROCPRIM_400000_NS6detail17trampoline_kernelINS0_14default_configENS1_38merge_sort_block_merge_config_selectorIiiEEZZNS1_27merge_sort_block_merge_implIS3_N6thrust23THRUST_200600_302600_NS6detail15normal_iteratorINS8_10device_ptrIiEEEESD_jNS1_19radix_merge_compareILb0ELb0EiNS0_19identity_decomposerEEEEE10hipError_tT0_T1_T2_jT3_P12ihipStream_tbPNSt15iterator_traitsISI_E10value_typeEPNSO_ISJ_E10value_typeEPSK_NS1_7vsmem_tEENKUlT_SI_SJ_SK_E_clIPiSD_S10_SD_EESH_SX_SI_SJ_SK_EUlSX_E_NS1_11comp_targetILNS1_3genE5ELNS1_11target_archE942ELNS1_3gpuE9ELNS1_3repE0EEENS1_48merge_mergepath_partition_config_static_selectorELNS0_4arch9wavefront6targetE0EEEvSJ_
	.globl	_ZN7rocprim17ROCPRIM_400000_NS6detail17trampoline_kernelINS0_14default_configENS1_38merge_sort_block_merge_config_selectorIiiEEZZNS1_27merge_sort_block_merge_implIS3_N6thrust23THRUST_200600_302600_NS6detail15normal_iteratorINS8_10device_ptrIiEEEESD_jNS1_19radix_merge_compareILb0ELb0EiNS0_19identity_decomposerEEEEE10hipError_tT0_T1_T2_jT3_P12ihipStream_tbPNSt15iterator_traitsISI_E10value_typeEPNSO_ISJ_E10value_typeEPSK_NS1_7vsmem_tEENKUlT_SI_SJ_SK_E_clIPiSD_S10_SD_EESH_SX_SI_SJ_SK_EUlSX_E_NS1_11comp_targetILNS1_3genE5ELNS1_11target_archE942ELNS1_3gpuE9ELNS1_3repE0EEENS1_48merge_mergepath_partition_config_static_selectorELNS0_4arch9wavefront6targetE0EEEvSJ_
	.p2align	8
	.type	_ZN7rocprim17ROCPRIM_400000_NS6detail17trampoline_kernelINS0_14default_configENS1_38merge_sort_block_merge_config_selectorIiiEEZZNS1_27merge_sort_block_merge_implIS3_N6thrust23THRUST_200600_302600_NS6detail15normal_iteratorINS8_10device_ptrIiEEEESD_jNS1_19radix_merge_compareILb0ELb0EiNS0_19identity_decomposerEEEEE10hipError_tT0_T1_T2_jT3_P12ihipStream_tbPNSt15iterator_traitsISI_E10value_typeEPNSO_ISJ_E10value_typeEPSK_NS1_7vsmem_tEENKUlT_SI_SJ_SK_E_clIPiSD_S10_SD_EESH_SX_SI_SJ_SK_EUlSX_E_NS1_11comp_targetILNS1_3genE5ELNS1_11target_archE942ELNS1_3gpuE9ELNS1_3repE0EEENS1_48merge_mergepath_partition_config_static_selectorELNS0_4arch9wavefront6targetE0EEEvSJ_,@function
_ZN7rocprim17ROCPRIM_400000_NS6detail17trampoline_kernelINS0_14default_configENS1_38merge_sort_block_merge_config_selectorIiiEEZZNS1_27merge_sort_block_merge_implIS3_N6thrust23THRUST_200600_302600_NS6detail15normal_iteratorINS8_10device_ptrIiEEEESD_jNS1_19radix_merge_compareILb0ELb0EiNS0_19identity_decomposerEEEEE10hipError_tT0_T1_T2_jT3_P12ihipStream_tbPNSt15iterator_traitsISI_E10value_typeEPNSO_ISJ_E10value_typeEPSK_NS1_7vsmem_tEENKUlT_SI_SJ_SK_E_clIPiSD_S10_SD_EESH_SX_SI_SJ_SK_EUlSX_E_NS1_11comp_targetILNS1_3genE5ELNS1_11target_archE942ELNS1_3gpuE9ELNS1_3repE0EEENS1_48merge_mergepath_partition_config_static_selectorELNS0_4arch9wavefront6targetE0EEEvSJ_: ; @_ZN7rocprim17ROCPRIM_400000_NS6detail17trampoline_kernelINS0_14default_configENS1_38merge_sort_block_merge_config_selectorIiiEEZZNS1_27merge_sort_block_merge_implIS3_N6thrust23THRUST_200600_302600_NS6detail15normal_iteratorINS8_10device_ptrIiEEEESD_jNS1_19radix_merge_compareILb0ELb0EiNS0_19identity_decomposerEEEEE10hipError_tT0_T1_T2_jT3_P12ihipStream_tbPNSt15iterator_traitsISI_E10value_typeEPNSO_ISJ_E10value_typeEPSK_NS1_7vsmem_tEENKUlT_SI_SJ_SK_E_clIPiSD_S10_SD_EESH_SX_SI_SJ_SK_EUlSX_E_NS1_11comp_targetILNS1_3genE5ELNS1_11target_archE942ELNS1_3gpuE9ELNS1_3repE0EEENS1_48merge_mergepath_partition_config_static_selectorELNS0_4arch9wavefront6targetE0EEEvSJ_
; %bb.0:
	.section	.rodata,"a",@progbits
	.p2align	6, 0x0
	.amdhsa_kernel _ZN7rocprim17ROCPRIM_400000_NS6detail17trampoline_kernelINS0_14default_configENS1_38merge_sort_block_merge_config_selectorIiiEEZZNS1_27merge_sort_block_merge_implIS3_N6thrust23THRUST_200600_302600_NS6detail15normal_iteratorINS8_10device_ptrIiEEEESD_jNS1_19radix_merge_compareILb0ELb0EiNS0_19identity_decomposerEEEEE10hipError_tT0_T1_T2_jT3_P12ihipStream_tbPNSt15iterator_traitsISI_E10value_typeEPNSO_ISJ_E10value_typeEPSK_NS1_7vsmem_tEENKUlT_SI_SJ_SK_E_clIPiSD_S10_SD_EESH_SX_SI_SJ_SK_EUlSX_E_NS1_11comp_targetILNS1_3genE5ELNS1_11target_archE942ELNS1_3gpuE9ELNS1_3repE0EEENS1_48merge_mergepath_partition_config_static_selectorELNS0_4arch9wavefront6targetE0EEEvSJ_
		.amdhsa_group_segment_fixed_size 0
		.amdhsa_private_segment_fixed_size 0
		.amdhsa_kernarg_size 40
		.amdhsa_user_sgpr_count 6
		.amdhsa_user_sgpr_private_segment_buffer 1
		.amdhsa_user_sgpr_dispatch_ptr 0
		.amdhsa_user_sgpr_queue_ptr 0
		.amdhsa_user_sgpr_kernarg_segment_ptr 1
		.amdhsa_user_sgpr_dispatch_id 0
		.amdhsa_user_sgpr_flat_scratch_init 0
		.amdhsa_user_sgpr_private_segment_size 0
		.amdhsa_wavefront_size32 1
		.amdhsa_uses_dynamic_stack 0
		.amdhsa_system_sgpr_private_segment_wavefront_offset 0
		.amdhsa_system_sgpr_workgroup_id_x 1
		.amdhsa_system_sgpr_workgroup_id_y 0
		.amdhsa_system_sgpr_workgroup_id_z 0
		.amdhsa_system_sgpr_workgroup_info 0
		.amdhsa_system_vgpr_workitem_id 0
		.amdhsa_next_free_vgpr 1
		.amdhsa_next_free_sgpr 1
		.amdhsa_reserve_vcc 0
		.amdhsa_reserve_flat_scratch 0
		.amdhsa_float_round_mode_32 0
		.amdhsa_float_round_mode_16_64 0
		.amdhsa_float_denorm_mode_32 3
		.amdhsa_float_denorm_mode_16_64 3
		.amdhsa_dx10_clamp 1
		.amdhsa_ieee_mode 1
		.amdhsa_fp16_overflow 0
		.amdhsa_workgroup_processor_mode 1
		.amdhsa_memory_ordered 1
		.amdhsa_forward_progress 1
		.amdhsa_shared_vgpr_count 0
		.amdhsa_exception_fp_ieee_invalid_op 0
		.amdhsa_exception_fp_denorm_src 0
		.amdhsa_exception_fp_ieee_div_zero 0
		.amdhsa_exception_fp_ieee_overflow 0
		.amdhsa_exception_fp_ieee_underflow 0
		.amdhsa_exception_fp_ieee_inexact 0
		.amdhsa_exception_int_div_zero 0
	.end_amdhsa_kernel
	.section	.text._ZN7rocprim17ROCPRIM_400000_NS6detail17trampoline_kernelINS0_14default_configENS1_38merge_sort_block_merge_config_selectorIiiEEZZNS1_27merge_sort_block_merge_implIS3_N6thrust23THRUST_200600_302600_NS6detail15normal_iteratorINS8_10device_ptrIiEEEESD_jNS1_19radix_merge_compareILb0ELb0EiNS0_19identity_decomposerEEEEE10hipError_tT0_T1_T2_jT3_P12ihipStream_tbPNSt15iterator_traitsISI_E10value_typeEPNSO_ISJ_E10value_typeEPSK_NS1_7vsmem_tEENKUlT_SI_SJ_SK_E_clIPiSD_S10_SD_EESH_SX_SI_SJ_SK_EUlSX_E_NS1_11comp_targetILNS1_3genE5ELNS1_11target_archE942ELNS1_3gpuE9ELNS1_3repE0EEENS1_48merge_mergepath_partition_config_static_selectorELNS0_4arch9wavefront6targetE0EEEvSJ_,"axG",@progbits,_ZN7rocprim17ROCPRIM_400000_NS6detail17trampoline_kernelINS0_14default_configENS1_38merge_sort_block_merge_config_selectorIiiEEZZNS1_27merge_sort_block_merge_implIS3_N6thrust23THRUST_200600_302600_NS6detail15normal_iteratorINS8_10device_ptrIiEEEESD_jNS1_19radix_merge_compareILb0ELb0EiNS0_19identity_decomposerEEEEE10hipError_tT0_T1_T2_jT3_P12ihipStream_tbPNSt15iterator_traitsISI_E10value_typeEPNSO_ISJ_E10value_typeEPSK_NS1_7vsmem_tEENKUlT_SI_SJ_SK_E_clIPiSD_S10_SD_EESH_SX_SI_SJ_SK_EUlSX_E_NS1_11comp_targetILNS1_3genE5ELNS1_11target_archE942ELNS1_3gpuE9ELNS1_3repE0EEENS1_48merge_mergepath_partition_config_static_selectorELNS0_4arch9wavefront6targetE0EEEvSJ_,comdat
.Lfunc_end710:
	.size	_ZN7rocprim17ROCPRIM_400000_NS6detail17trampoline_kernelINS0_14default_configENS1_38merge_sort_block_merge_config_selectorIiiEEZZNS1_27merge_sort_block_merge_implIS3_N6thrust23THRUST_200600_302600_NS6detail15normal_iteratorINS8_10device_ptrIiEEEESD_jNS1_19radix_merge_compareILb0ELb0EiNS0_19identity_decomposerEEEEE10hipError_tT0_T1_T2_jT3_P12ihipStream_tbPNSt15iterator_traitsISI_E10value_typeEPNSO_ISJ_E10value_typeEPSK_NS1_7vsmem_tEENKUlT_SI_SJ_SK_E_clIPiSD_S10_SD_EESH_SX_SI_SJ_SK_EUlSX_E_NS1_11comp_targetILNS1_3genE5ELNS1_11target_archE942ELNS1_3gpuE9ELNS1_3repE0EEENS1_48merge_mergepath_partition_config_static_selectorELNS0_4arch9wavefront6targetE0EEEvSJ_, .Lfunc_end710-_ZN7rocprim17ROCPRIM_400000_NS6detail17trampoline_kernelINS0_14default_configENS1_38merge_sort_block_merge_config_selectorIiiEEZZNS1_27merge_sort_block_merge_implIS3_N6thrust23THRUST_200600_302600_NS6detail15normal_iteratorINS8_10device_ptrIiEEEESD_jNS1_19radix_merge_compareILb0ELb0EiNS0_19identity_decomposerEEEEE10hipError_tT0_T1_T2_jT3_P12ihipStream_tbPNSt15iterator_traitsISI_E10value_typeEPNSO_ISJ_E10value_typeEPSK_NS1_7vsmem_tEENKUlT_SI_SJ_SK_E_clIPiSD_S10_SD_EESH_SX_SI_SJ_SK_EUlSX_E_NS1_11comp_targetILNS1_3genE5ELNS1_11target_archE942ELNS1_3gpuE9ELNS1_3repE0EEENS1_48merge_mergepath_partition_config_static_selectorELNS0_4arch9wavefront6targetE0EEEvSJ_
                                        ; -- End function
	.set _ZN7rocprim17ROCPRIM_400000_NS6detail17trampoline_kernelINS0_14default_configENS1_38merge_sort_block_merge_config_selectorIiiEEZZNS1_27merge_sort_block_merge_implIS3_N6thrust23THRUST_200600_302600_NS6detail15normal_iteratorINS8_10device_ptrIiEEEESD_jNS1_19radix_merge_compareILb0ELb0EiNS0_19identity_decomposerEEEEE10hipError_tT0_T1_T2_jT3_P12ihipStream_tbPNSt15iterator_traitsISI_E10value_typeEPNSO_ISJ_E10value_typeEPSK_NS1_7vsmem_tEENKUlT_SI_SJ_SK_E_clIPiSD_S10_SD_EESH_SX_SI_SJ_SK_EUlSX_E_NS1_11comp_targetILNS1_3genE5ELNS1_11target_archE942ELNS1_3gpuE9ELNS1_3repE0EEENS1_48merge_mergepath_partition_config_static_selectorELNS0_4arch9wavefront6targetE0EEEvSJ_.num_vgpr, 0
	.set _ZN7rocprim17ROCPRIM_400000_NS6detail17trampoline_kernelINS0_14default_configENS1_38merge_sort_block_merge_config_selectorIiiEEZZNS1_27merge_sort_block_merge_implIS3_N6thrust23THRUST_200600_302600_NS6detail15normal_iteratorINS8_10device_ptrIiEEEESD_jNS1_19radix_merge_compareILb0ELb0EiNS0_19identity_decomposerEEEEE10hipError_tT0_T1_T2_jT3_P12ihipStream_tbPNSt15iterator_traitsISI_E10value_typeEPNSO_ISJ_E10value_typeEPSK_NS1_7vsmem_tEENKUlT_SI_SJ_SK_E_clIPiSD_S10_SD_EESH_SX_SI_SJ_SK_EUlSX_E_NS1_11comp_targetILNS1_3genE5ELNS1_11target_archE942ELNS1_3gpuE9ELNS1_3repE0EEENS1_48merge_mergepath_partition_config_static_selectorELNS0_4arch9wavefront6targetE0EEEvSJ_.num_agpr, 0
	.set _ZN7rocprim17ROCPRIM_400000_NS6detail17trampoline_kernelINS0_14default_configENS1_38merge_sort_block_merge_config_selectorIiiEEZZNS1_27merge_sort_block_merge_implIS3_N6thrust23THRUST_200600_302600_NS6detail15normal_iteratorINS8_10device_ptrIiEEEESD_jNS1_19radix_merge_compareILb0ELb0EiNS0_19identity_decomposerEEEEE10hipError_tT0_T1_T2_jT3_P12ihipStream_tbPNSt15iterator_traitsISI_E10value_typeEPNSO_ISJ_E10value_typeEPSK_NS1_7vsmem_tEENKUlT_SI_SJ_SK_E_clIPiSD_S10_SD_EESH_SX_SI_SJ_SK_EUlSX_E_NS1_11comp_targetILNS1_3genE5ELNS1_11target_archE942ELNS1_3gpuE9ELNS1_3repE0EEENS1_48merge_mergepath_partition_config_static_selectorELNS0_4arch9wavefront6targetE0EEEvSJ_.numbered_sgpr, 0
	.set _ZN7rocprim17ROCPRIM_400000_NS6detail17trampoline_kernelINS0_14default_configENS1_38merge_sort_block_merge_config_selectorIiiEEZZNS1_27merge_sort_block_merge_implIS3_N6thrust23THRUST_200600_302600_NS6detail15normal_iteratorINS8_10device_ptrIiEEEESD_jNS1_19radix_merge_compareILb0ELb0EiNS0_19identity_decomposerEEEEE10hipError_tT0_T1_T2_jT3_P12ihipStream_tbPNSt15iterator_traitsISI_E10value_typeEPNSO_ISJ_E10value_typeEPSK_NS1_7vsmem_tEENKUlT_SI_SJ_SK_E_clIPiSD_S10_SD_EESH_SX_SI_SJ_SK_EUlSX_E_NS1_11comp_targetILNS1_3genE5ELNS1_11target_archE942ELNS1_3gpuE9ELNS1_3repE0EEENS1_48merge_mergepath_partition_config_static_selectorELNS0_4arch9wavefront6targetE0EEEvSJ_.num_named_barrier, 0
	.set _ZN7rocprim17ROCPRIM_400000_NS6detail17trampoline_kernelINS0_14default_configENS1_38merge_sort_block_merge_config_selectorIiiEEZZNS1_27merge_sort_block_merge_implIS3_N6thrust23THRUST_200600_302600_NS6detail15normal_iteratorINS8_10device_ptrIiEEEESD_jNS1_19radix_merge_compareILb0ELb0EiNS0_19identity_decomposerEEEEE10hipError_tT0_T1_T2_jT3_P12ihipStream_tbPNSt15iterator_traitsISI_E10value_typeEPNSO_ISJ_E10value_typeEPSK_NS1_7vsmem_tEENKUlT_SI_SJ_SK_E_clIPiSD_S10_SD_EESH_SX_SI_SJ_SK_EUlSX_E_NS1_11comp_targetILNS1_3genE5ELNS1_11target_archE942ELNS1_3gpuE9ELNS1_3repE0EEENS1_48merge_mergepath_partition_config_static_selectorELNS0_4arch9wavefront6targetE0EEEvSJ_.private_seg_size, 0
	.set _ZN7rocprim17ROCPRIM_400000_NS6detail17trampoline_kernelINS0_14default_configENS1_38merge_sort_block_merge_config_selectorIiiEEZZNS1_27merge_sort_block_merge_implIS3_N6thrust23THRUST_200600_302600_NS6detail15normal_iteratorINS8_10device_ptrIiEEEESD_jNS1_19radix_merge_compareILb0ELb0EiNS0_19identity_decomposerEEEEE10hipError_tT0_T1_T2_jT3_P12ihipStream_tbPNSt15iterator_traitsISI_E10value_typeEPNSO_ISJ_E10value_typeEPSK_NS1_7vsmem_tEENKUlT_SI_SJ_SK_E_clIPiSD_S10_SD_EESH_SX_SI_SJ_SK_EUlSX_E_NS1_11comp_targetILNS1_3genE5ELNS1_11target_archE942ELNS1_3gpuE9ELNS1_3repE0EEENS1_48merge_mergepath_partition_config_static_selectorELNS0_4arch9wavefront6targetE0EEEvSJ_.uses_vcc, 0
	.set _ZN7rocprim17ROCPRIM_400000_NS6detail17trampoline_kernelINS0_14default_configENS1_38merge_sort_block_merge_config_selectorIiiEEZZNS1_27merge_sort_block_merge_implIS3_N6thrust23THRUST_200600_302600_NS6detail15normal_iteratorINS8_10device_ptrIiEEEESD_jNS1_19radix_merge_compareILb0ELb0EiNS0_19identity_decomposerEEEEE10hipError_tT0_T1_T2_jT3_P12ihipStream_tbPNSt15iterator_traitsISI_E10value_typeEPNSO_ISJ_E10value_typeEPSK_NS1_7vsmem_tEENKUlT_SI_SJ_SK_E_clIPiSD_S10_SD_EESH_SX_SI_SJ_SK_EUlSX_E_NS1_11comp_targetILNS1_3genE5ELNS1_11target_archE942ELNS1_3gpuE9ELNS1_3repE0EEENS1_48merge_mergepath_partition_config_static_selectorELNS0_4arch9wavefront6targetE0EEEvSJ_.uses_flat_scratch, 0
	.set _ZN7rocprim17ROCPRIM_400000_NS6detail17trampoline_kernelINS0_14default_configENS1_38merge_sort_block_merge_config_selectorIiiEEZZNS1_27merge_sort_block_merge_implIS3_N6thrust23THRUST_200600_302600_NS6detail15normal_iteratorINS8_10device_ptrIiEEEESD_jNS1_19radix_merge_compareILb0ELb0EiNS0_19identity_decomposerEEEEE10hipError_tT0_T1_T2_jT3_P12ihipStream_tbPNSt15iterator_traitsISI_E10value_typeEPNSO_ISJ_E10value_typeEPSK_NS1_7vsmem_tEENKUlT_SI_SJ_SK_E_clIPiSD_S10_SD_EESH_SX_SI_SJ_SK_EUlSX_E_NS1_11comp_targetILNS1_3genE5ELNS1_11target_archE942ELNS1_3gpuE9ELNS1_3repE0EEENS1_48merge_mergepath_partition_config_static_selectorELNS0_4arch9wavefront6targetE0EEEvSJ_.has_dyn_sized_stack, 0
	.set _ZN7rocprim17ROCPRIM_400000_NS6detail17trampoline_kernelINS0_14default_configENS1_38merge_sort_block_merge_config_selectorIiiEEZZNS1_27merge_sort_block_merge_implIS3_N6thrust23THRUST_200600_302600_NS6detail15normal_iteratorINS8_10device_ptrIiEEEESD_jNS1_19radix_merge_compareILb0ELb0EiNS0_19identity_decomposerEEEEE10hipError_tT0_T1_T2_jT3_P12ihipStream_tbPNSt15iterator_traitsISI_E10value_typeEPNSO_ISJ_E10value_typeEPSK_NS1_7vsmem_tEENKUlT_SI_SJ_SK_E_clIPiSD_S10_SD_EESH_SX_SI_SJ_SK_EUlSX_E_NS1_11comp_targetILNS1_3genE5ELNS1_11target_archE942ELNS1_3gpuE9ELNS1_3repE0EEENS1_48merge_mergepath_partition_config_static_selectorELNS0_4arch9wavefront6targetE0EEEvSJ_.has_recursion, 0
	.set _ZN7rocprim17ROCPRIM_400000_NS6detail17trampoline_kernelINS0_14default_configENS1_38merge_sort_block_merge_config_selectorIiiEEZZNS1_27merge_sort_block_merge_implIS3_N6thrust23THRUST_200600_302600_NS6detail15normal_iteratorINS8_10device_ptrIiEEEESD_jNS1_19radix_merge_compareILb0ELb0EiNS0_19identity_decomposerEEEEE10hipError_tT0_T1_T2_jT3_P12ihipStream_tbPNSt15iterator_traitsISI_E10value_typeEPNSO_ISJ_E10value_typeEPSK_NS1_7vsmem_tEENKUlT_SI_SJ_SK_E_clIPiSD_S10_SD_EESH_SX_SI_SJ_SK_EUlSX_E_NS1_11comp_targetILNS1_3genE5ELNS1_11target_archE942ELNS1_3gpuE9ELNS1_3repE0EEENS1_48merge_mergepath_partition_config_static_selectorELNS0_4arch9wavefront6targetE0EEEvSJ_.has_indirect_call, 0
	.section	.AMDGPU.csdata,"",@progbits
; Kernel info:
; codeLenInByte = 0
; TotalNumSgprs: 0
; NumVgprs: 0
; ScratchSize: 0
; MemoryBound: 0
; FloatMode: 240
; IeeeMode: 1
; LDSByteSize: 0 bytes/workgroup (compile time only)
; SGPRBlocks: 0
; VGPRBlocks: 0
; NumSGPRsForWavesPerEU: 1
; NumVGPRsForWavesPerEU: 1
; Occupancy: 16
; WaveLimiterHint : 0
; COMPUTE_PGM_RSRC2:SCRATCH_EN: 0
; COMPUTE_PGM_RSRC2:USER_SGPR: 6
; COMPUTE_PGM_RSRC2:TRAP_HANDLER: 0
; COMPUTE_PGM_RSRC2:TGID_X_EN: 1
; COMPUTE_PGM_RSRC2:TGID_Y_EN: 0
; COMPUTE_PGM_RSRC2:TGID_Z_EN: 0
; COMPUTE_PGM_RSRC2:TIDIG_COMP_CNT: 0
	.section	.text._ZN7rocprim17ROCPRIM_400000_NS6detail17trampoline_kernelINS0_14default_configENS1_38merge_sort_block_merge_config_selectorIiiEEZZNS1_27merge_sort_block_merge_implIS3_N6thrust23THRUST_200600_302600_NS6detail15normal_iteratorINS8_10device_ptrIiEEEESD_jNS1_19radix_merge_compareILb0ELb0EiNS0_19identity_decomposerEEEEE10hipError_tT0_T1_T2_jT3_P12ihipStream_tbPNSt15iterator_traitsISI_E10value_typeEPNSO_ISJ_E10value_typeEPSK_NS1_7vsmem_tEENKUlT_SI_SJ_SK_E_clIPiSD_S10_SD_EESH_SX_SI_SJ_SK_EUlSX_E_NS1_11comp_targetILNS1_3genE4ELNS1_11target_archE910ELNS1_3gpuE8ELNS1_3repE0EEENS1_48merge_mergepath_partition_config_static_selectorELNS0_4arch9wavefront6targetE0EEEvSJ_,"axG",@progbits,_ZN7rocprim17ROCPRIM_400000_NS6detail17trampoline_kernelINS0_14default_configENS1_38merge_sort_block_merge_config_selectorIiiEEZZNS1_27merge_sort_block_merge_implIS3_N6thrust23THRUST_200600_302600_NS6detail15normal_iteratorINS8_10device_ptrIiEEEESD_jNS1_19radix_merge_compareILb0ELb0EiNS0_19identity_decomposerEEEEE10hipError_tT0_T1_T2_jT3_P12ihipStream_tbPNSt15iterator_traitsISI_E10value_typeEPNSO_ISJ_E10value_typeEPSK_NS1_7vsmem_tEENKUlT_SI_SJ_SK_E_clIPiSD_S10_SD_EESH_SX_SI_SJ_SK_EUlSX_E_NS1_11comp_targetILNS1_3genE4ELNS1_11target_archE910ELNS1_3gpuE8ELNS1_3repE0EEENS1_48merge_mergepath_partition_config_static_selectorELNS0_4arch9wavefront6targetE0EEEvSJ_,comdat
	.protected	_ZN7rocprim17ROCPRIM_400000_NS6detail17trampoline_kernelINS0_14default_configENS1_38merge_sort_block_merge_config_selectorIiiEEZZNS1_27merge_sort_block_merge_implIS3_N6thrust23THRUST_200600_302600_NS6detail15normal_iteratorINS8_10device_ptrIiEEEESD_jNS1_19radix_merge_compareILb0ELb0EiNS0_19identity_decomposerEEEEE10hipError_tT0_T1_T2_jT3_P12ihipStream_tbPNSt15iterator_traitsISI_E10value_typeEPNSO_ISJ_E10value_typeEPSK_NS1_7vsmem_tEENKUlT_SI_SJ_SK_E_clIPiSD_S10_SD_EESH_SX_SI_SJ_SK_EUlSX_E_NS1_11comp_targetILNS1_3genE4ELNS1_11target_archE910ELNS1_3gpuE8ELNS1_3repE0EEENS1_48merge_mergepath_partition_config_static_selectorELNS0_4arch9wavefront6targetE0EEEvSJ_ ; -- Begin function _ZN7rocprim17ROCPRIM_400000_NS6detail17trampoline_kernelINS0_14default_configENS1_38merge_sort_block_merge_config_selectorIiiEEZZNS1_27merge_sort_block_merge_implIS3_N6thrust23THRUST_200600_302600_NS6detail15normal_iteratorINS8_10device_ptrIiEEEESD_jNS1_19radix_merge_compareILb0ELb0EiNS0_19identity_decomposerEEEEE10hipError_tT0_T1_T2_jT3_P12ihipStream_tbPNSt15iterator_traitsISI_E10value_typeEPNSO_ISJ_E10value_typeEPSK_NS1_7vsmem_tEENKUlT_SI_SJ_SK_E_clIPiSD_S10_SD_EESH_SX_SI_SJ_SK_EUlSX_E_NS1_11comp_targetILNS1_3genE4ELNS1_11target_archE910ELNS1_3gpuE8ELNS1_3repE0EEENS1_48merge_mergepath_partition_config_static_selectorELNS0_4arch9wavefront6targetE0EEEvSJ_
	.globl	_ZN7rocprim17ROCPRIM_400000_NS6detail17trampoline_kernelINS0_14default_configENS1_38merge_sort_block_merge_config_selectorIiiEEZZNS1_27merge_sort_block_merge_implIS3_N6thrust23THRUST_200600_302600_NS6detail15normal_iteratorINS8_10device_ptrIiEEEESD_jNS1_19radix_merge_compareILb0ELb0EiNS0_19identity_decomposerEEEEE10hipError_tT0_T1_T2_jT3_P12ihipStream_tbPNSt15iterator_traitsISI_E10value_typeEPNSO_ISJ_E10value_typeEPSK_NS1_7vsmem_tEENKUlT_SI_SJ_SK_E_clIPiSD_S10_SD_EESH_SX_SI_SJ_SK_EUlSX_E_NS1_11comp_targetILNS1_3genE4ELNS1_11target_archE910ELNS1_3gpuE8ELNS1_3repE0EEENS1_48merge_mergepath_partition_config_static_selectorELNS0_4arch9wavefront6targetE0EEEvSJ_
	.p2align	8
	.type	_ZN7rocprim17ROCPRIM_400000_NS6detail17trampoline_kernelINS0_14default_configENS1_38merge_sort_block_merge_config_selectorIiiEEZZNS1_27merge_sort_block_merge_implIS3_N6thrust23THRUST_200600_302600_NS6detail15normal_iteratorINS8_10device_ptrIiEEEESD_jNS1_19radix_merge_compareILb0ELb0EiNS0_19identity_decomposerEEEEE10hipError_tT0_T1_T2_jT3_P12ihipStream_tbPNSt15iterator_traitsISI_E10value_typeEPNSO_ISJ_E10value_typeEPSK_NS1_7vsmem_tEENKUlT_SI_SJ_SK_E_clIPiSD_S10_SD_EESH_SX_SI_SJ_SK_EUlSX_E_NS1_11comp_targetILNS1_3genE4ELNS1_11target_archE910ELNS1_3gpuE8ELNS1_3repE0EEENS1_48merge_mergepath_partition_config_static_selectorELNS0_4arch9wavefront6targetE0EEEvSJ_,@function
_ZN7rocprim17ROCPRIM_400000_NS6detail17trampoline_kernelINS0_14default_configENS1_38merge_sort_block_merge_config_selectorIiiEEZZNS1_27merge_sort_block_merge_implIS3_N6thrust23THRUST_200600_302600_NS6detail15normal_iteratorINS8_10device_ptrIiEEEESD_jNS1_19radix_merge_compareILb0ELb0EiNS0_19identity_decomposerEEEEE10hipError_tT0_T1_T2_jT3_P12ihipStream_tbPNSt15iterator_traitsISI_E10value_typeEPNSO_ISJ_E10value_typeEPSK_NS1_7vsmem_tEENKUlT_SI_SJ_SK_E_clIPiSD_S10_SD_EESH_SX_SI_SJ_SK_EUlSX_E_NS1_11comp_targetILNS1_3genE4ELNS1_11target_archE910ELNS1_3gpuE8ELNS1_3repE0EEENS1_48merge_mergepath_partition_config_static_selectorELNS0_4arch9wavefront6targetE0EEEvSJ_: ; @_ZN7rocprim17ROCPRIM_400000_NS6detail17trampoline_kernelINS0_14default_configENS1_38merge_sort_block_merge_config_selectorIiiEEZZNS1_27merge_sort_block_merge_implIS3_N6thrust23THRUST_200600_302600_NS6detail15normal_iteratorINS8_10device_ptrIiEEEESD_jNS1_19radix_merge_compareILb0ELb0EiNS0_19identity_decomposerEEEEE10hipError_tT0_T1_T2_jT3_P12ihipStream_tbPNSt15iterator_traitsISI_E10value_typeEPNSO_ISJ_E10value_typeEPSK_NS1_7vsmem_tEENKUlT_SI_SJ_SK_E_clIPiSD_S10_SD_EESH_SX_SI_SJ_SK_EUlSX_E_NS1_11comp_targetILNS1_3genE4ELNS1_11target_archE910ELNS1_3gpuE8ELNS1_3repE0EEENS1_48merge_mergepath_partition_config_static_selectorELNS0_4arch9wavefront6targetE0EEEvSJ_
; %bb.0:
	.section	.rodata,"a",@progbits
	.p2align	6, 0x0
	.amdhsa_kernel _ZN7rocprim17ROCPRIM_400000_NS6detail17trampoline_kernelINS0_14default_configENS1_38merge_sort_block_merge_config_selectorIiiEEZZNS1_27merge_sort_block_merge_implIS3_N6thrust23THRUST_200600_302600_NS6detail15normal_iteratorINS8_10device_ptrIiEEEESD_jNS1_19radix_merge_compareILb0ELb0EiNS0_19identity_decomposerEEEEE10hipError_tT0_T1_T2_jT3_P12ihipStream_tbPNSt15iterator_traitsISI_E10value_typeEPNSO_ISJ_E10value_typeEPSK_NS1_7vsmem_tEENKUlT_SI_SJ_SK_E_clIPiSD_S10_SD_EESH_SX_SI_SJ_SK_EUlSX_E_NS1_11comp_targetILNS1_3genE4ELNS1_11target_archE910ELNS1_3gpuE8ELNS1_3repE0EEENS1_48merge_mergepath_partition_config_static_selectorELNS0_4arch9wavefront6targetE0EEEvSJ_
		.amdhsa_group_segment_fixed_size 0
		.amdhsa_private_segment_fixed_size 0
		.amdhsa_kernarg_size 40
		.amdhsa_user_sgpr_count 6
		.amdhsa_user_sgpr_private_segment_buffer 1
		.amdhsa_user_sgpr_dispatch_ptr 0
		.amdhsa_user_sgpr_queue_ptr 0
		.amdhsa_user_sgpr_kernarg_segment_ptr 1
		.amdhsa_user_sgpr_dispatch_id 0
		.amdhsa_user_sgpr_flat_scratch_init 0
		.amdhsa_user_sgpr_private_segment_size 0
		.amdhsa_wavefront_size32 1
		.amdhsa_uses_dynamic_stack 0
		.amdhsa_system_sgpr_private_segment_wavefront_offset 0
		.amdhsa_system_sgpr_workgroup_id_x 1
		.amdhsa_system_sgpr_workgroup_id_y 0
		.amdhsa_system_sgpr_workgroup_id_z 0
		.amdhsa_system_sgpr_workgroup_info 0
		.amdhsa_system_vgpr_workitem_id 0
		.amdhsa_next_free_vgpr 1
		.amdhsa_next_free_sgpr 1
		.amdhsa_reserve_vcc 0
		.amdhsa_reserve_flat_scratch 0
		.amdhsa_float_round_mode_32 0
		.amdhsa_float_round_mode_16_64 0
		.amdhsa_float_denorm_mode_32 3
		.amdhsa_float_denorm_mode_16_64 3
		.amdhsa_dx10_clamp 1
		.amdhsa_ieee_mode 1
		.amdhsa_fp16_overflow 0
		.amdhsa_workgroup_processor_mode 1
		.amdhsa_memory_ordered 1
		.amdhsa_forward_progress 1
		.amdhsa_shared_vgpr_count 0
		.amdhsa_exception_fp_ieee_invalid_op 0
		.amdhsa_exception_fp_denorm_src 0
		.amdhsa_exception_fp_ieee_div_zero 0
		.amdhsa_exception_fp_ieee_overflow 0
		.amdhsa_exception_fp_ieee_underflow 0
		.amdhsa_exception_fp_ieee_inexact 0
		.amdhsa_exception_int_div_zero 0
	.end_amdhsa_kernel
	.section	.text._ZN7rocprim17ROCPRIM_400000_NS6detail17trampoline_kernelINS0_14default_configENS1_38merge_sort_block_merge_config_selectorIiiEEZZNS1_27merge_sort_block_merge_implIS3_N6thrust23THRUST_200600_302600_NS6detail15normal_iteratorINS8_10device_ptrIiEEEESD_jNS1_19radix_merge_compareILb0ELb0EiNS0_19identity_decomposerEEEEE10hipError_tT0_T1_T2_jT3_P12ihipStream_tbPNSt15iterator_traitsISI_E10value_typeEPNSO_ISJ_E10value_typeEPSK_NS1_7vsmem_tEENKUlT_SI_SJ_SK_E_clIPiSD_S10_SD_EESH_SX_SI_SJ_SK_EUlSX_E_NS1_11comp_targetILNS1_3genE4ELNS1_11target_archE910ELNS1_3gpuE8ELNS1_3repE0EEENS1_48merge_mergepath_partition_config_static_selectorELNS0_4arch9wavefront6targetE0EEEvSJ_,"axG",@progbits,_ZN7rocprim17ROCPRIM_400000_NS6detail17trampoline_kernelINS0_14default_configENS1_38merge_sort_block_merge_config_selectorIiiEEZZNS1_27merge_sort_block_merge_implIS3_N6thrust23THRUST_200600_302600_NS6detail15normal_iteratorINS8_10device_ptrIiEEEESD_jNS1_19radix_merge_compareILb0ELb0EiNS0_19identity_decomposerEEEEE10hipError_tT0_T1_T2_jT3_P12ihipStream_tbPNSt15iterator_traitsISI_E10value_typeEPNSO_ISJ_E10value_typeEPSK_NS1_7vsmem_tEENKUlT_SI_SJ_SK_E_clIPiSD_S10_SD_EESH_SX_SI_SJ_SK_EUlSX_E_NS1_11comp_targetILNS1_3genE4ELNS1_11target_archE910ELNS1_3gpuE8ELNS1_3repE0EEENS1_48merge_mergepath_partition_config_static_selectorELNS0_4arch9wavefront6targetE0EEEvSJ_,comdat
.Lfunc_end711:
	.size	_ZN7rocprim17ROCPRIM_400000_NS6detail17trampoline_kernelINS0_14default_configENS1_38merge_sort_block_merge_config_selectorIiiEEZZNS1_27merge_sort_block_merge_implIS3_N6thrust23THRUST_200600_302600_NS6detail15normal_iteratorINS8_10device_ptrIiEEEESD_jNS1_19radix_merge_compareILb0ELb0EiNS0_19identity_decomposerEEEEE10hipError_tT0_T1_T2_jT3_P12ihipStream_tbPNSt15iterator_traitsISI_E10value_typeEPNSO_ISJ_E10value_typeEPSK_NS1_7vsmem_tEENKUlT_SI_SJ_SK_E_clIPiSD_S10_SD_EESH_SX_SI_SJ_SK_EUlSX_E_NS1_11comp_targetILNS1_3genE4ELNS1_11target_archE910ELNS1_3gpuE8ELNS1_3repE0EEENS1_48merge_mergepath_partition_config_static_selectorELNS0_4arch9wavefront6targetE0EEEvSJ_, .Lfunc_end711-_ZN7rocprim17ROCPRIM_400000_NS6detail17trampoline_kernelINS0_14default_configENS1_38merge_sort_block_merge_config_selectorIiiEEZZNS1_27merge_sort_block_merge_implIS3_N6thrust23THRUST_200600_302600_NS6detail15normal_iteratorINS8_10device_ptrIiEEEESD_jNS1_19radix_merge_compareILb0ELb0EiNS0_19identity_decomposerEEEEE10hipError_tT0_T1_T2_jT3_P12ihipStream_tbPNSt15iterator_traitsISI_E10value_typeEPNSO_ISJ_E10value_typeEPSK_NS1_7vsmem_tEENKUlT_SI_SJ_SK_E_clIPiSD_S10_SD_EESH_SX_SI_SJ_SK_EUlSX_E_NS1_11comp_targetILNS1_3genE4ELNS1_11target_archE910ELNS1_3gpuE8ELNS1_3repE0EEENS1_48merge_mergepath_partition_config_static_selectorELNS0_4arch9wavefront6targetE0EEEvSJ_
                                        ; -- End function
	.set _ZN7rocprim17ROCPRIM_400000_NS6detail17trampoline_kernelINS0_14default_configENS1_38merge_sort_block_merge_config_selectorIiiEEZZNS1_27merge_sort_block_merge_implIS3_N6thrust23THRUST_200600_302600_NS6detail15normal_iteratorINS8_10device_ptrIiEEEESD_jNS1_19radix_merge_compareILb0ELb0EiNS0_19identity_decomposerEEEEE10hipError_tT0_T1_T2_jT3_P12ihipStream_tbPNSt15iterator_traitsISI_E10value_typeEPNSO_ISJ_E10value_typeEPSK_NS1_7vsmem_tEENKUlT_SI_SJ_SK_E_clIPiSD_S10_SD_EESH_SX_SI_SJ_SK_EUlSX_E_NS1_11comp_targetILNS1_3genE4ELNS1_11target_archE910ELNS1_3gpuE8ELNS1_3repE0EEENS1_48merge_mergepath_partition_config_static_selectorELNS0_4arch9wavefront6targetE0EEEvSJ_.num_vgpr, 0
	.set _ZN7rocprim17ROCPRIM_400000_NS6detail17trampoline_kernelINS0_14default_configENS1_38merge_sort_block_merge_config_selectorIiiEEZZNS1_27merge_sort_block_merge_implIS3_N6thrust23THRUST_200600_302600_NS6detail15normal_iteratorINS8_10device_ptrIiEEEESD_jNS1_19radix_merge_compareILb0ELb0EiNS0_19identity_decomposerEEEEE10hipError_tT0_T1_T2_jT3_P12ihipStream_tbPNSt15iterator_traitsISI_E10value_typeEPNSO_ISJ_E10value_typeEPSK_NS1_7vsmem_tEENKUlT_SI_SJ_SK_E_clIPiSD_S10_SD_EESH_SX_SI_SJ_SK_EUlSX_E_NS1_11comp_targetILNS1_3genE4ELNS1_11target_archE910ELNS1_3gpuE8ELNS1_3repE0EEENS1_48merge_mergepath_partition_config_static_selectorELNS0_4arch9wavefront6targetE0EEEvSJ_.num_agpr, 0
	.set _ZN7rocprim17ROCPRIM_400000_NS6detail17trampoline_kernelINS0_14default_configENS1_38merge_sort_block_merge_config_selectorIiiEEZZNS1_27merge_sort_block_merge_implIS3_N6thrust23THRUST_200600_302600_NS6detail15normal_iteratorINS8_10device_ptrIiEEEESD_jNS1_19radix_merge_compareILb0ELb0EiNS0_19identity_decomposerEEEEE10hipError_tT0_T1_T2_jT3_P12ihipStream_tbPNSt15iterator_traitsISI_E10value_typeEPNSO_ISJ_E10value_typeEPSK_NS1_7vsmem_tEENKUlT_SI_SJ_SK_E_clIPiSD_S10_SD_EESH_SX_SI_SJ_SK_EUlSX_E_NS1_11comp_targetILNS1_3genE4ELNS1_11target_archE910ELNS1_3gpuE8ELNS1_3repE0EEENS1_48merge_mergepath_partition_config_static_selectorELNS0_4arch9wavefront6targetE0EEEvSJ_.numbered_sgpr, 0
	.set _ZN7rocprim17ROCPRIM_400000_NS6detail17trampoline_kernelINS0_14default_configENS1_38merge_sort_block_merge_config_selectorIiiEEZZNS1_27merge_sort_block_merge_implIS3_N6thrust23THRUST_200600_302600_NS6detail15normal_iteratorINS8_10device_ptrIiEEEESD_jNS1_19radix_merge_compareILb0ELb0EiNS0_19identity_decomposerEEEEE10hipError_tT0_T1_T2_jT3_P12ihipStream_tbPNSt15iterator_traitsISI_E10value_typeEPNSO_ISJ_E10value_typeEPSK_NS1_7vsmem_tEENKUlT_SI_SJ_SK_E_clIPiSD_S10_SD_EESH_SX_SI_SJ_SK_EUlSX_E_NS1_11comp_targetILNS1_3genE4ELNS1_11target_archE910ELNS1_3gpuE8ELNS1_3repE0EEENS1_48merge_mergepath_partition_config_static_selectorELNS0_4arch9wavefront6targetE0EEEvSJ_.num_named_barrier, 0
	.set _ZN7rocprim17ROCPRIM_400000_NS6detail17trampoline_kernelINS0_14default_configENS1_38merge_sort_block_merge_config_selectorIiiEEZZNS1_27merge_sort_block_merge_implIS3_N6thrust23THRUST_200600_302600_NS6detail15normal_iteratorINS8_10device_ptrIiEEEESD_jNS1_19radix_merge_compareILb0ELb0EiNS0_19identity_decomposerEEEEE10hipError_tT0_T1_T2_jT3_P12ihipStream_tbPNSt15iterator_traitsISI_E10value_typeEPNSO_ISJ_E10value_typeEPSK_NS1_7vsmem_tEENKUlT_SI_SJ_SK_E_clIPiSD_S10_SD_EESH_SX_SI_SJ_SK_EUlSX_E_NS1_11comp_targetILNS1_3genE4ELNS1_11target_archE910ELNS1_3gpuE8ELNS1_3repE0EEENS1_48merge_mergepath_partition_config_static_selectorELNS0_4arch9wavefront6targetE0EEEvSJ_.private_seg_size, 0
	.set _ZN7rocprim17ROCPRIM_400000_NS6detail17trampoline_kernelINS0_14default_configENS1_38merge_sort_block_merge_config_selectorIiiEEZZNS1_27merge_sort_block_merge_implIS3_N6thrust23THRUST_200600_302600_NS6detail15normal_iteratorINS8_10device_ptrIiEEEESD_jNS1_19radix_merge_compareILb0ELb0EiNS0_19identity_decomposerEEEEE10hipError_tT0_T1_T2_jT3_P12ihipStream_tbPNSt15iterator_traitsISI_E10value_typeEPNSO_ISJ_E10value_typeEPSK_NS1_7vsmem_tEENKUlT_SI_SJ_SK_E_clIPiSD_S10_SD_EESH_SX_SI_SJ_SK_EUlSX_E_NS1_11comp_targetILNS1_3genE4ELNS1_11target_archE910ELNS1_3gpuE8ELNS1_3repE0EEENS1_48merge_mergepath_partition_config_static_selectorELNS0_4arch9wavefront6targetE0EEEvSJ_.uses_vcc, 0
	.set _ZN7rocprim17ROCPRIM_400000_NS6detail17trampoline_kernelINS0_14default_configENS1_38merge_sort_block_merge_config_selectorIiiEEZZNS1_27merge_sort_block_merge_implIS3_N6thrust23THRUST_200600_302600_NS6detail15normal_iteratorINS8_10device_ptrIiEEEESD_jNS1_19radix_merge_compareILb0ELb0EiNS0_19identity_decomposerEEEEE10hipError_tT0_T1_T2_jT3_P12ihipStream_tbPNSt15iterator_traitsISI_E10value_typeEPNSO_ISJ_E10value_typeEPSK_NS1_7vsmem_tEENKUlT_SI_SJ_SK_E_clIPiSD_S10_SD_EESH_SX_SI_SJ_SK_EUlSX_E_NS1_11comp_targetILNS1_3genE4ELNS1_11target_archE910ELNS1_3gpuE8ELNS1_3repE0EEENS1_48merge_mergepath_partition_config_static_selectorELNS0_4arch9wavefront6targetE0EEEvSJ_.uses_flat_scratch, 0
	.set _ZN7rocprim17ROCPRIM_400000_NS6detail17trampoline_kernelINS0_14default_configENS1_38merge_sort_block_merge_config_selectorIiiEEZZNS1_27merge_sort_block_merge_implIS3_N6thrust23THRUST_200600_302600_NS6detail15normal_iteratorINS8_10device_ptrIiEEEESD_jNS1_19radix_merge_compareILb0ELb0EiNS0_19identity_decomposerEEEEE10hipError_tT0_T1_T2_jT3_P12ihipStream_tbPNSt15iterator_traitsISI_E10value_typeEPNSO_ISJ_E10value_typeEPSK_NS1_7vsmem_tEENKUlT_SI_SJ_SK_E_clIPiSD_S10_SD_EESH_SX_SI_SJ_SK_EUlSX_E_NS1_11comp_targetILNS1_3genE4ELNS1_11target_archE910ELNS1_3gpuE8ELNS1_3repE0EEENS1_48merge_mergepath_partition_config_static_selectorELNS0_4arch9wavefront6targetE0EEEvSJ_.has_dyn_sized_stack, 0
	.set _ZN7rocprim17ROCPRIM_400000_NS6detail17trampoline_kernelINS0_14default_configENS1_38merge_sort_block_merge_config_selectorIiiEEZZNS1_27merge_sort_block_merge_implIS3_N6thrust23THRUST_200600_302600_NS6detail15normal_iteratorINS8_10device_ptrIiEEEESD_jNS1_19radix_merge_compareILb0ELb0EiNS0_19identity_decomposerEEEEE10hipError_tT0_T1_T2_jT3_P12ihipStream_tbPNSt15iterator_traitsISI_E10value_typeEPNSO_ISJ_E10value_typeEPSK_NS1_7vsmem_tEENKUlT_SI_SJ_SK_E_clIPiSD_S10_SD_EESH_SX_SI_SJ_SK_EUlSX_E_NS1_11comp_targetILNS1_3genE4ELNS1_11target_archE910ELNS1_3gpuE8ELNS1_3repE0EEENS1_48merge_mergepath_partition_config_static_selectorELNS0_4arch9wavefront6targetE0EEEvSJ_.has_recursion, 0
	.set _ZN7rocprim17ROCPRIM_400000_NS6detail17trampoline_kernelINS0_14default_configENS1_38merge_sort_block_merge_config_selectorIiiEEZZNS1_27merge_sort_block_merge_implIS3_N6thrust23THRUST_200600_302600_NS6detail15normal_iteratorINS8_10device_ptrIiEEEESD_jNS1_19radix_merge_compareILb0ELb0EiNS0_19identity_decomposerEEEEE10hipError_tT0_T1_T2_jT3_P12ihipStream_tbPNSt15iterator_traitsISI_E10value_typeEPNSO_ISJ_E10value_typeEPSK_NS1_7vsmem_tEENKUlT_SI_SJ_SK_E_clIPiSD_S10_SD_EESH_SX_SI_SJ_SK_EUlSX_E_NS1_11comp_targetILNS1_3genE4ELNS1_11target_archE910ELNS1_3gpuE8ELNS1_3repE0EEENS1_48merge_mergepath_partition_config_static_selectorELNS0_4arch9wavefront6targetE0EEEvSJ_.has_indirect_call, 0
	.section	.AMDGPU.csdata,"",@progbits
; Kernel info:
; codeLenInByte = 0
; TotalNumSgprs: 0
; NumVgprs: 0
; ScratchSize: 0
; MemoryBound: 0
; FloatMode: 240
; IeeeMode: 1
; LDSByteSize: 0 bytes/workgroup (compile time only)
; SGPRBlocks: 0
; VGPRBlocks: 0
; NumSGPRsForWavesPerEU: 1
; NumVGPRsForWavesPerEU: 1
; Occupancy: 16
; WaveLimiterHint : 0
; COMPUTE_PGM_RSRC2:SCRATCH_EN: 0
; COMPUTE_PGM_RSRC2:USER_SGPR: 6
; COMPUTE_PGM_RSRC2:TRAP_HANDLER: 0
; COMPUTE_PGM_RSRC2:TGID_X_EN: 1
; COMPUTE_PGM_RSRC2:TGID_Y_EN: 0
; COMPUTE_PGM_RSRC2:TGID_Z_EN: 0
; COMPUTE_PGM_RSRC2:TIDIG_COMP_CNT: 0
	.section	.text._ZN7rocprim17ROCPRIM_400000_NS6detail17trampoline_kernelINS0_14default_configENS1_38merge_sort_block_merge_config_selectorIiiEEZZNS1_27merge_sort_block_merge_implIS3_N6thrust23THRUST_200600_302600_NS6detail15normal_iteratorINS8_10device_ptrIiEEEESD_jNS1_19radix_merge_compareILb0ELb0EiNS0_19identity_decomposerEEEEE10hipError_tT0_T1_T2_jT3_P12ihipStream_tbPNSt15iterator_traitsISI_E10value_typeEPNSO_ISJ_E10value_typeEPSK_NS1_7vsmem_tEENKUlT_SI_SJ_SK_E_clIPiSD_S10_SD_EESH_SX_SI_SJ_SK_EUlSX_E_NS1_11comp_targetILNS1_3genE3ELNS1_11target_archE908ELNS1_3gpuE7ELNS1_3repE0EEENS1_48merge_mergepath_partition_config_static_selectorELNS0_4arch9wavefront6targetE0EEEvSJ_,"axG",@progbits,_ZN7rocprim17ROCPRIM_400000_NS6detail17trampoline_kernelINS0_14default_configENS1_38merge_sort_block_merge_config_selectorIiiEEZZNS1_27merge_sort_block_merge_implIS3_N6thrust23THRUST_200600_302600_NS6detail15normal_iteratorINS8_10device_ptrIiEEEESD_jNS1_19radix_merge_compareILb0ELb0EiNS0_19identity_decomposerEEEEE10hipError_tT0_T1_T2_jT3_P12ihipStream_tbPNSt15iterator_traitsISI_E10value_typeEPNSO_ISJ_E10value_typeEPSK_NS1_7vsmem_tEENKUlT_SI_SJ_SK_E_clIPiSD_S10_SD_EESH_SX_SI_SJ_SK_EUlSX_E_NS1_11comp_targetILNS1_3genE3ELNS1_11target_archE908ELNS1_3gpuE7ELNS1_3repE0EEENS1_48merge_mergepath_partition_config_static_selectorELNS0_4arch9wavefront6targetE0EEEvSJ_,comdat
	.protected	_ZN7rocprim17ROCPRIM_400000_NS6detail17trampoline_kernelINS0_14default_configENS1_38merge_sort_block_merge_config_selectorIiiEEZZNS1_27merge_sort_block_merge_implIS3_N6thrust23THRUST_200600_302600_NS6detail15normal_iteratorINS8_10device_ptrIiEEEESD_jNS1_19radix_merge_compareILb0ELb0EiNS0_19identity_decomposerEEEEE10hipError_tT0_T1_T2_jT3_P12ihipStream_tbPNSt15iterator_traitsISI_E10value_typeEPNSO_ISJ_E10value_typeEPSK_NS1_7vsmem_tEENKUlT_SI_SJ_SK_E_clIPiSD_S10_SD_EESH_SX_SI_SJ_SK_EUlSX_E_NS1_11comp_targetILNS1_3genE3ELNS1_11target_archE908ELNS1_3gpuE7ELNS1_3repE0EEENS1_48merge_mergepath_partition_config_static_selectorELNS0_4arch9wavefront6targetE0EEEvSJ_ ; -- Begin function _ZN7rocprim17ROCPRIM_400000_NS6detail17trampoline_kernelINS0_14default_configENS1_38merge_sort_block_merge_config_selectorIiiEEZZNS1_27merge_sort_block_merge_implIS3_N6thrust23THRUST_200600_302600_NS6detail15normal_iteratorINS8_10device_ptrIiEEEESD_jNS1_19radix_merge_compareILb0ELb0EiNS0_19identity_decomposerEEEEE10hipError_tT0_T1_T2_jT3_P12ihipStream_tbPNSt15iterator_traitsISI_E10value_typeEPNSO_ISJ_E10value_typeEPSK_NS1_7vsmem_tEENKUlT_SI_SJ_SK_E_clIPiSD_S10_SD_EESH_SX_SI_SJ_SK_EUlSX_E_NS1_11comp_targetILNS1_3genE3ELNS1_11target_archE908ELNS1_3gpuE7ELNS1_3repE0EEENS1_48merge_mergepath_partition_config_static_selectorELNS0_4arch9wavefront6targetE0EEEvSJ_
	.globl	_ZN7rocprim17ROCPRIM_400000_NS6detail17trampoline_kernelINS0_14default_configENS1_38merge_sort_block_merge_config_selectorIiiEEZZNS1_27merge_sort_block_merge_implIS3_N6thrust23THRUST_200600_302600_NS6detail15normal_iteratorINS8_10device_ptrIiEEEESD_jNS1_19radix_merge_compareILb0ELb0EiNS0_19identity_decomposerEEEEE10hipError_tT0_T1_T2_jT3_P12ihipStream_tbPNSt15iterator_traitsISI_E10value_typeEPNSO_ISJ_E10value_typeEPSK_NS1_7vsmem_tEENKUlT_SI_SJ_SK_E_clIPiSD_S10_SD_EESH_SX_SI_SJ_SK_EUlSX_E_NS1_11comp_targetILNS1_3genE3ELNS1_11target_archE908ELNS1_3gpuE7ELNS1_3repE0EEENS1_48merge_mergepath_partition_config_static_selectorELNS0_4arch9wavefront6targetE0EEEvSJ_
	.p2align	8
	.type	_ZN7rocprim17ROCPRIM_400000_NS6detail17trampoline_kernelINS0_14default_configENS1_38merge_sort_block_merge_config_selectorIiiEEZZNS1_27merge_sort_block_merge_implIS3_N6thrust23THRUST_200600_302600_NS6detail15normal_iteratorINS8_10device_ptrIiEEEESD_jNS1_19radix_merge_compareILb0ELb0EiNS0_19identity_decomposerEEEEE10hipError_tT0_T1_T2_jT3_P12ihipStream_tbPNSt15iterator_traitsISI_E10value_typeEPNSO_ISJ_E10value_typeEPSK_NS1_7vsmem_tEENKUlT_SI_SJ_SK_E_clIPiSD_S10_SD_EESH_SX_SI_SJ_SK_EUlSX_E_NS1_11comp_targetILNS1_3genE3ELNS1_11target_archE908ELNS1_3gpuE7ELNS1_3repE0EEENS1_48merge_mergepath_partition_config_static_selectorELNS0_4arch9wavefront6targetE0EEEvSJ_,@function
_ZN7rocprim17ROCPRIM_400000_NS6detail17trampoline_kernelINS0_14default_configENS1_38merge_sort_block_merge_config_selectorIiiEEZZNS1_27merge_sort_block_merge_implIS3_N6thrust23THRUST_200600_302600_NS6detail15normal_iteratorINS8_10device_ptrIiEEEESD_jNS1_19radix_merge_compareILb0ELb0EiNS0_19identity_decomposerEEEEE10hipError_tT0_T1_T2_jT3_P12ihipStream_tbPNSt15iterator_traitsISI_E10value_typeEPNSO_ISJ_E10value_typeEPSK_NS1_7vsmem_tEENKUlT_SI_SJ_SK_E_clIPiSD_S10_SD_EESH_SX_SI_SJ_SK_EUlSX_E_NS1_11comp_targetILNS1_3genE3ELNS1_11target_archE908ELNS1_3gpuE7ELNS1_3repE0EEENS1_48merge_mergepath_partition_config_static_selectorELNS0_4arch9wavefront6targetE0EEEvSJ_: ; @_ZN7rocprim17ROCPRIM_400000_NS6detail17trampoline_kernelINS0_14default_configENS1_38merge_sort_block_merge_config_selectorIiiEEZZNS1_27merge_sort_block_merge_implIS3_N6thrust23THRUST_200600_302600_NS6detail15normal_iteratorINS8_10device_ptrIiEEEESD_jNS1_19radix_merge_compareILb0ELb0EiNS0_19identity_decomposerEEEEE10hipError_tT0_T1_T2_jT3_P12ihipStream_tbPNSt15iterator_traitsISI_E10value_typeEPNSO_ISJ_E10value_typeEPSK_NS1_7vsmem_tEENKUlT_SI_SJ_SK_E_clIPiSD_S10_SD_EESH_SX_SI_SJ_SK_EUlSX_E_NS1_11comp_targetILNS1_3genE3ELNS1_11target_archE908ELNS1_3gpuE7ELNS1_3repE0EEENS1_48merge_mergepath_partition_config_static_selectorELNS0_4arch9wavefront6targetE0EEEvSJ_
; %bb.0:
	.section	.rodata,"a",@progbits
	.p2align	6, 0x0
	.amdhsa_kernel _ZN7rocprim17ROCPRIM_400000_NS6detail17trampoline_kernelINS0_14default_configENS1_38merge_sort_block_merge_config_selectorIiiEEZZNS1_27merge_sort_block_merge_implIS3_N6thrust23THRUST_200600_302600_NS6detail15normal_iteratorINS8_10device_ptrIiEEEESD_jNS1_19radix_merge_compareILb0ELb0EiNS0_19identity_decomposerEEEEE10hipError_tT0_T1_T2_jT3_P12ihipStream_tbPNSt15iterator_traitsISI_E10value_typeEPNSO_ISJ_E10value_typeEPSK_NS1_7vsmem_tEENKUlT_SI_SJ_SK_E_clIPiSD_S10_SD_EESH_SX_SI_SJ_SK_EUlSX_E_NS1_11comp_targetILNS1_3genE3ELNS1_11target_archE908ELNS1_3gpuE7ELNS1_3repE0EEENS1_48merge_mergepath_partition_config_static_selectorELNS0_4arch9wavefront6targetE0EEEvSJ_
		.amdhsa_group_segment_fixed_size 0
		.amdhsa_private_segment_fixed_size 0
		.amdhsa_kernarg_size 40
		.amdhsa_user_sgpr_count 6
		.amdhsa_user_sgpr_private_segment_buffer 1
		.amdhsa_user_sgpr_dispatch_ptr 0
		.amdhsa_user_sgpr_queue_ptr 0
		.amdhsa_user_sgpr_kernarg_segment_ptr 1
		.amdhsa_user_sgpr_dispatch_id 0
		.amdhsa_user_sgpr_flat_scratch_init 0
		.amdhsa_user_sgpr_private_segment_size 0
		.amdhsa_wavefront_size32 1
		.amdhsa_uses_dynamic_stack 0
		.amdhsa_system_sgpr_private_segment_wavefront_offset 0
		.amdhsa_system_sgpr_workgroup_id_x 1
		.amdhsa_system_sgpr_workgroup_id_y 0
		.amdhsa_system_sgpr_workgroup_id_z 0
		.amdhsa_system_sgpr_workgroup_info 0
		.amdhsa_system_vgpr_workitem_id 0
		.amdhsa_next_free_vgpr 1
		.amdhsa_next_free_sgpr 1
		.amdhsa_reserve_vcc 0
		.amdhsa_reserve_flat_scratch 0
		.amdhsa_float_round_mode_32 0
		.amdhsa_float_round_mode_16_64 0
		.amdhsa_float_denorm_mode_32 3
		.amdhsa_float_denorm_mode_16_64 3
		.amdhsa_dx10_clamp 1
		.amdhsa_ieee_mode 1
		.amdhsa_fp16_overflow 0
		.amdhsa_workgroup_processor_mode 1
		.amdhsa_memory_ordered 1
		.amdhsa_forward_progress 1
		.amdhsa_shared_vgpr_count 0
		.amdhsa_exception_fp_ieee_invalid_op 0
		.amdhsa_exception_fp_denorm_src 0
		.amdhsa_exception_fp_ieee_div_zero 0
		.amdhsa_exception_fp_ieee_overflow 0
		.amdhsa_exception_fp_ieee_underflow 0
		.amdhsa_exception_fp_ieee_inexact 0
		.amdhsa_exception_int_div_zero 0
	.end_amdhsa_kernel
	.section	.text._ZN7rocprim17ROCPRIM_400000_NS6detail17trampoline_kernelINS0_14default_configENS1_38merge_sort_block_merge_config_selectorIiiEEZZNS1_27merge_sort_block_merge_implIS3_N6thrust23THRUST_200600_302600_NS6detail15normal_iteratorINS8_10device_ptrIiEEEESD_jNS1_19radix_merge_compareILb0ELb0EiNS0_19identity_decomposerEEEEE10hipError_tT0_T1_T2_jT3_P12ihipStream_tbPNSt15iterator_traitsISI_E10value_typeEPNSO_ISJ_E10value_typeEPSK_NS1_7vsmem_tEENKUlT_SI_SJ_SK_E_clIPiSD_S10_SD_EESH_SX_SI_SJ_SK_EUlSX_E_NS1_11comp_targetILNS1_3genE3ELNS1_11target_archE908ELNS1_3gpuE7ELNS1_3repE0EEENS1_48merge_mergepath_partition_config_static_selectorELNS0_4arch9wavefront6targetE0EEEvSJ_,"axG",@progbits,_ZN7rocprim17ROCPRIM_400000_NS6detail17trampoline_kernelINS0_14default_configENS1_38merge_sort_block_merge_config_selectorIiiEEZZNS1_27merge_sort_block_merge_implIS3_N6thrust23THRUST_200600_302600_NS6detail15normal_iteratorINS8_10device_ptrIiEEEESD_jNS1_19radix_merge_compareILb0ELb0EiNS0_19identity_decomposerEEEEE10hipError_tT0_T1_T2_jT3_P12ihipStream_tbPNSt15iterator_traitsISI_E10value_typeEPNSO_ISJ_E10value_typeEPSK_NS1_7vsmem_tEENKUlT_SI_SJ_SK_E_clIPiSD_S10_SD_EESH_SX_SI_SJ_SK_EUlSX_E_NS1_11comp_targetILNS1_3genE3ELNS1_11target_archE908ELNS1_3gpuE7ELNS1_3repE0EEENS1_48merge_mergepath_partition_config_static_selectorELNS0_4arch9wavefront6targetE0EEEvSJ_,comdat
.Lfunc_end712:
	.size	_ZN7rocprim17ROCPRIM_400000_NS6detail17trampoline_kernelINS0_14default_configENS1_38merge_sort_block_merge_config_selectorIiiEEZZNS1_27merge_sort_block_merge_implIS3_N6thrust23THRUST_200600_302600_NS6detail15normal_iteratorINS8_10device_ptrIiEEEESD_jNS1_19radix_merge_compareILb0ELb0EiNS0_19identity_decomposerEEEEE10hipError_tT0_T1_T2_jT3_P12ihipStream_tbPNSt15iterator_traitsISI_E10value_typeEPNSO_ISJ_E10value_typeEPSK_NS1_7vsmem_tEENKUlT_SI_SJ_SK_E_clIPiSD_S10_SD_EESH_SX_SI_SJ_SK_EUlSX_E_NS1_11comp_targetILNS1_3genE3ELNS1_11target_archE908ELNS1_3gpuE7ELNS1_3repE0EEENS1_48merge_mergepath_partition_config_static_selectorELNS0_4arch9wavefront6targetE0EEEvSJ_, .Lfunc_end712-_ZN7rocprim17ROCPRIM_400000_NS6detail17trampoline_kernelINS0_14default_configENS1_38merge_sort_block_merge_config_selectorIiiEEZZNS1_27merge_sort_block_merge_implIS3_N6thrust23THRUST_200600_302600_NS6detail15normal_iteratorINS8_10device_ptrIiEEEESD_jNS1_19radix_merge_compareILb0ELb0EiNS0_19identity_decomposerEEEEE10hipError_tT0_T1_T2_jT3_P12ihipStream_tbPNSt15iterator_traitsISI_E10value_typeEPNSO_ISJ_E10value_typeEPSK_NS1_7vsmem_tEENKUlT_SI_SJ_SK_E_clIPiSD_S10_SD_EESH_SX_SI_SJ_SK_EUlSX_E_NS1_11comp_targetILNS1_3genE3ELNS1_11target_archE908ELNS1_3gpuE7ELNS1_3repE0EEENS1_48merge_mergepath_partition_config_static_selectorELNS0_4arch9wavefront6targetE0EEEvSJ_
                                        ; -- End function
	.set _ZN7rocprim17ROCPRIM_400000_NS6detail17trampoline_kernelINS0_14default_configENS1_38merge_sort_block_merge_config_selectorIiiEEZZNS1_27merge_sort_block_merge_implIS3_N6thrust23THRUST_200600_302600_NS6detail15normal_iteratorINS8_10device_ptrIiEEEESD_jNS1_19radix_merge_compareILb0ELb0EiNS0_19identity_decomposerEEEEE10hipError_tT0_T1_T2_jT3_P12ihipStream_tbPNSt15iterator_traitsISI_E10value_typeEPNSO_ISJ_E10value_typeEPSK_NS1_7vsmem_tEENKUlT_SI_SJ_SK_E_clIPiSD_S10_SD_EESH_SX_SI_SJ_SK_EUlSX_E_NS1_11comp_targetILNS1_3genE3ELNS1_11target_archE908ELNS1_3gpuE7ELNS1_3repE0EEENS1_48merge_mergepath_partition_config_static_selectorELNS0_4arch9wavefront6targetE0EEEvSJ_.num_vgpr, 0
	.set _ZN7rocprim17ROCPRIM_400000_NS6detail17trampoline_kernelINS0_14default_configENS1_38merge_sort_block_merge_config_selectorIiiEEZZNS1_27merge_sort_block_merge_implIS3_N6thrust23THRUST_200600_302600_NS6detail15normal_iteratorINS8_10device_ptrIiEEEESD_jNS1_19radix_merge_compareILb0ELb0EiNS0_19identity_decomposerEEEEE10hipError_tT0_T1_T2_jT3_P12ihipStream_tbPNSt15iterator_traitsISI_E10value_typeEPNSO_ISJ_E10value_typeEPSK_NS1_7vsmem_tEENKUlT_SI_SJ_SK_E_clIPiSD_S10_SD_EESH_SX_SI_SJ_SK_EUlSX_E_NS1_11comp_targetILNS1_3genE3ELNS1_11target_archE908ELNS1_3gpuE7ELNS1_3repE0EEENS1_48merge_mergepath_partition_config_static_selectorELNS0_4arch9wavefront6targetE0EEEvSJ_.num_agpr, 0
	.set _ZN7rocprim17ROCPRIM_400000_NS6detail17trampoline_kernelINS0_14default_configENS1_38merge_sort_block_merge_config_selectorIiiEEZZNS1_27merge_sort_block_merge_implIS3_N6thrust23THRUST_200600_302600_NS6detail15normal_iteratorINS8_10device_ptrIiEEEESD_jNS1_19radix_merge_compareILb0ELb0EiNS0_19identity_decomposerEEEEE10hipError_tT0_T1_T2_jT3_P12ihipStream_tbPNSt15iterator_traitsISI_E10value_typeEPNSO_ISJ_E10value_typeEPSK_NS1_7vsmem_tEENKUlT_SI_SJ_SK_E_clIPiSD_S10_SD_EESH_SX_SI_SJ_SK_EUlSX_E_NS1_11comp_targetILNS1_3genE3ELNS1_11target_archE908ELNS1_3gpuE7ELNS1_3repE0EEENS1_48merge_mergepath_partition_config_static_selectorELNS0_4arch9wavefront6targetE0EEEvSJ_.numbered_sgpr, 0
	.set _ZN7rocprim17ROCPRIM_400000_NS6detail17trampoline_kernelINS0_14default_configENS1_38merge_sort_block_merge_config_selectorIiiEEZZNS1_27merge_sort_block_merge_implIS3_N6thrust23THRUST_200600_302600_NS6detail15normal_iteratorINS8_10device_ptrIiEEEESD_jNS1_19radix_merge_compareILb0ELb0EiNS0_19identity_decomposerEEEEE10hipError_tT0_T1_T2_jT3_P12ihipStream_tbPNSt15iterator_traitsISI_E10value_typeEPNSO_ISJ_E10value_typeEPSK_NS1_7vsmem_tEENKUlT_SI_SJ_SK_E_clIPiSD_S10_SD_EESH_SX_SI_SJ_SK_EUlSX_E_NS1_11comp_targetILNS1_3genE3ELNS1_11target_archE908ELNS1_3gpuE7ELNS1_3repE0EEENS1_48merge_mergepath_partition_config_static_selectorELNS0_4arch9wavefront6targetE0EEEvSJ_.num_named_barrier, 0
	.set _ZN7rocprim17ROCPRIM_400000_NS6detail17trampoline_kernelINS0_14default_configENS1_38merge_sort_block_merge_config_selectorIiiEEZZNS1_27merge_sort_block_merge_implIS3_N6thrust23THRUST_200600_302600_NS6detail15normal_iteratorINS8_10device_ptrIiEEEESD_jNS1_19radix_merge_compareILb0ELb0EiNS0_19identity_decomposerEEEEE10hipError_tT0_T1_T2_jT3_P12ihipStream_tbPNSt15iterator_traitsISI_E10value_typeEPNSO_ISJ_E10value_typeEPSK_NS1_7vsmem_tEENKUlT_SI_SJ_SK_E_clIPiSD_S10_SD_EESH_SX_SI_SJ_SK_EUlSX_E_NS1_11comp_targetILNS1_3genE3ELNS1_11target_archE908ELNS1_3gpuE7ELNS1_3repE0EEENS1_48merge_mergepath_partition_config_static_selectorELNS0_4arch9wavefront6targetE0EEEvSJ_.private_seg_size, 0
	.set _ZN7rocprim17ROCPRIM_400000_NS6detail17trampoline_kernelINS0_14default_configENS1_38merge_sort_block_merge_config_selectorIiiEEZZNS1_27merge_sort_block_merge_implIS3_N6thrust23THRUST_200600_302600_NS6detail15normal_iteratorINS8_10device_ptrIiEEEESD_jNS1_19radix_merge_compareILb0ELb0EiNS0_19identity_decomposerEEEEE10hipError_tT0_T1_T2_jT3_P12ihipStream_tbPNSt15iterator_traitsISI_E10value_typeEPNSO_ISJ_E10value_typeEPSK_NS1_7vsmem_tEENKUlT_SI_SJ_SK_E_clIPiSD_S10_SD_EESH_SX_SI_SJ_SK_EUlSX_E_NS1_11comp_targetILNS1_3genE3ELNS1_11target_archE908ELNS1_3gpuE7ELNS1_3repE0EEENS1_48merge_mergepath_partition_config_static_selectorELNS0_4arch9wavefront6targetE0EEEvSJ_.uses_vcc, 0
	.set _ZN7rocprim17ROCPRIM_400000_NS6detail17trampoline_kernelINS0_14default_configENS1_38merge_sort_block_merge_config_selectorIiiEEZZNS1_27merge_sort_block_merge_implIS3_N6thrust23THRUST_200600_302600_NS6detail15normal_iteratorINS8_10device_ptrIiEEEESD_jNS1_19radix_merge_compareILb0ELb0EiNS0_19identity_decomposerEEEEE10hipError_tT0_T1_T2_jT3_P12ihipStream_tbPNSt15iterator_traitsISI_E10value_typeEPNSO_ISJ_E10value_typeEPSK_NS1_7vsmem_tEENKUlT_SI_SJ_SK_E_clIPiSD_S10_SD_EESH_SX_SI_SJ_SK_EUlSX_E_NS1_11comp_targetILNS1_3genE3ELNS1_11target_archE908ELNS1_3gpuE7ELNS1_3repE0EEENS1_48merge_mergepath_partition_config_static_selectorELNS0_4arch9wavefront6targetE0EEEvSJ_.uses_flat_scratch, 0
	.set _ZN7rocprim17ROCPRIM_400000_NS6detail17trampoline_kernelINS0_14default_configENS1_38merge_sort_block_merge_config_selectorIiiEEZZNS1_27merge_sort_block_merge_implIS3_N6thrust23THRUST_200600_302600_NS6detail15normal_iteratorINS8_10device_ptrIiEEEESD_jNS1_19radix_merge_compareILb0ELb0EiNS0_19identity_decomposerEEEEE10hipError_tT0_T1_T2_jT3_P12ihipStream_tbPNSt15iterator_traitsISI_E10value_typeEPNSO_ISJ_E10value_typeEPSK_NS1_7vsmem_tEENKUlT_SI_SJ_SK_E_clIPiSD_S10_SD_EESH_SX_SI_SJ_SK_EUlSX_E_NS1_11comp_targetILNS1_3genE3ELNS1_11target_archE908ELNS1_3gpuE7ELNS1_3repE0EEENS1_48merge_mergepath_partition_config_static_selectorELNS0_4arch9wavefront6targetE0EEEvSJ_.has_dyn_sized_stack, 0
	.set _ZN7rocprim17ROCPRIM_400000_NS6detail17trampoline_kernelINS0_14default_configENS1_38merge_sort_block_merge_config_selectorIiiEEZZNS1_27merge_sort_block_merge_implIS3_N6thrust23THRUST_200600_302600_NS6detail15normal_iteratorINS8_10device_ptrIiEEEESD_jNS1_19radix_merge_compareILb0ELb0EiNS0_19identity_decomposerEEEEE10hipError_tT0_T1_T2_jT3_P12ihipStream_tbPNSt15iterator_traitsISI_E10value_typeEPNSO_ISJ_E10value_typeEPSK_NS1_7vsmem_tEENKUlT_SI_SJ_SK_E_clIPiSD_S10_SD_EESH_SX_SI_SJ_SK_EUlSX_E_NS1_11comp_targetILNS1_3genE3ELNS1_11target_archE908ELNS1_3gpuE7ELNS1_3repE0EEENS1_48merge_mergepath_partition_config_static_selectorELNS0_4arch9wavefront6targetE0EEEvSJ_.has_recursion, 0
	.set _ZN7rocprim17ROCPRIM_400000_NS6detail17trampoline_kernelINS0_14default_configENS1_38merge_sort_block_merge_config_selectorIiiEEZZNS1_27merge_sort_block_merge_implIS3_N6thrust23THRUST_200600_302600_NS6detail15normal_iteratorINS8_10device_ptrIiEEEESD_jNS1_19radix_merge_compareILb0ELb0EiNS0_19identity_decomposerEEEEE10hipError_tT0_T1_T2_jT3_P12ihipStream_tbPNSt15iterator_traitsISI_E10value_typeEPNSO_ISJ_E10value_typeEPSK_NS1_7vsmem_tEENKUlT_SI_SJ_SK_E_clIPiSD_S10_SD_EESH_SX_SI_SJ_SK_EUlSX_E_NS1_11comp_targetILNS1_3genE3ELNS1_11target_archE908ELNS1_3gpuE7ELNS1_3repE0EEENS1_48merge_mergepath_partition_config_static_selectorELNS0_4arch9wavefront6targetE0EEEvSJ_.has_indirect_call, 0
	.section	.AMDGPU.csdata,"",@progbits
; Kernel info:
; codeLenInByte = 0
; TotalNumSgprs: 0
; NumVgprs: 0
; ScratchSize: 0
; MemoryBound: 0
; FloatMode: 240
; IeeeMode: 1
; LDSByteSize: 0 bytes/workgroup (compile time only)
; SGPRBlocks: 0
; VGPRBlocks: 0
; NumSGPRsForWavesPerEU: 1
; NumVGPRsForWavesPerEU: 1
; Occupancy: 16
; WaveLimiterHint : 0
; COMPUTE_PGM_RSRC2:SCRATCH_EN: 0
; COMPUTE_PGM_RSRC2:USER_SGPR: 6
; COMPUTE_PGM_RSRC2:TRAP_HANDLER: 0
; COMPUTE_PGM_RSRC2:TGID_X_EN: 1
; COMPUTE_PGM_RSRC2:TGID_Y_EN: 0
; COMPUTE_PGM_RSRC2:TGID_Z_EN: 0
; COMPUTE_PGM_RSRC2:TIDIG_COMP_CNT: 0
	.section	.text._ZN7rocprim17ROCPRIM_400000_NS6detail17trampoline_kernelINS0_14default_configENS1_38merge_sort_block_merge_config_selectorIiiEEZZNS1_27merge_sort_block_merge_implIS3_N6thrust23THRUST_200600_302600_NS6detail15normal_iteratorINS8_10device_ptrIiEEEESD_jNS1_19radix_merge_compareILb0ELb0EiNS0_19identity_decomposerEEEEE10hipError_tT0_T1_T2_jT3_P12ihipStream_tbPNSt15iterator_traitsISI_E10value_typeEPNSO_ISJ_E10value_typeEPSK_NS1_7vsmem_tEENKUlT_SI_SJ_SK_E_clIPiSD_S10_SD_EESH_SX_SI_SJ_SK_EUlSX_E_NS1_11comp_targetILNS1_3genE2ELNS1_11target_archE906ELNS1_3gpuE6ELNS1_3repE0EEENS1_48merge_mergepath_partition_config_static_selectorELNS0_4arch9wavefront6targetE0EEEvSJ_,"axG",@progbits,_ZN7rocprim17ROCPRIM_400000_NS6detail17trampoline_kernelINS0_14default_configENS1_38merge_sort_block_merge_config_selectorIiiEEZZNS1_27merge_sort_block_merge_implIS3_N6thrust23THRUST_200600_302600_NS6detail15normal_iteratorINS8_10device_ptrIiEEEESD_jNS1_19radix_merge_compareILb0ELb0EiNS0_19identity_decomposerEEEEE10hipError_tT0_T1_T2_jT3_P12ihipStream_tbPNSt15iterator_traitsISI_E10value_typeEPNSO_ISJ_E10value_typeEPSK_NS1_7vsmem_tEENKUlT_SI_SJ_SK_E_clIPiSD_S10_SD_EESH_SX_SI_SJ_SK_EUlSX_E_NS1_11comp_targetILNS1_3genE2ELNS1_11target_archE906ELNS1_3gpuE6ELNS1_3repE0EEENS1_48merge_mergepath_partition_config_static_selectorELNS0_4arch9wavefront6targetE0EEEvSJ_,comdat
	.protected	_ZN7rocprim17ROCPRIM_400000_NS6detail17trampoline_kernelINS0_14default_configENS1_38merge_sort_block_merge_config_selectorIiiEEZZNS1_27merge_sort_block_merge_implIS3_N6thrust23THRUST_200600_302600_NS6detail15normal_iteratorINS8_10device_ptrIiEEEESD_jNS1_19radix_merge_compareILb0ELb0EiNS0_19identity_decomposerEEEEE10hipError_tT0_T1_T2_jT3_P12ihipStream_tbPNSt15iterator_traitsISI_E10value_typeEPNSO_ISJ_E10value_typeEPSK_NS1_7vsmem_tEENKUlT_SI_SJ_SK_E_clIPiSD_S10_SD_EESH_SX_SI_SJ_SK_EUlSX_E_NS1_11comp_targetILNS1_3genE2ELNS1_11target_archE906ELNS1_3gpuE6ELNS1_3repE0EEENS1_48merge_mergepath_partition_config_static_selectorELNS0_4arch9wavefront6targetE0EEEvSJ_ ; -- Begin function _ZN7rocprim17ROCPRIM_400000_NS6detail17trampoline_kernelINS0_14default_configENS1_38merge_sort_block_merge_config_selectorIiiEEZZNS1_27merge_sort_block_merge_implIS3_N6thrust23THRUST_200600_302600_NS6detail15normal_iteratorINS8_10device_ptrIiEEEESD_jNS1_19radix_merge_compareILb0ELb0EiNS0_19identity_decomposerEEEEE10hipError_tT0_T1_T2_jT3_P12ihipStream_tbPNSt15iterator_traitsISI_E10value_typeEPNSO_ISJ_E10value_typeEPSK_NS1_7vsmem_tEENKUlT_SI_SJ_SK_E_clIPiSD_S10_SD_EESH_SX_SI_SJ_SK_EUlSX_E_NS1_11comp_targetILNS1_3genE2ELNS1_11target_archE906ELNS1_3gpuE6ELNS1_3repE0EEENS1_48merge_mergepath_partition_config_static_selectorELNS0_4arch9wavefront6targetE0EEEvSJ_
	.globl	_ZN7rocprim17ROCPRIM_400000_NS6detail17trampoline_kernelINS0_14default_configENS1_38merge_sort_block_merge_config_selectorIiiEEZZNS1_27merge_sort_block_merge_implIS3_N6thrust23THRUST_200600_302600_NS6detail15normal_iteratorINS8_10device_ptrIiEEEESD_jNS1_19radix_merge_compareILb0ELb0EiNS0_19identity_decomposerEEEEE10hipError_tT0_T1_T2_jT3_P12ihipStream_tbPNSt15iterator_traitsISI_E10value_typeEPNSO_ISJ_E10value_typeEPSK_NS1_7vsmem_tEENKUlT_SI_SJ_SK_E_clIPiSD_S10_SD_EESH_SX_SI_SJ_SK_EUlSX_E_NS1_11comp_targetILNS1_3genE2ELNS1_11target_archE906ELNS1_3gpuE6ELNS1_3repE0EEENS1_48merge_mergepath_partition_config_static_selectorELNS0_4arch9wavefront6targetE0EEEvSJ_
	.p2align	8
	.type	_ZN7rocprim17ROCPRIM_400000_NS6detail17trampoline_kernelINS0_14default_configENS1_38merge_sort_block_merge_config_selectorIiiEEZZNS1_27merge_sort_block_merge_implIS3_N6thrust23THRUST_200600_302600_NS6detail15normal_iteratorINS8_10device_ptrIiEEEESD_jNS1_19radix_merge_compareILb0ELb0EiNS0_19identity_decomposerEEEEE10hipError_tT0_T1_T2_jT3_P12ihipStream_tbPNSt15iterator_traitsISI_E10value_typeEPNSO_ISJ_E10value_typeEPSK_NS1_7vsmem_tEENKUlT_SI_SJ_SK_E_clIPiSD_S10_SD_EESH_SX_SI_SJ_SK_EUlSX_E_NS1_11comp_targetILNS1_3genE2ELNS1_11target_archE906ELNS1_3gpuE6ELNS1_3repE0EEENS1_48merge_mergepath_partition_config_static_selectorELNS0_4arch9wavefront6targetE0EEEvSJ_,@function
_ZN7rocprim17ROCPRIM_400000_NS6detail17trampoline_kernelINS0_14default_configENS1_38merge_sort_block_merge_config_selectorIiiEEZZNS1_27merge_sort_block_merge_implIS3_N6thrust23THRUST_200600_302600_NS6detail15normal_iteratorINS8_10device_ptrIiEEEESD_jNS1_19radix_merge_compareILb0ELb0EiNS0_19identity_decomposerEEEEE10hipError_tT0_T1_T2_jT3_P12ihipStream_tbPNSt15iterator_traitsISI_E10value_typeEPNSO_ISJ_E10value_typeEPSK_NS1_7vsmem_tEENKUlT_SI_SJ_SK_E_clIPiSD_S10_SD_EESH_SX_SI_SJ_SK_EUlSX_E_NS1_11comp_targetILNS1_3genE2ELNS1_11target_archE906ELNS1_3gpuE6ELNS1_3repE0EEENS1_48merge_mergepath_partition_config_static_selectorELNS0_4arch9wavefront6targetE0EEEvSJ_: ; @_ZN7rocprim17ROCPRIM_400000_NS6detail17trampoline_kernelINS0_14default_configENS1_38merge_sort_block_merge_config_selectorIiiEEZZNS1_27merge_sort_block_merge_implIS3_N6thrust23THRUST_200600_302600_NS6detail15normal_iteratorINS8_10device_ptrIiEEEESD_jNS1_19radix_merge_compareILb0ELb0EiNS0_19identity_decomposerEEEEE10hipError_tT0_T1_T2_jT3_P12ihipStream_tbPNSt15iterator_traitsISI_E10value_typeEPNSO_ISJ_E10value_typeEPSK_NS1_7vsmem_tEENKUlT_SI_SJ_SK_E_clIPiSD_S10_SD_EESH_SX_SI_SJ_SK_EUlSX_E_NS1_11comp_targetILNS1_3genE2ELNS1_11target_archE906ELNS1_3gpuE6ELNS1_3repE0EEENS1_48merge_mergepath_partition_config_static_selectorELNS0_4arch9wavefront6targetE0EEEvSJ_
; %bb.0:
	.section	.rodata,"a",@progbits
	.p2align	6, 0x0
	.amdhsa_kernel _ZN7rocprim17ROCPRIM_400000_NS6detail17trampoline_kernelINS0_14default_configENS1_38merge_sort_block_merge_config_selectorIiiEEZZNS1_27merge_sort_block_merge_implIS3_N6thrust23THRUST_200600_302600_NS6detail15normal_iteratorINS8_10device_ptrIiEEEESD_jNS1_19radix_merge_compareILb0ELb0EiNS0_19identity_decomposerEEEEE10hipError_tT0_T1_T2_jT3_P12ihipStream_tbPNSt15iterator_traitsISI_E10value_typeEPNSO_ISJ_E10value_typeEPSK_NS1_7vsmem_tEENKUlT_SI_SJ_SK_E_clIPiSD_S10_SD_EESH_SX_SI_SJ_SK_EUlSX_E_NS1_11comp_targetILNS1_3genE2ELNS1_11target_archE906ELNS1_3gpuE6ELNS1_3repE0EEENS1_48merge_mergepath_partition_config_static_selectorELNS0_4arch9wavefront6targetE0EEEvSJ_
		.amdhsa_group_segment_fixed_size 0
		.amdhsa_private_segment_fixed_size 0
		.amdhsa_kernarg_size 40
		.amdhsa_user_sgpr_count 6
		.amdhsa_user_sgpr_private_segment_buffer 1
		.amdhsa_user_sgpr_dispatch_ptr 0
		.amdhsa_user_sgpr_queue_ptr 0
		.amdhsa_user_sgpr_kernarg_segment_ptr 1
		.amdhsa_user_sgpr_dispatch_id 0
		.amdhsa_user_sgpr_flat_scratch_init 0
		.amdhsa_user_sgpr_private_segment_size 0
		.amdhsa_wavefront_size32 1
		.amdhsa_uses_dynamic_stack 0
		.amdhsa_system_sgpr_private_segment_wavefront_offset 0
		.amdhsa_system_sgpr_workgroup_id_x 1
		.amdhsa_system_sgpr_workgroup_id_y 0
		.amdhsa_system_sgpr_workgroup_id_z 0
		.amdhsa_system_sgpr_workgroup_info 0
		.amdhsa_system_vgpr_workitem_id 0
		.amdhsa_next_free_vgpr 1
		.amdhsa_next_free_sgpr 1
		.amdhsa_reserve_vcc 0
		.amdhsa_reserve_flat_scratch 0
		.amdhsa_float_round_mode_32 0
		.amdhsa_float_round_mode_16_64 0
		.amdhsa_float_denorm_mode_32 3
		.amdhsa_float_denorm_mode_16_64 3
		.amdhsa_dx10_clamp 1
		.amdhsa_ieee_mode 1
		.amdhsa_fp16_overflow 0
		.amdhsa_workgroup_processor_mode 1
		.amdhsa_memory_ordered 1
		.amdhsa_forward_progress 1
		.amdhsa_shared_vgpr_count 0
		.amdhsa_exception_fp_ieee_invalid_op 0
		.amdhsa_exception_fp_denorm_src 0
		.amdhsa_exception_fp_ieee_div_zero 0
		.amdhsa_exception_fp_ieee_overflow 0
		.amdhsa_exception_fp_ieee_underflow 0
		.amdhsa_exception_fp_ieee_inexact 0
		.amdhsa_exception_int_div_zero 0
	.end_amdhsa_kernel
	.section	.text._ZN7rocprim17ROCPRIM_400000_NS6detail17trampoline_kernelINS0_14default_configENS1_38merge_sort_block_merge_config_selectorIiiEEZZNS1_27merge_sort_block_merge_implIS3_N6thrust23THRUST_200600_302600_NS6detail15normal_iteratorINS8_10device_ptrIiEEEESD_jNS1_19radix_merge_compareILb0ELb0EiNS0_19identity_decomposerEEEEE10hipError_tT0_T1_T2_jT3_P12ihipStream_tbPNSt15iterator_traitsISI_E10value_typeEPNSO_ISJ_E10value_typeEPSK_NS1_7vsmem_tEENKUlT_SI_SJ_SK_E_clIPiSD_S10_SD_EESH_SX_SI_SJ_SK_EUlSX_E_NS1_11comp_targetILNS1_3genE2ELNS1_11target_archE906ELNS1_3gpuE6ELNS1_3repE0EEENS1_48merge_mergepath_partition_config_static_selectorELNS0_4arch9wavefront6targetE0EEEvSJ_,"axG",@progbits,_ZN7rocprim17ROCPRIM_400000_NS6detail17trampoline_kernelINS0_14default_configENS1_38merge_sort_block_merge_config_selectorIiiEEZZNS1_27merge_sort_block_merge_implIS3_N6thrust23THRUST_200600_302600_NS6detail15normal_iteratorINS8_10device_ptrIiEEEESD_jNS1_19radix_merge_compareILb0ELb0EiNS0_19identity_decomposerEEEEE10hipError_tT0_T1_T2_jT3_P12ihipStream_tbPNSt15iterator_traitsISI_E10value_typeEPNSO_ISJ_E10value_typeEPSK_NS1_7vsmem_tEENKUlT_SI_SJ_SK_E_clIPiSD_S10_SD_EESH_SX_SI_SJ_SK_EUlSX_E_NS1_11comp_targetILNS1_3genE2ELNS1_11target_archE906ELNS1_3gpuE6ELNS1_3repE0EEENS1_48merge_mergepath_partition_config_static_selectorELNS0_4arch9wavefront6targetE0EEEvSJ_,comdat
.Lfunc_end713:
	.size	_ZN7rocprim17ROCPRIM_400000_NS6detail17trampoline_kernelINS0_14default_configENS1_38merge_sort_block_merge_config_selectorIiiEEZZNS1_27merge_sort_block_merge_implIS3_N6thrust23THRUST_200600_302600_NS6detail15normal_iteratorINS8_10device_ptrIiEEEESD_jNS1_19radix_merge_compareILb0ELb0EiNS0_19identity_decomposerEEEEE10hipError_tT0_T1_T2_jT3_P12ihipStream_tbPNSt15iterator_traitsISI_E10value_typeEPNSO_ISJ_E10value_typeEPSK_NS1_7vsmem_tEENKUlT_SI_SJ_SK_E_clIPiSD_S10_SD_EESH_SX_SI_SJ_SK_EUlSX_E_NS1_11comp_targetILNS1_3genE2ELNS1_11target_archE906ELNS1_3gpuE6ELNS1_3repE0EEENS1_48merge_mergepath_partition_config_static_selectorELNS0_4arch9wavefront6targetE0EEEvSJ_, .Lfunc_end713-_ZN7rocprim17ROCPRIM_400000_NS6detail17trampoline_kernelINS0_14default_configENS1_38merge_sort_block_merge_config_selectorIiiEEZZNS1_27merge_sort_block_merge_implIS3_N6thrust23THRUST_200600_302600_NS6detail15normal_iteratorINS8_10device_ptrIiEEEESD_jNS1_19radix_merge_compareILb0ELb0EiNS0_19identity_decomposerEEEEE10hipError_tT0_T1_T2_jT3_P12ihipStream_tbPNSt15iterator_traitsISI_E10value_typeEPNSO_ISJ_E10value_typeEPSK_NS1_7vsmem_tEENKUlT_SI_SJ_SK_E_clIPiSD_S10_SD_EESH_SX_SI_SJ_SK_EUlSX_E_NS1_11comp_targetILNS1_3genE2ELNS1_11target_archE906ELNS1_3gpuE6ELNS1_3repE0EEENS1_48merge_mergepath_partition_config_static_selectorELNS0_4arch9wavefront6targetE0EEEvSJ_
                                        ; -- End function
	.set _ZN7rocprim17ROCPRIM_400000_NS6detail17trampoline_kernelINS0_14default_configENS1_38merge_sort_block_merge_config_selectorIiiEEZZNS1_27merge_sort_block_merge_implIS3_N6thrust23THRUST_200600_302600_NS6detail15normal_iteratorINS8_10device_ptrIiEEEESD_jNS1_19radix_merge_compareILb0ELb0EiNS0_19identity_decomposerEEEEE10hipError_tT0_T1_T2_jT3_P12ihipStream_tbPNSt15iterator_traitsISI_E10value_typeEPNSO_ISJ_E10value_typeEPSK_NS1_7vsmem_tEENKUlT_SI_SJ_SK_E_clIPiSD_S10_SD_EESH_SX_SI_SJ_SK_EUlSX_E_NS1_11comp_targetILNS1_3genE2ELNS1_11target_archE906ELNS1_3gpuE6ELNS1_3repE0EEENS1_48merge_mergepath_partition_config_static_selectorELNS0_4arch9wavefront6targetE0EEEvSJ_.num_vgpr, 0
	.set _ZN7rocprim17ROCPRIM_400000_NS6detail17trampoline_kernelINS0_14default_configENS1_38merge_sort_block_merge_config_selectorIiiEEZZNS1_27merge_sort_block_merge_implIS3_N6thrust23THRUST_200600_302600_NS6detail15normal_iteratorINS8_10device_ptrIiEEEESD_jNS1_19radix_merge_compareILb0ELb0EiNS0_19identity_decomposerEEEEE10hipError_tT0_T1_T2_jT3_P12ihipStream_tbPNSt15iterator_traitsISI_E10value_typeEPNSO_ISJ_E10value_typeEPSK_NS1_7vsmem_tEENKUlT_SI_SJ_SK_E_clIPiSD_S10_SD_EESH_SX_SI_SJ_SK_EUlSX_E_NS1_11comp_targetILNS1_3genE2ELNS1_11target_archE906ELNS1_3gpuE6ELNS1_3repE0EEENS1_48merge_mergepath_partition_config_static_selectorELNS0_4arch9wavefront6targetE0EEEvSJ_.num_agpr, 0
	.set _ZN7rocprim17ROCPRIM_400000_NS6detail17trampoline_kernelINS0_14default_configENS1_38merge_sort_block_merge_config_selectorIiiEEZZNS1_27merge_sort_block_merge_implIS3_N6thrust23THRUST_200600_302600_NS6detail15normal_iteratorINS8_10device_ptrIiEEEESD_jNS1_19radix_merge_compareILb0ELb0EiNS0_19identity_decomposerEEEEE10hipError_tT0_T1_T2_jT3_P12ihipStream_tbPNSt15iterator_traitsISI_E10value_typeEPNSO_ISJ_E10value_typeEPSK_NS1_7vsmem_tEENKUlT_SI_SJ_SK_E_clIPiSD_S10_SD_EESH_SX_SI_SJ_SK_EUlSX_E_NS1_11comp_targetILNS1_3genE2ELNS1_11target_archE906ELNS1_3gpuE6ELNS1_3repE0EEENS1_48merge_mergepath_partition_config_static_selectorELNS0_4arch9wavefront6targetE0EEEvSJ_.numbered_sgpr, 0
	.set _ZN7rocprim17ROCPRIM_400000_NS6detail17trampoline_kernelINS0_14default_configENS1_38merge_sort_block_merge_config_selectorIiiEEZZNS1_27merge_sort_block_merge_implIS3_N6thrust23THRUST_200600_302600_NS6detail15normal_iteratorINS8_10device_ptrIiEEEESD_jNS1_19radix_merge_compareILb0ELb0EiNS0_19identity_decomposerEEEEE10hipError_tT0_T1_T2_jT3_P12ihipStream_tbPNSt15iterator_traitsISI_E10value_typeEPNSO_ISJ_E10value_typeEPSK_NS1_7vsmem_tEENKUlT_SI_SJ_SK_E_clIPiSD_S10_SD_EESH_SX_SI_SJ_SK_EUlSX_E_NS1_11comp_targetILNS1_3genE2ELNS1_11target_archE906ELNS1_3gpuE6ELNS1_3repE0EEENS1_48merge_mergepath_partition_config_static_selectorELNS0_4arch9wavefront6targetE0EEEvSJ_.num_named_barrier, 0
	.set _ZN7rocprim17ROCPRIM_400000_NS6detail17trampoline_kernelINS0_14default_configENS1_38merge_sort_block_merge_config_selectorIiiEEZZNS1_27merge_sort_block_merge_implIS3_N6thrust23THRUST_200600_302600_NS6detail15normal_iteratorINS8_10device_ptrIiEEEESD_jNS1_19radix_merge_compareILb0ELb0EiNS0_19identity_decomposerEEEEE10hipError_tT0_T1_T2_jT3_P12ihipStream_tbPNSt15iterator_traitsISI_E10value_typeEPNSO_ISJ_E10value_typeEPSK_NS1_7vsmem_tEENKUlT_SI_SJ_SK_E_clIPiSD_S10_SD_EESH_SX_SI_SJ_SK_EUlSX_E_NS1_11comp_targetILNS1_3genE2ELNS1_11target_archE906ELNS1_3gpuE6ELNS1_3repE0EEENS1_48merge_mergepath_partition_config_static_selectorELNS0_4arch9wavefront6targetE0EEEvSJ_.private_seg_size, 0
	.set _ZN7rocprim17ROCPRIM_400000_NS6detail17trampoline_kernelINS0_14default_configENS1_38merge_sort_block_merge_config_selectorIiiEEZZNS1_27merge_sort_block_merge_implIS3_N6thrust23THRUST_200600_302600_NS6detail15normal_iteratorINS8_10device_ptrIiEEEESD_jNS1_19radix_merge_compareILb0ELb0EiNS0_19identity_decomposerEEEEE10hipError_tT0_T1_T2_jT3_P12ihipStream_tbPNSt15iterator_traitsISI_E10value_typeEPNSO_ISJ_E10value_typeEPSK_NS1_7vsmem_tEENKUlT_SI_SJ_SK_E_clIPiSD_S10_SD_EESH_SX_SI_SJ_SK_EUlSX_E_NS1_11comp_targetILNS1_3genE2ELNS1_11target_archE906ELNS1_3gpuE6ELNS1_3repE0EEENS1_48merge_mergepath_partition_config_static_selectorELNS0_4arch9wavefront6targetE0EEEvSJ_.uses_vcc, 0
	.set _ZN7rocprim17ROCPRIM_400000_NS6detail17trampoline_kernelINS0_14default_configENS1_38merge_sort_block_merge_config_selectorIiiEEZZNS1_27merge_sort_block_merge_implIS3_N6thrust23THRUST_200600_302600_NS6detail15normal_iteratorINS8_10device_ptrIiEEEESD_jNS1_19radix_merge_compareILb0ELb0EiNS0_19identity_decomposerEEEEE10hipError_tT0_T1_T2_jT3_P12ihipStream_tbPNSt15iterator_traitsISI_E10value_typeEPNSO_ISJ_E10value_typeEPSK_NS1_7vsmem_tEENKUlT_SI_SJ_SK_E_clIPiSD_S10_SD_EESH_SX_SI_SJ_SK_EUlSX_E_NS1_11comp_targetILNS1_3genE2ELNS1_11target_archE906ELNS1_3gpuE6ELNS1_3repE0EEENS1_48merge_mergepath_partition_config_static_selectorELNS0_4arch9wavefront6targetE0EEEvSJ_.uses_flat_scratch, 0
	.set _ZN7rocprim17ROCPRIM_400000_NS6detail17trampoline_kernelINS0_14default_configENS1_38merge_sort_block_merge_config_selectorIiiEEZZNS1_27merge_sort_block_merge_implIS3_N6thrust23THRUST_200600_302600_NS6detail15normal_iteratorINS8_10device_ptrIiEEEESD_jNS1_19radix_merge_compareILb0ELb0EiNS0_19identity_decomposerEEEEE10hipError_tT0_T1_T2_jT3_P12ihipStream_tbPNSt15iterator_traitsISI_E10value_typeEPNSO_ISJ_E10value_typeEPSK_NS1_7vsmem_tEENKUlT_SI_SJ_SK_E_clIPiSD_S10_SD_EESH_SX_SI_SJ_SK_EUlSX_E_NS1_11comp_targetILNS1_3genE2ELNS1_11target_archE906ELNS1_3gpuE6ELNS1_3repE0EEENS1_48merge_mergepath_partition_config_static_selectorELNS0_4arch9wavefront6targetE0EEEvSJ_.has_dyn_sized_stack, 0
	.set _ZN7rocprim17ROCPRIM_400000_NS6detail17trampoline_kernelINS0_14default_configENS1_38merge_sort_block_merge_config_selectorIiiEEZZNS1_27merge_sort_block_merge_implIS3_N6thrust23THRUST_200600_302600_NS6detail15normal_iteratorINS8_10device_ptrIiEEEESD_jNS1_19radix_merge_compareILb0ELb0EiNS0_19identity_decomposerEEEEE10hipError_tT0_T1_T2_jT3_P12ihipStream_tbPNSt15iterator_traitsISI_E10value_typeEPNSO_ISJ_E10value_typeEPSK_NS1_7vsmem_tEENKUlT_SI_SJ_SK_E_clIPiSD_S10_SD_EESH_SX_SI_SJ_SK_EUlSX_E_NS1_11comp_targetILNS1_3genE2ELNS1_11target_archE906ELNS1_3gpuE6ELNS1_3repE0EEENS1_48merge_mergepath_partition_config_static_selectorELNS0_4arch9wavefront6targetE0EEEvSJ_.has_recursion, 0
	.set _ZN7rocprim17ROCPRIM_400000_NS6detail17trampoline_kernelINS0_14default_configENS1_38merge_sort_block_merge_config_selectorIiiEEZZNS1_27merge_sort_block_merge_implIS3_N6thrust23THRUST_200600_302600_NS6detail15normal_iteratorINS8_10device_ptrIiEEEESD_jNS1_19radix_merge_compareILb0ELb0EiNS0_19identity_decomposerEEEEE10hipError_tT0_T1_T2_jT3_P12ihipStream_tbPNSt15iterator_traitsISI_E10value_typeEPNSO_ISJ_E10value_typeEPSK_NS1_7vsmem_tEENKUlT_SI_SJ_SK_E_clIPiSD_S10_SD_EESH_SX_SI_SJ_SK_EUlSX_E_NS1_11comp_targetILNS1_3genE2ELNS1_11target_archE906ELNS1_3gpuE6ELNS1_3repE0EEENS1_48merge_mergepath_partition_config_static_selectorELNS0_4arch9wavefront6targetE0EEEvSJ_.has_indirect_call, 0
	.section	.AMDGPU.csdata,"",@progbits
; Kernel info:
; codeLenInByte = 0
; TotalNumSgprs: 0
; NumVgprs: 0
; ScratchSize: 0
; MemoryBound: 0
; FloatMode: 240
; IeeeMode: 1
; LDSByteSize: 0 bytes/workgroup (compile time only)
; SGPRBlocks: 0
; VGPRBlocks: 0
; NumSGPRsForWavesPerEU: 1
; NumVGPRsForWavesPerEU: 1
; Occupancy: 16
; WaveLimiterHint : 0
; COMPUTE_PGM_RSRC2:SCRATCH_EN: 0
; COMPUTE_PGM_RSRC2:USER_SGPR: 6
; COMPUTE_PGM_RSRC2:TRAP_HANDLER: 0
; COMPUTE_PGM_RSRC2:TGID_X_EN: 1
; COMPUTE_PGM_RSRC2:TGID_Y_EN: 0
; COMPUTE_PGM_RSRC2:TGID_Z_EN: 0
; COMPUTE_PGM_RSRC2:TIDIG_COMP_CNT: 0
	.section	.text._ZN7rocprim17ROCPRIM_400000_NS6detail17trampoline_kernelINS0_14default_configENS1_38merge_sort_block_merge_config_selectorIiiEEZZNS1_27merge_sort_block_merge_implIS3_N6thrust23THRUST_200600_302600_NS6detail15normal_iteratorINS8_10device_ptrIiEEEESD_jNS1_19radix_merge_compareILb0ELb0EiNS0_19identity_decomposerEEEEE10hipError_tT0_T1_T2_jT3_P12ihipStream_tbPNSt15iterator_traitsISI_E10value_typeEPNSO_ISJ_E10value_typeEPSK_NS1_7vsmem_tEENKUlT_SI_SJ_SK_E_clIPiSD_S10_SD_EESH_SX_SI_SJ_SK_EUlSX_E_NS1_11comp_targetILNS1_3genE9ELNS1_11target_archE1100ELNS1_3gpuE3ELNS1_3repE0EEENS1_48merge_mergepath_partition_config_static_selectorELNS0_4arch9wavefront6targetE0EEEvSJ_,"axG",@progbits,_ZN7rocprim17ROCPRIM_400000_NS6detail17trampoline_kernelINS0_14default_configENS1_38merge_sort_block_merge_config_selectorIiiEEZZNS1_27merge_sort_block_merge_implIS3_N6thrust23THRUST_200600_302600_NS6detail15normal_iteratorINS8_10device_ptrIiEEEESD_jNS1_19radix_merge_compareILb0ELb0EiNS0_19identity_decomposerEEEEE10hipError_tT0_T1_T2_jT3_P12ihipStream_tbPNSt15iterator_traitsISI_E10value_typeEPNSO_ISJ_E10value_typeEPSK_NS1_7vsmem_tEENKUlT_SI_SJ_SK_E_clIPiSD_S10_SD_EESH_SX_SI_SJ_SK_EUlSX_E_NS1_11comp_targetILNS1_3genE9ELNS1_11target_archE1100ELNS1_3gpuE3ELNS1_3repE0EEENS1_48merge_mergepath_partition_config_static_selectorELNS0_4arch9wavefront6targetE0EEEvSJ_,comdat
	.protected	_ZN7rocprim17ROCPRIM_400000_NS6detail17trampoline_kernelINS0_14default_configENS1_38merge_sort_block_merge_config_selectorIiiEEZZNS1_27merge_sort_block_merge_implIS3_N6thrust23THRUST_200600_302600_NS6detail15normal_iteratorINS8_10device_ptrIiEEEESD_jNS1_19radix_merge_compareILb0ELb0EiNS0_19identity_decomposerEEEEE10hipError_tT0_T1_T2_jT3_P12ihipStream_tbPNSt15iterator_traitsISI_E10value_typeEPNSO_ISJ_E10value_typeEPSK_NS1_7vsmem_tEENKUlT_SI_SJ_SK_E_clIPiSD_S10_SD_EESH_SX_SI_SJ_SK_EUlSX_E_NS1_11comp_targetILNS1_3genE9ELNS1_11target_archE1100ELNS1_3gpuE3ELNS1_3repE0EEENS1_48merge_mergepath_partition_config_static_selectorELNS0_4arch9wavefront6targetE0EEEvSJ_ ; -- Begin function _ZN7rocprim17ROCPRIM_400000_NS6detail17trampoline_kernelINS0_14default_configENS1_38merge_sort_block_merge_config_selectorIiiEEZZNS1_27merge_sort_block_merge_implIS3_N6thrust23THRUST_200600_302600_NS6detail15normal_iteratorINS8_10device_ptrIiEEEESD_jNS1_19radix_merge_compareILb0ELb0EiNS0_19identity_decomposerEEEEE10hipError_tT0_T1_T2_jT3_P12ihipStream_tbPNSt15iterator_traitsISI_E10value_typeEPNSO_ISJ_E10value_typeEPSK_NS1_7vsmem_tEENKUlT_SI_SJ_SK_E_clIPiSD_S10_SD_EESH_SX_SI_SJ_SK_EUlSX_E_NS1_11comp_targetILNS1_3genE9ELNS1_11target_archE1100ELNS1_3gpuE3ELNS1_3repE0EEENS1_48merge_mergepath_partition_config_static_selectorELNS0_4arch9wavefront6targetE0EEEvSJ_
	.globl	_ZN7rocprim17ROCPRIM_400000_NS6detail17trampoline_kernelINS0_14default_configENS1_38merge_sort_block_merge_config_selectorIiiEEZZNS1_27merge_sort_block_merge_implIS3_N6thrust23THRUST_200600_302600_NS6detail15normal_iteratorINS8_10device_ptrIiEEEESD_jNS1_19radix_merge_compareILb0ELb0EiNS0_19identity_decomposerEEEEE10hipError_tT0_T1_T2_jT3_P12ihipStream_tbPNSt15iterator_traitsISI_E10value_typeEPNSO_ISJ_E10value_typeEPSK_NS1_7vsmem_tEENKUlT_SI_SJ_SK_E_clIPiSD_S10_SD_EESH_SX_SI_SJ_SK_EUlSX_E_NS1_11comp_targetILNS1_3genE9ELNS1_11target_archE1100ELNS1_3gpuE3ELNS1_3repE0EEENS1_48merge_mergepath_partition_config_static_selectorELNS0_4arch9wavefront6targetE0EEEvSJ_
	.p2align	8
	.type	_ZN7rocprim17ROCPRIM_400000_NS6detail17trampoline_kernelINS0_14default_configENS1_38merge_sort_block_merge_config_selectorIiiEEZZNS1_27merge_sort_block_merge_implIS3_N6thrust23THRUST_200600_302600_NS6detail15normal_iteratorINS8_10device_ptrIiEEEESD_jNS1_19radix_merge_compareILb0ELb0EiNS0_19identity_decomposerEEEEE10hipError_tT0_T1_T2_jT3_P12ihipStream_tbPNSt15iterator_traitsISI_E10value_typeEPNSO_ISJ_E10value_typeEPSK_NS1_7vsmem_tEENKUlT_SI_SJ_SK_E_clIPiSD_S10_SD_EESH_SX_SI_SJ_SK_EUlSX_E_NS1_11comp_targetILNS1_3genE9ELNS1_11target_archE1100ELNS1_3gpuE3ELNS1_3repE0EEENS1_48merge_mergepath_partition_config_static_selectorELNS0_4arch9wavefront6targetE0EEEvSJ_,@function
_ZN7rocprim17ROCPRIM_400000_NS6detail17trampoline_kernelINS0_14default_configENS1_38merge_sort_block_merge_config_selectorIiiEEZZNS1_27merge_sort_block_merge_implIS3_N6thrust23THRUST_200600_302600_NS6detail15normal_iteratorINS8_10device_ptrIiEEEESD_jNS1_19radix_merge_compareILb0ELb0EiNS0_19identity_decomposerEEEEE10hipError_tT0_T1_T2_jT3_P12ihipStream_tbPNSt15iterator_traitsISI_E10value_typeEPNSO_ISJ_E10value_typeEPSK_NS1_7vsmem_tEENKUlT_SI_SJ_SK_E_clIPiSD_S10_SD_EESH_SX_SI_SJ_SK_EUlSX_E_NS1_11comp_targetILNS1_3genE9ELNS1_11target_archE1100ELNS1_3gpuE3ELNS1_3repE0EEENS1_48merge_mergepath_partition_config_static_selectorELNS0_4arch9wavefront6targetE0EEEvSJ_: ; @_ZN7rocprim17ROCPRIM_400000_NS6detail17trampoline_kernelINS0_14default_configENS1_38merge_sort_block_merge_config_selectorIiiEEZZNS1_27merge_sort_block_merge_implIS3_N6thrust23THRUST_200600_302600_NS6detail15normal_iteratorINS8_10device_ptrIiEEEESD_jNS1_19radix_merge_compareILb0ELb0EiNS0_19identity_decomposerEEEEE10hipError_tT0_T1_T2_jT3_P12ihipStream_tbPNSt15iterator_traitsISI_E10value_typeEPNSO_ISJ_E10value_typeEPSK_NS1_7vsmem_tEENKUlT_SI_SJ_SK_E_clIPiSD_S10_SD_EESH_SX_SI_SJ_SK_EUlSX_E_NS1_11comp_targetILNS1_3genE9ELNS1_11target_archE1100ELNS1_3gpuE3ELNS1_3repE0EEENS1_48merge_mergepath_partition_config_static_selectorELNS0_4arch9wavefront6targetE0EEEvSJ_
; %bb.0:
	.section	.rodata,"a",@progbits
	.p2align	6, 0x0
	.amdhsa_kernel _ZN7rocprim17ROCPRIM_400000_NS6detail17trampoline_kernelINS0_14default_configENS1_38merge_sort_block_merge_config_selectorIiiEEZZNS1_27merge_sort_block_merge_implIS3_N6thrust23THRUST_200600_302600_NS6detail15normal_iteratorINS8_10device_ptrIiEEEESD_jNS1_19radix_merge_compareILb0ELb0EiNS0_19identity_decomposerEEEEE10hipError_tT0_T1_T2_jT3_P12ihipStream_tbPNSt15iterator_traitsISI_E10value_typeEPNSO_ISJ_E10value_typeEPSK_NS1_7vsmem_tEENKUlT_SI_SJ_SK_E_clIPiSD_S10_SD_EESH_SX_SI_SJ_SK_EUlSX_E_NS1_11comp_targetILNS1_3genE9ELNS1_11target_archE1100ELNS1_3gpuE3ELNS1_3repE0EEENS1_48merge_mergepath_partition_config_static_selectorELNS0_4arch9wavefront6targetE0EEEvSJ_
		.amdhsa_group_segment_fixed_size 0
		.amdhsa_private_segment_fixed_size 0
		.amdhsa_kernarg_size 40
		.amdhsa_user_sgpr_count 6
		.amdhsa_user_sgpr_private_segment_buffer 1
		.amdhsa_user_sgpr_dispatch_ptr 0
		.amdhsa_user_sgpr_queue_ptr 0
		.amdhsa_user_sgpr_kernarg_segment_ptr 1
		.amdhsa_user_sgpr_dispatch_id 0
		.amdhsa_user_sgpr_flat_scratch_init 0
		.amdhsa_user_sgpr_private_segment_size 0
		.amdhsa_wavefront_size32 1
		.amdhsa_uses_dynamic_stack 0
		.amdhsa_system_sgpr_private_segment_wavefront_offset 0
		.amdhsa_system_sgpr_workgroup_id_x 1
		.amdhsa_system_sgpr_workgroup_id_y 0
		.amdhsa_system_sgpr_workgroup_id_z 0
		.amdhsa_system_sgpr_workgroup_info 0
		.amdhsa_system_vgpr_workitem_id 0
		.amdhsa_next_free_vgpr 1
		.amdhsa_next_free_sgpr 1
		.amdhsa_reserve_vcc 0
		.amdhsa_reserve_flat_scratch 0
		.amdhsa_float_round_mode_32 0
		.amdhsa_float_round_mode_16_64 0
		.amdhsa_float_denorm_mode_32 3
		.amdhsa_float_denorm_mode_16_64 3
		.amdhsa_dx10_clamp 1
		.amdhsa_ieee_mode 1
		.amdhsa_fp16_overflow 0
		.amdhsa_workgroup_processor_mode 1
		.amdhsa_memory_ordered 1
		.amdhsa_forward_progress 1
		.amdhsa_shared_vgpr_count 0
		.amdhsa_exception_fp_ieee_invalid_op 0
		.amdhsa_exception_fp_denorm_src 0
		.amdhsa_exception_fp_ieee_div_zero 0
		.amdhsa_exception_fp_ieee_overflow 0
		.amdhsa_exception_fp_ieee_underflow 0
		.amdhsa_exception_fp_ieee_inexact 0
		.amdhsa_exception_int_div_zero 0
	.end_amdhsa_kernel
	.section	.text._ZN7rocprim17ROCPRIM_400000_NS6detail17trampoline_kernelINS0_14default_configENS1_38merge_sort_block_merge_config_selectorIiiEEZZNS1_27merge_sort_block_merge_implIS3_N6thrust23THRUST_200600_302600_NS6detail15normal_iteratorINS8_10device_ptrIiEEEESD_jNS1_19radix_merge_compareILb0ELb0EiNS0_19identity_decomposerEEEEE10hipError_tT0_T1_T2_jT3_P12ihipStream_tbPNSt15iterator_traitsISI_E10value_typeEPNSO_ISJ_E10value_typeEPSK_NS1_7vsmem_tEENKUlT_SI_SJ_SK_E_clIPiSD_S10_SD_EESH_SX_SI_SJ_SK_EUlSX_E_NS1_11comp_targetILNS1_3genE9ELNS1_11target_archE1100ELNS1_3gpuE3ELNS1_3repE0EEENS1_48merge_mergepath_partition_config_static_selectorELNS0_4arch9wavefront6targetE0EEEvSJ_,"axG",@progbits,_ZN7rocprim17ROCPRIM_400000_NS6detail17trampoline_kernelINS0_14default_configENS1_38merge_sort_block_merge_config_selectorIiiEEZZNS1_27merge_sort_block_merge_implIS3_N6thrust23THRUST_200600_302600_NS6detail15normal_iteratorINS8_10device_ptrIiEEEESD_jNS1_19radix_merge_compareILb0ELb0EiNS0_19identity_decomposerEEEEE10hipError_tT0_T1_T2_jT3_P12ihipStream_tbPNSt15iterator_traitsISI_E10value_typeEPNSO_ISJ_E10value_typeEPSK_NS1_7vsmem_tEENKUlT_SI_SJ_SK_E_clIPiSD_S10_SD_EESH_SX_SI_SJ_SK_EUlSX_E_NS1_11comp_targetILNS1_3genE9ELNS1_11target_archE1100ELNS1_3gpuE3ELNS1_3repE0EEENS1_48merge_mergepath_partition_config_static_selectorELNS0_4arch9wavefront6targetE0EEEvSJ_,comdat
.Lfunc_end714:
	.size	_ZN7rocprim17ROCPRIM_400000_NS6detail17trampoline_kernelINS0_14default_configENS1_38merge_sort_block_merge_config_selectorIiiEEZZNS1_27merge_sort_block_merge_implIS3_N6thrust23THRUST_200600_302600_NS6detail15normal_iteratorINS8_10device_ptrIiEEEESD_jNS1_19radix_merge_compareILb0ELb0EiNS0_19identity_decomposerEEEEE10hipError_tT0_T1_T2_jT3_P12ihipStream_tbPNSt15iterator_traitsISI_E10value_typeEPNSO_ISJ_E10value_typeEPSK_NS1_7vsmem_tEENKUlT_SI_SJ_SK_E_clIPiSD_S10_SD_EESH_SX_SI_SJ_SK_EUlSX_E_NS1_11comp_targetILNS1_3genE9ELNS1_11target_archE1100ELNS1_3gpuE3ELNS1_3repE0EEENS1_48merge_mergepath_partition_config_static_selectorELNS0_4arch9wavefront6targetE0EEEvSJ_, .Lfunc_end714-_ZN7rocprim17ROCPRIM_400000_NS6detail17trampoline_kernelINS0_14default_configENS1_38merge_sort_block_merge_config_selectorIiiEEZZNS1_27merge_sort_block_merge_implIS3_N6thrust23THRUST_200600_302600_NS6detail15normal_iteratorINS8_10device_ptrIiEEEESD_jNS1_19radix_merge_compareILb0ELb0EiNS0_19identity_decomposerEEEEE10hipError_tT0_T1_T2_jT3_P12ihipStream_tbPNSt15iterator_traitsISI_E10value_typeEPNSO_ISJ_E10value_typeEPSK_NS1_7vsmem_tEENKUlT_SI_SJ_SK_E_clIPiSD_S10_SD_EESH_SX_SI_SJ_SK_EUlSX_E_NS1_11comp_targetILNS1_3genE9ELNS1_11target_archE1100ELNS1_3gpuE3ELNS1_3repE0EEENS1_48merge_mergepath_partition_config_static_selectorELNS0_4arch9wavefront6targetE0EEEvSJ_
                                        ; -- End function
	.set _ZN7rocprim17ROCPRIM_400000_NS6detail17trampoline_kernelINS0_14default_configENS1_38merge_sort_block_merge_config_selectorIiiEEZZNS1_27merge_sort_block_merge_implIS3_N6thrust23THRUST_200600_302600_NS6detail15normal_iteratorINS8_10device_ptrIiEEEESD_jNS1_19radix_merge_compareILb0ELb0EiNS0_19identity_decomposerEEEEE10hipError_tT0_T1_T2_jT3_P12ihipStream_tbPNSt15iterator_traitsISI_E10value_typeEPNSO_ISJ_E10value_typeEPSK_NS1_7vsmem_tEENKUlT_SI_SJ_SK_E_clIPiSD_S10_SD_EESH_SX_SI_SJ_SK_EUlSX_E_NS1_11comp_targetILNS1_3genE9ELNS1_11target_archE1100ELNS1_3gpuE3ELNS1_3repE0EEENS1_48merge_mergepath_partition_config_static_selectorELNS0_4arch9wavefront6targetE0EEEvSJ_.num_vgpr, 0
	.set _ZN7rocprim17ROCPRIM_400000_NS6detail17trampoline_kernelINS0_14default_configENS1_38merge_sort_block_merge_config_selectorIiiEEZZNS1_27merge_sort_block_merge_implIS3_N6thrust23THRUST_200600_302600_NS6detail15normal_iteratorINS8_10device_ptrIiEEEESD_jNS1_19radix_merge_compareILb0ELb0EiNS0_19identity_decomposerEEEEE10hipError_tT0_T1_T2_jT3_P12ihipStream_tbPNSt15iterator_traitsISI_E10value_typeEPNSO_ISJ_E10value_typeEPSK_NS1_7vsmem_tEENKUlT_SI_SJ_SK_E_clIPiSD_S10_SD_EESH_SX_SI_SJ_SK_EUlSX_E_NS1_11comp_targetILNS1_3genE9ELNS1_11target_archE1100ELNS1_3gpuE3ELNS1_3repE0EEENS1_48merge_mergepath_partition_config_static_selectorELNS0_4arch9wavefront6targetE0EEEvSJ_.num_agpr, 0
	.set _ZN7rocprim17ROCPRIM_400000_NS6detail17trampoline_kernelINS0_14default_configENS1_38merge_sort_block_merge_config_selectorIiiEEZZNS1_27merge_sort_block_merge_implIS3_N6thrust23THRUST_200600_302600_NS6detail15normal_iteratorINS8_10device_ptrIiEEEESD_jNS1_19radix_merge_compareILb0ELb0EiNS0_19identity_decomposerEEEEE10hipError_tT0_T1_T2_jT3_P12ihipStream_tbPNSt15iterator_traitsISI_E10value_typeEPNSO_ISJ_E10value_typeEPSK_NS1_7vsmem_tEENKUlT_SI_SJ_SK_E_clIPiSD_S10_SD_EESH_SX_SI_SJ_SK_EUlSX_E_NS1_11comp_targetILNS1_3genE9ELNS1_11target_archE1100ELNS1_3gpuE3ELNS1_3repE0EEENS1_48merge_mergepath_partition_config_static_selectorELNS0_4arch9wavefront6targetE0EEEvSJ_.numbered_sgpr, 0
	.set _ZN7rocprim17ROCPRIM_400000_NS6detail17trampoline_kernelINS0_14default_configENS1_38merge_sort_block_merge_config_selectorIiiEEZZNS1_27merge_sort_block_merge_implIS3_N6thrust23THRUST_200600_302600_NS6detail15normal_iteratorINS8_10device_ptrIiEEEESD_jNS1_19radix_merge_compareILb0ELb0EiNS0_19identity_decomposerEEEEE10hipError_tT0_T1_T2_jT3_P12ihipStream_tbPNSt15iterator_traitsISI_E10value_typeEPNSO_ISJ_E10value_typeEPSK_NS1_7vsmem_tEENKUlT_SI_SJ_SK_E_clIPiSD_S10_SD_EESH_SX_SI_SJ_SK_EUlSX_E_NS1_11comp_targetILNS1_3genE9ELNS1_11target_archE1100ELNS1_3gpuE3ELNS1_3repE0EEENS1_48merge_mergepath_partition_config_static_selectorELNS0_4arch9wavefront6targetE0EEEvSJ_.num_named_barrier, 0
	.set _ZN7rocprim17ROCPRIM_400000_NS6detail17trampoline_kernelINS0_14default_configENS1_38merge_sort_block_merge_config_selectorIiiEEZZNS1_27merge_sort_block_merge_implIS3_N6thrust23THRUST_200600_302600_NS6detail15normal_iteratorINS8_10device_ptrIiEEEESD_jNS1_19radix_merge_compareILb0ELb0EiNS0_19identity_decomposerEEEEE10hipError_tT0_T1_T2_jT3_P12ihipStream_tbPNSt15iterator_traitsISI_E10value_typeEPNSO_ISJ_E10value_typeEPSK_NS1_7vsmem_tEENKUlT_SI_SJ_SK_E_clIPiSD_S10_SD_EESH_SX_SI_SJ_SK_EUlSX_E_NS1_11comp_targetILNS1_3genE9ELNS1_11target_archE1100ELNS1_3gpuE3ELNS1_3repE0EEENS1_48merge_mergepath_partition_config_static_selectorELNS0_4arch9wavefront6targetE0EEEvSJ_.private_seg_size, 0
	.set _ZN7rocprim17ROCPRIM_400000_NS6detail17trampoline_kernelINS0_14default_configENS1_38merge_sort_block_merge_config_selectorIiiEEZZNS1_27merge_sort_block_merge_implIS3_N6thrust23THRUST_200600_302600_NS6detail15normal_iteratorINS8_10device_ptrIiEEEESD_jNS1_19radix_merge_compareILb0ELb0EiNS0_19identity_decomposerEEEEE10hipError_tT0_T1_T2_jT3_P12ihipStream_tbPNSt15iterator_traitsISI_E10value_typeEPNSO_ISJ_E10value_typeEPSK_NS1_7vsmem_tEENKUlT_SI_SJ_SK_E_clIPiSD_S10_SD_EESH_SX_SI_SJ_SK_EUlSX_E_NS1_11comp_targetILNS1_3genE9ELNS1_11target_archE1100ELNS1_3gpuE3ELNS1_3repE0EEENS1_48merge_mergepath_partition_config_static_selectorELNS0_4arch9wavefront6targetE0EEEvSJ_.uses_vcc, 0
	.set _ZN7rocprim17ROCPRIM_400000_NS6detail17trampoline_kernelINS0_14default_configENS1_38merge_sort_block_merge_config_selectorIiiEEZZNS1_27merge_sort_block_merge_implIS3_N6thrust23THRUST_200600_302600_NS6detail15normal_iteratorINS8_10device_ptrIiEEEESD_jNS1_19radix_merge_compareILb0ELb0EiNS0_19identity_decomposerEEEEE10hipError_tT0_T1_T2_jT3_P12ihipStream_tbPNSt15iterator_traitsISI_E10value_typeEPNSO_ISJ_E10value_typeEPSK_NS1_7vsmem_tEENKUlT_SI_SJ_SK_E_clIPiSD_S10_SD_EESH_SX_SI_SJ_SK_EUlSX_E_NS1_11comp_targetILNS1_3genE9ELNS1_11target_archE1100ELNS1_3gpuE3ELNS1_3repE0EEENS1_48merge_mergepath_partition_config_static_selectorELNS0_4arch9wavefront6targetE0EEEvSJ_.uses_flat_scratch, 0
	.set _ZN7rocprim17ROCPRIM_400000_NS6detail17trampoline_kernelINS0_14default_configENS1_38merge_sort_block_merge_config_selectorIiiEEZZNS1_27merge_sort_block_merge_implIS3_N6thrust23THRUST_200600_302600_NS6detail15normal_iteratorINS8_10device_ptrIiEEEESD_jNS1_19radix_merge_compareILb0ELb0EiNS0_19identity_decomposerEEEEE10hipError_tT0_T1_T2_jT3_P12ihipStream_tbPNSt15iterator_traitsISI_E10value_typeEPNSO_ISJ_E10value_typeEPSK_NS1_7vsmem_tEENKUlT_SI_SJ_SK_E_clIPiSD_S10_SD_EESH_SX_SI_SJ_SK_EUlSX_E_NS1_11comp_targetILNS1_3genE9ELNS1_11target_archE1100ELNS1_3gpuE3ELNS1_3repE0EEENS1_48merge_mergepath_partition_config_static_selectorELNS0_4arch9wavefront6targetE0EEEvSJ_.has_dyn_sized_stack, 0
	.set _ZN7rocprim17ROCPRIM_400000_NS6detail17trampoline_kernelINS0_14default_configENS1_38merge_sort_block_merge_config_selectorIiiEEZZNS1_27merge_sort_block_merge_implIS3_N6thrust23THRUST_200600_302600_NS6detail15normal_iteratorINS8_10device_ptrIiEEEESD_jNS1_19radix_merge_compareILb0ELb0EiNS0_19identity_decomposerEEEEE10hipError_tT0_T1_T2_jT3_P12ihipStream_tbPNSt15iterator_traitsISI_E10value_typeEPNSO_ISJ_E10value_typeEPSK_NS1_7vsmem_tEENKUlT_SI_SJ_SK_E_clIPiSD_S10_SD_EESH_SX_SI_SJ_SK_EUlSX_E_NS1_11comp_targetILNS1_3genE9ELNS1_11target_archE1100ELNS1_3gpuE3ELNS1_3repE0EEENS1_48merge_mergepath_partition_config_static_selectorELNS0_4arch9wavefront6targetE0EEEvSJ_.has_recursion, 0
	.set _ZN7rocprim17ROCPRIM_400000_NS6detail17trampoline_kernelINS0_14default_configENS1_38merge_sort_block_merge_config_selectorIiiEEZZNS1_27merge_sort_block_merge_implIS3_N6thrust23THRUST_200600_302600_NS6detail15normal_iteratorINS8_10device_ptrIiEEEESD_jNS1_19radix_merge_compareILb0ELb0EiNS0_19identity_decomposerEEEEE10hipError_tT0_T1_T2_jT3_P12ihipStream_tbPNSt15iterator_traitsISI_E10value_typeEPNSO_ISJ_E10value_typeEPSK_NS1_7vsmem_tEENKUlT_SI_SJ_SK_E_clIPiSD_S10_SD_EESH_SX_SI_SJ_SK_EUlSX_E_NS1_11comp_targetILNS1_3genE9ELNS1_11target_archE1100ELNS1_3gpuE3ELNS1_3repE0EEENS1_48merge_mergepath_partition_config_static_selectorELNS0_4arch9wavefront6targetE0EEEvSJ_.has_indirect_call, 0
	.section	.AMDGPU.csdata,"",@progbits
; Kernel info:
; codeLenInByte = 0
; TotalNumSgprs: 0
; NumVgprs: 0
; ScratchSize: 0
; MemoryBound: 0
; FloatMode: 240
; IeeeMode: 1
; LDSByteSize: 0 bytes/workgroup (compile time only)
; SGPRBlocks: 0
; VGPRBlocks: 0
; NumSGPRsForWavesPerEU: 1
; NumVGPRsForWavesPerEU: 1
; Occupancy: 16
; WaveLimiterHint : 0
; COMPUTE_PGM_RSRC2:SCRATCH_EN: 0
; COMPUTE_PGM_RSRC2:USER_SGPR: 6
; COMPUTE_PGM_RSRC2:TRAP_HANDLER: 0
; COMPUTE_PGM_RSRC2:TGID_X_EN: 1
; COMPUTE_PGM_RSRC2:TGID_Y_EN: 0
; COMPUTE_PGM_RSRC2:TGID_Z_EN: 0
; COMPUTE_PGM_RSRC2:TIDIG_COMP_CNT: 0
	.section	.text._ZN7rocprim17ROCPRIM_400000_NS6detail17trampoline_kernelINS0_14default_configENS1_38merge_sort_block_merge_config_selectorIiiEEZZNS1_27merge_sort_block_merge_implIS3_N6thrust23THRUST_200600_302600_NS6detail15normal_iteratorINS8_10device_ptrIiEEEESD_jNS1_19radix_merge_compareILb0ELb0EiNS0_19identity_decomposerEEEEE10hipError_tT0_T1_T2_jT3_P12ihipStream_tbPNSt15iterator_traitsISI_E10value_typeEPNSO_ISJ_E10value_typeEPSK_NS1_7vsmem_tEENKUlT_SI_SJ_SK_E_clIPiSD_S10_SD_EESH_SX_SI_SJ_SK_EUlSX_E_NS1_11comp_targetILNS1_3genE8ELNS1_11target_archE1030ELNS1_3gpuE2ELNS1_3repE0EEENS1_48merge_mergepath_partition_config_static_selectorELNS0_4arch9wavefront6targetE0EEEvSJ_,"axG",@progbits,_ZN7rocprim17ROCPRIM_400000_NS6detail17trampoline_kernelINS0_14default_configENS1_38merge_sort_block_merge_config_selectorIiiEEZZNS1_27merge_sort_block_merge_implIS3_N6thrust23THRUST_200600_302600_NS6detail15normal_iteratorINS8_10device_ptrIiEEEESD_jNS1_19radix_merge_compareILb0ELb0EiNS0_19identity_decomposerEEEEE10hipError_tT0_T1_T2_jT3_P12ihipStream_tbPNSt15iterator_traitsISI_E10value_typeEPNSO_ISJ_E10value_typeEPSK_NS1_7vsmem_tEENKUlT_SI_SJ_SK_E_clIPiSD_S10_SD_EESH_SX_SI_SJ_SK_EUlSX_E_NS1_11comp_targetILNS1_3genE8ELNS1_11target_archE1030ELNS1_3gpuE2ELNS1_3repE0EEENS1_48merge_mergepath_partition_config_static_selectorELNS0_4arch9wavefront6targetE0EEEvSJ_,comdat
	.protected	_ZN7rocprim17ROCPRIM_400000_NS6detail17trampoline_kernelINS0_14default_configENS1_38merge_sort_block_merge_config_selectorIiiEEZZNS1_27merge_sort_block_merge_implIS3_N6thrust23THRUST_200600_302600_NS6detail15normal_iteratorINS8_10device_ptrIiEEEESD_jNS1_19radix_merge_compareILb0ELb0EiNS0_19identity_decomposerEEEEE10hipError_tT0_T1_T2_jT3_P12ihipStream_tbPNSt15iterator_traitsISI_E10value_typeEPNSO_ISJ_E10value_typeEPSK_NS1_7vsmem_tEENKUlT_SI_SJ_SK_E_clIPiSD_S10_SD_EESH_SX_SI_SJ_SK_EUlSX_E_NS1_11comp_targetILNS1_3genE8ELNS1_11target_archE1030ELNS1_3gpuE2ELNS1_3repE0EEENS1_48merge_mergepath_partition_config_static_selectorELNS0_4arch9wavefront6targetE0EEEvSJ_ ; -- Begin function _ZN7rocprim17ROCPRIM_400000_NS6detail17trampoline_kernelINS0_14default_configENS1_38merge_sort_block_merge_config_selectorIiiEEZZNS1_27merge_sort_block_merge_implIS3_N6thrust23THRUST_200600_302600_NS6detail15normal_iteratorINS8_10device_ptrIiEEEESD_jNS1_19radix_merge_compareILb0ELb0EiNS0_19identity_decomposerEEEEE10hipError_tT0_T1_T2_jT3_P12ihipStream_tbPNSt15iterator_traitsISI_E10value_typeEPNSO_ISJ_E10value_typeEPSK_NS1_7vsmem_tEENKUlT_SI_SJ_SK_E_clIPiSD_S10_SD_EESH_SX_SI_SJ_SK_EUlSX_E_NS1_11comp_targetILNS1_3genE8ELNS1_11target_archE1030ELNS1_3gpuE2ELNS1_3repE0EEENS1_48merge_mergepath_partition_config_static_selectorELNS0_4arch9wavefront6targetE0EEEvSJ_
	.globl	_ZN7rocprim17ROCPRIM_400000_NS6detail17trampoline_kernelINS0_14default_configENS1_38merge_sort_block_merge_config_selectorIiiEEZZNS1_27merge_sort_block_merge_implIS3_N6thrust23THRUST_200600_302600_NS6detail15normal_iteratorINS8_10device_ptrIiEEEESD_jNS1_19radix_merge_compareILb0ELb0EiNS0_19identity_decomposerEEEEE10hipError_tT0_T1_T2_jT3_P12ihipStream_tbPNSt15iterator_traitsISI_E10value_typeEPNSO_ISJ_E10value_typeEPSK_NS1_7vsmem_tEENKUlT_SI_SJ_SK_E_clIPiSD_S10_SD_EESH_SX_SI_SJ_SK_EUlSX_E_NS1_11comp_targetILNS1_3genE8ELNS1_11target_archE1030ELNS1_3gpuE2ELNS1_3repE0EEENS1_48merge_mergepath_partition_config_static_selectorELNS0_4arch9wavefront6targetE0EEEvSJ_
	.p2align	8
	.type	_ZN7rocprim17ROCPRIM_400000_NS6detail17trampoline_kernelINS0_14default_configENS1_38merge_sort_block_merge_config_selectorIiiEEZZNS1_27merge_sort_block_merge_implIS3_N6thrust23THRUST_200600_302600_NS6detail15normal_iteratorINS8_10device_ptrIiEEEESD_jNS1_19radix_merge_compareILb0ELb0EiNS0_19identity_decomposerEEEEE10hipError_tT0_T1_T2_jT3_P12ihipStream_tbPNSt15iterator_traitsISI_E10value_typeEPNSO_ISJ_E10value_typeEPSK_NS1_7vsmem_tEENKUlT_SI_SJ_SK_E_clIPiSD_S10_SD_EESH_SX_SI_SJ_SK_EUlSX_E_NS1_11comp_targetILNS1_3genE8ELNS1_11target_archE1030ELNS1_3gpuE2ELNS1_3repE0EEENS1_48merge_mergepath_partition_config_static_selectorELNS0_4arch9wavefront6targetE0EEEvSJ_,@function
_ZN7rocprim17ROCPRIM_400000_NS6detail17trampoline_kernelINS0_14default_configENS1_38merge_sort_block_merge_config_selectorIiiEEZZNS1_27merge_sort_block_merge_implIS3_N6thrust23THRUST_200600_302600_NS6detail15normal_iteratorINS8_10device_ptrIiEEEESD_jNS1_19radix_merge_compareILb0ELb0EiNS0_19identity_decomposerEEEEE10hipError_tT0_T1_T2_jT3_P12ihipStream_tbPNSt15iterator_traitsISI_E10value_typeEPNSO_ISJ_E10value_typeEPSK_NS1_7vsmem_tEENKUlT_SI_SJ_SK_E_clIPiSD_S10_SD_EESH_SX_SI_SJ_SK_EUlSX_E_NS1_11comp_targetILNS1_3genE8ELNS1_11target_archE1030ELNS1_3gpuE2ELNS1_3repE0EEENS1_48merge_mergepath_partition_config_static_selectorELNS0_4arch9wavefront6targetE0EEEvSJ_: ; @_ZN7rocprim17ROCPRIM_400000_NS6detail17trampoline_kernelINS0_14default_configENS1_38merge_sort_block_merge_config_selectorIiiEEZZNS1_27merge_sort_block_merge_implIS3_N6thrust23THRUST_200600_302600_NS6detail15normal_iteratorINS8_10device_ptrIiEEEESD_jNS1_19radix_merge_compareILb0ELb0EiNS0_19identity_decomposerEEEEE10hipError_tT0_T1_T2_jT3_P12ihipStream_tbPNSt15iterator_traitsISI_E10value_typeEPNSO_ISJ_E10value_typeEPSK_NS1_7vsmem_tEENKUlT_SI_SJ_SK_E_clIPiSD_S10_SD_EESH_SX_SI_SJ_SK_EUlSX_E_NS1_11comp_targetILNS1_3genE8ELNS1_11target_archE1030ELNS1_3gpuE2ELNS1_3repE0EEENS1_48merge_mergepath_partition_config_static_selectorELNS0_4arch9wavefront6targetE0EEEvSJ_
; %bb.0:
	s_load_dword s0, s[4:5], 0x0
	v_lshl_or_b32 v0, s6, 7, v0
	s_waitcnt lgkmcnt(0)
	v_cmp_gt_u32_e32 vcc_lo, s0, v0
	s_and_saveexec_b32 s0, vcc_lo
	s_cbranch_execz .LBB715_6
; %bb.1:
	s_load_dwordx2 s[0:1], s[4:5], 0x4
	s_waitcnt lgkmcnt(0)
	s_lshr_b32 s2, s0, 9
	s_and_b32 s2, s2, 0x7ffffe
	s_sub_i32 s3, 0, s2
	s_add_i32 s2, s2, -1
	v_and_b32_e32 v1, s3, v0
	v_and_b32_e32 v5, s2, v0
	s_mov_b32 s3, 0
	s_mov_b32 s2, exec_lo
	v_lshlrev_b32_e32 v1, 10, v1
	v_add_nc_u32_e32 v2, s0, v1
	v_min_u32_e32 v4, s1, v2
	v_min_u32_e32 v2, s1, v1
	v_add_nc_u32_e32 v3, s0, v4
	v_min_u32_e32 v1, s1, v3
	s_load_dwordx2 s[0:1], s[4:5], 0x20
	v_lshlrev_b32_e32 v3, 10, v5
	v_sub_nc_u32_e32 v5, v1, v2
	v_sub_nc_u32_e32 v6, v1, v4
	v_min_u32_e32 v1, v5, v3
	v_sub_nc_u32_e32 v3, v4, v2
	v_sub_nc_u32_e64 v6, v1, v6 clamp
	v_min_u32_e32 v7, v1, v3
	v_cmpx_lt_u32_e64 v6, v7
	s_cbranch_execz .LBB715_5
; %bb.2:
	s_load_dwordx2 s[4:5], s[4:5], 0x10
	v_mov_b32_e32 v5, 0
	v_mov_b32_e32 v3, v5
	v_lshlrev_b64 v[10:11], 2, v[4:5]
	v_lshlrev_b64 v[8:9], 2, v[2:3]
	s_waitcnt lgkmcnt(0)
	v_add_co_u32 v3, vcc_lo, s4, v8
	v_add_co_ci_u32_e64 v8, null, s5, v9, vcc_lo
	v_add_co_u32 v9, vcc_lo, s4, v10
	v_add_co_ci_u32_e64 v10, null, s5, v11, vcc_lo
	.p2align	6
.LBB715_3:                              ; =>This Inner Loop Header: Depth=1
	v_add_nc_u32_e32 v4, v7, v6
	v_mov_b32_e32 v12, v5
	v_lshrrev_b32_e32 v4, 1, v4
	v_xad_u32 v11, v4, -1, v1
	v_lshlrev_b64 v[13:14], 2, v[4:5]
	v_lshlrev_b64 v[11:12], 2, v[11:12]
	v_add_co_u32 v13, vcc_lo, v3, v13
	v_add_co_ci_u32_e64 v14, null, v8, v14, vcc_lo
	v_add_co_u32 v11, vcc_lo, v9, v11
	v_add_co_ci_u32_e64 v12, null, v10, v12, vcc_lo
	s_clause 0x1
	global_load_dword v13, v[13:14], off
	global_load_dword v11, v[11:12], off
	v_add_nc_u32_e32 v12, 1, v4
	s_waitcnt vmcnt(0)
	v_cmp_gt_i32_e32 vcc_lo, v13, v11
	v_cndmask_b32_e32 v7, v7, v4, vcc_lo
	v_cndmask_b32_e32 v6, v12, v6, vcc_lo
	v_cmp_ge_u32_e32 vcc_lo, v6, v7
	s_or_b32 s3, vcc_lo, s3
	s_andn2_b32 exec_lo, exec_lo, s3
	s_cbranch_execnz .LBB715_3
; %bb.4:
	s_or_b32 exec_lo, exec_lo, s3
.LBB715_5:
	s_or_b32 exec_lo, exec_lo, s2
	v_mov_b32_e32 v1, 0
	v_add_nc_u32_e32 v2, v6, v2
	v_lshlrev_b64 v[0:1], 2, v[0:1]
	s_waitcnt lgkmcnt(0)
	v_add_co_u32 v0, vcc_lo, s0, v0
	v_add_co_ci_u32_e64 v1, null, s1, v1, vcc_lo
	global_store_dword v[0:1], v2, off
.LBB715_6:
	s_endpgm
	.section	.rodata,"a",@progbits
	.p2align	6, 0x0
	.amdhsa_kernel _ZN7rocprim17ROCPRIM_400000_NS6detail17trampoline_kernelINS0_14default_configENS1_38merge_sort_block_merge_config_selectorIiiEEZZNS1_27merge_sort_block_merge_implIS3_N6thrust23THRUST_200600_302600_NS6detail15normal_iteratorINS8_10device_ptrIiEEEESD_jNS1_19radix_merge_compareILb0ELb0EiNS0_19identity_decomposerEEEEE10hipError_tT0_T1_T2_jT3_P12ihipStream_tbPNSt15iterator_traitsISI_E10value_typeEPNSO_ISJ_E10value_typeEPSK_NS1_7vsmem_tEENKUlT_SI_SJ_SK_E_clIPiSD_S10_SD_EESH_SX_SI_SJ_SK_EUlSX_E_NS1_11comp_targetILNS1_3genE8ELNS1_11target_archE1030ELNS1_3gpuE2ELNS1_3repE0EEENS1_48merge_mergepath_partition_config_static_selectorELNS0_4arch9wavefront6targetE0EEEvSJ_
		.amdhsa_group_segment_fixed_size 0
		.amdhsa_private_segment_fixed_size 0
		.amdhsa_kernarg_size 40
		.amdhsa_user_sgpr_count 6
		.amdhsa_user_sgpr_private_segment_buffer 1
		.amdhsa_user_sgpr_dispatch_ptr 0
		.amdhsa_user_sgpr_queue_ptr 0
		.amdhsa_user_sgpr_kernarg_segment_ptr 1
		.amdhsa_user_sgpr_dispatch_id 0
		.amdhsa_user_sgpr_flat_scratch_init 0
		.amdhsa_user_sgpr_private_segment_size 0
		.amdhsa_wavefront_size32 1
		.amdhsa_uses_dynamic_stack 0
		.amdhsa_system_sgpr_private_segment_wavefront_offset 0
		.amdhsa_system_sgpr_workgroup_id_x 1
		.amdhsa_system_sgpr_workgroup_id_y 0
		.amdhsa_system_sgpr_workgroup_id_z 0
		.amdhsa_system_sgpr_workgroup_info 0
		.amdhsa_system_vgpr_workitem_id 0
		.amdhsa_next_free_vgpr 15
		.amdhsa_next_free_sgpr 7
		.amdhsa_reserve_vcc 1
		.amdhsa_reserve_flat_scratch 0
		.amdhsa_float_round_mode_32 0
		.amdhsa_float_round_mode_16_64 0
		.amdhsa_float_denorm_mode_32 3
		.amdhsa_float_denorm_mode_16_64 3
		.amdhsa_dx10_clamp 1
		.amdhsa_ieee_mode 1
		.amdhsa_fp16_overflow 0
		.amdhsa_workgroup_processor_mode 1
		.amdhsa_memory_ordered 1
		.amdhsa_forward_progress 1
		.amdhsa_shared_vgpr_count 0
		.amdhsa_exception_fp_ieee_invalid_op 0
		.amdhsa_exception_fp_denorm_src 0
		.amdhsa_exception_fp_ieee_div_zero 0
		.amdhsa_exception_fp_ieee_overflow 0
		.amdhsa_exception_fp_ieee_underflow 0
		.amdhsa_exception_fp_ieee_inexact 0
		.amdhsa_exception_int_div_zero 0
	.end_amdhsa_kernel
	.section	.text._ZN7rocprim17ROCPRIM_400000_NS6detail17trampoline_kernelINS0_14default_configENS1_38merge_sort_block_merge_config_selectorIiiEEZZNS1_27merge_sort_block_merge_implIS3_N6thrust23THRUST_200600_302600_NS6detail15normal_iteratorINS8_10device_ptrIiEEEESD_jNS1_19radix_merge_compareILb0ELb0EiNS0_19identity_decomposerEEEEE10hipError_tT0_T1_T2_jT3_P12ihipStream_tbPNSt15iterator_traitsISI_E10value_typeEPNSO_ISJ_E10value_typeEPSK_NS1_7vsmem_tEENKUlT_SI_SJ_SK_E_clIPiSD_S10_SD_EESH_SX_SI_SJ_SK_EUlSX_E_NS1_11comp_targetILNS1_3genE8ELNS1_11target_archE1030ELNS1_3gpuE2ELNS1_3repE0EEENS1_48merge_mergepath_partition_config_static_selectorELNS0_4arch9wavefront6targetE0EEEvSJ_,"axG",@progbits,_ZN7rocprim17ROCPRIM_400000_NS6detail17trampoline_kernelINS0_14default_configENS1_38merge_sort_block_merge_config_selectorIiiEEZZNS1_27merge_sort_block_merge_implIS3_N6thrust23THRUST_200600_302600_NS6detail15normal_iteratorINS8_10device_ptrIiEEEESD_jNS1_19radix_merge_compareILb0ELb0EiNS0_19identity_decomposerEEEEE10hipError_tT0_T1_T2_jT3_P12ihipStream_tbPNSt15iterator_traitsISI_E10value_typeEPNSO_ISJ_E10value_typeEPSK_NS1_7vsmem_tEENKUlT_SI_SJ_SK_E_clIPiSD_S10_SD_EESH_SX_SI_SJ_SK_EUlSX_E_NS1_11comp_targetILNS1_3genE8ELNS1_11target_archE1030ELNS1_3gpuE2ELNS1_3repE0EEENS1_48merge_mergepath_partition_config_static_selectorELNS0_4arch9wavefront6targetE0EEEvSJ_,comdat
.Lfunc_end715:
	.size	_ZN7rocprim17ROCPRIM_400000_NS6detail17trampoline_kernelINS0_14default_configENS1_38merge_sort_block_merge_config_selectorIiiEEZZNS1_27merge_sort_block_merge_implIS3_N6thrust23THRUST_200600_302600_NS6detail15normal_iteratorINS8_10device_ptrIiEEEESD_jNS1_19radix_merge_compareILb0ELb0EiNS0_19identity_decomposerEEEEE10hipError_tT0_T1_T2_jT3_P12ihipStream_tbPNSt15iterator_traitsISI_E10value_typeEPNSO_ISJ_E10value_typeEPSK_NS1_7vsmem_tEENKUlT_SI_SJ_SK_E_clIPiSD_S10_SD_EESH_SX_SI_SJ_SK_EUlSX_E_NS1_11comp_targetILNS1_3genE8ELNS1_11target_archE1030ELNS1_3gpuE2ELNS1_3repE0EEENS1_48merge_mergepath_partition_config_static_selectorELNS0_4arch9wavefront6targetE0EEEvSJ_, .Lfunc_end715-_ZN7rocprim17ROCPRIM_400000_NS6detail17trampoline_kernelINS0_14default_configENS1_38merge_sort_block_merge_config_selectorIiiEEZZNS1_27merge_sort_block_merge_implIS3_N6thrust23THRUST_200600_302600_NS6detail15normal_iteratorINS8_10device_ptrIiEEEESD_jNS1_19radix_merge_compareILb0ELb0EiNS0_19identity_decomposerEEEEE10hipError_tT0_T1_T2_jT3_P12ihipStream_tbPNSt15iterator_traitsISI_E10value_typeEPNSO_ISJ_E10value_typeEPSK_NS1_7vsmem_tEENKUlT_SI_SJ_SK_E_clIPiSD_S10_SD_EESH_SX_SI_SJ_SK_EUlSX_E_NS1_11comp_targetILNS1_3genE8ELNS1_11target_archE1030ELNS1_3gpuE2ELNS1_3repE0EEENS1_48merge_mergepath_partition_config_static_selectorELNS0_4arch9wavefront6targetE0EEEvSJ_
                                        ; -- End function
	.set _ZN7rocprim17ROCPRIM_400000_NS6detail17trampoline_kernelINS0_14default_configENS1_38merge_sort_block_merge_config_selectorIiiEEZZNS1_27merge_sort_block_merge_implIS3_N6thrust23THRUST_200600_302600_NS6detail15normal_iteratorINS8_10device_ptrIiEEEESD_jNS1_19radix_merge_compareILb0ELb0EiNS0_19identity_decomposerEEEEE10hipError_tT0_T1_T2_jT3_P12ihipStream_tbPNSt15iterator_traitsISI_E10value_typeEPNSO_ISJ_E10value_typeEPSK_NS1_7vsmem_tEENKUlT_SI_SJ_SK_E_clIPiSD_S10_SD_EESH_SX_SI_SJ_SK_EUlSX_E_NS1_11comp_targetILNS1_3genE8ELNS1_11target_archE1030ELNS1_3gpuE2ELNS1_3repE0EEENS1_48merge_mergepath_partition_config_static_selectorELNS0_4arch9wavefront6targetE0EEEvSJ_.num_vgpr, 15
	.set _ZN7rocprim17ROCPRIM_400000_NS6detail17trampoline_kernelINS0_14default_configENS1_38merge_sort_block_merge_config_selectorIiiEEZZNS1_27merge_sort_block_merge_implIS3_N6thrust23THRUST_200600_302600_NS6detail15normal_iteratorINS8_10device_ptrIiEEEESD_jNS1_19radix_merge_compareILb0ELb0EiNS0_19identity_decomposerEEEEE10hipError_tT0_T1_T2_jT3_P12ihipStream_tbPNSt15iterator_traitsISI_E10value_typeEPNSO_ISJ_E10value_typeEPSK_NS1_7vsmem_tEENKUlT_SI_SJ_SK_E_clIPiSD_S10_SD_EESH_SX_SI_SJ_SK_EUlSX_E_NS1_11comp_targetILNS1_3genE8ELNS1_11target_archE1030ELNS1_3gpuE2ELNS1_3repE0EEENS1_48merge_mergepath_partition_config_static_selectorELNS0_4arch9wavefront6targetE0EEEvSJ_.num_agpr, 0
	.set _ZN7rocprim17ROCPRIM_400000_NS6detail17trampoline_kernelINS0_14default_configENS1_38merge_sort_block_merge_config_selectorIiiEEZZNS1_27merge_sort_block_merge_implIS3_N6thrust23THRUST_200600_302600_NS6detail15normal_iteratorINS8_10device_ptrIiEEEESD_jNS1_19radix_merge_compareILb0ELb0EiNS0_19identity_decomposerEEEEE10hipError_tT0_T1_T2_jT3_P12ihipStream_tbPNSt15iterator_traitsISI_E10value_typeEPNSO_ISJ_E10value_typeEPSK_NS1_7vsmem_tEENKUlT_SI_SJ_SK_E_clIPiSD_S10_SD_EESH_SX_SI_SJ_SK_EUlSX_E_NS1_11comp_targetILNS1_3genE8ELNS1_11target_archE1030ELNS1_3gpuE2ELNS1_3repE0EEENS1_48merge_mergepath_partition_config_static_selectorELNS0_4arch9wavefront6targetE0EEEvSJ_.numbered_sgpr, 7
	.set _ZN7rocprim17ROCPRIM_400000_NS6detail17trampoline_kernelINS0_14default_configENS1_38merge_sort_block_merge_config_selectorIiiEEZZNS1_27merge_sort_block_merge_implIS3_N6thrust23THRUST_200600_302600_NS6detail15normal_iteratorINS8_10device_ptrIiEEEESD_jNS1_19radix_merge_compareILb0ELb0EiNS0_19identity_decomposerEEEEE10hipError_tT0_T1_T2_jT3_P12ihipStream_tbPNSt15iterator_traitsISI_E10value_typeEPNSO_ISJ_E10value_typeEPSK_NS1_7vsmem_tEENKUlT_SI_SJ_SK_E_clIPiSD_S10_SD_EESH_SX_SI_SJ_SK_EUlSX_E_NS1_11comp_targetILNS1_3genE8ELNS1_11target_archE1030ELNS1_3gpuE2ELNS1_3repE0EEENS1_48merge_mergepath_partition_config_static_selectorELNS0_4arch9wavefront6targetE0EEEvSJ_.num_named_barrier, 0
	.set _ZN7rocprim17ROCPRIM_400000_NS6detail17trampoline_kernelINS0_14default_configENS1_38merge_sort_block_merge_config_selectorIiiEEZZNS1_27merge_sort_block_merge_implIS3_N6thrust23THRUST_200600_302600_NS6detail15normal_iteratorINS8_10device_ptrIiEEEESD_jNS1_19radix_merge_compareILb0ELb0EiNS0_19identity_decomposerEEEEE10hipError_tT0_T1_T2_jT3_P12ihipStream_tbPNSt15iterator_traitsISI_E10value_typeEPNSO_ISJ_E10value_typeEPSK_NS1_7vsmem_tEENKUlT_SI_SJ_SK_E_clIPiSD_S10_SD_EESH_SX_SI_SJ_SK_EUlSX_E_NS1_11comp_targetILNS1_3genE8ELNS1_11target_archE1030ELNS1_3gpuE2ELNS1_3repE0EEENS1_48merge_mergepath_partition_config_static_selectorELNS0_4arch9wavefront6targetE0EEEvSJ_.private_seg_size, 0
	.set _ZN7rocprim17ROCPRIM_400000_NS6detail17trampoline_kernelINS0_14default_configENS1_38merge_sort_block_merge_config_selectorIiiEEZZNS1_27merge_sort_block_merge_implIS3_N6thrust23THRUST_200600_302600_NS6detail15normal_iteratorINS8_10device_ptrIiEEEESD_jNS1_19radix_merge_compareILb0ELb0EiNS0_19identity_decomposerEEEEE10hipError_tT0_T1_T2_jT3_P12ihipStream_tbPNSt15iterator_traitsISI_E10value_typeEPNSO_ISJ_E10value_typeEPSK_NS1_7vsmem_tEENKUlT_SI_SJ_SK_E_clIPiSD_S10_SD_EESH_SX_SI_SJ_SK_EUlSX_E_NS1_11comp_targetILNS1_3genE8ELNS1_11target_archE1030ELNS1_3gpuE2ELNS1_3repE0EEENS1_48merge_mergepath_partition_config_static_selectorELNS0_4arch9wavefront6targetE0EEEvSJ_.uses_vcc, 1
	.set _ZN7rocprim17ROCPRIM_400000_NS6detail17trampoline_kernelINS0_14default_configENS1_38merge_sort_block_merge_config_selectorIiiEEZZNS1_27merge_sort_block_merge_implIS3_N6thrust23THRUST_200600_302600_NS6detail15normal_iteratorINS8_10device_ptrIiEEEESD_jNS1_19radix_merge_compareILb0ELb0EiNS0_19identity_decomposerEEEEE10hipError_tT0_T1_T2_jT3_P12ihipStream_tbPNSt15iterator_traitsISI_E10value_typeEPNSO_ISJ_E10value_typeEPSK_NS1_7vsmem_tEENKUlT_SI_SJ_SK_E_clIPiSD_S10_SD_EESH_SX_SI_SJ_SK_EUlSX_E_NS1_11comp_targetILNS1_3genE8ELNS1_11target_archE1030ELNS1_3gpuE2ELNS1_3repE0EEENS1_48merge_mergepath_partition_config_static_selectorELNS0_4arch9wavefront6targetE0EEEvSJ_.uses_flat_scratch, 0
	.set _ZN7rocprim17ROCPRIM_400000_NS6detail17trampoline_kernelINS0_14default_configENS1_38merge_sort_block_merge_config_selectorIiiEEZZNS1_27merge_sort_block_merge_implIS3_N6thrust23THRUST_200600_302600_NS6detail15normal_iteratorINS8_10device_ptrIiEEEESD_jNS1_19radix_merge_compareILb0ELb0EiNS0_19identity_decomposerEEEEE10hipError_tT0_T1_T2_jT3_P12ihipStream_tbPNSt15iterator_traitsISI_E10value_typeEPNSO_ISJ_E10value_typeEPSK_NS1_7vsmem_tEENKUlT_SI_SJ_SK_E_clIPiSD_S10_SD_EESH_SX_SI_SJ_SK_EUlSX_E_NS1_11comp_targetILNS1_3genE8ELNS1_11target_archE1030ELNS1_3gpuE2ELNS1_3repE0EEENS1_48merge_mergepath_partition_config_static_selectorELNS0_4arch9wavefront6targetE0EEEvSJ_.has_dyn_sized_stack, 0
	.set _ZN7rocprim17ROCPRIM_400000_NS6detail17trampoline_kernelINS0_14default_configENS1_38merge_sort_block_merge_config_selectorIiiEEZZNS1_27merge_sort_block_merge_implIS3_N6thrust23THRUST_200600_302600_NS6detail15normal_iteratorINS8_10device_ptrIiEEEESD_jNS1_19radix_merge_compareILb0ELb0EiNS0_19identity_decomposerEEEEE10hipError_tT0_T1_T2_jT3_P12ihipStream_tbPNSt15iterator_traitsISI_E10value_typeEPNSO_ISJ_E10value_typeEPSK_NS1_7vsmem_tEENKUlT_SI_SJ_SK_E_clIPiSD_S10_SD_EESH_SX_SI_SJ_SK_EUlSX_E_NS1_11comp_targetILNS1_3genE8ELNS1_11target_archE1030ELNS1_3gpuE2ELNS1_3repE0EEENS1_48merge_mergepath_partition_config_static_selectorELNS0_4arch9wavefront6targetE0EEEvSJ_.has_recursion, 0
	.set _ZN7rocprim17ROCPRIM_400000_NS6detail17trampoline_kernelINS0_14default_configENS1_38merge_sort_block_merge_config_selectorIiiEEZZNS1_27merge_sort_block_merge_implIS3_N6thrust23THRUST_200600_302600_NS6detail15normal_iteratorINS8_10device_ptrIiEEEESD_jNS1_19radix_merge_compareILb0ELb0EiNS0_19identity_decomposerEEEEE10hipError_tT0_T1_T2_jT3_P12ihipStream_tbPNSt15iterator_traitsISI_E10value_typeEPNSO_ISJ_E10value_typeEPSK_NS1_7vsmem_tEENKUlT_SI_SJ_SK_E_clIPiSD_S10_SD_EESH_SX_SI_SJ_SK_EUlSX_E_NS1_11comp_targetILNS1_3genE8ELNS1_11target_archE1030ELNS1_3gpuE2ELNS1_3repE0EEENS1_48merge_mergepath_partition_config_static_selectorELNS0_4arch9wavefront6targetE0EEEvSJ_.has_indirect_call, 0
	.section	.AMDGPU.csdata,"",@progbits
; Kernel info:
; codeLenInByte = 436
; TotalNumSgprs: 9
; NumVgprs: 15
; ScratchSize: 0
; MemoryBound: 0
; FloatMode: 240
; IeeeMode: 1
; LDSByteSize: 0 bytes/workgroup (compile time only)
; SGPRBlocks: 0
; VGPRBlocks: 1
; NumSGPRsForWavesPerEU: 9
; NumVGPRsForWavesPerEU: 15
; Occupancy: 16
; WaveLimiterHint : 0
; COMPUTE_PGM_RSRC2:SCRATCH_EN: 0
; COMPUTE_PGM_RSRC2:USER_SGPR: 6
; COMPUTE_PGM_RSRC2:TRAP_HANDLER: 0
; COMPUTE_PGM_RSRC2:TGID_X_EN: 1
; COMPUTE_PGM_RSRC2:TGID_Y_EN: 0
; COMPUTE_PGM_RSRC2:TGID_Z_EN: 0
; COMPUTE_PGM_RSRC2:TIDIG_COMP_CNT: 0
	.section	.text._ZN7rocprim17ROCPRIM_400000_NS6detail17trampoline_kernelINS0_14default_configENS1_38merge_sort_block_merge_config_selectorIiiEEZZNS1_27merge_sort_block_merge_implIS3_N6thrust23THRUST_200600_302600_NS6detail15normal_iteratorINS8_10device_ptrIiEEEESD_jNS1_19radix_merge_compareILb0ELb0EiNS0_19identity_decomposerEEEEE10hipError_tT0_T1_T2_jT3_P12ihipStream_tbPNSt15iterator_traitsISI_E10value_typeEPNSO_ISJ_E10value_typeEPSK_NS1_7vsmem_tEENKUlT_SI_SJ_SK_E_clIPiSD_S10_SD_EESH_SX_SI_SJ_SK_EUlSX_E0_NS1_11comp_targetILNS1_3genE0ELNS1_11target_archE4294967295ELNS1_3gpuE0ELNS1_3repE0EEENS1_38merge_mergepath_config_static_selectorELNS0_4arch9wavefront6targetE0EEEvSJ_,"axG",@progbits,_ZN7rocprim17ROCPRIM_400000_NS6detail17trampoline_kernelINS0_14default_configENS1_38merge_sort_block_merge_config_selectorIiiEEZZNS1_27merge_sort_block_merge_implIS3_N6thrust23THRUST_200600_302600_NS6detail15normal_iteratorINS8_10device_ptrIiEEEESD_jNS1_19radix_merge_compareILb0ELb0EiNS0_19identity_decomposerEEEEE10hipError_tT0_T1_T2_jT3_P12ihipStream_tbPNSt15iterator_traitsISI_E10value_typeEPNSO_ISJ_E10value_typeEPSK_NS1_7vsmem_tEENKUlT_SI_SJ_SK_E_clIPiSD_S10_SD_EESH_SX_SI_SJ_SK_EUlSX_E0_NS1_11comp_targetILNS1_3genE0ELNS1_11target_archE4294967295ELNS1_3gpuE0ELNS1_3repE0EEENS1_38merge_mergepath_config_static_selectorELNS0_4arch9wavefront6targetE0EEEvSJ_,comdat
	.protected	_ZN7rocprim17ROCPRIM_400000_NS6detail17trampoline_kernelINS0_14default_configENS1_38merge_sort_block_merge_config_selectorIiiEEZZNS1_27merge_sort_block_merge_implIS3_N6thrust23THRUST_200600_302600_NS6detail15normal_iteratorINS8_10device_ptrIiEEEESD_jNS1_19radix_merge_compareILb0ELb0EiNS0_19identity_decomposerEEEEE10hipError_tT0_T1_T2_jT3_P12ihipStream_tbPNSt15iterator_traitsISI_E10value_typeEPNSO_ISJ_E10value_typeEPSK_NS1_7vsmem_tEENKUlT_SI_SJ_SK_E_clIPiSD_S10_SD_EESH_SX_SI_SJ_SK_EUlSX_E0_NS1_11comp_targetILNS1_3genE0ELNS1_11target_archE4294967295ELNS1_3gpuE0ELNS1_3repE0EEENS1_38merge_mergepath_config_static_selectorELNS0_4arch9wavefront6targetE0EEEvSJ_ ; -- Begin function _ZN7rocprim17ROCPRIM_400000_NS6detail17trampoline_kernelINS0_14default_configENS1_38merge_sort_block_merge_config_selectorIiiEEZZNS1_27merge_sort_block_merge_implIS3_N6thrust23THRUST_200600_302600_NS6detail15normal_iteratorINS8_10device_ptrIiEEEESD_jNS1_19radix_merge_compareILb0ELb0EiNS0_19identity_decomposerEEEEE10hipError_tT0_T1_T2_jT3_P12ihipStream_tbPNSt15iterator_traitsISI_E10value_typeEPNSO_ISJ_E10value_typeEPSK_NS1_7vsmem_tEENKUlT_SI_SJ_SK_E_clIPiSD_S10_SD_EESH_SX_SI_SJ_SK_EUlSX_E0_NS1_11comp_targetILNS1_3genE0ELNS1_11target_archE4294967295ELNS1_3gpuE0ELNS1_3repE0EEENS1_38merge_mergepath_config_static_selectorELNS0_4arch9wavefront6targetE0EEEvSJ_
	.globl	_ZN7rocprim17ROCPRIM_400000_NS6detail17trampoline_kernelINS0_14default_configENS1_38merge_sort_block_merge_config_selectorIiiEEZZNS1_27merge_sort_block_merge_implIS3_N6thrust23THRUST_200600_302600_NS6detail15normal_iteratorINS8_10device_ptrIiEEEESD_jNS1_19radix_merge_compareILb0ELb0EiNS0_19identity_decomposerEEEEE10hipError_tT0_T1_T2_jT3_P12ihipStream_tbPNSt15iterator_traitsISI_E10value_typeEPNSO_ISJ_E10value_typeEPSK_NS1_7vsmem_tEENKUlT_SI_SJ_SK_E_clIPiSD_S10_SD_EESH_SX_SI_SJ_SK_EUlSX_E0_NS1_11comp_targetILNS1_3genE0ELNS1_11target_archE4294967295ELNS1_3gpuE0ELNS1_3repE0EEENS1_38merge_mergepath_config_static_selectorELNS0_4arch9wavefront6targetE0EEEvSJ_
	.p2align	8
	.type	_ZN7rocprim17ROCPRIM_400000_NS6detail17trampoline_kernelINS0_14default_configENS1_38merge_sort_block_merge_config_selectorIiiEEZZNS1_27merge_sort_block_merge_implIS3_N6thrust23THRUST_200600_302600_NS6detail15normal_iteratorINS8_10device_ptrIiEEEESD_jNS1_19radix_merge_compareILb0ELb0EiNS0_19identity_decomposerEEEEE10hipError_tT0_T1_T2_jT3_P12ihipStream_tbPNSt15iterator_traitsISI_E10value_typeEPNSO_ISJ_E10value_typeEPSK_NS1_7vsmem_tEENKUlT_SI_SJ_SK_E_clIPiSD_S10_SD_EESH_SX_SI_SJ_SK_EUlSX_E0_NS1_11comp_targetILNS1_3genE0ELNS1_11target_archE4294967295ELNS1_3gpuE0ELNS1_3repE0EEENS1_38merge_mergepath_config_static_selectorELNS0_4arch9wavefront6targetE0EEEvSJ_,@function
_ZN7rocprim17ROCPRIM_400000_NS6detail17trampoline_kernelINS0_14default_configENS1_38merge_sort_block_merge_config_selectorIiiEEZZNS1_27merge_sort_block_merge_implIS3_N6thrust23THRUST_200600_302600_NS6detail15normal_iteratorINS8_10device_ptrIiEEEESD_jNS1_19radix_merge_compareILb0ELb0EiNS0_19identity_decomposerEEEEE10hipError_tT0_T1_T2_jT3_P12ihipStream_tbPNSt15iterator_traitsISI_E10value_typeEPNSO_ISJ_E10value_typeEPSK_NS1_7vsmem_tEENKUlT_SI_SJ_SK_E_clIPiSD_S10_SD_EESH_SX_SI_SJ_SK_EUlSX_E0_NS1_11comp_targetILNS1_3genE0ELNS1_11target_archE4294967295ELNS1_3gpuE0ELNS1_3repE0EEENS1_38merge_mergepath_config_static_selectorELNS0_4arch9wavefront6targetE0EEEvSJ_: ; @_ZN7rocprim17ROCPRIM_400000_NS6detail17trampoline_kernelINS0_14default_configENS1_38merge_sort_block_merge_config_selectorIiiEEZZNS1_27merge_sort_block_merge_implIS3_N6thrust23THRUST_200600_302600_NS6detail15normal_iteratorINS8_10device_ptrIiEEEESD_jNS1_19radix_merge_compareILb0ELb0EiNS0_19identity_decomposerEEEEE10hipError_tT0_T1_T2_jT3_P12ihipStream_tbPNSt15iterator_traitsISI_E10value_typeEPNSO_ISJ_E10value_typeEPSK_NS1_7vsmem_tEENKUlT_SI_SJ_SK_E_clIPiSD_S10_SD_EESH_SX_SI_SJ_SK_EUlSX_E0_NS1_11comp_targetILNS1_3genE0ELNS1_11target_archE4294967295ELNS1_3gpuE0ELNS1_3repE0EEENS1_38merge_mergepath_config_static_selectorELNS0_4arch9wavefront6targetE0EEEvSJ_
; %bb.0:
	.section	.rodata,"a",@progbits
	.p2align	6, 0x0
	.amdhsa_kernel _ZN7rocprim17ROCPRIM_400000_NS6detail17trampoline_kernelINS0_14default_configENS1_38merge_sort_block_merge_config_selectorIiiEEZZNS1_27merge_sort_block_merge_implIS3_N6thrust23THRUST_200600_302600_NS6detail15normal_iteratorINS8_10device_ptrIiEEEESD_jNS1_19radix_merge_compareILb0ELb0EiNS0_19identity_decomposerEEEEE10hipError_tT0_T1_T2_jT3_P12ihipStream_tbPNSt15iterator_traitsISI_E10value_typeEPNSO_ISJ_E10value_typeEPSK_NS1_7vsmem_tEENKUlT_SI_SJ_SK_E_clIPiSD_S10_SD_EESH_SX_SI_SJ_SK_EUlSX_E0_NS1_11comp_targetILNS1_3genE0ELNS1_11target_archE4294967295ELNS1_3gpuE0ELNS1_3repE0EEENS1_38merge_mergepath_config_static_selectorELNS0_4arch9wavefront6targetE0EEEvSJ_
		.amdhsa_group_segment_fixed_size 0
		.amdhsa_private_segment_fixed_size 0
		.amdhsa_kernarg_size 64
		.amdhsa_user_sgpr_count 6
		.amdhsa_user_sgpr_private_segment_buffer 1
		.amdhsa_user_sgpr_dispatch_ptr 0
		.amdhsa_user_sgpr_queue_ptr 0
		.amdhsa_user_sgpr_kernarg_segment_ptr 1
		.amdhsa_user_sgpr_dispatch_id 0
		.amdhsa_user_sgpr_flat_scratch_init 0
		.amdhsa_user_sgpr_private_segment_size 0
		.amdhsa_wavefront_size32 1
		.amdhsa_uses_dynamic_stack 0
		.amdhsa_system_sgpr_private_segment_wavefront_offset 0
		.amdhsa_system_sgpr_workgroup_id_x 1
		.amdhsa_system_sgpr_workgroup_id_y 0
		.amdhsa_system_sgpr_workgroup_id_z 0
		.amdhsa_system_sgpr_workgroup_info 0
		.amdhsa_system_vgpr_workitem_id 0
		.amdhsa_next_free_vgpr 1
		.amdhsa_next_free_sgpr 1
		.amdhsa_reserve_vcc 0
		.amdhsa_reserve_flat_scratch 0
		.amdhsa_float_round_mode_32 0
		.amdhsa_float_round_mode_16_64 0
		.amdhsa_float_denorm_mode_32 3
		.amdhsa_float_denorm_mode_16_64 3
		.amdhsa_dx10_clamp 1
		.amdhsa_ieee_mode 1
		.amdhsa_fp16_overflow 0
		.amdhsa_workgroup_processor_mode 1
		.amdhsa_memory_ordered 1
		.amdhsa_forward_progress 1
		.amdhsa_shared_vgpr_count 0
		.amdhsa_exception_fp_ieee_invalid_op 0
		.amdhsa_exception_fp_denorm_src 0
		.amdhsa_exception_fp_ieee_div_zero 0
		.amdhsa_exception_fp_ieee_overflow 0
		.amdhsa_exception_fp_ieee_underflow 0
		.amdhsa_exception_fp_ieee_inexact 0
		.amdhsa_exception_int_div_zero 0
	.end_amdhsa_kernel
	.section	.text._ZN7rocprim17ROCPRIM_400000_NS6detail17trampoline_kernelINS0_14default_configENS1_38merge_sort_block_merge_config_selectorIiiEEZZNS1_27merge_sort_block_merge_implIS3_N6thrust23THRUST_200600_302600_NS6detail15normal_iteratorINS8_10device_ptrIiEEEESD_jNS1_19radix_merge_compareILb0ELb0EiNS0_19identity_decomposerEEEEE10hipError_tT0_T1_T2_jT3_P12ihipStream_tbPNSt15iterator_traitsISI_E10value_typeEPNSO_ISJ_E10value_typeEPSK_NS1_7vsmem_tEENKUlT_SI_SJ_SK_E_clIPiSD_S10_SD_EESH_SX_SI_SJ_SK_EUlSX_E0_NS1_11comp_targetILNS1_3genE0ELNS1_11target_archE4294967295ELNS1_3gpuE0ELNS1_3repE0EEENS1_38merge_mergepath_config_static_selectorELNS0_4arch9wavefront6targetE0EEEvSJ_,"axG",@progbits,_ZN7rocprim17ROCPRIM_400000_NS6detail17trampoline_kernelINS0_14default_configENS1_38merge_sort_block_merge_config_selectorIiiEEZZNS1_27merge_sort_block_merge_implIS3_N6thrust23THRUST_200600_302600_NS6detail15normal_iteratorINS8_10device_ptrIiEEEESD_jNS1_19radix_merge_compareILb0ELb0EiNS0_19identity_decomposerEEEEE10hipError_tT0_T1_T2_jT3_P12ihipStream_tbPNSt15iterator_traitsISI_E10value_typeEPNSO_ISJ_E10value_typeEPSK_NS1_7vsmem_tEENKUlT_SI_SJ_SK_E_clIPiSD_S10_SD_EESH_SX_SI_SJ_SK_EUlSX_E0_NS1_11comp_targetILNS1_3genE0ELNS1_11target_archE4294967295ELNS1_3gpuE0ELNS1_3repE0EEENS1_38merge_mergepath_config_static_selectorELNS0_4arch9wavefront6targetE0EEEvSJ_,comdat
.Lfunc_end716:
	.size	_ZN7rocprim17ROCPRIM_400000_NS6detail17trampoline_kernelINS0_14default_configENS1_38merge_sort_block_merge_config_selectorIiiEEZZNS1_27merge_sort_block_merge_implIS3_N6thrust23THRUST_200600_302600_NS6detail15normal_iteratorINS8_10device_ptrIiEEEESD_jNS1_19radix_merge_compareILb0ELb0EiNS0_19identity_decomposerEEEEE10hipError_tT0_T1_T2_jT3_P12ihipStream_tbPNSt15iterator_traitsISI_E10value_typeEPNSO_ISJ_E10value_typeEPSK_NS1_7vsmem_tEENKUlT_SI_SJ_SK_E_clIPiSD_S10_SD_EESH_SX_SI_SJ_SK_EUlSX_E0_NS1_11comp_targetILNS1_3genE0ELNS1_11target_archE4294967295ELNS1_3gpuE0ELNS1_3repE0EEENS1_38merge_mergepath_config_static_selectorELNS0_4arch9wavefront6targetE0EEEvSJ_, .Lfunc_end716-_ZN7rocprim17ROCPRIM_400000_NS6detail17trampoline_kernelINS0_14default_configENS1_38merge_sort_block_merge_config_selectorIiiEEZZNS1_27merge_sort_block_merge_implIS3_N6thrust23THRUST_200600_302600_NS6detail15normal_iteratorINS8_10device_ptrIiEEEESD_jNS1_19radix_merge_compareILb0ELb0EiNS0_19identity_decomposerEEEEE10hipError_tT0_T1_T2_jT3_P12ihipStream_tbPNSt15iterator_traitsISI_E10value_typeEPNSO_ISJ_E10value_typeEPSK_NS1_7vsmem_tEENKUlT_SI_SJ_SK_E_clIPiSD_S10_SD_EESH_SX_SI_SJ_SK_EUlSX_E0_NS1_11comp_targetILNS1_3genE0ELNS1_11target_archE4294967295ELNS1_3gpuE0ELNS1_3repE0EEENS1_38merge_mergepath_config_static_selectorELNS0_4arch9wavefront6targetE0EEEvSJ_
                                        ; -- End function
	.set _ZN7rocprim17ROCPRIM_400000_NS6detail17trampoline_kernelINS0_14default_configENS1_38merge_sort_block_merge_config_selectorIiiEEZZNS1_27merge_sort_block_merge_implIS3_N6thrust23THRUST_200600_302600_NS6detail15normal_iteratorINS8_10device_ptrIiEEEESD_jNS1_19radix_merge_compareILb0ELb0EiNS0_19identity_decomposerEEEEE10hipError_tT0_T1_T2_jT3_P12ihipStream_tbPNSt15iterator_traitsISI_E10value_typeEPNSO_ISJ_E10value_typeEPSK_NS1_7vsmem_tEENKUlT_SI_SJ_SK_E_clIPiSD_S10_SD_EESH_SX_SI_SJ_SK_EUlSX_E0_NS1_11comp_targetILNS1_3genE0ELNS1_11target_archE4294967295ELNS1_3gpuE0ELNS1_3repE0EEENS1_38merge_mergepath_config_static_selectorELNS0_4arch9wavefront6targetE0EEEvSJ_.num_vgpr, 0
	.set _ZN7rocprim17ROCPRIM_400000_NS6detail17trampoline_kernelINS0_14default_configENS1_38merge_sort_block_merge_config_selectorIiiEEZZNS1_27merge_sort_block_merge_implIS3_N6thrust23THRUST_200600_302600_NS6detail15normal_iteratorINS8_10device_ptrIiEEEESD_jNS1_19radix_merge_compareILb0ELb0EiNS0_19identity_decomposerEEEEE10hipError_tT0_T1_T2_jT3_P12ihipStream_tbPNSt15iterator_traitsISI_E10value_typeEPNSO_ISJ_E10value_typeEPSK_NS1_7vsmem_tEENKUlT_SI_SJ_SK_E_clIPiSD_S10_SD_EESH_SX_SI_SJ_SK_EUlSX_E0_NS1_11comp_targetILNS1_3genE0ELNS1_11target_archE4294967295ELNS1_3gpuE0ELNS1_3repE0EEENS1_38merge_mergepath_config_static_selectorELNS0_4arch9wavefront6targetE0EEEvSJ_.num_agpr, 0
	.set _ZN7rocprim17ROCPRIM_400000_NS6detail17trampoline_kernelINS0_14default_configENS1_38merge_sort_block_merge_config_selectorIiiEEZZNS1_27merge_sort_block_merge_implIS3_N6thrust23THRUST_200600_302600_NS6detail15normal_iteratorINS8_10device_ptrIiEEEESD_jNS1_19radix_merge_compareILb0ELb0EiNS0_19identity_decomposerEEEEE10hipError_tT0_T1_T2_jT3_P12ihipStream_tbPNSt15iterator_traitsISI_E10value_typeEPNSO_ISJ_E10value_typeEPSK_NS1_7vsmem_tEENKUlT_SI_SJ_SK_E_clIPiSD_S10_SD_EESH_SX_SI_SJ_SK_EUlSX_E0_NS1_11comp_targetILNS1_3genE0ELNS1_11target_archE4294967295ELNS1_3gpuE0ELNS1_3repE0EEENS1_38merge_mergepath_config_static_selectorELNS0_4arch9wavefront6targetE0EEEvSJ_.numbered_sgpr, 0
	.set _ZN7rocprim17ROCPRIM_400000_NS6detail17trampoline_kernelINS0_14default_configENS1_38merge_sort_block_merge_config_selectorIiiEEZZNS1_27merge_sort_block_merge_implIS3_N6thrust23THRUST_200600_302600_NS6detail15normal_iteratorINS8_10device_ptrIiEEEESD_jNS1_19radix_merge_compareILb0ELb0EiNS0_19identity_decomposerEEEEE10hipError_tT0_T1_T2_jT3_P12ihipStream_tbPNSt15iterator_traitsISI_E10value_typeEPNSO_ISJ_E10value_typeEPSK_NS1_7vsmem_tEENKUlT_SI_SJ_SK_E_clIPiSD_S10_SD_EESH_SX_SI_SJ_SK_EUlSX_E0_NS1_11comp_targetILNS1_3genE0ELNS1_11target_archE4294967295ELNS1_3gpuE0ELNS1_3repE0EEENS1_38merge_mergepath_config_static_selectorELNS0_4arch9wavefront6targetE0EEEvSJ_.num_named_barrier, 0
	.set _ZN7rocprim17ROCPRIM_400000_NS6detail17trampoline_kernelINS0_14default_configENS1_38merge_sort_block_merge_config_selectorIiiEEZZNS1_27merge_sort_block_merge_implIS3_N6thrust23THRUST_200600_302600_NS6detail15normal_iteratorINS8_10device_ptrIiEEEESD_jNS1_19radix_merge_compareILb0ELb0EiNS0_19identity_decomposerEEEEE10hipError_tT0_T1_T2_jT3_P12ihipStream_tbPNSt15iterator_traitsISI_E10value_typeEPNSO_ISJ_E10value_typeEPSK_NS1_7vsmem_tEENKUlT_SI_SJ_SK_E_clIPiSD_S10_SD_EESH_SX_SI_SJ_SK_EUlSX_E0_NS1_11comp_targetILNS1_3genE0ELNS1_11target_archE4294967295ELNS1_3gpuE0ELNS1_3repE0EEENS1_38merge_mergepath_config_static_selectorELNS0_4arch9wavefront6targetE0EEEvSJ_.private_seg_size, 0
	.set _ZN7rocprim17ROCPRIM_400000_NS6detail17trampoline_kernelINS0_14default_configENS1_38merge_sort_block_merge_config_selectorIiiEEZZNS1_27merge_sort_block_merge_implIS3_N6thrust23THRUST_200600_302600_NS6detail15normal_iteratorINS8_10device_ptrIiEEEESD_jNS1_19radix_merge_compareILb0ELb0EiNS0_19identity_decomposerEEEEE10hipError_tT0_T1_T2_jT3_P12ihipStream_tbPNSt15iterator_traitsISI_E10value_typeEPNSO_ISJ_E10value_typeEPSK_NS1_7vsmem_tEENKUlT_SI_SJ_SK_E_clIPiSD_S10_SD_EESH_SX_SI_SJ_SK_EUlSX_E0_NS1_11comp_targetILNS1_3genE0ELNS1_11target_archE4294967295ELNS1_3gpuE0ELNS1_3repE0EEENS1_38merge_mergepath_config_static_selectorELNS0_4arch9wavefront6targetE0EEEvSJ_.uses_vcc, 0
	.set _ZN7rocprim17ROCPRIM_400000_NS6detail17trampoline_kernelINS0_14default_configENS1_38merge_sort_block_merge_config_selectorIiiEEZZNS1_27merge_sort_block_merge_implIS3_N6thrust23THRUST_200600_302600_NS6detail15normal_iteratorINS8_10device_ptrIiEEEESD_jNS1_19radix_merge_compareILb0ELb0EiNS0_19identity_decomposerEEEEE10hipError_tT0_T1_T2_jT3_P12ihipStream_tbPNSt15iterator_traitsISI_E10value_typeEPNSO_ISJ_E10value_typeEPSK_NS1_7vsmem_tEENKUlT_SI_SJ_SK_E_clIPiSD_S10_SD_EESH_SX_SI_SJ_SK_EUlSX_E0_NS1_11comp_targetILNS1_3genE0ELNS1_11target_archE4294967295ELNS1_3gpuE0ELNS1_3repE0EEENS1_38merge_mergepath_config_static_selectorELNS0_4arch9wavefront6targetE0EEEvSJ_.uses_flat_scratch, 0
	.set _ZN7rocprim17ROCPRIM_400000_NS6detail17trampoline_kernelINS0_14default_configENS1_38merge_sort_block_merge_config_selectorIiiEEZZNS1_27merge_sort_block_merge_implIS3_N6thrust23THRUST_200600_302600_NS6detail15normal_iteratorINS8_10device_ptrIiEEEESD_jNS1_19radix_merge_compareILb0ELb0EiNS0_19identity_decomposerEEEEE10hipError_tT0_T1_T2_jT3_P12ihipStream_tbPNSt15iterator_traitsISI_E10value_typeEPNSO_ISJ_E10value_typeEPSK_NS1_7vsmem_tEENKUlT_SI_SJ_SK_E_clIPiSD_S10_SD_EESH_SX_SI_SJ_SK_EUlSX_E0_NS1_11comp_targetILNS1_3genE0ELNS1_11target_archE4294967295ELNS1_3gpuE0ELNS1_3repE0EEENS1_38merge_mergepath_config_static_selectorELNS0_4arch9wavefront6targetE0EEEvSJ_.has_dyn_sized_stack, 0
	.set _ZN7rocprim17ROCPRIM_400000_NS6detail17trampoline_kernelINS0_14default_configENS1_38merge_sort_block_merge_config_selectorIiiEEZZNS1_27merge_sort_block_merge_implIS3_N6thrust23THRUST_200600_302600_NS6detail15normal_iteratorINS8_10device_ptrIiEEEESD_jNS1_19radix_merge_compareILb0ELb0EiNS0_19identity_decomposerEEEEE10hipError_tT0_T1_T2_jT3_P12ihipStream_tbPNSt15iterator_traitsISI_E10value_typeEPNSO_ISJ_E10value_typeEPSK_NS1_7vsmem_tEENKUlT_SI_SJ_SK_E_clIPiSD_S10_SD_EESH_SX_SI_SJ_SK_EUlSX_E0_NS1_11comp_targetILNS1_3genE0ELNS1_11target_archE4294967295ELNS1_3gpuE0ELNS1_3repE0EEENS1_38merge_mergepath_config_static_selectorELNS0_4arch9wavefront6targetE0EEEvSJ_.has_recursion, 0
	.set _ZN7rocprim17ROCPRIM_400000_NS6detail17trampoline_kernelINS0_14default_configENS1_38merge_sort_block_merge_config_selectorIiiEEZZNS1_27merge_sort_block_merge_implIS3_N6thrust23THRUST_200600_302600_NS6detail15normal_iteratorINS8_10device_ptrIiEEEESD_jNS1_19radix_merge_compareILb0ELb0EiNS0_19identity_decomposerEEEEE10hipError_tT0_T1_T2_jT3_P12ihipStream_tbPNSt15iterator_traitsISI_E10value_typeEPNSO_ISJ_E10value_typeEPSK_NS1_7vsmem_tEENKUlT_SI_SJ_SK_E_clIPiSD_S10_SD_EESH_SX_SI_SJ_SK_EUlSX_E0_NS1_11comp_targetILNS1_3genE0ELNS1_11target_archE4294967295ELNS1_3gpuE0ELNS1_3repE0EEENS1_38merge_mergepath_config_static_selectorELNS0_4arch9wavefront6targetE0EEEvSJ_.has_indirect_call, 0
	.section	.AMDGPU.csdata,"",@progbits
; Kernel info:
; codeLenInByte = 0
; TotalNumSgprs: 0
; NumVgprs: 0
; ScratchSize: 0
; MemoryBound: 0
; FloatMode: 240
; IeeeMode: 1
; LDSByteSize: 0 bytes/workgroup (compile time only)
; SGPRBlocks: 0
; VGPRBlocks: 0
; NumSGPRsForWavesPerEU: 1
; NumVGPRsForWavesPerEU: 1
; Occupancy: 16
; WaveLimiterHint : 0
; COMPUTE_PGM_RSRC2:SCRATCH_EN: 0
; COMPUTE_PGM_RSRC2:USER_SGPR: 6
; COMPUTE_PGM_RSRC2:TRAP_HANDLER: 0
; COMPUTE_PGM_RSRC2:TGID_X_EN: 1
; COMPUTE_PGM_RSRC2:TGID_Y_EN: 0
; COMPUTE_PGM_RSRC2:TGID_Z_EN: 0
; COMPUTE_PGM_RSRC2:TIDIG_COMP_CNT: 0
	.section	.text._ZN7rocprim17ROCPRIM_400000_NS6detail17trampoline_kernelINS0_14default_configENS1_38merge_sort_block_merge_config_selectorIiiEEZZNS1_27merge_sort_block_merge_implIS3_N6thrust23THRUST_200600_302600_NS6detail15normal_iteratorINS8_10device_ptrIiEEEESD_jNS1_19radix_merge_compareILb0ELb0EiNS0_19identity_decomposerEEEEE10hipError_tT0_T1_T2_jT3_P12ihipStream_tbPNSt15iterator_traitsISI_E10value_typeEPNSO_ISJ_E10value_typeEPSK_NS1_7vsmem_tEENKUlT_SI_SJ_SK_E_clIPiSD_S10_SD_EESH_SX_SI_SJ_SK_EUlSX_E0_NS1_11comp_targetILNS1_3genE10ELNS1_11target_archE1201ELNS1_3gpuE5ELNS1_3repE0EEENS1_38merge_mergepath_config_static_selectorELNS0_4arch9wavefront6targetE0EEEvSJ_,"axG",@progbits,_ZN7rocprim17ROCPRIM_400000_NS6detail17trampoline_kernelINS0_14default_configENS1_38merge_sort_block_merge_config_selectorIiiEEZZNS1_27merge_sort_block_merge_implIS3_N6thrust23THRUST_200600_302600_NS6detail15normal_iteratorINS8_10device_ptrIiEEEESD_jNS1_19radix_merge_compareILb0ELb0EiNS0_19identity_decomposerEEEEE10hipError_tT0_T1_T2_jT3_P12ihipStream_tbPNSt15iterator_traitsISI_E10value_typeEPNSO_ISJ_E10value_typeEPSK_NS1_7vsmem_tEENKUlT_SI_SJ_SK_E_clIPiSD_S10_SD_EESH_SX_SI_SJ_SK_EUlSX_E0_NS1_11comp_targetILNS1_3genE10ELNS1_11target_archE1201ELNS1_3gpuE5ELNS1_3repE0EEENS1_38merge_mergepath_config_static_selectorELNS0_4arch9wavefront6targetE0EEEvSJ_,comdat
	.protected	_ZN7rocprim17ROCPRIM_400000_NS6detail17trampoline_kernelINS0_14default_configENS1_38merge_sort_block_merge_config_selectorIiiEEZZNS1_27merge_sort_block_merge_implIS3_N6thrust23THRUST_200600_302600_NS6detail15normal_iteratorINS8_10device_ptrIiEEEESD_jNS1_19radix_merge_compareILb0ELb0EiNS0_19identity_decomposerEEEEE10hipError_tT0_T1_T2_jT3_P12ihipStream_tbPNSt15iterator_traitsISI_E10value_typeEPNSO_ISJ_E10value_typeEPSK_NS1_7vsmem_tEENKUlT_SI_SJ_SK_E_clIPiSD_S10_SD_EESH_SX_SI_SJ_SK_EUlSX_E0_NS1_11comp_targetILNS1_3genE10ELNS1_11target_archE1201ELNS1_3gpuE5ELNS1_3repE0EEENS1_38merge_mergepath_config_static_selectorELNS0_4arch9wavefront6targetE0EEEvSJ_ ; -- Begin function _ZN7rocprim17ROCPRIM_400000_NS6detail17trampoline_kernelINS0_14default_configENS1_38merge_sort_block_merge_config_selectorIiiEEZZNS1_27merge_sort_block_merge_implIS3_N6thrust23THRUST_200600_302600_NS6detail15normal_iteratorINS8_10device_ptrIiEEEESD_jNS1_19radix_merge_compareILb0ELb0EiNS0_19identity_decomposerEEEEE10hipError_tT0_T1_T2_jT3_P12ihipStream_tbPNSt15iterator_traitsISI_E10value_typeEPNSO_ISJ_E10value_typeEPSK_NS1_7vsmem_tEENKUlT_SI_SJ_SK_E_clIPiSD_S10_SD_EESH_SX_SI_SJ_SK_EUlSX_E0_NS1_11comp_targetILNS1_3genE10ELNS1_11target_archE1201ELNS1_3gpuE5ELNS1_3repE0EEENS1_38merge_mergepath_config_static_selectorELNS0_4arch9wavefront6targetE0EEEvSJ_
	.globl	_ZN7rocprim17ROCPRIM_400000_NS6detail17trampoline_kernelINS0_14default_configENS1_38merge_sort_block_merge_config_selectorIiiEEZZNS1_27merge_sort_block_merge_implIS3_N6thrust23THRUST_200600_302600_NS6detail15normal_iteratorINS8_10device_ptrIiEEEESD_jNS1_19radix_merge_compareILb0ELb0EiNS0_19identity_decomposerEEEEE10hipError_tT0_T1_T2_jT3_P12ihipStream_tbPNSt15iterator_traitsISI_E10value_typeEPNSO_ISJ_E10value_typeEPSK_NS1_7vsmem_tEENKUlT_SI_SJ_SK_E_clIPiSD_S10_SD_EESH_SX_SI_SJ_SK_EUlSX_E0_NS1_11comp_targetILNS1_3genE10ELNS1_11target_archE1201ELNS1_3gpuE5ELNS1_3repE0EEENS1_38merge_mergepath_config_static_selectorELNS0_4arch9wavefront6targetE0EEEvSJ_
	.p2align	8
	.type	_ZN7rocprim17ROCPRIM_400000_NS6detail17trampoline_kernelINS0_14default_configENS1_38merge_sort_block_merge_config_selectorIiiEEZZNS1_27merge_sort_block_merge_implIS3_N6thrust23THRUST_200600_302600_NS6detail15normal_iteratorINS8_10device_ptrIiEEEESD_jNS1_19radix_merge_compareILb0ELb0EiNS0_19identity_decomposerEEEEE10hipError_tT0_T1_T2_jT3_P12ihipStream_tbPNSt15iterator_traitsISI_E10value_typeEPNSO_ISJ_E10value_typeEPSK_NS1_7vsmem_tEENKUlT_SI_SJ_SK_E_clIPiSD_S10_SD_EESH_SX_SI_SJ_SK_EUlSX_E0_NS1_11comp_targetILNS1_3genE10ELNS1_11target_archE1201ELNS1_3gpuE5ELNS1_3repE0EEENS1_38merge_mergepath_config_static_selectorELNS0_4arch9wavefront6targetE0EEEvSJ_,@function
_ZN7rocprim17ROCPRIM_400000_NS6detail17trampoline_kernelINS0_14default_configENS1_38merge_sort_block_merge_config_selectorIiiEEZZNS1_27merge_sort_block_merge_implIS3_N6thrust23THRUST_200600_302600_NS6detail15normal_iteratorINS8_10device_ptrIiEEEESD_jNS1_19radix_merge_compareILb0ELb0EiNS0_19identity_decomposerEEEEE10hipError_tT0_T1_T2_jT3_P12ihipStream_tbPNSt15iterator_traitsISI_E10value_typeEPNSO_ISJ_E10value_typeEPSK_NS1_7vsmem_tEENKUlT_SI_SJ_SK_E_clIPiSD_S10_SD_EESH_SX_SI_SJ_SK_EUlSX_E0_NS1_11comp_targetILNS1_3genE10ELNS1_11target_archE1201ELNS1_3gpuE5ELNS1_3repE0EEENS1_38merge_mergepath_config_static_selectorELNS0_4arch9wavefront6targetE0EEEvSJ_: ; @_ZN7rocprim17ROCPRIM_400000_NS6detail17trampoline_kernelINS0_14default_configENS1_38merge_sort_block_merge_config_selectorIiiEEZZNS1_27merge_sort_block_merge_implIS3_N6thrust23THRUST_200600_302600_NS6detail15normal_iteratorINS8_10device_ptrIiEEEESD_jNS1_19radix_merge_compareILb0ELb0EiNS0_19identity_decomposerEEEEE10hipError_tT0_T1_T2_jT3_P12ihipStream_tbPNSt15iterator_traitsISI_E10value_typeEPNSO_ISJ_E10value_typeEPSK_NS1_7vsmem_tEENKUlT_SI_SJ_SK_E_clIPiSD_S10_SD_EESH_SX_SI_SJ_SK_EUlSX_E0_NS1_11comp_targetILNS1_3genE10ELNS1_11target_archE1201ELNS1_3gpuE5ELNS1_3repE0EEENS1_38merge_mergepath_config_static_selectorELNS0_4arch9wavefront6targetE0EEEvSJ_
; %bb.0:
	.section	.rodata,"a",@progbits
	.p2align	6, 0x0
	.amdhsa_kernel _ZN7rocprim17ROCPRIM_400000_NS6detail17trampoline_kernelINS0_14default_configENS1_38merge_sort_block_merge_config_selectorIiiEEZZNS1_27merge_sort_block_merge_implIS3_N6thrust23THRUST_200600_302600_NS6detail15normal_iteratorINS8_10device_ptrIiEEEESD_jNS1_19radix_merge_compareILb0ELb0EiNS0_19identity_decomposerEEEEE10hipError_tT0_T1_T2_jT3_P12ihipStream_tbPNSt15iterator_traitsISI_E10value_typeEPNSO_ISJ_E10value_typeEPSK_NS1_7vsmem_tEENKUlT_SI_SJ_SK_E_clIPiSD_S10_SD_EESH_SX_SI_SJ_SK_EUlSX_E0_NS1_11comp_targetILNS1_3genE10ELNS1_11target_archE1201ELNS1_3gpuE5ELNS1_3repE0EEENS1_38merge_mergepath_config_static_selectorELNS0_4arch9wavefront6targetE0EEEvSJ_
		.amdhsa_group_segment_fixed_size 0
		.amdhsa_private_segment_fixed_size 0
		.amdhsa_kernarg_size 64
		.amdhsa_user_sgpr_count 6
		.amdhsa_user_sgpr_private_segment_buffer 1
		.amdhsa_user_sgpr_dispatch_ptr 0
		.amdhsa_user_sgpr_queue_ptr 0
		.amdhsa_user_sgpr_kernarg_segment_ptr 1
		.amdhsa_user_sgpr_dispatch_id 0
		.amdhsa_user_sgpr_flat_scratch_init 0
		.amdhsa_user_sgpr_private_segment_size 0
		.amdhsa_wavefront_size32 1
		.amdhsa_uses_dynamic_stack 0
		.amdhsa_system_sgpr_private_segment_wavefront_offset 0
		.amdhsa_system_sgpr_workgroup_id_x 1
		.amdhsa_system_sgpr_workgroup_id_y 0
		.amdhsa_system_sgpr_workgroup_id_z 0
		.amdhsa_system_sgpr_workgroup_info 0
		.amdhsa_system_vgpr_workitem_id 0
		.amdhsa_next_free_vgpr 1
		.amdhsa_next_free_sgpr 1
		.amdhsa_reserve_vcc 0
		.amdhsa_reserve_flat_scratch 0
		.amdhsa_float_round_mode_32 0
		.amdhsa_float_round_mode_16_64 0
		.amdhsa_float_denorm_mode_32 3
		.amdhsa_float_denorm_mode_16_64 3
		.amdhsa_dx10_clamp 1
		.amdhsa_ieee_mode 1
		.amdhsa_fp16_overflow 0
		.amdhsa_workgroup_processor_mode 1
		.amdhsa_memory_ordered 1
		.amdhsa_forward_progress 1
		.amdhsa_shared_vgpr_count 0
		.amdhsa_exception_fp_ieee_invalid_op 0
		.amdhsa_exception_fp_denorm_src 0
		.amdhsa_exception_fp_ieee_div_zero 0
		.amdhsa_exception_fp_ieee_overflow 0
		.amdhsa_exception_fp_ieee_underflow 0
		.amdhsa_exception_fp_ieee_inexact 0
		.amdhsa_exception_int_div_zero 0
	.end_amdhsa_kernel
	.section	.text._ZN7rocprim17ROCPRIM_400000_NS6detail17trampoline_kernelINS0_14default_configENS1_38merge_sort_block_merge_config_selectorIiiEEZZNS1_27merge_sort_block_merge_implIS3_N6thrust23THRUST_200600_302600_NS6detail15normal_iteratorINS8_10device_ptrIiEEEESD_jNS1_19radix_merge_compareILb0ELb0EiNS0_19identity_decomposerEEEEE10hipError_tT0_T1_T2_jT3_P12ihipStream_tbPNSt15iterator_traitsISI_E10value_typeEPNSO_ISJ_E10value_typeEPSK_NS1_7vsmem_tEENKUlT_SI_SJ_SK_E_clIPiSD_S10_SD_EESH_SX_SI_SJ_SK_EUlSX_E0_NS1_11comp_targetILNS1_3genE10ELNS1_11target_archE1201ELNS1_3gpuE5ELNS1_3repE0EEENS1_38merge_mergepath_config_static_selectorELNS0_4arch9wavefront6targetE0EEEvSJ_,"axG",@progbits,_ZN7rocprim17ROCPRIM_400000_NS6detail17trampoline_kernelINS0_14default_configENS1_38merge_sort_block_merge_config_selectorIiiEEZZNS1_27merge_sort_block_merge_implIS3_N6thrust23THRUST_200600_302600_NS6detail15normal_iteratorINS8_10device_ptrIiEEEESD_jNS1_19radix_merge_compareILb0ELb0EiNS0_19identity_decomposerEEEEE10hipError_tT0_T1_T2_jT3_P12ihipStream_tbPNSt15iterator_traitsISI_E10value_typeEPNSO_ISJ_E10value_typeEPSK_NS1_7vsmem_tEENKUlT_SI_SJ_SK_E_clIPiSD_S10_SD_EESH_SX_SI_SJ_SK_EUlSX_E0_NS1_11comp_targetILNS1_3genE10ELNS1_11target_archE1201ELNS1_3gpuE5ELNS1_3repE0EEENS1_38merge_mergepath_config_static_selectorELNS0_4arch9wavefront6targetE0EEEvSJ_,comdat
.Lfunc_end717:
	.size	_ZN7rocprim17ROCPRIM_400000_NS6detail17trampoline_kernelINS0_14default_configENS1_38merge_sort_block_merge_config_selectorIiiEEZZNS1_27merge_sort_block_merge_implIS3_N6thrust23THRUST_200600_302600_NS6detail15normal_iteratorINS8_10device_ptrIiEEEESD_jNS1_19radix_merge_compareILb0ELb0EiNS0_19identity_decomposerEEEEE10hipError_tT0_T1_T2_jT3_P12ihipStream_tbPNSt15iterator_traitsISI_E10value_typeEPNSO_ISJ_E10value_typeEPSK_NS1_7vsmem_tEENKUlT_SI_SJ_SK_E_clIPiSD_S10_SD_EESH_SX_SI_SJ_SK_EUlSX_E0_NS1_11comp_targetILNS1_3genE10ELNS1_11target_archE1201ELNS1_3gpuE5ELNS1_3repE0EEENS1_38merge_mergepath_config_static_selectorELNS0_4arch9wavefront6targetE0EEEvSJ_, .Lfunc_end717-_ZN7rocprim17ROCPRIM_400000_NS6detail17trampoline_kernelINS0_14default_configENS1_38merge_sort_block_merge_config_selectorIiiEEZZNS1_27merge_sort_block_merge_implIS3_N6thrust23THRUST_200600_302600_NS6detail15normal_iteratorINS8_10device_ptrIiEEEESD_jNS1_19radix_merge_compareILb0ELb0EiNS0_19identity_decomposerEEEEE10hipError_tT0_T1_T2_jT3_P12ihipStream_tbPNSt15iterator_traitsISI_E10value_typeEPNSO_ISJ_E10value_typeEPSK_NS1_7vsmem_tEENKUlT_SI_SJ_SK_E_clIPiSD_S10_SD_EESH_SX_SI_SJ_SK_EUlSX_E0_NS1_11comp_targetILNS1_3genE10ELNS1_11target_archE1201ELNS1_3gpuE5ELNS1_3repE0EEENS1_38merge_mergepath_config_static_selectorELNS0_4arch9wavefront6targetE0EEEvSJ_
                                        ; -- End function
	.set _ZN7rocprim17ROCPRIM_400000_NS6detail17trampoline_kernelINS0_14default_configENS1_38merge_sort_block_merge_config_selectorIiiEEZZNS1_27merge_sort_block_merge_implIS3_N6thrust23THRUST_200600_302600_NS6detail15normal_iteratorINS8_10device_ptrIiEEEESD_jNS1_19radix_merge_compareILb0ELb0EiNS0_19identity_decomposerEEEEE10hipError_tT0_T1_T2_jT3_P12ihipStream_tbPNSt15iterator_traitsISI_E10value_typeEPNSO_ISJ_E10value_typeEPSK_NS1_7vsmem_tEENKUlT_SI_SJ_SK_E_clIPiSD_S10_SD_EESH_SX_SI_SJ_SK_EUlSX_E0_NS1_11comp_targetILNS1_3genE10ELNS1_11target_archE1201ELNS1_3gpuE5ELNS1_3repE0EEENS1_38merge_mergepath_config_static_selectorELNS0_4arch9wavefront6targetE0EEEvSJ_.num_vgpr, 0
	.set _ZN7rocprim17ROCPRIM_400000_NS6detail17trampoline_kernelINS0_14default_configENS1_38merge_sort_block_merge_config_selectorIiiEEZZNS1_27merge_sort_block_merge_implIS3_N6thrust23THRUST_200600_302600_NS6detail15normal_iteratorINS8_10device_ptrIiEEEESD_jNS1_19radix_merge_compareILb0ELb0EiNS0_19identity_decomposerEEEEE10hipError_tT0_T1_T2_jT3_P12ihipStream_tbPNSt15iterator_traitsISI_E10value_typeEPNSO_ISJ_E10value_typeEPSK_NS1_7vsmem_tEENKUlT_SI_SJ_SK_E_clIPiSD_S10_SD_EESH_SX_SI_SJ_SK_EUlSX_E0_NS1_11comp_targetILNS1_3genE10ELNS1_11target_archE1201ELNS1_3gpuE5ELNS1_3repE0EEENS1_38merge_mergepath_config_static_selectorELNS0_4arch9wavefront6targetE0EEEvSJ_.num_agpr, 0
	.set _ZN7rocprim17ROCPRIM_400000_NS6detail17trampoline_kernelINS0_14default_configENS1_38merge_sort_block_merge_config_selectorIiiEEZZNS1_27merge_sort_block_merge_implIS3_N6thrust23THRUST_200600_302600_NS6detail15normal_iteratorINS8_10device_ptrIiEEEESD_jNS1_19radix_merge_compareILb0ELb0EiNS0_19identity_decomposerEEEEE10hipError_tT0_T1_T2_jT3_P12ihipStream_tbPNSt15iterator_traitsISI_E10value_typeEPNSO_ISJ_E10value_typeEPSK_NS1_7vsmem_tEENKUlT_SI_SJ_SK_E_clIPiSD_S10_SD_EESH_SX_SI_SJ_SK_EUlSX_E0_NS1_11comp_targetILNS1_3genE10ELNS1_11target_archE1201ELNS1_3gpuE5ELNS1_3repE0EEENS1_38merge_mergepath_config_static_selectorELNS0_4arch9wavefront6targetE0EEEvSJ_.numbered_sgpr, 0
	.set _ZN7rocprim17ROCPRIM_400000_NS6detail17trampoline_kernelINS0_14default_configENS1_38merge_sort_block_merge_config_selectorIiiEEZZNS1_27merge_sort_block_merge_implIS3_N6thrust23THRUST_200600_302600_NS6detail15normal_iteratorINS8_10device_ptrIiEEEESD_jNS1_19radix_merge_compareILb0ELb0EiNS0_19identity_decomposerEEEEE10hipError_tT0_T1_T2_jT3_P12ihipStream_tbPNSt15iterator_traitsISI_E10value_typeEPNSO_ISJ_E10value_typeEPSK_NS1_7vsmem_tEENKUlT_SI_SJ_SK_E_clIPiSD_S10_SD_EESH_SX_SI_SJ_SK_EUlSX_E0_NS1_11comp_targetILNS1_3genE10ELNS1_11target_archE1201ELNS1_3gpuE5ELNS1_3repE0EEENS1_38merge_mergepath_config_static_selectorELNS0_4arch9wavefront6targetE0EEEvSJ_.num_named_barrier, 0
	.set _ZN7rocprim17ROCPRIM_400000_NS6detail17trampoline_kernelINS0_14default_configENS1_38merge_sort_block_merge_config_selectorIiiEEZZNS1_27merge_sort_block_merge_implIS3_N6thrust23THRUST_200600_302600_NS6detail15normal_iteratorINS8_10device_ptrIiEEEESD_jNS1_19radix_merge_compareILb0ELb0EiNS0_19identity_decomposerEEEEE10hipError_tT0_T1_T2_jT3_P12ihipStream_tbPNSt15iterator_traitsISI_E10value_typeEPNSO_ISJ_E10value_typeEPSK_NS1_7vsmem_tEENKUlT_SI_SJ_SK_E_clIPiSD_S10_SD_EESH_SX_SI_SJ_SK_EUlSX_E0_NS1_11comp_targetILNS1_3genE10ELNS1_11target_archE1201ELNS1_3gpuE5ELNS1_3repE0EEENS1_38merge_mergepath_config_static_selectorELNS0_4arch9wavefront6targetE0EEEvSJ_.private_seg_size, 0
	.set _ZN7rocprim17ROCPRIM_400000_NS6detail17trampoline_kernelINS0_14default_configENS1_38merge_sort_block_merge_config_selectorIiiEEZZNS1_27merge_sort_block_merge_implIS3_N6thrust23THRUST_200600_302600_NS6detail15normal_iteratorINS8_10device_ptrIiEEEESD_jNS1_19radix_merge_compareILb0ELb0EiNS0_19identity_decomposerEEEEE10hipError_tT0_T1_T2_jT3_P12ihipStream_tbPNSt15iterator_traitsISI_E10value_typeEPNSO_ISJ_E10value_typeEPSK_NS1_7vsmem_tEENKUlT_SI_SJ_SK_E_clIPiSD_S10_SD_EESH_SX_SI_SJ_SK_EUlSX_E0_NS1_11comp_targetILNS1_3genE10ELNS1_11target_archE1201ELNS1_3gpuE5ELNS1_3repE0EEENS1_38merge_mergepath_config_static_selectorELNS0_4arch9wavefront6targetE0EEEvSJ_.uses_vcc, 0
	.set _ZN7rocprim17ROCPRIM_400000_NS6detail17trampoline_kernelINS0_14default_configENS1_38merge_sort_block_merge_config_selectorIiiEEZZNS1_27merge_sort_block_merge_implIS3_N6thrust23THRUST_200600_302600_NS6detail15normal_iteratorINS8_10device_ptrIiEEEESD_jNS1_19radix_merge_compareILb0ELb0EiNS0_19identity_decomposerEEEEE10hipError_tT0_T1_T2_jT3_P12ihipStream_tbPNSt15iterator_traitsISI_E10value_typeEPNSO_ISJ_E10value_typeEPSK_NS1_7vsmem_tEENKUlT_SI_SJ_SK_E_clIPiSD_S10_SD_EESH_SX_SI_SJ_SK_EUlSX_E0_NS1_11comp_targetILNS1_3genE10ELNS1_11target_archE1201ELNS1_3gpuE5ELNS1_3repE0EEENS1_38merge_mergepath_config_static_selectorELNS0_4arch9wavefront6targetE0EEEvSJ_.uses_flat_scratch, 0
	.set _ZN7rocprim17ROCPRIM_400000_NS6detail17trampoline_kernelINS0_14default_configENS1_38merge_sort_block_merge_config_selectorIiiEEZZNS1_27merge_sort_block_merge_implIS3_N6thrust23THRUST_200600_302600_NS6detail15normal_iteratorINS8_10device_ptrIiEEEESD_jNS1_19radix_merge_compareILb0ELb0EiNS0_19identity_decomposerEEEEE10hipError_tT0_T1_T2_jT3_P12ihipStream_tbPNSt15iterator_traitsISI_E10value_typeEPNSO_ISJ_E10value_typeEPSK_NS1_7vsmem_tEENKUlT_SI_SJ_SK_E_clIPiSD_S10_SD_EESH_SX_SI_SJ_SK_EUlSX_E0_NS1_11comp_targetILNS1_3genE10ELNS1_11target_archE1201ELNS1_3gpuE5ELNS1_3repE0EEENS1_38merge_mergepath_config_static_selectorELNS0_4arch9wavefront6targetE0EEEvSJ_.has_dyn_sized_stack, 0
	.set _ZN7rocprim17ROCPRIM_400000_NS6detail17trampoline_kernelINS0_14default_configENS1_38merge_sort_block_merge_config_selectorIiiEEZZNS1_27merge_sort_block_merge_implIS3_N6thrust23THRUST_200600_302600_NS6detail15normal_iteratorINS8_10device_ptrIiEEEESD_jNS1_19radix_merge_compareILb0ELb0EiNS0_19identity_decomposerEEEEE10hipError_tT0_T1_T2_jT3_P12ihipStream_tbPNSt15iterator_traitsISI_E10value_typeEPNSO_ISJ_E10value_typeEPSK_NS1_7vsmem_tEENKUlT_SI_SJ_SK_E_clIPiSD_S10_SD_EESH_SX_SI_SJ_SK_EUlSX_E0_NS1_11comp_targetILNS1_3genE10ELNS1_11target_archE1201ELNS1_3gpuE5ELNS1_3repE0EEENS1_38merge_mergepath_config_static_selectorELNS0_4arch9wavefront6targetE0EEEvSJ_.has_recursion, 0
	.set _ZN7rocprim17ROCPRIM_400000_NS6detail17trampoline_kernelINS0_14default_configENS1_38merge_sort_block_merge_config_selectorIiiEEZZNS1_27merge_sort_block_merge_implIS3_N6thrust23THRUST_200600_302600_NS6detail15normal_iteratorINS8_10device_ptrIiEEEESD_jNS1_19radix_merge_compareILb0ELb0EiNS0_19identity_decomposerEEEEE10hipError_tT0_T1_T2_jT3_P12ihipStream_tbPNSt15iterator_traitsISI_E10value_typeEPNSO_ISJ_E10value_typeEPSK_NS1_7vsmem_tEENKUlT_SI_SJ_SK_E_clIPiSD_S10_SD_EESH_SX_SI_SJ_SK_EUlSX_E0_NS1_11comp_targetILNS1_3genE10ELNS1_11target_archE1201ELNS1_3gpuE5ELNS1_3repE0EEENS1_38merge_mergepath_config_static_selectorELNS0_4arch9wavefront6targetE0EEEvSJ_.has_indirect_call, 0
	.section	.AMDGPU.csdata,"",@progbits
; Kernel info:
; codeLenInByte = 0
; TotalNumSgprs: 0
; NumVgprs: 0
; ScratchSize: 0
; MemoryBound: 0
; FloatMode: 240
; IeeeMode: 1
; LDSByteSize: 0 bytes/workgroup (compile time only)
; SGPRBlocks: 0
; VGPRBlocks: 0
; NumSGPRsForWavesPerEU: 1
; NumVGPRsForWavesPerEU: 1
; Occupancy: 16
; WaveLimiterHint : 0
; COMPUTE_PGM_RSRC2:SCRATCH_EN: 0
; COMPUTE_PGM_RSRC2:USER_SGPR: 6
; COMPUTE_PGM_RSRC2:TRAP_HANDLER: 0
; COMPUTE_PGM_RSRC2:TGID_X_EN: 1
; COMPUTE_PGM_RSRC2:TGID_Y_EN: 0
; COMPUTE_PGM_RSRC2:TGID_Z_EN: 0
; COMPUTE_PGM_RSRC2:TIDIG_COMP_CNT: 0
	.section	.text._ZN7rocprim17ROCPRIM_400000_NS6detail17trampoline_kernelINS0_14default_configENS1_38merge_sort_block_merge_config_selectorIiiEEZZNS1_27merge_sort_block_merge_implIS3_N6thrust23THRUST_200600_302600_NS6detail15normal_iteratorINS8_10device_ptrIiEEEESD_jNS1_19radix_merge_compareILb0ELb0EiNS0_19identity_decomposerEEEEE10hipError_tT0_T1_T2_jT3_P12ihipStream_tbPNSt15iterator_traitsISI_E10value_typeEPNSO_ISJ_E10value_typeEPSK_NS1_7vsmem_tEENKUlT_SI_SJ_SK_E_clIPiSD_S10_SD_EESH_SX_SI_SJ_SK_EUlSX_E0_NS1_11comp_targetILNS1_3genE5ELNS1_11target_archE942ELNS1_3gpuE9ELNS1_3repE0EEENS1_38merge_mergepath_config_static_selectorELNS0_4arch9wavefront6targetE0EEEvSJ_,"axG",@progbits,_ZN7rocprim17ROCPRIM_400000_NS6detail17trampoline_kernelINS0_14default_configENS1_38merge_sort_block_merge_config_selectorIiiEEZZNS1_27merge_sort_block_merge_implIS3_N6thrust23THRUST_200600_302600_NS6detail15normal_iteratorINS8_10device_ptrIiEEEESD_jNS1_19radix_merge_compareILb0ELb0EiNS0_19identity_decomposerEEEEE10hipError_tT0_T1_T2_jT3_P12ihipStream_tbPNSt15iterator_traitsISI_E10value_typeEPNSO_ISJ_E10value_typeEPSK_NS1_7vsmem_tEENKUlT_SI_SJ_SK_E_clIPiSD_S10_SD_EESH_SX_SI_SJ_SK_EUlSX_E0_NS1_11comp_targetILNS1_3genE5ELNS1_11target_archE942ELNS1_3gpuE9ELNS1_3repE0EEENS1_38merge_mergepath_config_static_selectorELNS0_4arch9wavefront6targetE0EEEvSJ_,comdat
	.protected	_ZN7rocprim17ROCPRIM_400000_NS6detail17trampoline_kernelINS0_14default_configENS1_38merge_sort_block_merge_config_selectorIiiEEZZNS1_27merge_sort_block_merge_implIS3_N6thrust23THRUST_200600_302600_NS6detail15normal_iteratorINS8_10device_ptrIiEEEESD_jNS1_19radix_merge_compareILb0ELb0EiNS0_19identity_decomposerEEEEE10hipError_tT0_T1_T2_jT3_P12ihipStream_tbPNSt15iterator_traitsISI_E10value_typeEPNSO_ISJ_E10value_typeEPSK_NS1_7vsmem_tEENKUlT_SI_SJ_SK_E_clIPiSD_S10_SD_EESH_SX_SI_SJ_SK_EUlSX_E0_NS1_11comp_targetILNS1_3genE5ELNS1_11target_archE942ELNS1_3gpuE9ELNS1_3repE0EEENS1_38merge_mergepath_config_static_selectorELNS0_4arch9wavefront6targetE0EEEvSJ_ ; -- Begin function _ZN7rocprim17ROCPRIM_400000_NS6detail17trampoline_kernelINS0_14default_configENS1_38merge_sort_block_merge_config_selectorIiiEEZZNS1_27merge_sort_block_merge_implIS3_N6thrust23THRUST_200600_302600_NS6detail15normal_iteratorINS8_10device_ptrIiEEEESD_jNS1_19radix_merge_compareILb0ELb0EiNS0_19identity_decomposerEEEEE10hipError_tT0_T1_T2_jT3_P12ihipStream_tbPNSt15iterator_traitsISI_E10value_typeEPNSO_ISJ_E10value_typeEPSK_NS1_7vsmem_tEENKUlT_SI_SJ_SK_E_clIPiSD_S10_SD_EESH_SX_SI_SJ_SK_EUlSX_E0_NS1_11comp_targetILNS1_3genE5ELNS1_11target_archE942ELNS1_3gpuE9ELNS1_3repE0EEENS1_38merge_mergepath_config_static_selectorELNS0_4arch9wavefront6targetE0EEEvSJ_
	.globl	_ZN7rocprim17ROCPRIM_400000_NS6detail17trampoline_kernelINS0_14default_configENS1_38merge_sort_block_merge_config_selectorIiiEEZZNS1_27merge_sort_block_merge_implIS3_N6thrust23THRUST_200600_302600_NS6detail15normal_iteratorINS8_10device_ptrIiEEEESD_jNS1_19radix_merge_compareILb0ELb0EiNS0_19identity_decomposerEEEEE10hipError_tT0_T1_T2_jT3_P12ihipStream_tbPNSt15iterator_traitsISI_E10value_typeEPNSO_ISJ_E10value_typeEPSK_NS1_7vsmem_tEENKUlT_SI_SJ_SK_E_clIPiSD_S10_SD_EESH_SX_SI_SJ_SK_EUlSX_E0_NS1_11comp_targetILNS1_3genE5ELNS1_11target_archE942ELNS1_3gpuE9ELNS1_3repE0EEENS1_38merge_mergepath_config_static_selectorELNS0_4arch9wavefront6targetE0EEEvSJ_
	.p2align	8
	.type	_ZN7rocprim17ROCPRIM_400000_NS6detail17trampoline_kernelINS0_14default_configENS1_38merge_sort_block_merge_config_selectorIiiEEZZNS1_27merge_sort_block_merge_implIS3_N6thrust23THRUST_200600_302600_NS6detail15normal_iteratorINS8_10device_ptrIiEEEESD_jNS1_19radix_merge_compareILb0ELb0EiNS0_19identity_decomposerEEEEE10hipError_tT0_T1_T2_jT3_P12ihipStream_tbPNSt15iterator_traitsISI_E10value_typeEPNSO_ISJ_E10value_typeEPSK_NS1_7vsmem_tEENKUlT_SI_SJ_SK_E_clIPiSD_S10_SD_EESH_SX_SI_SJ_SK_EUlSX_E0_NS1_11comp_targetILNS1_3genE5ELNS1_11target_archE942ELNS1_3gpuE9ELNS1_3repE0EEENS1_38merge_mergepath_config_static_selectorELNS0_4arch9wavefront6targetE0EEEvSJ_,@function
_ZN7rocprim17ROCPRIM_400000_NS6detail17trampoline_kernelINS0_14default_configENS1_38merge_sort_block_merge_config_selectorIiiEEZZNS1_27merge_sort_block_merge_implIS3_N6thrust23THRUST_200600_302600_NS6detail15normal_iteratorINS8_10device_ptrIiEEEESD_jNS1_19radix_merge_compareILb0ELb0EiNS0_19identity_decomposerEEEEE10hipError_tT0_T1_T2_jT3_P12ihipStream_tbPNSt15iterator_traitsISI_E10value_typeEPNSO_ISJ_E10value_typeEPSK_NS1_7vsmem_tEENKUlT_SI_SJ_SK_E_clIPiSD_S10_SD_EESH_SX_SI_SJ_SK_EUlSX_E0_NS1_11comp_targetILNS1_3genE5ELNS1_11target_archE942ELNS1_3gpuE9ELNS1_3repE0EEENS1_38merge_mergepath_config_static_selectorELNS0_4arch9wavefront6targetE0EEEvSJ_: ; @_ZN7rocprim17ROCPRIM_400000_NS6detail17trampoline_kernelINS0_14default_configENS1_38merge_sort_block_merge_config_selectorIiiEEZZNS1_27merge_sort_block_merge_implIS3_N6thrust23THRUST_200600_302600_NS6detail15normal_iteratorINS8_10device_ptrIiEEEESD_jNS1_19radix_merge_compareILb0ELb0EiNS0_19identity_decomposerEEEEE10hipError_tT0_T1_T2_jT3_P12ihipStream_tbPNSt15iterator_traitsISI_E10value_typeEPNSO_ISJ_E10value_typeEPSK_NS1_7vsmem_tEENKUlT_SI_SJ_SK_E_clIPiSD_S10_SD_EESH_SX_SI_SJ_SK_EUlSX_E0_NS1_11comp_targetILNS1_3genE5ELNS1_11target_archE942ELNS1_3gpuE9ELNS1_3repE0EEENS1_38merge_mergepath_config_static_selectorELNS0_4arch9wavefront6targetE0EEEvSJ_
; %bb.0:
	.section	.rodata,"a",@progbits
	.p2align	6, 0x0
	.amdhsa_kernel _ZN7rocprim17ROCPRIM_400000_NS6detail17trampoline_kernelINS0_14default_configENS1_38merge_sort_block_merge_config_selectorIiiEEZZNS1_27merge_sort_block_merge_implIS3_N6thrust23THRUST_200600_302600_NS6detail15normal_iteratorINS8_10device_ptrIiEEEESD_jNS1_19radix_merge_compareILb0ELb0EiNS0_19identity_decomposerEEEEE10hipError_tT0_T1_T2_jT3_P12ihipStream_tbPNSt15iterator_traitsISI_E10value_typeEPNSO_ISJ_E10value_typeEPSK_NS1_7vsmem_tEENKUlT_SI_SJ_SK_E_clIPiSD_S10_SD_EESH_SX_SI_SJ_SK_EUlSX_E0_NS1_11comp_targetILNS1_3genE5ELNS1_11target_archE942ELNS1_3gpuE9ELNS1_3repE0EEENS1_38merge_mergepath_config_static_selectorELNS0_4arch9wavefront6targetE0EEEvSJ_
		.amdhsa_group_segment_fixed_size 0
		.amdhsa_private_segment_fixed_size 0
		.amdhsa_kernarg_size 64
		.amdhsa_user_sgpr_count 6
		.amdhsa_user_sgpr_private_segment_buffer 1
		.amdhsa_user_sgpr_dispatch_ptr 0
		.amdhsa_user_sgpr_queue_ptr 0
		.amdhsa_user_sgpr_kernarg_segment_ptr 1
		.amdhsa_user_sgpr_dispatch_id 0
		.amdhsa_user_sgpr_flat_scratch_init 0
		.amdhsa_user_sgpr_private_segment_size 0
		.amdhsa_wavefront_size32 1
		.amdhsa_uses_dynamic_stack 0
		.amdhsa_system_sgpr_private_segment_wavefront_offset 0
		.amdhsa_system_sgpr_workgroup_id_x 1
		.amdhsa_system_sgpr_workgroup_id_y 0
		.amdhsa_system_sgpr_workgroup_id_z 0
		.amdhsa_system_sgpr_workgroup_info 0
		.amdhsa_system_vgpr_workitem_id 0
		.amdhsa_next_free_vgpr 1
		.amdhsa_next_free_sgpr 1
		.amdhsa_reserve_vcc 0
		.amdhsa_reserve_flat_scratch 0
		.amdhsa_float_round_mode_32 0
		.amdhsa_float_round_mode_16_64 0
		.amdhsa_float_denorm_mode_32 3
		.amdhsa_float_denorm_mode_16_64 3
		.amdhsa_dx10_clamp 1
		.amdhsa_ieee_mode 1
		.amdhsa_fp16_overflow 0
		.amdhsa_workgroup_processor_mode 1
		.amdhsa_memory_ordered 1
		.amdhsa_forward_progress 1
		.amdhsa_shared_vgpr_count 0
		.amdhsa_exception_fp_ieee_invalid_op 0
		.amdhsa_exception_fp_denorm_src 0
		.amdhsa_exception_fp_ieee_div_zero 0
		.amdhsa_exception_fp_ieee_overflow 0
		.amdhsa_exception_fp_ieee_underflow 0
		.amdhsa_exception_fp_ieee_inexact 0
		.amdhsa_exception_int_div_zero 0
	.end_amdhsa_kernel
	.section	.text._ZN7rocprim17ROCPRIM_400000_NS6detail17trampoline_kernelINS0_14default_configENS1_38merge_sort_block_merge_config_selectorIiiEEZZNS1_27merge_sort_block_merge_implIS3_N6thrust23THRUST_200600_302600_NS6detail15normal_iteratorINS8_10device_ptrIiEEEESD_jNS1_19radix_merge_compareILb0ELb0EiNS0_19identity_decomposerEEEEE10hipError_tT0_T1_T2_jT3_P12ihipStream_tbPNSt15iterator_traitsISI_E10value_typeEPNSO_ISJ_E10value_typeEPSK_NS1_7vsmem_tEENKUlT_SI_SJ_SK_E_clIPiSD_S10_SD_EESH_SX_SI_SJ_SK_EUlSX_E0_NS1_11comp_targetILNS1_3genE5ELNS1_11target_archE942ELNS1_3gpuE9ELNS1_3repE0EEENS1_38merge_mergepath_config_static_selectorELNS0_4arch9wavefront6targetE0EEEvSJ_,"axG",@progbits,_ZN7rocprim17ROCPRIM_400000_NS6detail17trampoline_kernelINS0_14default_configENS1_38merge_sort_block_merge_config_selectorIiiEEZZNS1_27merge_sort_block_merge_implIS3_N6thrust23THRUST_200600_302600_NS6detail15normal_iteratorINS8_10device_ptrIiEEEESD_jNS1_19radix_merge_compareILb0ELb0EiNS0_19identity_decomposerEEEEE10hipError_tT0_T1_T2_jT3_P12ihipStream_tbPNSt15iterator_traitsISI_E10value_typeEPNSO_ISJ_E10value_typeEPSK_NS1_7vsmem_tEENKUlT_SI_SJ_SK_E_clIPiSD_S10_SD_EESH_SX_SI_SJ_SK_EUlSX_E0_NS1_11comp_targetILNS1_3genE5ELNS1_11target_archE942ELNS1_3gpuE9ELNS1_3repE0EEENS1_38merge_mergepath_config_static_selectorELNS0_4arch9wavefront6targetE0EEEvSJ_,comdat
.Lfunc_end718:
	.size	_ZN7rocprim17ROCPRIM_400000_NS6detail17trampoline_kernelINS0_14default_configENS1_38merge_sort_block_merge_config_selectorIiiEEZZNS1_27merge_sort_block_merge_implIS3_N6thrust23THRUST_200600_302600_NS6detail15normal_iteratorINS8_10device_ptrIiEEEESD_jNS1_19radix_merge_compareILb0ELb0EiNS0_19identity_decomposerEEEEE10hipError_tT0_T1_T2_jT3_P12ihipStream_tbPNSt15iterator_traitsISI_E10value_typeEPNSO_ISJ_E10value_typeEPSK_NS1_7vsmem_tEENKUlT_SI_SJ_SK_E_clIPiSD_S10_SD_EESH_SX_SI_SJ_SK_EUlSX_E0_NS1_11comp_targetILNS1_3genE5ELNS1_11target_archE942ELNS1_3gpuE9ELNS1_3repE0EEENS1_38merge_mergepath_config_static_selectorELNS0_4arch9wavefront6targetE0EEEvSJ_, .Lfunc_end718-_ZN7rocprim17ROCPRIM_400000_NS6detail17trampoline_kernelINS0_14default_configENS1_38merge_sort_block_merge_config_selectorIiiEEZZNS1_27merge_sort_block_merge_implIS3_N6thrust23THRUST_200600_302600_NS6detail15normal_iteratorINS8_10device_ptrIiEEEESD_jNS1_19radix_merge_compareILb0ELb0EiNS0_19identity_decomposerEEEEE10hipError_tT0_T1_T2_jT3_P12ihipStream_tbPNSt15iterator_traitsISI_E10value_typeEPNSO_ISJ_E10value_typeEPSK_NS1_7vsmem_tEENKUlT_SI_SJ_SK_E_clIPiSD_S10_SD_EESH_SX_SI_SJ_SK_EUlSX_E0_NS1_11comp_targetILNS1_3genE5ELNS1_11target_archE942ELNS1_3gpuE9ELNS1_3repE0EEENS1_38merge_mergepath_config_static_selectorELNS0_4arch9wavefront6targetE0EEEvSJ_
                                        ; -- End function
	.set _ZN7rocprim17ROCPRIM_400000_NS6detail17trampoline_kernelINS0_14default_configENS1_38merge_sort_block_merge_config_selectorIiiEEZZNS1_27merge_sort_block_merge_implIS3_N6thrust23THRUST_200600_302600_NS6detail15normal_iteratorINS8_10device_ptrIiEEEESD_jNS1_19radix_merge_compareILb0ELb0EiNS0_19identity_decomposerEEEEE10hipError_tT0_T1_T2_jT3_P12ihipStream_tbPNSt15iterator_traitsISI_E10value_typeEPNSO_ISJ_E10value_typeEPSK_NS1_7vsmem_tEENKUlT_SI_SJ_SK_E_clIPiSD_S10_SD_EESH_SX_SI_SJ_SK_EUlSX_E0_NS1_11comp_targetILNS1_3genE5ELNS1_11target_archE942ELNS1_3gpuE9ELNS1_3repE0EEENS1_38merge_mergepath_config_static_selectorELNS0_4arch9wavefront6targetE0EEEvSJ_.num_vgpr, 0
	.set _ZN7rocprim17ROCPRIM_400000_NS6detail17trampoline_kernelINS0_14default_configENS1_38merge_sort_block_merge_config_selectorIiiEEZZNS1_27merge_sort_block_merge_implIS3_N6thrust23THRUST_200600_302600_NS6detail15normal_iteratorINS8_10device_ptrIiEEEESD_jNS1_19radix_merge_compareILb0ELb0EiNS0_19identity_decomposerEEEEE10hipError_tT0_T1_T2_jT3_P12ihipStream_tbPNSt15iterator_traitsISI_E10value_typeEPNSO_ISJ_E10value_typeEPSK_NS1_7vsmem_tEENKUlT_SI_SJ_SK_E_clIPiSD_S10_SD_EESH_SX_SI_SJ_SK_EUlSX_E0_NS1_11comp_targetILNS1_3genE5ELNS1_11target_archE942ELNS1_3gpuE9ELNS1_3repE0EEENS1_38merge_mergepath_config_static_selectorELNS0_4arch9wavefront6targetE0EEEvSJ_.num_agpr, 0
	.set _ZN7rocprim17ROCPRIM_400000_NS6detail17trampoline_kernelINS0_14default_configENS1_38merge_sort_block_merge_config_selectorIiiEEZZNS1_27merge_sort_block_merge_implIS3_N6thrust23THRUST_200600_302600_NS6detail15normal_iteratorINS8_10device_ptrIiEEEESD_jNS1_19radix_merge_compareILb0ELb0EiNS0_19identity_decomposerEEEEE10hipError_tT0_T1_T2_jT3_P12ihipStream_tbPNSt15iterator_traitsISI_E10value_typeEPNSO_ISJ_E10value_typeEPSK_NS1_7vsmem_tEENKUlT_SI_SJ_SK_E_clIPiSD_S10_SD_EESH_SX_SI_SJ_SK_EUlSX_E0_NS1_11comp_targetILNS1_3genE5ELNS1_11target_archE942ELNS1_3gpuE9ELNS1_3repE0EEENS1_38merge_mergepath_config_static_selectorELNS0_4arch9wavefront6targetE0EEEvSJ_.numbered_sgpr, 0
	.set _ZN7rocprim17ROCPRIM_400000_NS6detail17trampoline_kernelINS0_14default_configENS1_38merge_sort_block_merge_config_selectorIiiEEZZNS1_27merge_sort_block_merge_implIS3_N6thrust23THRUST_200600_302600_NS6detail15normal_iteratorINS8_10device_ptrIiEEEESD_jNS1_19radix_merge_compareILb0ELb0EiNS0_19identity_decomposerEEEEE10hipError_tT0_T1_T2_jT3_P12ihipStream_tbPNSt15iterator_traitsISI_E10value_typeEPNSO_ISJ_E10value_typeEPSK_NS1_7vsmem_tEENKUlT_SI_SJ_SK_E_clIPiSD_S10_SD_EESH_SX_SI_SJ_SK_EUlSX_E0_NS1_11comp_targetILNS1_3genE5ELNS1_11target_archE942ELNS1_3gpuE9ELNS1_3repE0EEENS1_38merge_mergepath_config_static_selectorELNS0_4arch9wavefront6targetE0EEEvSJ_.num_named_barrier, 0
	.set _ZN7rocprim17ROCPRIM_400000_NS6detail17trampoline_kernelINS0_14default_configENS1_38merge_sort_block_merge_config_selectorIiiEEZZNS1_27merge_sort_block_merge_implIS3_N6thrust23THRUST_200600_302600_NS6detail15normal_iteratorINS8_10device_ptrIiEEEESD_jNS1_19radix_merge_compareILb0ELb0EiNS0_19identity_decomposerEEEEE10hipError_tT0_T1_T2_jT3_P12ihipStream_tbPNSt15iterator_traitsISI_E10value_typeEPNSO_ISJ_E10value_typeEPSK_NS1_7vsmem_tEENKUlT_SI_SJ_SK_E_clIPiSD_S10_SD_EESH_SX_SI_SJ_SK_EUlSX_E0_NS1_11comp_targetILNS1_3genE5ELNS1_11target_archE942ELNS1_3gpuE9ELNS1_3repE0EEENS1_38merge_mergepath_config_static_selectorELNS0_4arch9wavefront6targetE0EEEvSJ_.private_seg_size, 0
	.set _ZN7rocprim17ROCPRIM_400000_NS6detail17trampoline_kernelINS0_14default_configENS1_38merge_sort_block_merge_config_selectorIiiEEZZNS1_27merge_sort_block_merge_implIS3_N6thrust23THRUST_200600_302600_NS6detail15normal_iteratorINS8_10device_ptrIiEEEESD_jNS1_19radix_merge_compareILb0ELb0EiNS0_19identity_decomposerEEEEE10hipError_tT0_T1_T2_jT3_P12ihipStream_tbPNSt15iterator_traitsISI_E10value_typeEPNSO_ISJ_E10value_typeEPSK_NS1_7vsmem_tEENKUlT_SI_SJ_SK_E_clIPiSD_S10_SD_EESH_SX_SI_SJ_SK_EUlSX_E0_NS1_11comp_targetILNS1_3genE5ELNS1_11target_archE942ELNS1_3gpuE9ELNS1_3repE0EEENS1_38merge_mergepath_config_static_selectorELNS0_4arch9wavefront6targetE0EEEvSJ_.uses_vcc, 0
	.set _ZN7rocprim17ROCPRIM_400000_NS6detail17trampoline_kernelINS0_14default_configENS1_38merge_sort_block_merge_config_selectorIiiEEZZNS1_27merge_sort_block_merge_implIS3_N6thrust23THRUST_200600_302600_NS6detail15normal_iteratorINS8_10device_ptrIiEEEESD_jNS1_19radix_merge_compareILb0ELb0EiNS0_19identity_decomposerEEEEE10hipError_tT0_T1_T2_jT3_P12ihipStream_tbPNSt15iterator_traitsISI_E10value_typeEPNSO_ISJ_E10value_typeEPSK_NS1_7vsmem_tEENKUlT_SI_SJ_SK_E_clIPiSD_S10_SD_EESH_SX_SI_SJ_SK_EUlSX_E0_NS1_11comp_targetILNS1_3genE5ELNS1_11target_archE942ELNS1_3gpuE9ELNS1_3repE0EEENS1_38merge_mergepath_config_static_selectorELNS0_4arch9wavefront6targetE0EEEvSJ_.uses_flat_scratch, 0
	.set _ZN7rocprim17ROCPRIM_400000_NS6detail17trampoline_kernelINS0_14default_configENS1_38merge_sort_block_merge_config_selectorIiiEEZZNS1_27merge_sort_block_merge_implIS3_N6thrust23THRUST_200600_302600_NS6detail15normal_iteratorINS8_10device_ptrIiEEEESD_jNS1_19radix_merge_compareILb0ELb0EiNS0_19identity_decomposerEEEEE10hipError_tT0_T1_T2_jT3_P12ihipStream_tbPNSt15iterator_traitsISI_E10value_typeEPNSO_ISJ_E10value_typeEPSK_NS1_7vsmem_tEENKUlT_SI_SJ_SK_E_clIPiSD_S10_SD_EESH_SX_SI_SJ_SK_EUlSX_E0_NS1_11comp_targetILNS1_3genE5ELNS1_11target_archE942ELNS1_3gpuE9ELNS1_3repE0EEENS1_38merge_mergepath_config_static_selectorELNS0_4arch9wavefront6targetE0EEEvSJ_.has_dyn_sized_stack, 0
	.set _ZN7rocprim17ROCPRIM_400000_NS6detail17trampoline_kernelINS0_14default_configENS1_38merge_sort_block_merge_config_selectorIiiEEZZNS1_27merge_sort_block_merge_implIS3_N6thrust23THRUST_200600_302600_NS6detail15normal_iteratorINS8_10device_ptrIiEEEESD_jNS1_19radix_merge_compareILb0ELb0EiNS0_19identity_decomposerEEEEE10hipError_tT0_T1_T2_jT3_P12ihipStream_tbPNSt15iterator_traitsISI_E10value_typeEPNSO_ISJ_E10value_typeEPSK_NS1_7vsmem_tEENKUlT_SI_SJ_SK_E_clIPiSD_S10_SD_EESH_SX_SI_SJ_SK_EUlSX_E0_NS1_11comp_targetILNS1_3genE5ELNS1_11target_archE942ELNS1_3gpuE9ELNS1_3repE0EEENS1_38merge_mergepath_config_static_selectorELNS0_4arch9wavefront6targetE0EEEvSJ_.has_recursion, 0
	.set _ZN7rocprim17ROCPRIM_400000_NS6detail17trampoline_kernelINS0_14default_configENS1_38merge_sort_block_merge_config_selectorIiiEEZZNS1_27merge_sort_block_merge_implIS3_N6thrust23THRUST_200600_302600_NS6detail15normal_iteratorINS8_10device_ptrIiEEEESD_jNS1_19radix_merge_compareILb0ELb0EiNS0_19identity_decomposerEEEEE10hipError_tT0_T1_T2_jT3_P12ihipStream_tbPNSt15iterator_traitsISI_E10value_typeEPNSO_ISJ_E10value_typeEPSK_NS1_7vsmem_tEENKUlT_SI_SJ_SK_E_clIPiSD_S10_SD_EESH_SX_SI_SJ_SK_EUlSX_E0_NS1_11comp_targetILNS1_3genE5ELNS1_11target_archE942ELNS1_3gpuE9ELNS1_3repE0EEENS1_38merge_mergepath_config_static_selectorELNS0_4arch9wavefront6targetE0EEEvSJ_.has_indirect_call, 0
	.section	.AMDGPU.csdata,"",@progbits
; Kernel info:
; codeLenInByte = 0
; TotalNumSgprs: 0
; NumVgprs: 0
; ScratchSize: 0
; MemoryBound: 0
; FloatMode: 240
; IeeeMode: 1
; LDSByteSize: 0 bytes/workgroup (compile time only)
; SGPRBlocks: 0
; VGPRBlocks: 0
; NumSGPRsForWavesPerEU: 1
; NumVGPRsForWavesPerEU: 1
; Occupancy: 16
; WaveLimiterHint : 0
; COMPUTE_PGM_RSRC2:SCRATCH_EN: 0
; COMPUTE_PGM_RSRC2:USER_SGPR: 6
; COMPUTE_PGM_RSRC2:TRAP_HANDLER: 0
; COMPUTE_PGM_RSRC2:TGID_X_EN: 1
; COMPUTE_PGM_RSRC2:TGID_Y_EN: 0
; COMPUTE_PGM_RSRC2:TGID_Z_EN: 0
; COMPUTE_PGM_RSRC2:TIDIG_COMP_CNT: 0
	.section	.text._ZN7rocprim17ROCPRIM_400000_NS6detail17trampoline_kernelINS0_14default_configENS1_38merge_sort_block_merge_config_selectorIiiEEZZNS1_27merge_sort_block_merge_implIS3_N6thrust23THRUST_200600_302600_NS6detail15normal_iteratorINS8_10device_ptrIiEEEESD_jNS1_19radix_merge_compareILb0ELb0EiNS0_19identity_decomposerEEEEE10hipError_tT0_T1_T2_jT3_P12ihipStream_tbPNSt15iterator_traitsISI_E10value_typeEPNSO_ISJ_E10value_typeEPSK_NS1_7vsmem_tEENKUlT_SI_SJ_SK_E_clIPiSD_S10_SD_EESH_SX_SI_SJ_SK_EUlSX_E0_NS1_11comp_targetILNS1_3genE4ELNS1_11target_archE910ELNS1_3gpuE8ELNS1_3repE0EEENS1_38merge_mergepath_config_static_selectorELNS0_4arch9wavefront6targetE0EEEvSJ_,"axG",@progbits,_ZN7rocprim17ROCPRIM_400000_NS6detail17trampoline_kernelINS0_14default_configENS1_38merge_sort_block_merge_config_selectorIiiEEZZNS1_27merge_sort_block_merge_implIS3_N6thrust23THRUST_200600_302600_NS6detail15normal_iteratorINS8_10device_ptrIiEEEESD_jNS1_19radix_merge_compareILb0ELb0EiNS0_19identity_decomposerEEEEE10hipError_tT0_T1_T2_jT3_P12ihipStream_tbPNSt15iterator_traitsISI_E10value_typeEPNSO_ISJ_E10value_typeEPSK_NS1_7vsmem_tEENKUlT_SI_SJ_SK_E_clIPiSD_S10_SD_EESH_SX_SI_SJ_SK_EUlSX_E0_NS1_11comp_targetILNS1_3genE4ELNS1_11target_archE910ELNS1_3gpuE8ELNS1_3repE0EEENS1_38merge_mergepath_config_static_selectorELNS0_4arch9wavefront6targetE0EEEvSJ_,comdat
	.protected	_ZN7rocprim17ROCPRIM_400000_NS6detail17trampoline_kernelINS0_14default_configENS1_38merge_sort_block_merge_config_selectorIiiEEZZNS1_27merge_sort_block_merge_implIS3_N6thrust23THRUST_200600_302600_NS6detail15normal_iteratorINS8_10device_ptrIiEEEESD_jNS1_19radix_merge_compareILb0ELb0EiNS0_19identity_decomposerEEEEE10hipError_tT0_T1_T2_jT3_P12ihipStream_tbPNSt15iterator_traitsISI_E10value_typeEPNSO_ISJ_E10value_typeEPSK_NS1_7vsmem_tEENKUlT_SI_SJ_SK_E_clIPiSD_S10_SD_EESH_SX_SI_SJ_SK_EUlSX_E0_NS1_11comp_targetILNS1_3genE4ELNS1_11target_archE910ELNS1_3gpuE8ELNS1_3repE0EEENS1_38merge_mergepath_config_static_selectorELNS0_4arch9wavefront6targetE0EEEvSJ_ ; -- Begin function _ZN7rocprim17ROCPRIM_400000_NS6detail17trampoline_kernelINS0_14default_configENS1_38merge_sort_block_merge_config_selectorIiiEEZZNS1_27merge_sort_block_merge_implIS3_N6thrust23THRUST_200600_302600_NS6detail15normal_iteratorINS8_10device_ptrIiEEEESD_jNS1_19radix_merge_compareILb0ELb0EiNS0_19identity_decomposerEEEEE10hipError_tT0_T1_T2_jT3_P12ihipStream_tbPNSt15iterator_traitsISI_E10value_typeEPNSO_ISJ_E10value_typeEPSK_NS1_7vsmem_tEENKUlT_SI_SJ_SK_E_clIPiSD_S10_SD_EESH_SX_SI_SJ_SK_EUlSX_E0_NS1_11comp_targetILNS1_3genE4ELNS1_11target_archE910ELNS1_3gpuE8ELNS1_3repE0EEENS1_38merge_mergepath_config_static_selectorELNS0_4arch9wavefront6targetE0EEEvSJ_
	.globl	_ZN7rocprim17ROCPRIM_400000_NS6detail17trampoline_kernelINS0_14default_configENS1_38merge_sort_block_merge_config_selectorIiiEEZZNS1_27merge_sort_block_merge_implIS3_N6thrust23THRUST_200600_302600_NS6detail15normal_iteratorINS8_10device_ptrIiEEEESD_jNS1_19radix_merge_compareILb0ELb0EiNS0_19identity_decomposerEEEEE10hipError_tT0_T1_T2_jT3_P12ihipStream_tbPNSt15iterator_traitsISI_E10value_typeEPNSO_ISJ_E10value_typeEPSK_NS1_7vsmem_tEENKUlT_SI_SJ_SK_E_clIPiSD_S10_SD_EESH_SX_SI_SJ_SK_EUlSX_E0_NS1_11comp_targetILNS1_3genE4ELNS1_11target_archE910ELNS1_3gpuE8ELNS1_3repE0EEENS1_38merge_mergepath_config_static_selectorELNS0_4arch9wavefront6targetE0EEEvSJ_
	.p2align	8
	.type	_ZN7rocprim17ROCPRIM_400000_NS6detail17trampoline_kernelINS0_14default_configENS1_38merge_sort_block_merge_config_selectorIiiEEZZNS1_27merge_sort_block_merge_implIS3_N6thrust23THRUST_200600_302600_NS6detail15normal_iteratorINS8_10device_ptrIiEEEESD_jNS1_19radix_merge_compareILb0ELb0EiNS0_19identity_decomposerEEEEE10hipError_tT0_T1_T2_jT3_P12ihipStream_tbPNSt15iterator_traitsISI_E10value_typeEPNSO_ISJ_E10value_typeEPSK_NS1_7vsmem_tEENKUlT_SI_SJ_SK_E_clIPiSD_S10_SD_EESH_SX_SI_SJ_SK_EUlSX_E0_NS1_11comp_targetILNS1_3genE4ELNS1_11target_archE910ELNS1_3gpuE8ELNS1_3repE0EEENS1_38merge_mergepath_config_static_selectorELNS0_4arch9wavefront6targetE0EEEvSJ_,@function
_ZN7rocprim17ROCPRIM_400000_NS6detail17trampoline_kernelINS0_14default_configENS1_38merge_sort_block_merge_config_selectorIiiEEZZNS1_27merge_sort_block_merge_implIS3_N6thrust23THRUST_200600_302600_NS6detail15normal_iteratorINS8_10device_ptrIiEEEESD_jNS1_19radix_merge_compareILb0ELb0EiNS0_19identity_decomposerEEEEE10hipError_tT0_T1_T2_jT3_P12ihipStream_tbPNSt15iterator_traitsISI_E10value_typeEPNSO_ISJ_E10value_typeEPSK_NS1_7vsmem_tEENKUlT_SI_SJ_SK_E_clIPiSD_S10_SD_EESH_SX_SI_SJ_SK_EUlSX_E0_NS1_11comp_targetILNS1_3genE4ELNS1_11target_archE910ELNS1_3gpuE8ELNS1_3repE0EEENS1_38merge_mergepath_config_static_selectorELNS0_4arch9wavefront6targetE0EEEvSJ_: ; @_ZN7rocprim17ROCPRIM_400000_NS6detail17trampoline_kernelINS0_14default_configENS1_38merge_sort_block_merge_config_selectorIiiEEZZNS1_27merge_sort_block_merge_implIS3_N6thrust23THRUST_200600_302600_NS6detail15normal_iteratorINS8_10device_ptrIiEEEESD_jNS1_19radix_merge_compareILb0ELb0EiNS0_19identity_decomposerEEEEE10hipError_tT0_T1_T2_jT3_P12ihipStream_tbPNSt15iterator_traitsISI_E10value_typeEPNSO_ISJ_E10value_typeEPSK_NS1_7vsmem_tEENKUlT_SI_SJ_SK_E_clIPiSD_S10_SD_EESH_SX_SI_SJ_SK_EUlSX_E0_NS1_11comp_targetILNS1_3genE4ELNS1_11target_archE910ELNS1_3gpuE8ELNS1_3repE0EEENS1_38merge_mergepath_config_static_selectorELNS0_4arch9wavefront6targetE0EEEvSJ_
; %bb.0:
	.section	.rodata,"a",@progbits
	.p2align	6, 0x0
	.amdhsa_kernel _ZN7rocprim17ROCPRIM_400000_NS6detail17trampoline_kernelINS0_14default_configENS1_38merge_sort_block_merge_config_selectorIiiEEZZNS1_27merge_sort_block_merge_implIS3_N6thrust23THRUST_200600_302600_NS6detail15normal_iteratorINS8_10device_ptrIiEEEESD_jNS1_19radix_merge_compareILb0ELb0EiNS0_19identity_decomposerEEEEE10hipError_tT0_T1_T2_jT3_P12ihipStream_tbPNSt15iterator_traitsISI_E10value_typeEPNSO_ISJ_E10value_typeEPSK_NS1_7vsmem_tEENKUlT_SI_SJ_SK_E_clIPiSD_S10_SD_EESH_SX_SI_SJ_SK_EUlSX_E0_NS1_11comp_targetILNS1_3genE4ELNS1_11target_archE910ELNS1_3gpuE8ELNS1_3repE0EEENS1_38merge_mergepath_config_static_selectorELNS0_4arch9wavefront6targetE0EEEvSJ_
		.amdhsa_group_segment_fixed_size 0
		.amdhsa_private_segment_fixed_size 0
		.amdhsa_kernarg_size 64
		.amdhsa_user_sgpr_count 6
		.amdhsa_user_sgpr_private_segment_buffer 1
		.amdhsa_user_sgpr_dispatch_ptr 0
		.amdhsa_user_sgpr_queue_ptr 0
		.amdhsa_user_sgpr_kernarg_segment_ptr 1
		.amdhsa_user_sgpr_dispatch_id 0
		.amdhsa_user_sgpr_flat_scratch_init 0
		.amdhsa_user_sgpr_private_segment_size 0
		.amdhsa_wavefront_size32 1
		.amdhsa_uses_dynamic_stack 0
		.amdhsa_system_sgpr_private_segment_wavefront_offset 0
		.amdhsa_system_sgpr_workgroup_id_x 1
		.amdhsa_system_sgpr_workgroup_id_y 0
		.amdhsa_system_sgpr_workgroup_id_z 0
		.amdhsa_system_sgpr_workgroup_info 0
		.amdhsa_system_vgpr_workitem_id 0
		.amdhsa_next_free_vgpr 1
		.amdhsa_next_free_sgpr 1
		.amdhsa_reserve_vcc 0
		.amdhsa_reserve_flat_scratch 0
		.amdhsa_float_round_mode_32 0
		.amdhsa_float_round_mode_16_64 0
		.amdhsa_float_denorm_mode_32 3
		.amdhsa_float_denorm_mode_16_64 3
		.amdhsa_dx10_clamp 1
		.amdhsa_ieee_mode 1
		.amdhsa_fp16_overflow 0
		.amdhsa_workgroup_processor_mode 1
		.amdhsa_memory_ordered 1
		.amdhsa_forward_progress 1
		.amdhsa_shared_vgpr_count 0
		.amdhsa_exception_fp_ieee_invalid_op 0
		.amdhsa_exception_fp_denorm_src 0
		.amdhsa_exception_fp_ieee_div_zero 0
		.amdhsa_exception_fp_ieee_overflow 0
		.amdhsa_exception_fp_ieee_underflow 0
		.amdhsa_exception_fp_ieee_inexact 0
		.amdhsa_exception_int_div_zero 0
	.end_amdhsa_kernel
	.section	.text._ZN7rocprim17ROCPRIM_400000_NS6detail17trampoline_kernelINS0_14default_configENS1_38merge_sort_block_merge_config_selectorIiiEEZZNS1_27merge_sort_block_merge_implIS3_N6thrust23THRUST_200600_302600_NS6detail15normal_iteratorINS8_10device_ptrIiEEEESD_jNS1_19radix_merge_compareILb0ELb0EiNS0_19identity_decomposerEEEEE10hipError_tT0_T1_T2_jT3_P12ihipStream_tbPNSt15iterator_traitsISI_E10value_typeEPNSO_ISJ_E10value_typeEPSK_NS1_7vsmem_tEENKUlT_SI_SJ_SK_E_clIPiSD_S10_SD_EESH_SX_SI_SJ_SK_EUlSX_E0_NS1_11comp_targetILNS1_3genE4ELNS1_11target_archE910ELNS1_3gpuE8ELNS1_3repE0EEENS1_38merge_mergepath_config_static_selectorELNS0_4arch9wavefront6targetE0EEEvSJ_,"axG",@progbits,_ZN7rocprim17ROCPRIM_400000_NS6detail17trampoline_kernelINS0_14default_configENS1_38merge_sort_block_merge_config_selectorIiiEEZZNS1_27merge_sort_block_merge_implIS3_N6thrust23THRUST_200600_302600_NS6detail15normal_iteratorINS8_10device_ptrIiEEEESD_jNS1_19radix_merge_compareILb0ELb0EiNS0_19identity_decomposerEEEEE10hipError_tT0_T1_T2_jT3_P12ihipStream_tbPNSt15iterator_traitsISI_E10value_typeEPNSO_ISJ_E10value_typeEPSK_NS1_7vsmem_tEENKUlT_SI_SJ_SK_E_clIPiSD_S10_SD_EESH_SX_SI_SJ_SK_EUlSX_E0_NS1_11comp_targetILNS1_3genE4ELNS1_11target_archE910ELNS1_3gpuE8ELNS1_3repE0EEENS1_38merge_mergepath_config_static_selectorELNS0_4arch9wavefront6targetE0EEEvSJ_,comdat
.Lfunc_end719:
	.size	_ZN7rocprim17ROCPRIM_400000_NS6detail17trampoline_kernelINS0_14default_configENS1_38merge_sort_block_merge_config_selectorIiiEEZZNS1_27merge_sort_block_merge_implIS3_N6thrust23THRUST_200600_302600_NS6detail15normal_iteratorINS8_10device_ptrIiEEEESD_jNS1_19radix_merge_compareILb0ELb0EiNS0_19identity_decomposerEEEEE10hipError_tT0_T1_T2_jT3_P12ihipStream_tbPNSt15iterator_traitsISI_E10value_typeEPNSO_ISJ_E10value_typeEPSK_NS1_7vsmem_tEENKUlT_SI_SJ_SK_E_clIPiSD_S10_SD_EESH_SX_SI_SJ_SK_EUlSX_E0_NS1_11comp_targetILNS1_3genE4ELNS1_11target_archE910ELNS1_3gpuE8ELNS1_3repE0EEENS1_38merge_mergepath_config_static_selectorELNS0_4arch9wavefront6targetE0EEEvSJ_, .Lfunc_end719-_ZN7rocprim17ROCPRIM_400000_NS6detail17trampoline_kernelINS0_14default_configENS1_38merge_sort_block_merge_config_selectorIiiEEZZNS1_27merge_sort_block_merge_implIS3_N6thrust23THRUST_200600_302600_NS6detail15normal_iteratorINS8_10device_ptrIiEEEESD_jNS1_19radix_merge_compareILb0ELb0EiNS0_19identity_decomposerEEEEE10hipError_tT0_T1_T2_jT3_P12ihipStream_tbPNSt15iterator_traitsISI_E10value_typeEPNSO_ISJ_E10value_typeEPSK_NS1_7vsmem_tEENKUlT_SI_SJ_SK_E_clIPiSD_S10_SD_EESH_SX_SI_SJ_SK_EUlSX_E0_NS1_11comp_targetILNS1_3genE4ELNS1_11target_archE910ELNS1_3gpuE8ELNS1_3repE0EEENS1_38merge_mergepath_config_static_selectorELNS0_4arch9wavefront6targetE0EEEvSJ_
                                        ; -- End function
	.set _ZN7rocprim17ROCPRIM_400000_NS6detail17trampoline_kernelINS0_14default_configENS1_38merge_sort_block_merge_config_selectorIiiEEZZNS1_27merge_sort_block_merge_implIS3_N6thrust23THRUST_200600_302600_NS6detail15normal_iteratorINS8_10device_ptrIiEEEESD_jNS1_19radix_merge_compareILb0ELb0EiNS0_19identity_decomposerEEEEE10hipError_tT0_T1_T2_jT3_P12ihipStream_tbPNSt15iterator_traitsISI_E10value_typeEPNSO_ISJ_E10value_typeEPSK_NS1_7vsmem_tEENKUlT_SI_SJ_SK_E_clIPiSD_S10_SD_EESH_SX_SI_SJ_SK_EUlSX_E0_NS1_11comp_targetILNS1_3genE4ELNS1_11target_archE910ELNS1_3gpuE8ELNS1_3repE0EEENS1_38merge_mergepath_config_static_selectorELNS0_4arch9wavefront6targetE0EEEvSJ_.num_vgpr, 0
	.set _ZN7rocprim17ROCPRIM_400000_NS6detail17trampoline_kernelINS0_14default_configENS1_38merge_sort_block_merge_config_selectorIiiEEZZNS1_27merge_sort_block_merge_implIS3_N6thrust23THRUST_200600_302600_NS6detail15normal_iteratorINS8_10device_ptrIiEEEESD_jNS1_19radix_merge_compareILb0ELb0EiNS0_19identity_decomposerEEEEE10hipError_tT0_T1_T2_jT3_P12ihipStream_tbPNSt15iterator_traitsISI_E10value_typeEPNSO_ISJ_E10value_typeEPSK_NS1_7vsmem_tEENKUlT_SI_SJ_SK_E_clIPiSD_S10_SD_EESH_SX_SI_SJ_SK_EUlSX_E0_NS1_11comp_targetILNS1_3genE4ELNS1_11target_archE910ELNS1_3gpuE8ELNS1_3repE0EEENS1_38merge_mergepath_config_static_selectorELNS0_4arch9wavefront6targetE0EEEvSJ_.num_agpr, 0
	.set _ZN7rocprim17ROCPRIM_400000_NS6detail17trampoline_kernelINS0_14default_configENS1_38merge_sort_block_merge_config_selectorIiiEEZZNS1_27merge_sort_block_merge_implIS3_N6thrust23THRUST_200600_302600_NS6detail15normal_iteratorINS8_10device_ptrIiEEEESD_jNS1_19radix_merge_compareILb0ELb0EiNS0_19identity_decomposerEEEEE10hipError_tT0_T1_T2_jT3_P12ihipStream_tbPNSt15iterator_traitsISI_E10value_typeEPNSO_ISJ_E10value_typeEPSK_NS1_7vsmem_tEENKUlT_SI_SJ_SK_E_clIPiSD_S10_SD_EESH_SX_SI_SJ_SK_EUlSX_E0_NS1_11comp_targetILNS1_3genE4ELNS1_11target_archE910ELNS1_3gpuE8ELNS1_3repE0EEENS1_38merge_mergepath_config_static_selectorELNS0_4arch9wavefront6targetE0EEEvSJ_.numbered_sgpr, 0
	.set _ZN7rocprim17ROCPRIM_400000_NS6detail17trampoline_kernelINS0_14default_configENS1_38merge_sort_block_merge_config_selectorIiiEEZZNS1_27merge_sort_block_merge_implIS3_N6thrust23THRUST_200600_302600_NS6detail15normal_iteratorINS8_10device_ptrIiEEEESD_jNS1_19radix_merge_compareILb0ELb0EiNS0_19identity_decomposerEEEEE10hipError_tT0_T1_T2_jT3_P12ihipStream_tbPNSt15iterator_traitsISI_E10value_typeEPNSO_ISJ_E10value_typeEPSK_NS1_7vsmem_tEENKUlT_SI_SJ_SK_E_clIPiSD_S10_SD_EESH_SX_SI_SJ_SK_EUlSX_E0_NS1_11comp_targetILNS1_3genE4ELNS1_11target_archE910ELNS1_3gpuE8ELNS1_3repE0EEENS1_38merge_mergepath_config_static_selectorELNS0_4arch9wavefront6targetE0EEEvSJ_.num_named_barrier, 0
	.set _ZN7rocprim17ROCPRIM_400000_NS6detail17trampoline_kernelINS0_14default_configENS1_38merge_sort_block_merge_config_selectorIiiEEZZNS1_27merge_sort_block_merge_implIS3_N6thrust23THRUST_200600_302600_NS6detail15normal_iteratorINS8_10device_ptrIiEEEESD_jNS1_19radix_merge_compareILb0ELb0EiNS0_19identity_decomposerEEEEE10hipError_tT0_T1_T2_jT3_P12ihipStream_tbPNSt15iterator_traitsISI_E10value_typeEPNSO_ISJ_E10value_typeEPSK_NS1_7vsmem_tEENKUlT_SI_SJ_SK_E_clIPiSD_S10_SD_EESH_SX_SI_SJ_SK_EUlSX_E0_NS1_11comp_targetILNS1_3genE4ELNS1_11target_archE910ELNS1_3gpuE8ELNS1_3repE0EEENS1_38merge_mergepath_config_static_selectorELNS0_4arch9wavefront6targetE0EEEvSJ_.private_seg_size, 0
	.set _ZN7rocprim17ROCPRIM_400000_NS6detail17trampoline_kernelINS0_14default_configENS1_38merge_sort_block_merge_config_selectorIiiEEZZNS1_27merge_sort_block_merge_implIS3_N6thrust23THRUST_200600_302600_NS6detail15normal_iteratorINS8_10device_ptrIiEEEESD_jNS1_19radix_merge_compareILb0ELb0EiNS0_19identity_decomposerEEEEE10hipError_tT0_T1_T2_jT3_P12ihipStream_tbPNSt15iterator_traitsISI_E10value_typeEPNSO_ISJ_E10value_typeEPSK_NS1_7vsmem_tEENKUlT_SI_SJ_SK_E_clIPiSD_S10_SD_EESH_SX_SI_SJ_SK_EUlSX_E0_NS1_11comp_targetILNS1_3genE4ELNS1_11target_archE910ELNS1_3gpuE8ELNS1_3repE0EEENS1_38merge_mergepath_config_static_selectorELNS0_4arch9wavefront6targetE0EEEvSJ_.uses_vcc, 0
	.set _ZN7rocprim17ROCPRIM_400000_NS6detail17trampoline_kernelINS0_14default_configENS1_38merge_sort_block_merge_config_selectorIiiEEZZNS1_27merge_sort_block_merge_implIS3_N6thrust23THRUST_200600_302600_NS6detail15normal_iteratorINS8_10device_ptrIiEEEESD_jNS1_19radix_merge_compareILb0ELb0EiNS0_19identity_decomposerEEEEE10hipError_tT0_T1_T2_jT3_P12ihipStream_tbPNSt15iterator_traitsISI_E10value_typeEPNSO_ISJ_E10value_typeEPSK_NS1_7vsmem_tEENKUlT_SI_SJ_SK_E_clIPiSD_S10_SD_EESH_SX_SI_SJ_SK_EUlSX_E0_NS1_11comp_targetILNS1_3genE4ELNS1_11target_archE910ELNS1_3gpuE8ELNS1_3repE0EEENS1_38merge_mergepath_config_static_selectorELNS0_4arch9wavefront6targetE0EEEvSJ_.uses_flat_scratch, 0
	.set _ZN7rocprim17ROCPRIM_400000_NS6detail17trampoline_kernelINS0_14default_configENS1_38merge_sort_block_merge_config_selectorIiiEEZZNS1_27merge_sort_block_merge_implIS3_N6thrust23THRUST_200600_302600_NS6detail15normal_iteratorINS8_10device_ptrIiEEEESD_jNS1_19radix_merge_compareILb0ELb0EiNS0_19identity_decomposerEEEEE10hipError_tT0_T1_T2_jT3_P12ihipStream_tbPNSt15iterator_traitsISI_E10value_typeEPNSO_ISJ_E10value_typeEPSK_NS1_7vsmem_tEENKUlT_SI_SJ_SK_E_clIPiSD_S10_SD_EESH_SX_SI_SJ_SK_EUlSX_E0_NS1_11comp_targetILNS1_3genE4ELNS1_11target_archE910ELNS1_3gpuE8ELNS1_3repE0EEENS1_38merge_mergepath_config_static_selectorELNS0_4arch9wavefront6targetE0EEEvSJ_.has_dyn_sized_stack, 0
	.set _ZN7rocprim17ROCPRIM_400000_NS6detail17trampoline_kernelINS0_14default_configENS1_38merge_sort_block_merge_config_selectorIiiEEZZNS1_27merge_sort_block_merge_implIS3_N6thrust23THRUST_200600_302600_NS6detail15normal_iteratorINS8_10device_ptrIiEEEESD_jNS1_19radix_merge_compareILb0ELb0EiNS0_19identity_decomposerEEEEE10hipError_tT0_T1_T2_jT3_P12ihipStream_tbPNSt15iterator_traitsISI_E10value_typeEPNSO_ISJ_E10value_typeEPSK_NS1_7vsmem_tEENKUlT_SI_SJ_SK_E_clIPiSD_S10_SD_EESH_SX_SI_SJ_SK_EUlSX_E0_NS1_11comp_targetILNS1_3genE4ELNS1_11target_archE910ELNS1_3gpuE8ELNS1_3repE0EEENS1_38merge_mergepath_config_static_selectorELNS0_4arch9wavefront6targetE0EEEvSJ_.has_recursion, 0
	.set _ZN7rocprim17ROCPRIM_400000_NS6detail17trampoline_kernelINS0_14default_configENS1_38merge_sort_block_merge_config_selectorIiiEEZZNS1_27merge_sort_block_merge_implIS3_N6thrust23THRUST_200600_302600_NS6detail15normal_iteratorINS8_10device_ptrIiEEEESD_jNS1_19radix_merge_compareILb0ELb0EiNS0_19identity_decomposerEEEEE10hipError_tT0_T1_T2_jT3_P12ihipStream_tbPNSt15iterator_traitsISI_E10value_typeEPNSO_ISJ_E10value_typeEPSK_NS1_7vsmem_tEENKUlT_SI_SJ_SK_E_clIPiSD_S10_SD_EESH_SX_SI_SJ_SK_EUlSX_E0_NS1_11comp_targetILNS1_3genE4ELNS1_11target_archE910ELNS1_3gpuE8ELNS1_3repE0EEENS1_38merge_mergepath_config_static_selectorELNS0_4arch9wavefront6targetE0EEEvSJ_.has_indirect_call, 0
	.section	.AMDGPU.csdata,"",@progbits
; Kernel info:
; codeLenInByte = 0
; TotalNumSgprs: 0
; NumVgprs: 0
; ScratchSize: 0
; MemoryBound: 0
; FloatMode: 240
; IeeeMode: 1
; LDSByteSize: 0 bytes/workgroup (compile time only)
; SGPRBlocks: 0
; VGPRBlocks: 0
; NumSGPRsForWavesPerEU: 1
; NumVGPRsForWavesPerEU: 1
; Occupancy: 16
; WaveLimiterHint : 0
; COMPUTE_PGM_RSRC2:SCRATCH_EN: 0
; COMPUTE_PGM_RSRC2:USER_SGPR: 6
; COMPUTE_PGM_RSRC2:TRAP_HANDLER: 0
; COMPUTE_PGM_RSRC2:TGID_X_EN: 1
; COMPUTE_PGM_RSRC2:TGID_Y_EN: 0
; COMPUTE_PGM_RSRC2:TGID_Z_EN: 0
; COMPUTE_PGM_RSRC2:TIDIG_COMP_CNT: 0
	.section	.text._ZN7rocprim17ROCPRIM_400000_NS6detail17trampoline_kernelINS0_14default_configENS1_38merge_sort_block_merge_config_selectorIiiEEZZNS1_27merge_sort_block_merge_implIS3_N6thrust23THRUST_200600_302600_NS6detail15normal_iteratorINS8_10device_ptrIiEEEESD_jNS1_19radix_merge_compareILb0ELb0EiNS0_19identity_decomposerEEEEE10hipError_tT0_T1_T2_jT3_P12ihipStream_tbPNSt15iterator_traitsISI_E10value_typeEPNSO_ISJ_E10value_typeEPSK_NS1_7vsmem_tEENKUlT_SI_SJ_SK_E_clIPiSD_S10_SD_EESH_SX_SI_SJ_SK_EUlSX_E0_NS1_11comp_targetILNS1_3genE3ELNS1_11target_archE908ELNS1_3gpuE7ELNS1_3repE0EEENS1_38merge_mergepath_config_static_selectorELNS0_4arch9wavefront6targetE0EEEvSJ_,"axG",@progbits,_ZN7rocprim17ROCPRIM_400000_NS6detail17trampoline_kernelINS0_14default_configENS1_38merge_sort_block_merge_config_selectorIiiEEZZNS1_27merge_sort_block_merge_implIS3_N6thrust23THRUST_200600_302600_NS6detail15normal_iteratorINS8_10device_ptrIiEEEESD_jNS1_19radix_merge_compareILb0ELb0EiNS0_19identity_decomposerEEEEE10hipError_tT0_T1_T2_jT3_P12ihipStream_tbPNSt15iterator_traitsISI_E10value_typeEPNSO_ISJ_E10value_typeEPSK_NS1_7vsmem_tEENKUlT_SI_SJ_SK_E_clIPiSD_S10_SD_EESH_SX_SI_SJ_SK_EUlSX_E0_NS1_11comp_targetILNS1_3genE3ELNS1_11target_archE908ELNS1_3gpuE7ELNS1_3repE0EEENS1_38merge_mergepath_config_static_selectorELNS0_4arch9wavefront6targetE0EEEvSJ_,comdat
	.protected	_ZN7rocprim17ROCPRIM_400000_NS6detail17trampoline_kernelINS0_14default_configENS1_38merge_sort_block_merge_config_selectorIiiEEZZNS1_27merge_sort_block_merge_implIS3_N6thrust23THRUST_200600_302600_NS6detail15normal_iteratorINS8_10device_ptrIiEEEESD_jNS1_19radix_merge_compareILb0ELb0EiNS0_19identity_decomposerEEEEE10hipError_tT0_T1_T2_jT3_P12ihipStream_tbPNSt15iterator_traitsISI_E10value_typeEPNSO_ISJ_E10value_typeEPSK_NS1_7vsmem_tEENKUlT_SI_SJ_SK_E_clIPiSD_S10_SD_EESH_SX_SI_SJ_SK_EUlSX_E0_NS1_11comp_targetILNS1_3genE3ELNS1_11target_archE908ELNS1_3gpuE7ELNS1_3repE0EEENS1_38merge_mergepath_config_static_selectorELNS0_4arch9wavefront6targetE0EEEvSJ_ ; -- Begin function _ZN7rocprim17ROCPRIM_400000_NS6detail17trampoline_kernelINS0_14default_configENS1_38merge_sort_block_merge_config_selectorIiiEEZZNS1_27merge_sort_block_merge_implIS3_N6thrust23THRUST_200600_302600_NS6detail15normal_iteratorINS8_10device_ptrIiEEEESD_jNS1_19radix_merge_compareILb0ELb0EiNS0_19identity_decomposerEEEEE10hipError_tT0_T1_T2_jT3_P12ihipStream_tbPNSt15iterator_traitsISI_E10value_typeEPNSO_ISJ_E10value_typeEPSK_NS1_7vsmem_tEENKUlT_SI_SJ_SK_E_clIPiSD_S10_SD_EESH_SX_SI_SJ_SK_EUlSX_E0_NS1_11comp_targetILNS1_3genE3ELNS1_11target_archE908ELNS1_3gpuE7ELNS1_3repE0EEENS1_38merge_mergepath_config_static_selectorELNS0_4arch9wavefront6targetE0EEEvSJ_
	.globl	_ZN7rocprim17ROCPRIM_400000_NS6detail17trampoline_kernelINS0_14default_configENS1_38merge_sort_block_merge_config_selectorIiiEEZZNS1_27merge_sort_block_merge_implIS3_N6thrust23THRUST_200600_302600_NS6detail15normal_iteratorINS8_10device_ptrIiEEEESD_jNS1_19radix_merge_compareILb0ELb0EiNS0_19identity_decomposerEEEEE10hipError_tT0_T1_T2_jT3_P12ihipStream_tbPNSt15iterator_traitsISI_E10value_typeEPNSO_ISJ_E10value_typeEPSK_NS1_7vsmem_tEENKUlT_SI_SJ_SK_E_clIPiSD_S10_SD_EESH_SX_SI_SJ_SK_EUlSX_E0_NS1_11comp_targetILNS1_3genE3ELNS1_11target_archE908ELNS1_3gpuE7ELNS1_3repE0EEENS1_38merge_mergepath_config_static_selectorELNS0_4arch9wavefront6targetE0EEEvSJ_
	.p2align	8
	.type	_ZN7rocprim17ROCPRIM_400000_NS6detail17trampoline_kernelINS0_14default_configENS1_38merge_sort_block_merge_config_selectorIiiEEZZNS1_27merge_sort_block_merge_implIS3_N6thrust23THRUST_200600_302600_NS6detail15normal_iteratorINS8_10device_ptrIiEEEESD_jNS1_19radix_merge_compareILb0ELb0EiNS0_19identity_decomposerEEEEE10hipError_tT0_T1_T2_jT3_P12ihipStream_tbPNSt15iterator_traitsISI_E10value_typeEPNSO_ISJ_E10value_typeEPSK_NS1_7vsmem_tEENKUlT_SI_SJ_SK_E_clIPiSD_S10_SD_EESH_SX_SI_SJ_SK_EUlSX_E0_NS1_11comp_targetILNS1_3genE3ELNS1_11target_archE908ELNS1_3gpuE7ELNS1_3repE0EEENS1_38merge_mergepath_config_static_selectorELNS0_4arch9wavefront6targetE0EEEvSJ_,@function
_ZN7rocprim17ROCPRIM_400000_NS6detail17trampoline_kernelINS0_14default_configENS1_38merge_sort_block_merge_config_selectorIiiEEZZNS1_27merge_sort_block_merge_implIS3_N6thrust23THRUST_200600_302600_NS6detail15normal_iteratorINS8_10device_ptrIiEEEESD_jNS1_19radix_merge_compareILb0ELb0EiNS0_19identity_decomposerEEEEE10hipError_tT0_T1_T2_jT3_P12ihipStream_tbPNSt15iterator_traitsISI_E10value_typeEPNSO_ISJ_E10value_typeEPSK_NS1_7vsmem_tEENKUlT_SI_SJ_SK_E_clIPiSD_S10_SD_EESH_SX_SI_SJ_SK_EUlSX_E0_NS1_11comp_targetILNS1_3genE3ELNS1_11target_archE908ELNS1_3gpuE7ELNS1_3repE0EEENS1_38merge_mergepath_config_static_selectorELNS0_4arch9wavefront6targetE0EEEvSJ_: ; @_ZN7rocprim17ROCPRIM_400000_NS6detail17trampoline_kernelINS0_14default_configENS1_38merge_sort_block_merge_config_selectorIiiEEZZNS1_27merge_sort_block_merge_implIS3_N6thrust23THRUST_200600_302600_NS6detail15normal_iteratorINS8_10device_ptrIiEEEESD_jNS1_19radix_merge_compareILb0ELb0EiNS0_19identity_decomposerEEEEE10hipError_tT0_T1_T2_jT3_P12ihipStream_tbPNSt15iterator_traitsISI_E10value_typeEPNSO_ISJ_E10value_typeEPSK_NS1_7vsmem_tEENKUlT_SI_SJ_SK_E_clIPiSD_S10_SD_EESH_SX_SI_SJ_SK_EUlSX_E0_NS1_11comp_targetILNS1_3genE3ELNS1_11target_archE908ELNS1_3gpuE7ELNS1_3repE0EEENS1_38merge_mergepath_config_static_selectorELNS0_4arch9wavefront6targetE0EEEvSJ_
; %bb.0:
	.section	.rodata,"a",@progbits
	.p2align	6, 0x0
	.amdhsa_kernel _ZN7rocprim17ROCPRIM_400000_NS6detail17trampoline_kernelINS0_14default_configENS1_38merge_sort_block_merge_config_selectorIiiEEZZNS1_27merge_sort_block_merge_implIS3_N6thrust23THRUST_200600_302600_NS6detail15normal_iteratorINS8_10device_ptrIiEEEESD_jNS1_19radix_merge_compareILb0ELb0EiNS0_19identity_decomposerEEEEE10hipError_tT0_T1_T2_jT3_P12ihipStream_tbPNSt15iterator_traitsISI_E10value_typeEPNSO_ISJ_E10value_typeEPSK_NS1_7vsmem_tEENKUlT_SI_SJ_SK_E_clIPiSD_S10_SD_EESH_SX_SI_SJ_SK_EUlSX_E0_NS1_11comp_targetILNS1_3genE3ELNS1_11target_archE908ELNS1_3gpuE7ELNS1_3repE0EEENS1_38merge_mergepath_config_static_selectorELNS0_4arch9wavefront6targetE0EEEvSJ_
		.amdhsa_group_segment_fixed_size 0
		.amdhsa_private_segment_fixed_size 0
		.amdhsa_kernarg_size 64
		.amdhsa_user_sgpr_count 6
		.amdhsa_user_sgpr_private_segment_buffer 1
		.amdhsa_user_sgpr_dispatch_ptr 0
		.amdhsa_user_sgpr_queue_ptr 0
		.amdhsa_user_sgpr_kernarg_segment_ptr 1
		.amdhsa_user_sgpr_dispatch_id 0
		.amdhsa_user_sgpr_flat_scratch_init 0
		.amdhsa_user_sgpr_private_segment_size 0
		.amdhsa_wavefront_size32 1
		.amdhsa_uses_dynamic_stack 0
		.amdhsa_system_sgpr_private_segment_wavefront_offset 0
		.amdhsa_system_sgpr_workgroup_id_x 1
		.amdhsa_system_sgpr_workgroup_id_y 0
		.amdhsa_system_sgpr_workgroup_id_z 0
		.amdhsa_system_sgpr_workgroup_info 0
		.amdhsa_system_vgpr_workitem_id 0
		.amdhsa_next_free_vgpr 1
		.amdhsa_next_free_sgpr 1
		.amdhsa_reserve_vcc 0
		.amdhsa_reserve_flat_scratch 0
		.amdhsa_float_round_mode_32 0
		.amdhsa_float_round_mode_16_64 0
		.amdhsa_float_denorm_mode_32 3
		.amdhsa_float_denorm_mode_16_64 3
		.amdhsa_dx10_clamp 1
		.amdhsa_ieee_mode 1
		.amdhsa_fp16_overflow 0
		.amdhsa_workgroup_processor_mode 1
		.amdhsa_memory_ordered 1
		.amdhsa_forward_progress 1
		.amdhsa_shared_vgpr_count 0
		.amdhsa_exception_fp_ieee_invalid_op 0
		.amdhsa_exception_fp_denorm_src 0
		.amdhsa_exception_fp_ieee_div_zero 0
		.amdhsa_exception_fp_ieee_overflow 0
		.amdhsa_exception_fp_ieee_underflow 0
		.amdhsa_exception_fp_ieee_inexact 0
		.amdhsa_exception_int_div_zero 0
	.end_amdhsa_kernel
	.section	.text._ZN7rocprim17ROCPRIM_400000_NS6detail17trampoline_kernelINS0_14default_configENS1_38merge_sort_block_merge_config_selectorIiiEEZZNS1_27merge_sort_block_merge_implIS3_N6thrust23THRUST_200600_302600_NS6detail15normal_iteratorINS8_10device_ptrIiEEEESD_jNS1_19radix_merge_compareILb0ELb0EiNS0_19identity_decomposerEEEEE10hipError_tT0_T1_T2_jT3_P12ihipStream_tbPNSt15iterator_traitsISI_E10value_typeEPNSO_ISJ_E10value_typeEPSK_NS1_7vsmem_tEENKUlT_SI_SJ_SK_E_clIPiSD_S10_SD_EESH_SX_SI_SJ_SK_EUlSX_E0_NS1_11comp_targetILNS1_3genE3ELNS1_11target_archE908ELNS1_3gpuE7ELNS1_3repE0EEENS1_38merge_mergepath_config_static_selectorELNS0_4arch9wavefront6targetE0EEEvSJ_,"axG",@progbits,_ZN7rocprim17ROCPRIM_400000_NS6detail17trampoline_kernelINS0_14default_configENS1_38merge_sort_block_merge_config_selectorIiiEEZZNS1_27merge_sort_block_merge_implIS3_N6thrust23THRUST_200600_302600_NS6detail15normal_iteratorINS8_10device_ptrIiEEEESD_jNS1_19radix_merge_compareILb0ELb0EiNS0_19identity_decomposerEEEEE10hipError_tT0_T1_T2_jT3_P12ihipStream_tbPNSt15iterator_traitsISI_E10value_typeEPNSO_ISJ_E10value_typeEPSK_NS1_7vsmem_tEENKUlT_SI_SJ_SK_E_clIPiSD_S10_SD_EESH_SX_SI_SJ_SK_EUlSX_E0_NS1_11comp_targetILNS1_3genE3ELNS1_11target_archE908ELNS1_3gpuE7ELNS1_3repE0EEENS1_38merge_mergepath_config_static_selectorELNS0_4arch9wavefront6targetE0EEEvSJ_,comdat
.Lfunc_end720:
	.size	_ZN7rocprim17ROCPRIM_400000_NS6detail17trampoline_kernelINS0_14default_configENS1_38merge_sort_block_merge_config_selectorIiiEEZZNS1_27merge_sort_block_merge_implIS3_N6thrust23THRUST_200600_302600_NS6detail15normal_iteratorINS8_10device_ptrIiEEEESD_jNS1_19radix_merge_compareILb0ELb0EiNS0_19identity_decomposerEEEEE10hipError_tT0_T1_T2_jT3_P12ihipStream_tbPNSt15iterator_traitsISI_E10value_typeEPNSO_ISJ_E10value_typeEPSK_NS1_7vsmem_tEENKUlT_SI_SJ_SK_E_clIPiSD_S10_SD_EESH_SX_SI_SJ_SK_EUlSX_E0_NS1_11comp_targetILNS1_3genE3ELNS1_11target_archE908ELNS1_3gpuE7ELNS1_3repE0EEENS1_38merge_mergepath_config_static_selectorELNS0_4arch9wavefront6targetE0EEEvSJ_, .Lfunc_end720-_ZN7rocprim17ROCPRIM_400000_NS6detail17trampoline_kernelINS0_14default_configENS1_38merge_sort_block_merge_config_selectorIiiEEZZNS1_27merge_sort_block_merge_implIS3_N6thrust23THRUST_200600_302600_NS6detail15normal_iteratorINS8_10device_ptrIiEEEESD_jNS1_19radix_merge_compareILb0ELb0EiNS0_19identity_decomposerEEEEE10hipError_tT0_T1_T2_jT3_P12ihipStream_tbPNSt15iterator_traitsISI_E10value_typeEPNSO_ISJ_E10value_typeEPSK_NS1_7vsmem_tEENKUlT_SI_SJ_SK_E_clIPiSD_S10_SD_EESH_SX_SI_SJ_SK_EUlSX_E0_NS1_11comp_targetILNS1_3genE3ELNS1_11target_archE908ELNS1_3gpuE7ELNS1_3repE0EEENS1_38merge_mergepath_config_static_selectorELNS0_4arch9wavefront6targetE0EEEvSJ_
                                        ; -- End function
	.set _ZN7rocprim17ROCPRIM_400000_NS6detail17trampoline_kernelINS0_14default_configENS1_38merge_sort_block_merge_config_selectorIiiEEZZNS1_27merge_sort_block_merge_implIS3_N6thrust23THRUST_200600_302600_NS6detail15normal_iteratorINS8_10device_ptrIiEEEESD_jNS1_19radix_merge_compareILb0ELb0EiNS0_19identity_decomposerEEEEE10hipError_tT0_T1_T2_jT3_P12ihipStream_tbPNSt15iterator_traitsISI_E10value_typeEPNSO_ISJ_E10value_typeEPSK_NS1_7vsmem_tEENKUlT_SI_SJ_SK_E_clIPiSD_S10_SD_EESH_SX_SI_SJ_SK_EUlSX_E0_NS1_11comp_targetILNS1_3genE3ELNS1_11target_archE908ELNS1_3gpuE7ELNS1_3repE0EEENS1_38merge_mergepath_config_static_selectorELNS0_4arch9wavefront6targetE0EEEvSJ_.num_vgpr, 0
	.set _ZN7rocprim17ROCPRIM_400000_NS6detail17trampoline_kernelINS0_14default_configENS1_38merge_sort_block_merge_config_selectorIiiEEZZNS1_27merge_sort_block_merge_implIS3_N6thrust23THRUST_200600_302600_NS6detail15normal_iteratorINS8_10device_ptrIiEEEESD_jNS1_19radix_merge_compareILb0ELb0EiNS0_19identity_decomposerEEEEE10hipError_tT0_T1_T2_jT3_P12ihipStream_tbPNSt15iterator_traitsISI_E10value_typeEPNSO_ISJ_E10value_typeEPSK_NS1_7vsmem_tEENKUlT_SI_SJ_SK_E_clIPiSD_S10_SD_EESH_SX_SI_SJ_SK_EUlSX_E0_NS1_11comp_targetILNS1_3genE3ELNS1_11target_archE908ELNS1_3gpuE7ELNS1_3repE0EEENS1_38merge_mergepath_config_static_selectorELNS0_4arch9wavefront6targetE0EEEvSJ_.num_agpr, 0
	.set _ZN7rocprim17ROCPRIM_400000_NS6detail17trampoline_kernelINS0_14default_configENS1_38merge_sort_block_merge_config_selectorIiiEEZZNS1_27merge_sort_block_merge_implIS3_N6thrust23THRUST_200600_302600_NS6detail15normal_iteratorINS8_10device_ptrIiEEEESD_jNS1_19radix_merge_compareILb0ELb0EiNS0_19identity_decomposerEEEEE10hipError_tT0_T1_T2_jT3_P12ihipStream_tbPNSt15iterator_traitsISI_E10value_typeEPNSO_ISJ_E10value_typeEPSK_NS1_7vsmem_tEENKUlT_SI_SJ_SK_E_clIPiSD_S10_SD_EESH_SX_SI_SJ_SK_EUlSX_E0_NS1_11comp_targetILNS1_3genE3ELNS1_11target_archE908ELNS1_3gpuE7ELNS1_3repE0EEENS1_38merge_mergepath_config_static_selectorELNS0_4arch9wavefront6targetE0EEEvSJ_.numbered_sgpr, 0
	.set _ZN7rocprim17ROCPRIM_400000_NS6detail17trampoline_kernelINS0_14default_configENS1_38merge_sort_block_merge_config_selectorIiiEEZZNS1_27merge_sort_block_merge_implIS3_N6thrust23THRUST_200600_302600_NS6detail15normal_iteratorINS8_10device_ptrIiEEEESD_jNS1_19radix_merge_compareILb0ELb0EiNS0_19identity_decomposerEEEEE10hipError_tT0_T1_T2_jT3_P12ihipStream_tbPNSt15iterator_traitsISI_E10value_typeEPNSO_ISJ_E10value_typeEPSK_NS1_7vsmem_tEENKUlT_SI_SJ_SK_E_clIPiSD_S10_SD_EESH_SX_SI_SJ_SK_EUlSX_E0_NS1_11comp_targetILNS1_3genE3ELNS1_11target_archE908ELNS1_3gpuE7ELNS1_3repE0EEENS1_38merge_mergepath_config_static_selectorELNS0_4arch9wavefront6targetE0EEEvSJ_.num_named_barrier, 0
	.set _ZN7rocprim17ROCPRIM_400000_NS6detail17trampoline_kernelINS0_14default_configENS1_38merge_sort_block_merge_config_selectorIiiEEZZNS1_27merge_sort_block_merge_implIS3_N6thrust23THRUST_200600_302600_NS6detail15normal_iteratorINS8_10device_ptrIiEEEESD_jNS1_19radix_merge_compareILb0ELb0EiNS0_19identity_decomposerEEEEE10hipError_tT0_T1_T2_jT3_P12ihipStream_tbPNSt15iterator_traitsISI_E10value_typeEPNSO_ISJ_E10value_typeEPSK_NS1_7vsmem_tEENKUlT_SI_SJ_SK_E_clIPiSD_S10_SD_EESH_SX_SI_SJ_SK_EUlSX_E0_NS1_11comp_targetILNS1_3genE3ELNS1_11target_archE908ELNS1_3gpuE7ELNS1_3repE0EEENS1_38merge_mergepath_config_static_selectorELNS0_4arch9wavefront6targetE0EEEvSJ_.private_seg_size, 0
	.set _ZN7rocprim17ROCPRIM_400000_NS6detail17trampoline_kernelINS0_14default_configENS1_38merge_sort_block_merge_config_selectorIiiEEZZNS1_27merge_sort_block_merge_implIS3_N6thrust23THRUST_200600_302600_NS6detail15normal_iteratorINS8_10device_ptrIiEEEESD_jNS1_19radix_merge_compareILb0ELb0EiNS0_19identity_decomposerEEEEE10hipError_tT0_T1_T2_jT3_P12ihipStream_tbPNSt15iterator_traitsISI_E10value_typeEPNSO_ISJ_E10value_typeEPSK_NS1_7vsmem_tEENKUlT_SI_SJ_SK_E_clIPiSD_S10_SD_EESH_SX_SI_SJ_SK_EUlSX_E0_NS1_11comp_targetILNS1_3genE3ELNS1_11target_archE908ELNS1_3gpuE7ELNS1_3repE0EEENS1_38merge_mergepath_config_static_selectorELNS0_4arch9wavefront6targetE0EEEvSJ_.uses_vcc, 0
	.set _ZN7rocprim17ROCPRIM_400000_NS6detail17trampoline_kernelINS0_14default_configENS1_38merge_sort_block_merge_config_selectorIiiEEZZNS1_27merge_sort_block_merge_implIS3_N6thrust23THRUST_200600_302600_NS6detail15normal_iteratorINS8_10device_ptrIiEEEESD_jNS1_19radix_merge_compareILb0ELb0EiNS0_19identity_decomposerEEEEE10hipError_tT0_T1_T2_jT3_P12ihipStream_tbPNSt15iterator_traitsISI_E10value_typeEPNSO_ISJ_E10value_typeEPSK_NS1_7vsmem_tEENKUlT_SI_SJ_SK_E_clIPiSD_S10_SD_EESH_SX_SI_SJ_SK_EUlSX_E0_NS1_11comp_targetILNS1_3genE3ELNS1_11target_archE908ELNS1_3gpuE7ELNS1_3repE0EEENS1_38merge_mergepath_config_static_selectorELNS0_4arch9wavefront6targetE0EEEvSJ_.uses_flat_scratch, 0
	.set _ZN7rocprim17ROCPRIM_400000_NS6detail17trampoline_kernelINS0_14default_configENS1_38merge_sort_block_merge_config_selectorIiiEEZZNS1_27merge_sort_block_merge_implIS3_N6thrust23THRUST_200600_302600_NS6detail15normal_iteratorINS8_10device_ptrIiEEEESD_jNS1_19radix_merge_compareILb0ELb0EiNS0_19identity_decomposerEEEEE10hipError_tT0_T1_T2_jT3_P12ihipStream_tbPNSt15iterator_traitsISI_E10value_typeEPNSO_ISJ_E10value_typeEPSK_NS1_7vsmem_tEENKUlT_SI_SJ_SK_E_clIPiSD_S10_SD_EESH_SX_SI_SJ_SK_EUlSX_E0_NS1_11comp_targetILNS1_3genE3ELNS1_11target_archE908ELNS1_3gpuE7ELNS1_3repE0EEENS1_38merge_mergepath_config_static_selectorELNS0_4arch9wavefront6targetE0EEEvSJ_.has_dyn_sized_stack, 0
	.set _ZN7rocprim17ROCPRIM_400000_NS6detail17trampoline_kernelINS0_14default_configENS1_38merge_sort_block_merge_config_selectorIiiEEZZNS1_27merge_sort_block_merge_implIS3_N6thrust23THRUST_200600_302600_NS6detail15normal_iteratorINS8_10device_ptrIiEEEESD_jNS1_19radix_merge_compareILb0ELb0EiNS0_19identity_decomposerEEEEE10hipError_tT0_T1_T2_jT3_P12ihipStream_tbPNSt15iterator_traitsISI_E10value_typeEPNSO_ISJ_E10value_typeEPSK_NS1_7vsmem_tEENKUlT_SI_SJ_SK_E_clIPiSD_S10_SD_EESH_SX_SI_SJ_SK_EUlSX_E0_NS1_11comp_targetILNS1_3genE3ELNS1_11target_archE908ELNS1_3gpuE7ELNS1_3repE0EEENS1_38merge_mergepath_config_static_selectorELNS0_4arch9wavefront6targetE0EEEvSJ_.has_recursion, 0
	.set _ZN7rocprim17ROCPRIM_400000_NS6detail17trampoline_kernelINS0_14default_configENS1_38merge_sort_block_merge_config_selectorIiiEEZZNS1_27merge_sort_block_merge_implIS3_N6thrust23THRUST_200600_302600_NS6detail15normal_iteratorINS8_10device_ptrIiEEEESD_jNS1_19radix_merge_compareILb0ELb0EiNS0_19identity_decomposerEEEEE10hipError_tT0_T1_T2_jT3_P12ihipStream_tbPNSt15iterator_traitsISI_E10value_typeEPNSO_ISJ_E10value_typeEPSK_NS1_7vsmem_tEENKUlT_SI_SJ_SK_E_clIPiSD_S10_SD_EESH_SX_SI_SJ_SK_EUlSX_E0_NS1_11comp_targetILNS1_3genE3ELNS1_11target_archE908ELNS1_3gpuE7ELNS1_3repE0EEENS1_38merge_mergepath_config_static_selectorELNS0_4arch9wavefront6targetE0EEEvSJ_.has_indirect_call, 0
	.section	.AMDGPU.csdata,"",@progbits
; Kernel info:
; codeLenInByte = 0
; TotalNumSgprs: 0
; NumVgprs: 0
; ScratchSize: 0
; MemoryBound: 0
; FloatMode: 240
; IeeeMode: 1
; LDSByteSize: 0 bytes/workgroup (compile time only)
; SGPRBlocks: 0
; VGPRBlocks: 0
; NumSGPRsForWavesPerEU: 1
; NumVGPRsForWavesPerEU: 1
; Occupancy: 16
; WaveLimiterHint : 0
; COMPUTE_PGM_RSRC2:SCRATCH_EN: 0
; COMPUTE_PGM_RSRC2:USER_SGPR: 6
; COMPUTE_PGM_RSRC2:TRAP_HANDLER: 0
; COMPUTE_PGM_RSRC2:TGID_X_EN: 1
; COMPUTE_PGM_RSRC2:TGID_Y_EN: 0
; COMPUTE_PGM_RSRC2:TGID_Z_EN: 0
; COMPUTE_PGM_RSRC2:TIDIG_COMP_CNT: 0
	.section	.text._ZN7rocprim17ROCPRIM_400000_NS6detail17trampoline_kernelINS0_14default_configENS1_38merge_sort_block_merge_config_selectorIiiEEZZNS1_27merge_sort_block_merge_implIS3_N6thrust23THRUST_200600_302600_NS6detail15normal_iteratorINS8_10device_ptrIiEEEESD_jNS1_19radix_merge_compareILb0ELb0EiNS0_19identity_decomposerEEEEE10hipError_tT0_T1_T2_jT3_P12ihipStream_tbPNSt15iterator_traitsISI_E10value_typeEPNSO_ISJ_E10value_typeEPSK_NS1_7vsmem_tEENKUlT_SI_SJ_SK_E_clIPiSD_S10_SD_EESH_SX_SI_SJ_SK_EUlSX_E0_NS1_11comp_targetILNS1_3genE2ELNS1_11target_archE906ELNS1_3gpuE6ELNS1_3repE0EEENS1_38merge_mergepath_config_static_selectorELNS0_4arch9wavefront6targetE0EEEvSJ_,"axG",@progbits,_ZN7rocprim17ROCPRIM_400000_NS6detail17trampoline_kernelINS0_14default_configENS1_38merge_sort_block_merge_config_selectorIiiEEZZNS1_27merge_sort_block_merge_implIS3_N6thrust23THRUST_200600_302600_NS6detail15normal_iteratorINS8_10device_ptrIiEEEESD_jNS1_19radix_merge_compareILb0ELb0EiNS0_19identity_decomposerEEEEE10hipError_tT0_T1_T2_jT3_P12ihipStream_tbPNSt15iterator_traitsISI_E10value_typeEPNSO_ISJ_E10value_typeEPSK_NS1_7vsmem_tEENKUlT_SI_SJ_SK_E_clIPiSD_S10_SD_EESH_SX_SI_SJ_SK_EUlSX_E0_NS1_11comp_targetILNS1_3genE2ELNS1_11target_archE906ELNS1_3gpuE6ELNS1_3repE0EEENS1_38merge_mergepath_config_static_selectorELNS0_4arch9wavefront6targetE0EEEvSJ_,comdat
	.protected	_ZN7rocprim17ROCPRIM_400000_NS6detail17trampoline_kernelINS0_14default_configENS1_38merge_sort_block_merge_config_selectorIiiEEZZNS1_27merge_sort_block_merge_implIS3_N6thrust23THRUST_200600_302600_NS6detail15normal_iteratorINS8_10device_ptrIiEEEESD_jNS1_19radix_merge_compareILb0ELb0EiNS0_19identity_decomposerEEEEE10hipError_tT0_T1_T2_jT3_P12ihipStream_tbPNSt15iterator_traitsISI_E10value_typeEPNSO_ISJ_E10value_typeEPSK_NS1_7vsmem_tEENKUlT_SI_SJ_SK_E_clIPiSD_S10_SD_EESH_SX_SI_SJ_SK_EUlSX_E0_NS1_11comp_targetILNS1_3genE2ELNS1_11target_archE906ELNS1_3gpuE6ELNS1_3repE0EEENS1_38merge_mergepath_config_static_selectorELNS0_4arch9wavefront6targetE0EEEvSJ_ ; -- Begin function _ZN7rocprim17ROCPRIM_400000_NS6detail17trampoline_kernelINS0_14default_configENS1_38merge_sort_block_merge_config_selectorIiiEEZZNS1_27merge_sort_block_merge_implIS3_N6thrust23THRUST_200600_302600_NS6detail15normal_iteratorINS8_10device_ptrIiEEEESD_jNS1_19radix_merge_compareILb0ELb0EiNS0_19identity_decomposerEEEEE10hipError_tT0_T1_T2_jT3_P12ihipStream_tbPNSt15iterator_traitsISI_E10value_typeEPNSO_ISJ_E10value_typeEPSK_NS1_7vsmem_tEENKUlT_SI_SJ_SK_E_clIPiSD_S10_SD_EESH_SX_SI_SJ_SK_EUlSX_E0_NS1_11comp_targetILNS1_3genE2ELNS1_11target_archE906ELNS1_3gpuE6ELNS1_3repE0EEENS1_38merge_mergepath_config_static_selectorELNS0_4arch9wavefront6targetE0EEEvSJ_
	.globl	_ZN7rocprim17ROCPRIM_400000_NS6detail17trampoline_kernelINS0_14default_configENS1_38merge_sort_block_merge_config_selectorIiiEEZZNS1_27merge_sort_block_merge_implIS3_N6thrust23THRUST_200600_302600_NS6detail15normal_iteratorINS8_10device_ptrIiEEEESD_jNS1_19radix_merge_compareILb0ELb0EiNS0_19identity_decomposerEEEEE10hipError_tT0_T1_T2_jT3_P12ihipStream_tbPNSt15iterator_traitsISI_E10value_typeEPNSO_ISJ_E10value_typeEPSK_NS1_7vsmem_tEENKUlT_SI_SJ_SK_E_clIPiSD_S10_SD_EESH_SX_SI_SJ_SK_EUlSX_E0_NS1_11comp_targetILNS1_3genE2ELNS1_11target_archE906ELNS1_3gpuE6ELNS1_3repE0EEENS1_38merge_mergepath_config_static_selectorELNS0_4arch9wavefront6targetE0EEEvSJ_
	.p2align	8
	.type	_ZN7rocprim17ROCPRIM_400000_NS6detail17trampoline_kernelINS0_14default_configENS1_38merge_sort_block_merge_config_selectorIiiEEZZNS1_27merge_sort_block_merge_implIS3_N6thrust23THRUST_200600_302600_NS6detail15normal_iteratorINS8_10device_ptrIiEEEESD_jNS1_19radix_merge_compareILb0ELb0EiNS0_19identity_decomposerEEEEE10hipError_tT0_T1_T2_jT3_P12ihipStream_tbPNSt15iterator_traitsISI_E10value_typeEPNSO_ISJ_E10value_typeEPSK_NS1_7vsmem_tEENKUlT_SI_SJ_SK_E_clIPiSD_S10_SD_EESH_SX_SI_SJ_SK_EUlSX_E0_NS1_11comp_targetILNS1_3genE2ELNS1_11target_archE906ELNS1_3gpuE6ELNS1_3repE0EEENS1_38merge_mergepath_config_static_selectorELNS0_4arch9wavefront6targetE0EEEvSJ_,@function
_ZN7rocprim17ROCPRIM_400000_NS6detail17trampoline_kernelINS0_14default_configENS1_38merge_sort_block_merge_config_selectorIiiEEZZNS1_27merge_sort_block_merge_implIS3_N6thrust23THRUST_200600_302600_NS6detail15normal_iteratorINS8_10device_ptrIiEEEESD_jNS1_19radix_merge_compareILb0ELb0EiNS0_19identity_decomposerEEEEE10hipError_tT0_T1_T2_jT3_P12ihipStream_tbPNSt15iterator_traitsISI_E10value_typeEPNSO_ISJ_E10value_typeEPSK_NS1_7vsmem_tEENKUlT_SI_SJ_SK_E_clIPiSD_S10_SD_EESH_SX_SI_SJ_SK_EUlSX_E0_NS1_11comp_targetILNS1_3genE2ELNS1_11target_archE906ELNS1_3gpuE6ELNS1_3repE0EEENS1_38merge_mergepath_config_static_selectorELNS0_4arch9wavefront6targetE0EEEvSJ_: ; @_ZN7rocprim17ROCPRIM_400000_NS6detail17trampoline_kernelINS0_14default_configENS1_38merge_sort_block_merge_config_selectorIiiEEZZNS1_27merge_sort_block_merge_implIS3_N6thrust23THRUST_200600_302600_NS6detail15normal_iteratorINS8_10device_ptrIiEEEESD_jNS1_19radix_merge_compareILb0ELb0EiNS0_19identity_decomposerEEEEE10hipError_tT0_T1_T2_jT3_P12ihipStream_tbPNSt15iterator_traitsISI_E10value_typeEPNSO_ISJ_E10value_typeEPSK_NS1_7vsmem_tEENKUlT_SI_SJ_SK_E_clIPiSD_S10_SD_EESH_SX_SI_SJ_SK_EUlSX_E0_NS1_11comp_targetILNS1_3genE2ELNS1_11target_archE906ELNS1_3gpuE6ELNS1_3repE0EEENS1_38merge_mergepath_config_static_selectorELNS0_4arch9wavefront6targetE0EEEvSJ_
; %bb.0:
	.section	.rodata,"a",@progbits
	.p2align	6, 0x0
	.amdhsa_kernel _ZN7rocprim17ROCPRIM_400000_NS6detail17trampoline_kernelINS0_14default_configENS1_38merge_sort_block_merge_config_selectorIiiEEZZNS1_27merge_sort_block_merge_implIS3_N6thrust23THRUST_200600_302600_NS6detail15normal_iteratorINS8_10device_ptrIiEEEESD_jNS1_19radix_merge_compareILb0ELb0EiNS0_19identity_decomposerEEEEE10hipError_tT0_T1_T2_jT3_P12ihipStream_tbPNSt15iterator_traitsISI_E10value_typeEPNSO_ISJ_E10value_typeEPSK_NS1_7vsmem_tEENKUlT_SI_SJ_SK_E_clIPiSD_S10_SD_EESH_SX_SI_SJ_SK_EUlSX_E0_NS1_11comp_targetILNS1_3genE2ELNS1_11target_archE906ELNS1_3gpuE6ELNS1_3repE0EEENS1_38merge_mergepath_config_static_selectorELNS0_4arch9wavefront6targetE0EEEvSJ_
		.amdhsa_group_segment_fixed_size 0
		.amdhsa_private_segment_fixed_size 0
		.amdhsa_kernarg_size 64
		.amdhsa_user_sgpr_count 6
		.amdhsa_user_sgpr_private_segment_buffer 1
		.amdhsa_user_sgpr_dispatch_ptr 0
		.amdhsa_user_sgpr_queue_ptr 0
		.amdhsa_user_sgpr_kernarg_segment_ptr 1
		.amdhsa_user_sgpr_dispatch_id 0
		.amdhsa_user_sgpr_flat_scratch_init 0
		.amdhsa_user_sgpr_private_segment_size 0
		.amdhsa_wavefront_size32 1
		.amdhsa_uses_dynamic_stack 0
		.amdhsa_system_sgpr_private_segment_wavefront_offset 0
		.amdhsa_system_sgpr_workgroup_id_x 1
		.amdhsa_system_sgpr_workgroup_id_y 0
		.amdhsa_system_sgpr_workgroup_id_z 0
		.amdhsa_system_sgpr_workgroup_info 0
		.amdhsa_system_vgpr_workitem_id 0
		.amdhsa_next_free_vgpr 1
		.amdhsa_next_free_sgpr 1
		.amdhsa_reserve_vcc 0
		.amdhsa_reserve_flat_scratch 0
		.amdhsa_float_round_mode_32 0
		.amdhsa_float_round_mode_16_64 0
		.amdhsa_float_denorm_mode_32 3
		.amdhsa_float_denorm_mode_16_64 3
		.amdhsa_dx10_clamp 1
		.amdhsa_ieee_mode 1
		.amdhsa_fp16_overflow 0
		.amdhsa_workgroup_processor_mode 1
		.amdhsa_memory_ordered 1
		.amdhsa_forward_progress 1
		.amdhsa_shared_vgpr_count 0
		.amdhsa_exception_fp_ieee_invalid_op 0
		.amdhsa_exception_fp_denorm_src 0
		.amdhsa_exception_fp_ieee_div_zero 0
		.amdhsa_exception_fp_ieee_overflow 0
		.amdhsa_exception_fp_ieee_underflow 0
		.amdhsa_exception_fp_ieee_inexact 0
		.amdhsa_exception_int_div_zero 0
	.end_amdhsa_kernel
	.section	.text._ZN7rocprim17ROCPRIM_400000_NS6detail17trampoline_kernelINS0_14default_configENS1_38merge_sort_block_merge_config_selectorIiiEEZZNS1_27merge_sort_block_merge_implIS3_N6thrust23THRUST_200600_302600_NS6detail15normal_iteratorINS8_10device_ptrIiEEEESD_jNS1_19radix_merge_compareILb0ELb0EiNS0_19identity_decomposerEEEEE10hipError_tT0_T1_T2_jT3_P12ihipStream_tbPNSt15iterator_traitsISI_E10value_typeEPNSO_ISJ_E10value_typeEPSK_NS1_7vsmem_tEENKUlT_SI_SJ_SK_E_clIPiSD_S10_SD_EESH_SX_SI_SJ_SK_EUlSX_E0_NS1_11comp_targetILNS1_3genE2ELNS1_11target_archE906ELNS1_3gpuE6ELNS1_3repE0EEENS1_38merge_mergepath_config_static_selectorELNS0_4arch9wavefront6targetE0EEEvSJ_,"axG",@progbits,_ZN7rocprim17ROCPRIM_400000_NS6detail17trampoline_kernelINS0_14default_configENS1_38merge_sort_block_merge_config_selectorIiiEEZZNS1_27merge_sort_block_merge_implIS3_N6thrust23THRUST_200600_302600_NS6detail15normal_iteratorINS8_10device_ptrIiEEEESD_jNS1_19radix_merge_compareILb0ELb0EiNS0_19identity_decomposerEEEEE10hipError_tT0_T1_T2_jT3_P12ihipStream_tbPNSt15iterator_traitsISI_E10value_typeEPNSO_ISJ_E10value_typeEPSK_NS1_7vsmem_tEENKUlT_SI_SJ_SK_E_clIPiSD_S10_SD_EESH_SX_SI_SJ_SK_EUlSX_E0_NS1_11comp_targetILNS1_3genE2ELNS1_11target_archE906ELNS1_3gpuE6ELNS1_3repE0EEENS1_38merge_mergepath_config_static_selectorELNS0_4arch9wavefront6targetE0EEEvSJ_,comdat
.Lfunc_end721:
	.size	_ZN7rocprim17ROCPRIM_400000_NS6detail17trampoline_kernelINS0_14default_configENS1_38merge_sort_block_merge_config_selectorIiiEEZZNS1_27merge_sort_block_merge_implIS3_N6thrust23THRUST_200600_302600_NS6detail15normal_iteratorINS8_10device_ptrIiEEEESD_jNS1_19radix_merge_compareILb0ELb0EiNS0_19identity_decomposerEEEEE10hipError_tT0_T1_T2_jT3_P12ihipStream_tbPNSt15iterator_traitsISI_E10value_typeEPNSO_ISJ_E10value_typeEPSK_NS1_7vsmem_tEENKUlT_SI_SJ_SK_E_clIPiSD_S10_SD_EESH_SX_SI_SJ_SK_EUlSX_E0_NS1_11comp_targetILNS1_3genE2ELNS1_11target_archE906ELNS1_3gpuE6ELNS1_3repE0EEENS1_38merge_mergepath_config_static_selectorELNS0_4arch9wavefront6targetE0EEEvSJ_, .Lfunc_end721-_ZN7rocprim17ROCPRIM_400000_NS6detail17trampoline_kernelINS0_14default_configENS1_38merge_sort_block_merge_config_selectorIiiEEZZNS1_27merge_sort_block_merge_implIS3_N6thrust23THRUST_200600_302600_NS6detail15normal_iteratorINS8_10device_ptrIiEEEESD_jNS1_19radix_merge_compareILb0ELb0EiNS0_19identity_decomposerEEEEE10hipError_tT0_T1_T2_jT3_P12ihipStream_tbPNSt15iterator_traitsISI_E10value_typeEPNSO_ISJ_E10value_typeEPSK_NS1_7vsmem_tEENKUlT_SI_SJ_SK_E_clIPiSD_S10_SD_EESH_SX_SI_SJ_SK_EUlSX_E0_NS1_11comp_targetILNS1_3genE2ELNS1_11target_archE906ELNS1_3gpuE6ELNS1_3repE0EEENS1_38merge_mergepath_config_static_selectorELNS0_4arch9wavefront6targetE0EEEvSJ_
                                        ; -- End function
	.set _ZN7rocprim17ROCPRIM_400000_NS6detail17trampoline_kernelINS0_14default_configENS1_38merge_sort_block_merge_config_selectorIiiEEZZNS1_27merge_sort_block_merge_implIS3_N6thrust23THRUST_200600_302600_NS6detail15normal_iteratorINS8_10device_ptrIiEEEESD_jNS1_19radix_merge_compareILb0ELb0EiNS0_19identity_decomposerEEEEE10hipError_tT0_T1_T2_jT3_P12ihipStream_tbPNSt15iterator_traitsISI_E10value_typeEPNSO_ISJ_E10value_typeEPSK_NS1_7vsmem_tEENKUlT_SI_SJ_SK_E_clIPiSD_S10_SD_EESH_SX_SI_SJ_SK_EUlSX_E0_NS1_11comp_targetILNS1_3genE2ELNS1_11target_archE906ELNS1_3gpuE6ELNS1_3repE0EEENS1_38merge_mergepath_config_static_selectorELNS0_4arch9wavefront6targetE0EEEvSJ_.num_vgpr, 0
	.set _ZN7rocprim17ROCPRIM_400000_NS6detail17trampoline_kernelINS0_14default_configENS1_38merge_sort_block_merge_config_selectorIiiEEZZNS1_27merge_sort_block_merge_implIS3_N6thrust23THRUST_200600_302600_NS6detail15normal_iteratorINS8_10device_ptrIiEEEESD_jNS1_19radix_merge_compareILb0ELb0EiNS0_19identity_decomposerEEEEE10hipError_tT0_T1_T2_jT3_P12ihipStream_tbPNSt15iterator_traitsISI_E10value_typeEPNSO_ISJ_E10value_typeEPSK_NS1_7vsmem_tEENKUlT_SI_SJ_SK_E_clIPiSD_S10_SD_EESH_SX_SI_SJ_SK_EUlSX_E0_NS1_11comp_targetILNS1_3genE2ELNS1_11target_archE906ELNS1_3gpuE6ELNS1_3repE0EEENS1_38merge_mergepath_config_static_selectorELNS0_4arch9wavefront6targetE0EEEvSJ_.num_agpr, 0
	.set _ZN7rocprim17ROCPRIM_400000_NS6detail17trampoline_kernelINS0_14default_configENS1_38merge_sort_block_merge_config_selectorIiiEEZZNS1_27merge_sort_block_merge_implIS3_N6thrust23THRUST_200600_302600_NS6detail15normal_iteratorINS8_10device_ptrIiEEEESD_jNS1_19radix_merge_compareILb0ELb0EiNS0_19identity_decomposerEEEEE10hipError_tT0_T1_T2_jT3_P12ihipStream_tbPNSt15iterator_traitsISI_E10value_typeEPNSO_ISJ_E10value_typeEPSK_NS1_7vsmem_tEENKUlT_SI_SJ_SK_E_clIPiSD_S10_SD_EESH_SX_SI_SJ_SK_EUlSX_E0_NS1_11comp_targetILNS1_3genE2ELNS1_11target_archE906ELNS1_3gpuE6ELNS1_3repE0EEENS1_38merge_mergepath_config_static_selectorELNS0_4arch9wavefront6targetE0EEEvSJ_.numbered_sgpr, 0
	.set _ZN7rocprim17ROCPRIM_400000_NS6detail17trampoline_kernelINS0_14default_configENS1_38merge_sort_block_merge_config_selectorIiiEEZZNS1_27merge_sort_block_merge_implIS3_N6thrust23THRUST_200600_302600_NS6detail15normal_iteratorINS8_10device_ptrIiEEEESD_jNS1_19radix_merge_compareILb0ELb0EiNS0_19identity_decomposerEEEEE10hipError_tT0_T1_T2_jT3_P12ihipStream_tbPNSt15iterator_traitsISI_E10value_typeEPNSO_ISJ_E10value_typeEPSK_NS1_7vsmem_tEENKUlT_SI_SJ_SK_E_clIPiSD_S10_SD_EESH_SX_SI_SJ_SK_EUlSX_E0_NS1_11comp_targetILNS1_3genE2ELNS1_11target_archE906ELNS1_3gpuE6ELNS1_3repE0EEENS1_38merge_mergepath_config_static_selectorELNS0_4arch9wavefront6targetE0EEEvSJ_.num_named_barrier, 0
	.set _ZN7rocprim17ROCPRIM_400000_NS6detail17trampoline_kernelINS0_14default_configENS1_38merge_sort_block_merge_config_selectorIiiEEZZNS1_27merge_sort_block_merge_implIS3_N6thrust23THRUST_200600_302600_NS6detail15normal_iteratorINS8_10device_ptrIiEEEESD_jNS1_19radix_merge_compareILb0ELb0EiNS0_19identity_decomposerEEEEE10hipError_tT0_T1_T2_jT3_P12ihipStream_tbPNSt15iterator_traitsISI_E10value_typeEPNSO_ISJ_E10value_typeEPSK_NS1_7vsmem_tEENKUlT_SI_SJ_SK_E_clIPiSD_S10_SD_EESH_SX_SI_SJ_SK_EUlSX_E0_NS1_11comp_targetILNS1_3genE2ELNS1_11target_archE906ELNS1_3gpuE6ELNS1_3repE0EEENS1_38merge_mergepath_config_static_selectorELNS0_4arch9wavefront6targetE0EEEvSJ_.private_seg_size, 0
	.set _ZN7rocprim17ROCPRIM_400000_NS6detail17trampoline_kernelINS0_14default_configENS1_38merge_sort_block_merge_config_selectorIiiEEZZNS1_27merge_sort_block_merge_implIS3_N6thrust23THRUST_200600_302600_NS6detail15normal_iteratorINS8_10device_ptrIiEEEESD_jNS1_19radix_merge_compareILb0ELb0EiNS0_19identity_decomposerEEEEE10hipError_tT0_T1_T2_jT3_P12ihipStream_tbPNSt15iterator_traitsISI_E10value_typeEPNSO_ISJ_E10value_typeEPSK_NS1_7vsmem_tEENKUlT_SI_SJ_SK_E_clIPiSD_S10_SD_EESH_SX_SI_SJ_SK_EUlSX_E0_NS1_11comp_targetILNS1_3genE2ELNS1_11target_archE906ELNS1_3gpuE6ELNS1_3repE0EEENS1_38merge_mergepath_config_static_selectorELNS0_4arch9wavefront6targetE0EEEvSJ_.uses_vcc, 0
	.set _ZN7rocprim17ROCPRIM_400000_NS6detail17trampoline_kernelINS0_14default_configENS1_38merge_sort_block_merge_config_selectorIiiEEZZNS1_27merge_sort_block_merge_implIS3_N6thrust23THRUST_200600_302600_NS6detail15normal_iteratorINS8_10device_ptrIiEEEESD_jNS1_19radix_merge_compareILb0ELb0EiNS0_19identity_decomposerEEEEE10hipError_tT0_T1_T2_jT3_P12ihipStream_tbPNSt15iterator_traitsISI_E10value_typeEPNSO_ISJ_E10value_typeEPSK_NS1_7vsmem_tEENKUlT_SI_SJ_SK_E_clIPiSD_S10_SD_EESH_SX_SI_SJ_SK_EUlSX_E0_NS1_11comp_targetILNS1_3genE2ELNS1_11target_archE906ELNS1_3gpuE6ELNS1_3repE0EEENS1_38merge_mergepath_config_static_selectorELNS0_4arch9wavefront6targetE0EEEvSJ_.uses_flat_scratch, 0
	.set _ZN7rocprim17ROCPRIM_400000_NS6detail17trampoline_kernelINS0_14default_configENS1_38merge_sort_block_merge_config_selectorIiiEEZZNS1_27merge_sort_block_merge_implIS3_N6thrust23THRUST_200600_302600_NS6detail15normal_iteratorINS8_10device_ptrIiEEEESD_jNS1_19radix_merge_compareILb0ELb0EiNS0_19identity_decomposerEEEEE10hipError_tT0_T1_T2_jT3_P12ihipStream_tbPNSt15iterator_traitsISI_E10value_typeEPNSO_ISJ_E10value_typeEPSK_NS1_7vsmem_tEENKUlT_SI_SJ_SK_E_clIPiSD_S10_SD_EESH_SX_SI_SJ_SK_EUlSX_E0_NS1_11comp_targetILNS1_3genE2ELNS1_11target_archE906ELNS1_3gpuE6ELNS1_3repE0EEENS1_38merge_mergepath_config_static_selectorELNS0_4arch9wavefront6targetE0EEEvSJ_.has_dyn_sized_stack, 0
	.set _ZN7rocprim17ROCPRIM_400000_NS6detail17trampoline_kernelINS0_14default_configENS1_38merge_sort_block_merge_config_selectorIiiEEZZNS1_27merge_sort_block_merge_implIS3_N6thrust23THRUST_200600_302600_NS6detail15normal_iteratorINS8_10device_ptrIiEEEESD_jNS1_19radix_merge_compareILb0ELb0EiNS0_19identity_decomposerEEEEE10hipError_tT0_T1_T2_jT3_P12ihipStream_tbPNSt15iterator_traitsISI_E10value_typeEPNSO_ISJ_E10value_typeEPSK_NS1_7vsmem_tEENKUlT_SI_SJ_SK_E_clIPiSD_S10_SD_EESH_SX_SI_SJ_SK_EUlSX_E0_NS1_11comp_targetILNS1_3genE2ELNS1_11target_archE906ELNS1_3gpuE6ELNS1_3repE0EEENS1_38merge_mergepath_config_static_selectorELNS0_4arch9wavefront6targetE0EEEvSJ_.has_recursion, 0
	.set _ZN7rocprim17ROCPRIM_400000_NS6detail17trampoline_kernelINS0_14default_configENS1_38merge_sort_block_merge_config_selectorIiiEEZZNS1_27merge_sort_block_merge_implIS3_N6thrust23THRUST_200600_302600_NS6detail15normal_iteratorINS8_10device_ptrIiEEEESD_jNS1_19radix_merge_compareILb0ELb0EiNS0_19identity_decomposerEEEEE10hipError_tT0_T1_T2_jT3_P12ihipStream_tbPNSt15iterator_traitsISI_E10value_typeEPNSO_ISJ_E10value_typeEPSK_NS1_7vsmem_tEENKUlT_SI_SJ_SK_E_clIPiSD_S10_SD_EESH_SX_SI_SJ_SK_EUlSX_E0_NS1_11comp_targetILNS1_3genE2ELNS1_11target_archE906ELNS1_3gpuE6ELNS1_3repE0EEENS1_38merge_mergepath_config_static_selectorELNS0_4arch9wavefront6targetE0EEEvSJ_.has_indirect_call, 0
	.section	.AMDGPU.csdata,"",@progbits
; Kernel info:
; codeLenInByte = 0
; TotalNumSgprs: 0
; NumVgprs: 0
; ScratchSize: 0
; MemoryBound: 0
; FloatMode: 240
; IeeeMode: 1
; LDSByteSize: 0 bytes/workgroup (compile time only)
; SGPRBlocks: 0
; VGPRBlocks: 0
; NumSGPRsForWavesPerEU: 1
; NumVGPRsForWavesPerEU: 1
; Occupancy: 16
; WaveLimiterHint : 0
; COMPUTE_PGM_RSRC2:SCRATCH_EN: 0
; COMPUTE_PGM_RSRC2:USER_SGPR: 6
; COMPUTE_PGM_RSRC2:TRAP_HANDLER: 0
; COMPUTE_PGM_RSRC2:TGID_X_EN: 1
; COMPUTE_PGM_RSRC2:TGID_Y_EN: 0
; COMPUTE_PGM_RSRC2:TGID_Z_EN: 0
; COMPUTE_PGM_RSRC2:TIDIG_COMP_CNT: 0
	.section	.text._ZN7rocprim17ROCPRIM_400000_NS6detail17trampoline_kernelINS0_14default_configENS1_38merge_sort_block_merge_config_selectorIiiEEZZNS1_27merge_sort_block_merge_implIS3_N6thrust23THRUST_200600_302600_NS6detail15normal_iteratorINS8_10device_ptrIiEEEESD_jNS1_19radix_merge_compareILb0ELb0EiNS0_19identity_decomposerEEEEE10hipError_tT0_T1_T2_jT3_P12ihipStream_tbPNSt15iterator_traitsISI_E10value_typeEPNSO_ISJ_E10value_typeEPSK_NS1_7vsmem_tEENKUlT_SI_SJ_SK_E_clIPiSD_S10_SD_EESH_SX_SI_SJ_SK_EUlSX_E0_NS1_11comp_targetILNS1_3genE9ELNS1_11target_archE1100ELNS1_3gpuE3ELNS1_3repE0EEENS1_38merge_mergepath_config_static_selectorELNS0_4arch9wavefront6targetE0EEEvSJ_,"axG",@progbits,_ZN7rocprim17ROCPRIM_400000_NS6detail17trampoline_kernelINS0_14default_configENS1_38merge_sort_block_merge_config_selectorIiiEEZZNS1_27merge_sort_block_merge_implIS3_N6thrust23THRUST_200600_302600_NS6detail15normal_iteratorINS8_10device_ptrIiEEEESD_jNS1_19radix_merge_compareILb0ELb0EiNS0_19identity_decomposerEEEEE10hipError_tT0_T1_T2_jT3_P12ihipStream_tbPNSt15iterator_traitsISI_E10value_typeEPNSO_ISJ_E10value_typeEPSK_NS1_7vsmem_tEENKUlT_SI_SJ_SK_E_clIPiSD_S10_SD_EESH_SX_SI_SJ_SK_EUlSX_E0_NS1_11comp_targetILNS1_3genE9ELNS1_11target_archE1100ELNS1_3gpuE3ELNS1_3repE0EEENS1_38merge_mergepath_config_static_selectorELNS0_4arch9wavefront6targetE0EEEvSJ_,comdat
	.protected	_ZN7rocprim17ROCPRIM_400000_NS6detail17trampoline_kernelINS0_14default_configENS1_38merge_sort_block_merge_config_selectorIiiEEZZNS1_27merge_sort_block_merge_implIS3_N6thrust23THRUST_200600_302600_NS6detail15normal_iteratorINS8_10device_ptrIiEEEESD_jNS1_19radix_merge_compareILb0ELb0EiNS0_19identity_decomposerEEEEE10hipError_tT0_T1_T2_jT3_P12ihipStream_tbPNSt15iterator_traitsISI_E10value_typeEPNSO_ISJ_E10value_typeEPSK_NS1_7vsmem_tEENKUlT_SI_SJ_SK_E_clIPiSD_S10_SD_EESH_SX_SI_SJ_SK_EUlSX_E0_NS1_11comp_targetILNS1_3genE9ELNS1_11target_archE1100ELNS1_3gpuE3ELNS1_3repE0EEENS1_38merge_mergepath_config_static_selectorELNS0_4arch9wavefront6targetE0EEEvSJ_ ; -- Begin function _ZN7rocprim17ROCPRIM_400000_NS6detail17trampoline_kernelINS0_14default_configENS1_38merge_sort_block_merge_config_selectorIiiEEZZNS1_27merge_sort_block_merge_implIS3_N6thrust23THRUST_200600_302600_NS6detail15normal_iteratorINS8_10device_ptrIiEEEESD_jNS1_19radix_merge_compareILb0ELb0EiNS0_19identity_decomposerEEEEE10hipError_tT0_T1_T2_jT3_P12ihipStream_tbPNSt15iterator_traitsISI_E10value_typeEPNSO_ISJ_E10value_typeEPSK_NS1_7vsmem_tEENKUlT_SI_SJ_SK_E_clIPiSD_S10_SD_EESH_SX_SI_SJ_SK_EUlSX_E0_NS1_11comp_targetILNS1_3genE9ELNS1_11target_archE1100ELNS1_3gpuE3ELNS1_3repE0EEENS1_38merge_mergepath_config_static_selectorELNS0_4arch9wavefront6targetE0EEEvSJ_
	.globl	_ZN7rocprim17ROCPRIM_400000_NS6detail17trampoline_kernelINS0_14default_configENS1_38merge_sort_block_merge_config_selectorIiiEEZZNS1_27merge_sort_block_merge_implIS3_N6thrust23THRUST_200600_302600_NS6detail15normal_iteratorINS8_10device_ptrIiEEEESD_jNS1_19radix_merge_compareILb0ELb0EiNS0_19identity_decomposerEEEEE10hipError_tT0_T1_T2_jT3_P12ihipStream_tbPNSt15iterator_traitsISI_E10value_typeEPNSO_ISJ_E10value_typeEPSK_NS1_7vsmem_tEENKUlT_SI_SJ_SK_E_clIPiSD_S10_SD_EESH_SX_SI_SJ_SK_EUlSX_E0_NS1_11comp_targetILNS1_3genE9ELNS1_11target_archE1100ELNS1_3gpuE3ELNS1_3repE0EEENS1_38merge_mergepath_config_static_selectorELNS0_4arch9wavefront6targetE0EEEvSJ_
	.p2align	8
	.type	_ZN7rocprim17ROCPRIM_400000_NS6detail17trampoline_kernelINS0_14default_configENS1_38merge_sort_block_merge_config_selectorIiiEEZZNS1_27merge_sort_block_merge_implIS3_N6thrust23THRUST_200600_302600_NS6detail15normal_iteratorINS8_10device_ptrIiEEEESD_jNS1_19radix_merge_compareILb0ELb0EiNS0_19identity_decomposerEEEEE10hipError_tT0_T1_T2_jT3_P12ihipStream_tbPNSt15iterator_traitsISI_E10value_typeEPNSO_ISJ_E10value_typeEPSK_NS1_7vsmem_tEENKUlT_SI_SJ_SK_E_clIPiSD_S10_SD_EESH_SX_SI_SJ_SK_EUlSX_E0_NS1_11comp_targetILNS1_3genE9ELNS1_11target_archE1100ELNS1_3gpuE3ELNS1_3repE0EEENS1_38merge_mergepath_config_static_selectorELNS0_4arch9wavefront6targetE0EEEvSJ_,@function
_ZN7rocprim17ROCPRIM_400000_NS6detail17trampoline_kernelINS0_14default_configENS1_38merge_sort_block_merge_config_selectorIiiEEZZNS1_27merge_sort_block_merge_implIS3_N6thrust23THRUST_200600_302600_NS6detail15normal_iteratorINS8_10device_ptrIiEEEESD_jNS1_19radix_merge_compareILb0ELb0EiNS0_19identity_decomposerEEEEE10hipError_tT0_T1_T2_jT3_P12ihipStream_tbPNSt15iterator_traitsISI_E10value_typeEPNSO_ISJ_E10value_typeEPSK_NS1_7vsmem_tEENKUlT_SI_SJ_SK_E_clIPiSD_S10_SD_EESH_SX_SI_SJ_SK_EUlSX_E0_NS1_11comp_targetILNS1_3genE9ELNS1_11target_archE1100ELNS1_3gpuE3ELNS1_3repE0EEENS1_38merge_mergepath_config_static_selectorELNS0_4arch9wavefront6targetE0EEEvSJ_: ; @_ZN7rocprim17ROCPRIM_400000_NS6detail17trampoline_kernelINS0_14default_configENS1_38merge_sort_block_merge_config_selectorIiiEEZZNS1_27merge_sort_block_merge_implIS3_N6thrust23THRUST_200600_302600_NS6detail15normal_iteratorINS8_10device_ptrIiEEEESD_jNS1_19radix_merge_compareILb0ELb0EiNS0_19identity_decomposerEEEEE10hipError_tT0_T1_T2_jT3_P12ihipStream_tbPNSt15iterator_traitsISI_E10value_typeEPNSO_ISJ_E10value_typeEPSK_NS1_7vsmem_tEENKUlT_SI_SJ_SK_E_clIPiSD_S10_SD_EESH_SX_SI_SJ_SK_EUlSX_E0_NS1_11comp_targetILNS1_3genE9ELNS1_11target_archE1100ELNS1_3gpuE3ELNS1_3repE0EEENS1_38merge_mergepath_config_static_selectorELNS0_4arch9wavefront6targetE0EEEvSJ_
; %bb.0:
	.section	.rodata,"a",@progbits
	.p2align	6, 0x0
	.amdhsa_kernel _ZN7rocprim17ROCPRIM_400000_NS6detail17trampoline_kernelINS0_14default_configENS1_38merge_sort_block_merge_config_selectorIiiEEZZNS1_27merge_sort_block_merge_implIS3_N6thrust23THRUST_200600_302600_NS6detail15normal_iteratorINS8_10device_ptrIiEEEESD_jNS1_19radix_merge_compareILb0ELb0EiNS0_19identity_decomposerEEEEE10hipError_tT0_T1_T2_jT3_P12ihipStream_tbPNSt15iterator_traitsISI_E10value_typeEPNSO_ISJ_E10value_typeEPSK_NS1_7vsmem_tEENKUlT_SI_SJ_SK_E_clIPiSD_S10_SD_EESH_SX_SI_SJ_SK_EUlSX_E0_NS1_11comp_targetILNS1_3genE9ELNS1_11target_archE1100ELNS1_3gpuE3ELNS1_3repE0EEENS1_38merge_mergepath_config_static_selectorELNS0_4arch9wavefront6targetE0EEEvSJ_
		.amdhsa_group_segment_fixed_size 0
		.amdhsa_private_segment_fixed_size 0
		.amdhsa_kernarg_size 64
		.amdhsa_user_sgpr_count 6
		.amdhsa_user_sgpr_private_segment_buffer 1
		.amdhsa_user_sgpr_dispatch_ptr 0
		.amdhsa_user_sgpr_queue_ptr 0
		.amdhsa_user_sgpr_kernarg_segment_ptr 1
		.amdhsa_user_sgpr_dispatch_id 0
		.amdhsa_user_sgpr_flat_scratch_init 0
		.amdhsa_user_sgpr_private_segment_size 0
		.amdhsa_wavefront_size32 1
		.amdhsa_uses_dynamic_stack 0
		.amdhsa_system_sgpr_private_segment_wavefront_offset 0
		.amdhsa_system_sgpr_workgroup_id_x 1
		.amdhsa_system_sgpr_workgroup_id_y 0
		.amdhsa_system_sgpr_workgroup_id_z 0
		.amdhsa_system_sgpr_workgroup_info 0
		.amdhsa_system_vgpr_workitem_id 0
		.amdhsa_next_free_vgpr 1
		.amdhsa_next_free_sgpr 1
		.amdhsa_reserve_vcc 0
		.amdhsa_reserve_flat_scratch 0
		.amdhsa_float_round_mode_32 0
		.amdhsa_float_round_mode_16_64 0
		.amdhsa_float_denorm_mode_32 3
		.amdhsa_float_denorm_mode_16_64 3
		.amdhsa_dx10_clamp 1
		.amdhsa_ieee_mode 1
		.amdhsa_fp16_overflow 0
		.amdhsa_workgroup_processor_mode 1
		.amdhsa_memory_ordered 1
		.amdhsa_forward_progress 1
		.amdhsa_shared_vgpr_count 0
		.amdhsa_exception_fp_ieee_invalid_op 0
		.amdhsa_exception_fp_denorm_src 0
		.amdhsa_exception_fp_ieee_div_zero 0
		.amdhsa_exception_fp_ieee_overflow 0
		.amdhsa_exception_fp_ieee_underflow 0
		.amdhsa_exception_fp_ieee_inexact 0
		.amdhsa_exception_int_div_zero 0
	.end_amdhsa_kernel
	.section	.text._ZN7rocprim17ROCPRIM_400000_NS6detail17trampoline_kernelINS0_14default_configENS1_38merge_sort_block_merge_config_selectorIiiEEZZNS1_27merge_sort_block_merge_implIS3_N6thrust23THRUST_200600_302600_NS6detail15normal_iteratorINS8_10device_ptrIiEEEESD_jNS1_19radix_merge_compareILb0ELb0EiNS0_19identity_decomposerEEEEE10hipError_tT0_T1_T2_jT3_P12ihipStream_tbPNSt15iterator_traitsISI_E10value_typeEPNSO_ISJ_E10value_typeEPSK_NS1_7vsmem_tEENKUlT_SI_SJ_SK_E_clIPiSD_S10_SD_EESH_SX_SI_SJ_SK_EUlSX_E0_NS1_11comp_targetILNS1_3genE9ELNS1_11target_archE1100ELNS1_3gpuE3ELNS1_3repE0EEENS1_38merge_mergepath_config_static_selectorELNS0_4arch9wavefront6targetE0EEEvSJ_,"axG",@progbits,_ZN7rocprim17ROCPRIM_400000_NS6detail17trampoline_kernelINS0_14default_configENS1_38merge_sort_block_merge_config_selectorIiiEEZZNS1_27merge_sort_block_merge_implIS3_N6thrust23THRUST_200600_302600_NS6detail15normal_iteratorINS8_10device_ptrIiEEEESD_jNS1_19radix_merge_compareILb0ELb0EiNS0_19identity_decomposerEEEEE10hipError_tT0_T1_T2_jT3_P12ihipStream_tbPNSt15iterator_traitsISI_E10value_typeEPNSO_ISJ_E10value_typeEPSK_NS1_7vsmem_tEENKUlT_SI_SJ_SK_E_clIPiSD_S10_SD_EESH_SX_SI_SJ_SK_EUlSX_E0_NS1_11comp_targetILNS1_3genE9ELNS1_11target_archE1100ELNS1_3gpuE3ELNS1_3repE0EEENS1_38merge_mergepath_config_static_selectorELNS0_4arch9wavefront6targetE0EEEvSJ_,comdat
.Lfunc_end722:
	.size	_ZN7rocprim17ROCPRIM_400000_NS6detail17trampoline_kernelINS0_14default_configENS1_38merge_sort_block_merge_config_selectorIiiEEZZNS1_27merge_sort_block_merge_implIS3_N6thrust23THRUST_200600_302600_NS6detail15normal_iteratorINS8_10device_ptrIiEEEESD_jNS1_19radix_merge_compareILb0ELb0EiNS0_19identity_decomposerEEEEE10hipError_tT0_T1_T2_jT3_P12ihipStream_tbPNSt15iterator_traitsISI_E10value_typeEPNSO_ISJ_E10value_typeEPSK_NS1_7vsmem_tEENKUlT_SI_SJ_SK_E_clIPiSD_S10_SD_EESH_SX_SI_SJ_SK_EUlSX_E0_NS1_11comp_targetILNS1_3genE9ELNS1_11target_archE1100ELNS1_3gpuE3ELNS1_3repE0EEENS1_38merge_mergepath_config_static_selectorELNS0_4arch9wavefront6targetE0EEEvSJ_, .Lfunc_end722-_ZN7rocprim17ROCPRIM_400000_NS6detail17trampoline_kernelINS0_14default_configENS1_38merge_sort_block_merge_config_selectorIiiEEZZNS1_27merge_sort_block_merge_implIS3_N6thrust23THRUST_200600_302600_NS6detail15normal_iteratorINS8_10device_ptrIiEEEESD_jNS1_19radix_merge_compareILb0ELb0EiNS0_19identity_decomposerEEEEE10hipError_tT0_T1_T2_jT3_P12ihipStream_tbPNSt15iterator_traitsISI_E10value_typeEPNSO_ISJ_E10value_typeEPSK_NS1_7vsmem_tEENKUlT_SI_SJ_SK_E_clIPiSD_S10_SD_EESH_SX_SI_SJ_SK_EUlSX_E0_NS1_11comp_targetILNS1_3genE9ELNS1_11target_archE1100ELNS1_3gpuE3ELNS1_3repE0EEENS1_38merge_mergepath_config_static_selectorELNS0_4arch9wavefront6targetE0EEEvSJ_
                                        ; -- End function
	.set _ZN7rocprim17ROCPRIM_400000_NS6detail17trampoline_kernelINS0_14default_configENS1_38merge_sort_block_merge_config_selectorIiiEEZZNS1_27merge_sort_block_merge_implIS3_N6thrust23THRUST_200600_302600_NS6detail15normal_iteratorINS8_10device_ptrIiEEEESD_jNS1_19radix_merge_compareILb0ELb0EiNS0_19identity_decomposerEEEEE10hipError_tT0_T1_T2_jT3_P12ihipStream_tbPNSt15iterator_traitsISI_E10value_typeEPNSO_ISJ_E10value_typeEPSK_NS1_7vsmem_tEENKUlT_SI_SJ_SK_E_clIPiSD_S10_SD_EESH_SX_SI_SJ_SK_EUlSX_E0_NS1_11comp_targetILNS1_3genE9ELNS1_11target_archE1100ELNS1_3gpuE3ELNS1_3repE0EEENS1_38merge_mergepath_config_static_selectorELNS0_4arch9wavefront6targetE0EEEvSJ_.num_vgpr, 0
	.set _ZN7rocprim17ROCPRIM_400000_NS6detail17trampoline_kernelINS0_14default_configENS1_38merge_sort_block_merge_config_selectorIiiEEZZNS1_27merge_sort_block_merge_implIS3_N6thrust23THRUST_200600_302600_NS6detail15normal_iteratorINS8_10device_ptrIiEEEESD_jNS1_19radix_merge_compareILb0ELb0EiNS0_19identity_decomposerEEEEE10hipError_tT0_T1_T2_jT3_P12ihipStream_tbPNSt15iterator_traitsISI_E10value_typeEPNSO_ISJ_E10value_typeEPSK_NS1_7vsmem_tEENKUlT_SI_SJ_SK_E_clIPiSD_S10_SD_EESH_SX_SI_SJ_SK_EUlSX_E0_NS1_11comp_targetILNS1_3genE9ELNS1_11target_archE1100ELNS1_3gpuE3ELNS1_3repE0EEENS1_38merge_mergepath_config_static_selectorELNS0_4arch9wavefront6targetE0EEEvSJ_.num_agpr, 0
	.set _ZN7rocprim17ROCPRIM_400000_NS6detail17trampoline_kernelINS0_14default_configENS1_38merge_sort_block_merge_config_selectorIiiEEZZNS1_27merge_sort_block_merge_implIS3_N6thrust23THRUST_200600_302600_NS6detail15normal_iteratorINS8_10device_ptrIiEEEESD_jNS1_19radix_merge_compareILb0ELb0EiNS0_19identity_decomposerEEEEE10hipError_tT0_T1_T2_jT3_P12ihipStream_tbPNSt15iterator_traitsISI_E10value_typeEPNSO_ISJ_E10value_typeEPSK_NS1_7vsmem_tEENKUlT_SI_SJ_SK_E_clIPiSD_S10_SD_EESH_SX_SI_SJ_SK_EUlSX_E0_NS1_11comp_targetILNS1_3genE9ELNS1_11target_archE1100ELNS1_3gpuE3ELNS1_3repE0EEENS1_38merge_mergepath_config_static_selectorELNS0_4arch9wavefront6targetE0EEEvSJ_.numbered_sgpr, 0
	.set _ZN7rocprim17ROCPRIM_400000_NS6detail17trampoline_kernelINS0_14default_configENS1_38merge_sort_block_merge_config_selectorIiiEEZZNS1_27merge_sort_block_merge_implIS3_N6thrust23THRUST_200600_302600_NS6detail15normal_iteratorINS8_10device_ptrIiEEEESD_jNS1_19radix_merge_compareILb0ELb0EiNS0_19identity_decomposerEEEEE10hipError_tT0_T1_T2_jT3_P12ihipStream_tbPNSt15iterator_traitsISI_E10value_typeEPNSO_ISJ_E10value_typeEPSK_NS1_7vsmem_tEENKUlT_SI_SJ_SK_E_clIPiSD_S10_SD_EESH_SX_SI_SJ_SK_EUlSX_E0_NS1_11comp_targetILNS1_3genE9ELNS1_11target_archE1100ELNS1_3gpuE3ELNS1_3repE0EEENS1_38merge_mergepath_config_static_selectorELNS0_4arch9wavefront6targetE0EEEvSJ_.num_named_barrier, 0
	.set _ZN7rocprim17ROCPRIM_400000_NS6detail17trampoline_kernelINS0_14default_configENS1_38merge_sort_block_merge_config_selectorIiiEEZZNS1_27merge_sort_block_merge_implIS3_N6thrust23THRUST_200600_302600_NS6detail15normal_iteratorINS8_10device_ptrIiEEEESD_jNS1_19radix_merge_compareILb0ELb0EiNS0_19identity_decomposerEEEEE10hipError_tT0_T1_T2_jT3_P12ihipStream_tbPNSt15iterator_traitsISI_E10value_typeEPNSO_ISJ_E10value_typeEPSK_NS1_7vsmem_tEENKUlT_SI_SJ_SK_E_clIPiSD_S10_SD_EESH_SX_SI_SJ_SK_EUlSX_E0_NS1_11comp_targetILNS1_3genE9ELNS1_11target_archE1100ELNS1_3gpuE3ELNS1_3repE0EEENS1_38merge_mergepath_config_static_selectorELNS0_4arch9wavefront6targetE0EEEvSJ_.private_seg_size, 0
	.set _ZN7rocprim17ROCPRIM_400000_NS6detail17trampoline_kernelINS0_14default_configENS1_38merge_sort_block_merge_config_selectorIiiEEZZNS1_27merge_sort_block_merge_implIS3_N6thrust23THRUST_200600_302600_NS6detail15normal_iteratorINS8_10device_ptrIiEEEESD_jNS1_19radix_merge_compareILb0ELb0EiNS0_19identity_decomposerEEEEE10hipError_tT0_T1_T2_jT3_P12ihipStream_tbPNSt15iterator_traitsISI_E10value_typeEPNSO_ISJ_E10value_typeEPSK_NS1_7vsmem_tEENKUlT_SI_SJ_SK_E_clIPiSD_S10_SD_EESH_SX_SI_SJ_SK_EUlSX_E0_NS1_11comp_targetILNS1_3genE9ELNS1_11target_archE1100ELNS1_3gpuE3ELNS1_3repE0EEENS1_38merge_mergepath_config_static_selectorELNS0_4arch9wavefront6targetE0EEEvSJ_.uses_vcc, 0
	.set _ZN7rocprim17ROCPRIM_400000_NS6detail17trampoline_kernelINS0_14default_configENS1_38merge_sort_block_merge_config_selectorIiiEEZZNS1_27merge_sort_block_merge_implIS3_N6thrust23THRUST_200600_302600_NS6detail15normal_iteratorINS8_10device_ptrIiEEEESD_jNS1_19radix_merge_compareILb0ELb0EiNS0_19identity_decomposerEEEEE10hipError_tT0_T1_T2_jT3_P12ihipStream_tbPNSt15iterator_traitsISI_E10value_typeEPNSO_ISJ_E10value_typeEPSK_NS1_7vsmem_tEENKUlT_SI_SJ_SK_E_clIPiSD_S10_SD_EESH_SX_SI_SJ_SK_EUlSX_E0_NS1_11comp_targetILNS1_3genE9ELNS1_11target_archE1100ELNS1_3gpuE3ELNS1_3repE0EEENS1_38merge_mergepath_config_static_selectorELNS0_4arch9wavefront6targetE0EEEvSJ_.uses_flat_scratch, 0
	.set _ZN7rocprim17ROCPRIM_400000_NS6detail17trampoline_kernelINS0_14default_configENS1_38merge_sort_block_merge_config_selectorIiiEEZZNS1_27merge_sort_block_merge_implIS3_N6thrust23THRUST_200600_302600_NS6detail15normal_iteratorINS8_10device_ptrIiEEEESD_jNS1_19radix_merge_compareILb0ELb0EiNS0_19identity_decomposerEEEEE10hipError_tT0_T1_T2_jT3_P12ihipStream_tbPNSt15iterator_traitsISI_E10value_typeEPNSO_ISJ_E10value_typeEPSK_NS1_7vsmem_tEENKUlT_SI_SJ_SK_E_clIPiSD_S10_SD_EESH_SX_SI_SJ_SK_EUlSX_E0_NS1_11comp_targetILNS1_3genE9ELNS1_11target_archE1100ELNS1_3gpuE3ELNS1_3repE0EEENS1_38merge_mergepath_config_static_selectorELNS0_4arch9wavefront6targetE0EEEvSJ_.has_dyn_sized_stack, 0
	.set _ZN7rocprim17ROCPRIM_400000_NS6detail17trampoline_kernelINS0_14default_configENS1_38merge_sort_block_merge_config_selectorIiiEEZZNS1_27merge_sort_block_merge_implIS3_N6thrust23THRUST_200600_302600_NS6detail15normal_iteratorINS8_10device_ptrIiEEEESD_jNS1_19radix_merge_compareILb0ELb0EiNS0_19identity_decomposerEEEEE10hipError_tT0_T1_T2_jT3_P12ihipStream_tbPNSt15iterator_traitsISI_E10value_typeEPNSO_ISJ_E10value_typeEPSK_NS1_7vsmem_tEENKUlT_SI_SJ_SK_E_clIPiSD_S10_SD_EESH_SX_SI_SJ_SK_EUlSX_E0_NS1_11comp_targetILNS1_3genE9ELNS1_11target_archE1100ELNS1_3gpuE3ELNS1_3repE0EEENS1_38merge_mergepath_config_static_selectorELNS0_4arch9wavefront6targetE0EEEvSJ_.has_recursion, 0
	.set _ZN7rocprim17ROCPRIM_400000_NS6detail17trampoline_kernelINS0_14default_configENS1_38merge_sort_block_merge_config_selectorIiiEEZZNS1_27merge_sort_block_merge_implIS3_N6thrust23THRUST_200600_302600_NS6detail15normal_iteratorINS8_10device_ptrIiEEEESD_jNS1_19radix_merge_compareILb0ELb0EiNS0_19identity_decomposerEEEEE10hipError_tT0_T1_T2_jT3_P12ihipStream_tbPNSt15iterator_traitsISI_E10value_typeEPNSO_ISJ_E10value_typeEPSK_NS1_7vsmem_tEENKUlT_SI_SJ_SK_E_clIPiSD_S10_SD_EESH_SX_SI_SJ_SK_EUlSX_E0_NS1_11comp_targetILNS1_3genE9ELNS1_11target_archE1100ELNS1_3gpuE3ELNS1_3repE0EEENS1_38merge_mergepath_config_static_selectorELNS0_4arch9wavefront6targetE0EEEvSJ_.has_indirect_call, 0
	.section	.AMDGPU.csdata,"",@progbits
; Kernel info:
; codeLenInByte = 0
; TotalNumSgprs: 0
; NumVgprs: 0
; ScratchSize: 0
; MemoryBound: 0
; FloatMode: 240
; IeeeMode: 1
; LDSByteSize: 0 bytes/workgroup (compile time only)
; SGPRBlocks: 0
; VGPRBlocks: 0
; NumSGPRsForWavesPerEU: 1
; NumVGPRsForWavesPerEU: 1
; Occupancy: 16
; WaveLimiterHint : 0
; COMPUTE_PGM_RSRC2:SCRATCH_EN: 0
; COMPUTE_PGM_RSRC2:USER_SGPR: 6
; COMPUTE_PGM_RSRC2:TRAP_HANDLER: 0
; COMPUTE_PGM_RSRC2:TGID_X_EN: 1
; COMPUTE_PGM_RSRC2:TGID_Y_EN: 0
; COMPUTE_PGM_RSRC2:TGID_Z_EN: 0
; COMPUTE_PGM_RSRC2:TIDIG_COMP_CNT: 0
	.section	.text._ZN7rocprim17ROCPRIM_400000_NS6detail17trampoline_kernelINS0_14default_configENS1_38merge_sort_block_merge_config_selectorIiiEEZZNS1_27merge_sort_block_merge_implIS3_N6thrust23THRUST_200600_302600_NS6detail15normal_iteratorINS8_10device_ptrIiEEEESD_jNS1_19radix_merge_compareILb0ELb0EiNS0_19identity_decomposerEEEEE10hipError_tT0_T1_T2_jT3_P12ihipStream_tbPNSt15iterator_traitsISI_E10value_typeEPNSO_ISJ_E10value_typeEPSK_NS1_7vsmem_tEENKUlT_SI_SJ_SK_E_clIPiSD_S10_SD_EESH_SX_SI_SJ_SK_EUlSX_E0_NS1_11comp_targetILNS1_3genE8ELNS1_11target_archE1030ELNS1_3gpuE2ELNS1_3repE0EEENS1_38merge_mergepath_config_static_selectorELNS0_4arch9wavefront6targetE0EEEvSJ_,"axG",@progbits,_ZN7rocprim17ROCPRIM_400000_NS6detail17trampoline_kernelINS0_14default_configENS1_38merge_sort_block_merge_config_selectorIiiEEZZNS1_27merge_sort_block_merge_implIS3_N6thrust23THRUST_200600_302600_NS6detail15normal_iteratorINS8_10device_ptrIiEEEESD_jNS1_19radix_merge_compareILb0ELb0EiNS0_19identity_decomposerEEEEE10hipError_tT0_T1_T2_jT3_P12ihipStream_tbPNSt15iterator_traitsISI_E10value_typeEPNSO_ISJ_E10value_typeEPSK_NS1_7vsmem_tEENKUlT_SI_SJ_SK_E_clIPiSD_S10_SD_EESH_SX_SI_SJ_SK_EUlSX_E0_NS1_11comp_targetILNS1_3genE8ELNS1_11target_archE1030ELNS1_3gpuE2ELNS1_3repE0EEENS1_38merge_mergepath_config_static_selectorELNS0_4arch9wavefront6targetE0EEEvSJ_,comdat
	.protected	_ZN7rocprim17ROCPRIM_400000_NS6detail17trampoline_kernelINS0_14default_configENS1_38merge_sort_block_merge_config_selectorIiiEEZZNS1_27merge_sort_block_merge_implIS3_N6thrust23THRUST_200600_302600_NS6detail15normal_iteratorINS8_10device_ptrIiEEEESD_jNS1_19radix_merge_compareILb0ELb0EiNS0_19identity_decomposerEEEEE10hipError_tT0_T1_T2_jT3_P12ihipStream_tbPNSt15iterator_traitsISI_E10value_typeEPNSO_ISJ_E10value_typeEPSK_NS1_7vsmem_tEENKUlT_SI_SJ_SK_E_clIPiSD_S10_SD_EESH_SX_SI_SJ_SK_EUlSX_E0_NS1_11comp_targetILNS1_3genE8ELNS1_11target_archE1030ELNS1_3gpuE2ELNS1_3repE0EEENS1_38merge_mergepath_config_static_selectorELNS0_4arch9wavefront6targetE0EEEvSJ_ ; -- Begin function _ZN7rocprim17ROCPRIM_400000_NS6detail17trampoline_kernelINS0_14default_configENS1_38merge_sort_block_merge_config_selectorIiiEEZZNS1_27merge_sort_block_merge_implIS3_N6thrust23THRUST_200600_302600_NS6detail15normal_iteratorINS8_10device_ptrIiEEEESD_jNS1_19radix_merge_compareILb0ELb0EiNS0_19identity_decomposerEEEEE10hipError_tT0_T1_T2_jT3_P12ihipStream_tbPNSt15iterator_traitsISI_E10value_typeEPNSO_ISJ_E10value_typeEPSK_NS1_7vsmem_tEENKUlT_SI_SJ_SK_E_clIPiSD_S10_SD_EESH_SX_SI_SJ_SK_EUlSX_E0_NS1_11comp_targetILNS1_3genE8ELNS1_11target_archE1030ELNS1_3gpuE2ELNS1_3repE0EEENS1_38merge_mergepath_config_static_selectorELNS0_4arch9wavefront6targetE0EEEvSJ_
	.globl	_ZN7rocprim17ROCPRIM_400000_NS6detail17trampoline_kernelINS0_14default_configENS1_38merge_sort_block_merge_config_selectorIiiEEZZNS1_27merge_sort_block_merge_implIS3_N6thrust23THRUST_200600_302600_NS6detail15normal_iteratorINS8_10device_ptrIiEEEESD_jNS1_19radix_merge_compareILb0ELb0EiNS0_19identity_decomposerEEEEE10hipError_tT0_T1_T2_jT3_P12ihipStream_tbPNSt15iterator_traitsISI_E10value_typeEPNSO_ISJ_E10value_typeEPSK_NS1_7vsmem_tEENKUlT_SI_SJ_SK_E_clIPiSD_S10_SD_EESH_SX_SI_SJ_SK_EUlSX_E0_NS1_11comp_targetILNS1_3genE8ELNS1_11target_archE1030ELNS1_3gpuE2ELNS1_3repE0EEENS1_38merge_mergepath_config_static_selectorELNS0_4arch9wavefront6targetE0EEEvSJ_
	.p2align	8
	.type	_ZN7rocprim17ROCPRIM_400000_NS6detail17trampoline_kernelINS0_14default_configENS1_38merge_sort_block_merge_config_selectorIiiEEZZNS1_27merge_sort_block_merge_implIS3_N6thrust23THRUST_200600_302600_NS6detail15normal_iteratorINS8_10device_ptrIiEEEESD_jNS1_19radix_merge_compareILb0ELb0EiNS0_19identity_decomposerEEEEE10hipError_tT0_T1_T2_jT3_P12ihipStream_tbPNSt15iterator_traitsISI_E10value_typeEPNSO_ISJ_E10value_typeEPSK_NS1_7vsmem_tEENKUlT_SI_SJ_SK_E_clIPiSD_S10_SD_EESH_SX_SI_SJ_SK_EUlSX_E0_NS1_11comp_targetILNS1_3genE8ELNS1_11target_archE1030ELNS1_3gpuE2ELNS1_3repE0EEENS1_38merge_mergepath_config_static_selectorELNS0_4arch9wavefront6targetE0EEEvSJ_,@function
_ZN7rocprim17ROCPRIM_400000_NS6detail17trampoline_kernelINS0_14default_configENS1_38merge_sort_block_merge_config_selectorIiiEEZZNS1_27merge_sort_block_merge_implIS3_N6thrust23THRUST_200600_302600_NS6detail15normal_iteratorINS8_10device_ptrIiEEEESD_jNS1_19radix_merge_compareILb0ELb0EiNS0_19identity_decomposerEEEEE10hipError_tT0_T1_T2_jT3_P12ihipStream_tbPNSt15iterator_traitsISI_E10value_typeEPNSO_ISJ_E10value_typeEPSK_NS1_7vsmem_tEENKUlT_SI_SJ_SK_E_clIPiSD_S10_SD_EESH_SX_SI_SJ_SK_EUlSX_E0_NS1_11comp_targetILNS1_3genE8ELNS1_11target_archE1030ELNS1_3gpuE2ELNS1_3repE0EEENS1_38merge_mergepath_config_static_selectorELNS0_4arch9wavefront6targetE0EEEvSJ_: ; @_ZN7rocprim17ROCPRIM_400000_NS6detail17trampoline_kernelINS0_14default_configENS1_38merge_sort_block_merge_config_selectorIiiEEZZNS1_27merge_sort_block_merge_implIS3_N6thrust23THRUST_200600_302600_NS6detail15normal_iteratorINS8_10device_ptrIiEEEESD_jNS1_19radix_merge_compareILb0ELb0EiNS0_19identity_decomposerEEEEE10hipError_tT0_T1_T2_jT3_P12ihipStream_tbPNSt15iterator_traitsISI_E10value_typeEPNSO_ISJ_E10value_typeEPSK_NS1_7vsmem_tEENKUlT_SI_SJ_SK_E_clIPiSD_S10_SD_EESH_SX_SI_SJ_SK_EUlSX_E0_NS1_11comp_targetILNS1_3genE8ELNS1_11target_archE1030ELNS1_3gpuE2ELNS1_3repE0EEENS1_38merge_mergepath_config_static_selectorELNS0_4arch9wavefront6targetE0EEEvSJ_
; %bb.0:
	s_clause 0x1
	s_load_dwordx2 s[0:1], s[4:5], 0x40
	s_load_dword s2, s[4:5], 0x30
	s_waitcnt lgkmcnt(0)
	s_mul_i32 s1, s1, s8
	s_add_i32 s1, s1, s7
	s_mul_i32 s0, s1, s0
	s_add_i32 s14, s0, s6
	s_cmp_ge_u32 s14, s2
	s_cbranch_scc1 .LBB723_24
; %bb.1:
	s_clause 0x1
	s_load_dwordx2 s[10:11], s[4:5], 0x28
	s_load_dwordx2 s[0:1], s[4:5], 0x38
	s_mov_b32 s15, 0
	v_mov_b32_e32 v2, 0
                                        ; implicit-def: $vgpr3
	s_waitcnt lgkmcnt(0)
	s_lshr_b32 s2, s10, 10
	s_cmp_lg_u32 s14, s2
	s_cselect_b32 s16, -1, 0
	s_lshl_b64 s[2:3], s[14:15], 2
	s_add_u32 s0, s0, s2
	s_addc_u32 s1, s1, s3
	s_load_dwordx2 s[12:13], s[0:1], 0x0
	s_lshr_b32 s0, s11, 9
	s_and_b32 s8, s0, 0x7ffffe
	s_load_dwordx8 s[0:7], s[4:5], 0x8
	s_sub_i32 s9, 0, s8
	s_lshl_b32 s8, s14, 10
	s_and_b32 s17, s14, s9
	s_or_b32 s9, s14, s9
	s_lshl_b32 s14, s17, 11
	s_lshl_b32 s17, s17, 10
	s_add_i32 s14, s14, s11
	s_sub_i32 s18, s8, s17
	s_sub_i32 s17, s14, s17
	s_add_i32 s14, s14, s18
	s_min_u32 s18, s10, s17
	s_add_i32 s17, s17, s11
	s_waitcnt lgkmcnt(0)
	s_sub_i32 s19, s14, s12
	s_sub_i32 s20, s14, s13
	s_min_u32 s14, s10, s19
	s_addk_i32 s20, 0x400
	s_cmp_eq_u32 s9, -1
	s_cselect_b32 s9, s17, s20
	s_cselect_b32 s11, s18, s13
	s_min_u32 s9, s9, s10
	s_sub_i32 s11, s11, s12
	s_sub_i32 s17, s9, s14
	s_mov_b32 s13, s15
	s_add_i32 s9, s17, s11
	v_cmp_gt_u32_e32 vcc_lo, s9, v0
	s_or_b32 s18, s16, vcc_lo
	s_and_saveexec_b32 s19, s18
	s_xor_b32 s19, exec_lo, s19
	s_cbranch_execz .LBB723_3
; %bb.2:
	v_lshlrev_b32_e32 v1, 2, v0
	s_lshl_b64 s[20:21], s[12:13], 2
	s_add_u32 s20, s0, s20
	s_addc_u32 s21, s1, s21
	v_add_co_u32 v3, s20, s20, v1
	v_sub_co_u32 v1, vcc_lo, v0, s11
	v_add_co_ci_u32_e64 v4, null, s21, 0, s20
	s_lshl_b64 s[20:21], s[14:15], 2
	v_lshlrev_b64 v[1:2], 2, v[1:2]
	s_add_u32 s0, s0, s20
	s_addc_u32 s1, s1, s21
	v_add_co_u32 v1, s0, s0, v1
	v_add_co_ci_u32_e64 v2, null, s1, v2, s0
	v_cndmask_b32_e32 v1, v1, v3, vcc_lo
	v_cndmask_b32_e32 v2, v2, v4, vcc_lo
	global_load_dword v3, v[1:2], off
.LBB723_3:
	s_andn2_saveexec_b32 s0, s19
; %bb.4:
                                        ; implicit-def: $vgpr3
; %bb.5:
	s_or_b32 exec_lo, exec_lo, s0
	v_lshlrev_b32_e32 v1, 2, v0
                                        ; implicit-def: $vgpr2
	s_waitcnt vmcnt(0)
	ds_write_b32 v1, v3
	s_and_saveexec_b32 s1, s18
	s_cbranch_execz .LBB723_7
; %bb.6:
	v_mov_b32_e32 v5, 0
	v_sub_co_u32 v4, vcc_lo, v0, s11
	s_lshl_b64 s[12:13], s[12:13], 2
	s_add_u32 s0, s4, s12
	s_addc_u32 s12, s5, s13
	v_add_co_u32 v2, s0, s0, v1
	v_lshlrev_b64 v[4:5], 2, v[4:5]
	v_add_co_ci_u32_e64 v6, null, s12, 0, s0
	s_lshl_b64 s[12:13], s[14:15], 2
	s_add_u32 s0, s4, s12
	s_addc_u32 s4, s5, s13
	v_add_co_u32 v4, s0, s0, v4
	v_add_co_ci_u32_e64 v5, null, s4, v5, s0
	v_cndmask_b32_e32 v4, v4, v2, vcc_lo
	v_cndmask_b32_e32 v5, v5, v6, vcc_lo
	global_load_dword v2, v[4:5], off
.LBB723_7:
	s_or_b32 exec_lo, exec_lo, s1
	v_min_u32_e32 v5, s9, v0
	s_mov_b32 s0, exec_lo
	s_waitcnt vmcnt(0) lgkmcnt(0)
	s_barrier
	buffer_gl0_inv
	v_sub_nc_u32_e64 v4, v5, s17 clamp
	v_min_u32_e32 v6, s11, v5
	v_cmpx_lt_u32_e64 v4, v6
	s_cbranch_execz .LBB723_11
; %bb.8:
	v_lshlrev_b32_e32 v7, 2, v5
	s_mov_b32 s1, 0
	v_lshl_add_u32 v7, s11, 2, v7
	.p2align	6
.LBB723_9:                              ; =>This Inner Loop Header: Depth=1
	v_add_nc_u32_e32 v8, v6, v4
	v_lshrrev_b32_e32 v8, 1, v8
	v_not_b32_e32 v9, v8
	v_lshlrev_b32_e32 v10, 2, v8
	v_add_nc_u32_e32 v11, 1, v8
	v_lshl_add_u32 v9, v9, 2, v7
	ds_read_b32 v10, v10
	ds_read_b32 v9, v9
	s_waitcnt lgkmcnt(0)
	v_cmp_gt_i32_e32 vcc_lo, v10, v9
	v_cndmask_b32_e32 v6, v6, v8, vcc_lo
	v_cndmask_b32_e32 v4, v11, v4, vcc_lo
	v_cmp_ge_u32_e32 vcc_lo, v4, v6
	s_or_b32 s1, vcc_lo, s1
	s_andn2_b32 exec_lo, exec_lo, s1
	s_cbranch_execnz .LBB723_9
; %bb.10:
	s_or_b32 exec_lo, exec_lo, s1
.LBB723_11:
	s_or_b32 exec_lo, exec_lo, s0
	v_sub_nc_u32_e32 v5, v5, v4
	v_cmp_ge_u32_e32 vcc_lo, s11, v4
	v_mov_b32_e32 v6, 0
	v_add_nc_u32_e32 v5, s11, v5
	v_cmp_ge_u32_e64 s0, s9, v5
	s_or_b32 s0, vcc_lo, s0
	s_and_saveexec_b32 s4, s0
	s_cbranch_execz .LBB723_17
; %bb.12:
	v_cmp_gt_u32_e32 vcc_lo, s11, v4
                                        ; implicit-def: $vgpr3
	s_and_saveexec_b32 s0, vcc_lo
; %bb.13:
	v_lshlrev_b32_e32 v3, 2, v4
	ds_read_b32 v3, v3
; %bb.14:
	s_or_b32 exec_lo, exec_lo, s0
	v_cmp_le_u32_e64 s0, s9, v5
	s_mov_b32 s5, exec_lo
                                        ; implicit-def: $vgpr7
	v_cmpx_gt_u32_e64 s9, v5
; %bb.15:
	v_lshlrev_b32_e32 v6, 2, v5
	ds_read_b32 v7, v6
; %bb.16:
	s_or_b32 exec_lo, exec_lo, s5
	s_waitcnt lgkmcnt(0)
	v_cmp_le_i32_e64 s1, v3, v7
	s_and_b32 s1, vcc_lo, s1
	s_or_b32 vcc_lo, s0, s1
	v_cndmask_b32_e32 v6, v5, v4, vcc_lo
	v_cndmask_b32_e32 v3, v7, v3, vcc_lo
.LBB723_17:
	s_or_b32 exec_lo, exec_lo, s4
	v_lshlrev_b32_e32 v4, 2, v6
	s_barrier
	buffer_gl0_inv
	ds_write_b32 v1, v2
	s_waitcnt lgkmcnt(0)
	s_barrier
	buffer_gl0_inv
	ds_read_b32 v2, v4
	s_mov_b32 s9, 0
	s_and_b32 vcc_lo, exec_lo, s16
	s_mov_b32 s0, -1
	s_waitcnt lgkmcnt(0)
	s_barrier
	buffer_gl0_inv
	s_barrier
	buffer_gl0_inv
	ds_write_b32 v1, v3
	s_waitcnt lgkmcnt(0)
	s_cbranch_vccz .LBB723_19
; %bb.18:
	s_barrier
	buffer_gl0_inv
	ds_read_b32 v3, v1
	s_lshl_b64 s[0:1], s[8:9], 2
	s_add_u32 s4, s2, s0
	s_addc_u32 s5, s3, s1
	s_waitcnt lgkmcnt(0)
	global_store_dword v1, v3, s[4:5]
	s_waitcnt_vscnt null, 0x0
	s_barrier
	buffer_gl0_inv
	ds_write_b32 v1, v2
	s_waitcnt lgkmcnt(0)
	s_barrier
	buffer_gl0_inv
	ds_read_b32 v3, v1
	s_add_u32 s4, s6, s0
	s_addc_u32 s5, s7, s1
	s_mov_b32 s0, s9
	s_waitcnt lgkmcnt(0)
	global_store_dword v1, v3, s[4:5]
.LBB723_19:
	s_andn2_b32 vcc_lo, exec_lo, s0
	s_cbranch_vccnz .LBB723_24
; %bb.20:
	s_sub_i32 s0, s10, s8
	s_barrier
	v_cmp_gt_u32_e32 vcc_lo, s0, v0
	s_waitcnt_vscnt null, 0x0
	buffer_gl0_inv
	s_and_saveexec_b32 s0, vcc_lo
	s_cbranch_execz .LBB723_22
; %bb.21:
	ds_read_b32 v0, v1
	s_lshl_b64 s[4:5], s[8:9], 2
	s_add_u32 s2, s2, s4
	s_addc_u32 s3, s3, s5
	s_waitcnt lgkmcnt(0)
	global_store_dword v1, v0, s[2:3]
.LBB723_22:
	s_or_b32 exec_lo, exec_lo, s0
	s_waitcnt_vscnt null, 0x0
	s_barrier
	buffer_gl0_inv
	ds_write_b32 v1, v2
	s_waitcnt lgkmcnt(0)
	s_barrier
	buffer_gl0_inv
	s_and_saveexec_b32 s0, vcc_lo
	s_cbranch_execz .LBB723_24
; %bb.23:
	ds_read_b32 v0, v1
	s_lshl_b64 s[0:1], s[8:9], 2
	s_add_u32 s0, s6, s0
	s_addc_u32 s1, s7, s1
	s_waitcnt lgkmcnt(0)
	global_store_dword v1, v0, s[0:1]
.LBB723_24:
	s_endpgm
	.section	.rodata,"a",@progbits
	.p2align	6, 0x0
	.amdhsa_kernel _ZN7rocprim17ROCPRIM_400000_NS6detail17trampoline_kernelINS0_14default_configENS1_38merge_sort_block_merge_config_selectorIiiEEZZNS1_27merge_sort_block_merge_implIS3_N6thrust23THRUST_200600_302600_NS6detail15normal_iteratorINS8_10device_ptrIiEEEESD_jNS1_19radix_merge_compareILb0ELb0EiNS0_19identity_decomposerEEEEE10hipError_tT0_T1_T2_jT3_P12ihipStream_tbPNSt15iterator_traitsISI_E10value_typeEPNSO_ISJ_E10value_typeEPSK_NS1_7vsmem_tEENKUlT_SI_SJ_SK_E_clIPiSD_S10_SD_EESH_SX_SI_SJ_SK_EUlSX_E0_NS1_11comp_targetILNS1_3genE8ELNS1_11target_archE1030ELNS1_3gpuE2ELNS1_3repE0EEENS1_38merge_mergepath_config_static_selectorELNS0_4arch9wavefront6targetE0EEEvSJ_
		.amdhsa_group_segment_fixed_size 4112
		.amdhsa_private_segment_fixed_size 0
		.amdhsa_kernarg_size 320
		.amdhsa_user_sgpr_count 6
		.amdhsa_user_sgpr_private_segment_buffer 1
		.amdhsa_user_sgpr_dispatch_ptr 0
		.amdhsa_user_sgpr_queue_ptr 0
		.amdhsa_user_sgpr_kernarg_segment_ptr 1
		.amdhsa_user_sgpr_dispatch_id 0
		.amdhsa_user_sgpr_flat_scratch_init 0
		.amdhsa_user_sgpr_private_segment_size 0
		.amdhsa_wavefront_size32 1
		.amdhsa_uses_dynamic_stack 0
		.amdhsa_system_sgpr_private_segment_wavefront_offset 0
		.amdhsa_system_sgpr_workgroup_id_x 1
		.amdhsa_system_sgpr_workgroup_id_y 1
		.amdhsa_system_sgpr_workgroup_id_z 1
		.amdhsa_system_sgpr_workgroup_info 0
		.amdhsa_system_vgpr_workitem_id 0
		.amdhsa_next_free_vgpr 12
		.amdhsa_next_free_sgpr 22
		.amdhsa_reserve_vcc 1
		.amdhsa_reserve_flat_scratch 0
		.amdhsa_float_round_mode_32 0
		.amdhsa_float_round_mode_16_64 0
		.amdhsa_float_denorm_mode_32 3
		.amdhsa_float_denorm_mode_16_64 3
		.amdhsa_dx10_clamp 1
		.amdhsa_ieee_mode 1
		.amdhsa_fp16_overflow 0
		.amdhsa_workgroup_processor_mode 1
		.amdhsa_memory_ordered 1
		.amdhsa_forward_progress 1
		.amdhsa_shared_vgpr_count 0
		.amdhsa_exception_fp_ieee_invalid_op 0
		.amdhsa_exception_fp_denorm_src 0
		.amdhsa_exception_fp_ieee_div_zero 0
		.amdhsa_exception_fp_ieee_overflow 0
		.amdhsa_exception_fp_ieee_underflow 0
		.amdhsa_exception_fp_ieee_inexact 0
		.amdhsa_exception_int_div_zero 0
	.end_amdhsa_kernel
	.section	.text._ZN7rocprim17ROCPRIM_400000_NS6detail17trampoline_kernelINS0_14default_configENS1_38merge_sort_block_merge_config_selectorIiiEEZZNS1_27merge_sort_block_merge_implIS3_N6thrust23THRUST_200600_302600_NS6detail15normal_iteratorINS8_10device_ptrIiEEEESD_jNS1_19radix_merge_compareILb0ELb0EiNS0_19identity_decomposerEEEEE10hipError_tT0_T1_T2_jT3_P12ihipStream_tbPNSt15iterator_traitsISI_E10value_typeEPNSO_ISJ_E10value_typeEPSK_NS1_7vsmem_tEENKUlT_SI_SJ_SK_E_clIPiSD_S10_SD_EESH_SX_SI_SJ_SK_EUlSX_E0_NS1_11comp_targetILNS1_3genE8ELNS1_11target_archE1030ELNS1_3gpuE2ELNS1_3repE0EEENS1_38merge_mergepath_config_static_selectorELNS0_4arch9wavefront6targetE0EEEvSJ_,"axG",@progbits,_ZN7rocprim17ROCPRIM_400000_NS6detail17trampoline_kernelINS0_14default_configENS1_38merge_sort_block_merge_config_selectorIiiEEZZNS1_27merge_sort_block_merge_implIS3_N6thrust23THRUST_200600_302600_NS6detail15normal_iteratorINS8_10device_ptrIiEEEESD_jNS1_19radix_merge_compareILb0ELb0EiNS0_19identity_decomposerEEEEE10hipError_tT0_T1_T2_jT3_P12ihipStream_tbPNSt15iterator_traitsISI_E10value_typeEPNSO_ISJ_E10value_typeEPSK_NS1_7vsmem_tEENKUlT_SI_SJ_SK_E_clIPiSD_S10_SD_EESH_SX_SI_SJ_SK_EUlSX_E0_NS1_11comp_targetILNS1_3genE8ELNS1_11target_archE1030ELNS1_3gpuE2ELNS1_3repE0EEENS1_38merge_mergepath_config_static_selectorELNS0_4arch9wavefront6targetE0EEEvSJ_,comdat
.Lfunc_end723:
	.size	_ZN7rocprim17ROCPRIM_400000_NS6detail17trampoline_kernelINS0_14default_configENS1_38merge_sort_block_merge_config_selectorIiiEEZZNS1_27merge_sort_block_merge_implIS3_N6thrust23THRUST_200600_302600_NS6detail15normal_iteratorINS8_10device_ptrIiEEEESD_jNS1_19radix_merge_compareILb0ELb0EiNS0_19identity_decomposerEEEEE10hipError_tT0_T1_T2_jT3_P12ihipStream_tbPNSt15iterator_traitsISI_E10value_typeEPNSO_ISJ_E10value_typeEPSK_NS1_7vsmem_tEENKUlT_SI_SJ_SK_E_clIPiSD_S10_SD_EESH_SX_SI_SJ_SK_EUlSX_E0_NS1_11comp_targetILNS1_3genE8ELNS1_11target_archE1030ELNS1_3gpuE2ELNS1_3repE0EEENS1_38merge_mergepath_config_static_selectorELNS0_4arch9wavefront6targetE0EEEvSJ_, .Lfunc_end723-_ZN7rocprim17ROCPRIM_400000_NS6detail17trampoline_kernelINS0_14default_configENS1_38merge_sort_block_merge_config_selectorIiiEEZZNS1_27merge_sort_block_merge_implIS3_N6thrust23THRUST_200600_302600_NS6detail15normal_iteratorINS8_10device_ptrIiEEEESD_jNS1_19radix_merge_compareILb0ELb0EiNS0_19identity_decomposerEEEEE10hipError_tT0_T1_T2_jT3_P12ihipStream_tbPNSt15iterator_traitsISI_E10value_typeEPNSO_ISJ_E10value_typeEPSK_NS1_7vsmem_tEENKUlT_SI_SJ_SK_E_clIPiSD_S10_SD_EESH_SX_SI_SJ_SK_EUlSX_E0_NS1_11comp_targetILNS1_3genE8ELNS1_11target_archE1030ELNS1_3gpuE2ELNS1_3repE0EEENS1_38merge_mergepath_config_static_selectorELNS0_4arch9wavefront6targetE0EEEvSJ_
                                        ; -- End function
	.set _ZN7rocprim17ROCPRIM_400000_NS6detail17trampoline_kernelINS0_14default_configENS1_38merge_sort_block_merge_config_selectorIiiEEZZNS1_27merge_sort_block_merge_implIS3_N6thrust23THRUST_200600_302600_NS6detail15normal_iteratorINS8_10device_ptrIiEEEESD_jNS1_19radix_merge_compareILb0ELb0EiNS0_19identity_decomposerEEEEE10hipError_tT0_T1_T2_jT3_P12ihipStream_tbPNSt15iterator_traitsISI_E10value_typeEPNSO_ISJ_E10value_typeEPSK_NS1_7vsmem_tEENKUlT_SI_SJ_SK_E_clIPiSD_S10_SD_EESH_SX_SI_SJ_SK_EUlSX_E0_NS1_11comp_targetILNS1_3genE8ELNS1_11target_archE1030ELNS1_3gpuE2ELNS1_3repE0EEENS1_38merge_mergepath_config_static_selectorELNS0_4arch9wavefront6targetE0EEEvSJ_.num_vgpr, 12
	.set _ZN7rocprim17ROCPRIM_400000_NS6detail17trampoline_kernelINS0_14default_configENS1_38merge_sort_block_merge_config_selectorIiiEEZZNS1_27merge_sort_block_merge_implIS3_N6thrust23THRUST_200600_302600_NS6detail15normal_iteratorINS8_10device_ptrIiEEEESD_jNS1_19radix_merge_compareILb0ELb0EiNS0_19identity_decomposerEEEEE10hipError_tT0_T1_T2_jT3_P12ihipStream_tbPNSt15iterator_traitsISI_E10value_typeEPNSO_ISJ_E10value_typeEPSK_NS1_7vsmem_tEENKUlT_SI_SJ_SK_E_clIPiSD_S10_SD_EESH_SX_SI_SJ_SK_EUlSX_E0_NS1_11comp_targetILNS1_3genE8ELNS1_11target_archE1030ELNS1_3gpuE2ELNS1_3repE0EEENS1_38merge_mergepath_config_static_selectorELNS0_4arch9wavefront6targetE0EEEvSJ_.num_agpr, 0
	.set _ZN7rocprim17ROCPRIM_400000_NS6detail17trampoline_kernelINS0_14default_configENS1_38merge_sort_block_merge_config_selectorIiiEEZZNS1_27merge_sort_block_merge_implIS3_N6thrust23THRUST_200600_302600_NS6detail15normal_iteratorINS8_10device_ptrIiEEEESD_jNS1_19radix_merge_compareILb0ELb0EiNS0_19identity_decomposerEEEEE10hipError_tT0_T1_T2_jT3_P12ihipStream_tbPNSt15iterator_traitsISI_E10value_typeEPNSO_ISJ_E10value_typeEPSK_NS1_7vsmem_tEENKUlT_SI_SJ_SK_E_clIPiSD_S10_SD_EESH_SX_SI_SJ_SK_EUlSX_E0_NS1_11comp_targetILNS1_3genE8ELNS1_11target_archE1030ELNS1_3gpuE2ELNS1_3repE0EEENS1_38merge_mergepath_config_static_selectorELNS0_4arch9wavefront6targetE0EEEvSJ_.numbered_sgpr, 22
	.set _ZN7rocprim17ROCPRIM_400000_NS6detail17trampoline_kernelINS0_14default_configENS1_38merge_sort_block_merge_config_selectorIiiEEZZNS1_27merge_sort_block_merge_implIS3_N6thrust23THRUST_200600_302600_NS6detail15normal_iteratorINS8_10device_ptrIiEEEESD_jNS1_19radix_merge_compareILb0ELb0EiNS0_19identity_decomposerEEEEE10hipError_tT0_T1_T2_jT3_P12ihipStream_tbPNSt15iterator_traitsISI_E10value_typeEPNSO_ISJ_E10value_typeEPSK_NS1_7vsmem_tEENKUlT_SI_SJ_SK_E_clIPiSD_S10_SD_EESH_SX_SI_SJ_SK_EUlSX_E0_NS1_11comp_targetILNS1_3genE8ELNS1_11target_archE1030ELNS1_3gpuE2ELNS1_3repE0EEENS1_38merge_mergepath_config_static_selectorELNS0_4arch9wavefront6targetE0EEEvSJ_.num_named_barrier, 0
	.set _ZN7rocprim17ROCPRIM_400000_NS6detail17trampoline_kernelINS0_14default_configENS1_38merge_sort_block_merge_config_selectorIiiEEZZNS1_27merge_sort_block_merge_implIS3_N6thrust23THRUST_200600_302600_NS6detail15normal_iteratorINS8_10device_ptrIiEEEESD_jNS1_19radix_merge_compareILb0ELb0EiNS0_19identity_decomposerEEEEE10hipError_tT0_T1_T2_jT3_P12ihipStream_tbPNSt15iterator_traitsISI_E10value_typeEPNSO_ISJ_E10value_typeEPSK_NS1_7vsmem_tEENKUlT_SI_SJ_SK_E_clIPiSD_S10_SD_EESH_SX_SI_SJ_SK_EUlSX_E0_NS1_11comp_targetILNS1_3genE8ELNS1_11target_archE1030ELNS1_3gpuE2ELNS1_3repE0EEENS1_38merge_mergepath_config_static_selectorELNS0_4arch9wavefront6targetE0EEEvSJ_.private_seg_size, 0
	.set _ZN7rocprim17ROCPRIM_400000_NS6detail17trampoline_kernelINS0_14default_configENS1_38merge_sort_block_merge_config_selectorIiiEEZZNS1_27merge_sort_block_merge_implIS3_N6thrust23THRUST_200600_302600_NS6detail15normal_iteratorINS8_10device_ptrIiEEEESD_jNS1_19radix_merge_compareILb0ELb0EiNS0_19identity_decomposerEEEEE10hipError_tT0_T1_T2_jT3_P12ihipStream_tbPNSt15iterator_traitsISI_E10value_typeEPNSO_ISJ_E10value_typeEPSK_NS1_7vsmem_tEENKUlT_SI_SJ_SK_E_clIPiSD_S10_SD_EESH_SX_SI_SJ_SK_EUlSX_E0_NS1_11comp_targetILNS1_3genE8ELNS1_11target_archE1030ELNS1_3gpuE2ELNS1_3repE0EEENS1_38merge_mergepath_config_static_selectorELNS0_4arch9wavefront6targetE0EEEvSJ_.uses_vcc, 1
	.set _ZN7rocprim17ROCPRIM_400000_NS6detail17trampoline_kernelINS0_14default_configENS1_38merge_sort_block_merge_config_selectorIiiEEZZNS1_27merge_sort_block_merge_implIS3_N6thrust23THRUST_200600_302600_NS6detail15normal_iteratorINS8_10device_ptrIiEEEESD_jNS1_19radix_merge_compareILb0ELb0EiNS0_19identity_decomposerEEEEE10hipError_tT0_T1_T2_jT3_P12ihipStream_tbPNSt15iterator_traitsISI_E10value_typeEPNSO_ISJ_E10value_typeEPSK_NS1_7vsmem_tEENKUlT_SI_SJ_SK_E_clIPiSD_S10_SD_EESH_SX_SI_SJ_SK_EUlSX_E0_NS1_11comp_targetILNS1_3genE8ELNS1_11target_archE1030ELNS1_3gpuE2ELNS1_3repE0EEENS1_38merge_mergepath_config_static_selectorELNS0_4arch9wavefront6targetE0EEEvSJ_.uses_flat_scratch, 0
	.set _ZN7rocprim17ROCPRIM_400000_NS6detail17trampoline_kernelINS0_14default_configENS1_38merge_sort_block_merge_config_selectorIiiEEZZNS1_27merge_sort_block_merge_implIS3_N6thrust23THRUST_200600_302600_NS6detail15normal_iteratorINS8_10device_ptrIiEEEESD_jNS1_19radix_merge_compareILb0ELb0EiNS0_19identity_decomposerEEEEE10hipError_tT0_T1_T2_jT3_P12ihipStream_tbPNSt15iterator_traitsISI_E10value_typeEPNSO_ISJ_E10value_typeEPSK_NS1_7vsmem_tEENKUlT_SI_SJ_SK_E_clIPiSD_S10_SD_EESH_SX_SI_SJ_SK_EUlSX_E0_NS1_11comp_targetILNS1_3genE8ELNS1_11target_archE1030ELNS1_3gpuE2ELNS1_3repE0EEENS1_38merge_mergepath_config_static_selectorELNS0_4arch9wavefront6targetE0EEEvSJ_.has_dyn_sized_stack, 0
	.set _ZN7rocprim17ROCPRIM_400000_NS6detail17trampoline_kernelINS0_14default_configENS1_38merge_sort_block_merge_config_selectorIiiEEZZNS1_27merge_sort_block_merge_implIS3_N6thrust23THRUST_200600_302600_NS6detail15normal_iteratorINS8_10device_ptrIiEEEESD_jNS1_19radix_merge_compareILb0ELb0EiNS0_19identity_decomposerEEEEE10hipError_tT0_T1_T2_jT3_P12ihipStream_tbPNSt15iterator_traitsISI_E10value_typeEPNSO_ISJ_E10value_typeEPSK_NS1_7vsmem_tEENKUlT_SI_SJ_SK_E_clIPiSD_S10_SD_EESH_SX_SI_SJ_SK_EUlSX_E0_NS1_11comp_targetILNS1_3genE8ELNS1_11target_archE1030ELNS1_3gpuE2ELNS1_3repE0EEENS1_38merge_mergepath_config_static_selectorELNS0_4arch9wavefront6targetE0EEEvSJ_.has_recursion, 0
	.set _ZN7rocprim17ROCPRIM_400000_NS6detail17trampoline_kernelINS0_14default_configENS1_38merge_sort_block_merge_config_selectorIiiEEZZNS1_27merge_sort_block_merge_implIS3_N6thrust23THRUST_200600_302600_NS6detail15normal_iteratorINS8_10device_ptrIiEEEESD_jNS1_19radix_merge_compareILb0ELb0EiNS0_19identity_decomposerEEEEE10hipError_tT0_T1_T2_jT3_P12ihipStream_tbPNSt15iterator_traitsISI_E10value_typeEPNSO_ISJ_E10value_typeEPSK_NS1_7vsmem_tEENKUlT_SI_SJ_SK_E_clIPiSD_S10_SD_EESH_SX_SI_SJ_SK_EUlSX_E0_NS1_11comp_targetILNS1_3genE8ELNS1_11target_archE1030ELNS1_3gpuE2ELNS1_3repE0EEENS1_38merge_mergepath_config_static_selectorELNS0_4arch9wavefront6targetE0EEEvSJ_.has_indirect_call, 0
	.section	.AMDGPU.csdata,"",@progbits
; Kernel info:
; codeLenInByte = 1168
; TotalNumSgprs: 24
; NumVgprs: 12
; ScratchSize: 0
; MemoryBound: 0
; FloatMode: 240
; IeeeMode: 1
; LDSByteSize: 4112 bytes/workgroup (compile time only)
; SGPRBlocks: 0
; VGPRBlocks: 1
; NumSGPRsForWavesPerEU: 24
; NumVGPRsForWavesPerEU: 12
; Occupancy: 16
; WaveLimiterHint : 1
; COMPUTE_PGM_RSRC2:SCRATCH_EN: 0
; COMPUTE_PGM_RSRC2:USER_SGPR: 6
; COMPUTE_PGM_RSRC2:TRAP_HANDLER: 0
; COMPUTE_PGM_RSRC2:TGID_X_EN: 1
; COMPUTE_PGM_RSRC2:TGID_Y_EN: 1
; COMPUTE_PGM_RSRC2:TGID_Z_EN: 1
; COMPUTE_PGM_RSRC2:TIDIG_COMP_CNT: 0
	.section	.text._ZN7rocprim17ROCPRIM_400000_NS6detail17trampoline_kernelINS0_14default_configENS1_38merge_sort_block_merge_config_selectorIiiEEZZNS1_27merge_sort_block_merge_implIS3_N6thrust23THRUST_200600_302600_NS6detail15normal_iteratorINS8_10device_ptrIiEEEESD_jNS1_19radix_merge_compareILb0ELb0EiNS0_19identity_decomposerEEEEE10hipError_tT0_T1_T2_jT3_P12ihipStream_tbPNSt15iterator_traitsISI_E10value_typeEPNSO_ISJ_E10value_typeEPSK_NS1_7vsmem_tEENKUlT_SI_SJ_SK_E_clIPiSD_S10_SD_EESH_SX_SI_SJ_SK_EUlSX_E1_NS1_11comp_targetILNS1_3genE0ELNS1_11target_archE4294967295ELNS1_3gpuE0ELNS1_3repE0EEENS1_36merge_oddeven_config_static_selectorELNS0_4arch9wavefront6targetE0EEEvSJ_,"axG",@progbits,_ZN7rocprim17ROCPRIM_400000_NS6detail17trampoline_kernelINS0_14default_configENS1_38merge_sort_block_merge_config_selectorIiiEEZZNS1_27merge_sort_block_merge_implIS3_N6thrust23THRUST_200600_302600_NS6detail15normal_iteratorINS8_10device_ptrIiEEEESD_jNS1_19radix_merge_compareILb0ELb0EiNS0_19identity_decomposerEEEEE10hipError_tT0_T1_T2_jT3_P12ihipStream_tbPNSt15iterator_traitsISI_E10value_typeEPNSO_ISJ_E10value_typeEPSK_NS1_7vsmem_tEENKUlT_SI_SJ_SK_E_clIPiSD_S10_SD_EESH_SX_SI_SJ_SK_EUlSX_E1_NS1_11comp_targetILNS1_3genE0ELNS1_11target_archE4294967295ELNS1_3gpuE0ELNS1_3repE0EEENS1_36merge_oddeven_config_static_selectorELNS0_4arch9wavefront6targetE0EEEvSJ_,comdat
	.protected	_ZN7rocprim17ROCPRIM_400000_NS6detail17trampoline_kernelINS0_14default_configENS1_38merge_sort_block_merge_config_selectorIiiEEZZNS1_27merge_sort_block_merge_implIS3_N6thrust23THRUST_200600_302600_NS6detail15normal_iteratorINS8_10device_ptrIiEEEESD_jNS1_19radix_merge_compareILb0ELb0EiNS0_19identity_decomposerEEEEE10hipError_tT0_T1_T2_jT3_P12ihipStream_tbPNSt15iterator_traitsISI_E10value_typeEPNSO_ISJ_E10value_typeEPSK_NS1_7vsmem_tEENKUlT_SI_SJ_SK_E_clIPiSD_S10_SD_EESH_SX_SI_SJ_SK_EUlSX_E1_NS1_11comp_targetILNS1_3genE0ELNS1_11target_archE4294967295ELNS1_3gpuE0ELNS1_3repE0EEENS1_36merge_oddeven_config_static_selectorELNS0_4arch9wavefront6targetE0EEEvSJ_ ; -- Begin function _ZN7rocprim17ROCPRIM_400000_NS6detail17trampoline_kernelINS0_14default_configENS1_38merge_sort_block_merge_config_selectorIiiEEZZNS1_27merge_sort_block_merge_implIS3_N6thrust23THRUST_200600_302600_NS6detail15normal_iteratorINS8_10device_ptrIiEEEESD_jNS1_19radix_merge_compareILb0ELb0EiNS0_19identity_decomposerEEEEE10hipError_tT0_T1_T2_jT3_P12ihipStream_tbPNSt15iterator_traitsISI_E10value_typeEPNSO_ISJ_E10value_typeEPSK_NS1_7vsmem_tEENKUlT_SI_SJ_SK_E_clIPiSD_S10_SD_EESH_SX_SI_SJ_SK_EUlSX_E1_NS1_11comp_targetILNS1_3genE0ELNS1_11target_archE4294967295ELNS1_3gpuE0ELNS1_3repE0EEENS1_36merge_oddeven_config_static_selectorELNS0_4arch9wavefront6targetE0EEEvSJ_
	.globl	_ZN7rocprim17ROCPRIM_400000_NS6detail17trampoline_kernelINS0_14default_configENS1_38merge_sort_block_merge_config_selectorIiiEEZZNS1_27merge_sort_block_merge_implIS3_N6thrust23THRUST_200600_302600_NS6detail15normal_iteratorINS8_10device_ptrIiEEEESD_jNS1_19radix_merge_compareILb0ELb0EiNS0_19identity_decomposerEEEEE10hipError_tT0_T1_T2_jT3_P12ihipStream_tbPNSt15iterator_traitsISI_E10value_typeEPNSO_ISJ_E10value_typeEPSK_NS1_7vsmem_tEENKUlT_SI_SJ_SK_E_clIPiSD_S10_SD_EESH_SX_SI_SJ_SK_EUlSX_E1_NS1_11comp_targetILNS1_3genE0ELNS1_11target_archE4294967295ELNS1_3gpuE0ELNS1_3repE0EEENS1_36merge_oddeven_config_static_selectorELNS0_4arch9wavefront6targetE0EEEvSJ_
	.p2align	8
	.type	_ZN7rocprim17ROCPRIM_400000_NS6detail17trampoline_kernelINS0_14default_configENS1_38merge_sort_block_merge_config_selectorIiiEEZZNS1_27merge_sort_block_merge_implIS3_N6thrust23THRUST_200600_302600_NS6detail15normal_iteratorINS8_10device_ptrIiEEEESD_jNS1_19radix_merge_compareILb0ELb0EiNS0_19identity_decomposerEEEEE10hipError_tT0_T1_T2_jT3_P12ihipStream_tbPNSt15iterator_traitsISI_E10value_typeEPNSO_ISJ_E10value_typeEPSK_NS1_7vsmem_tEENKUlT_SI_SJ_SK_E_clIPiSD_S10_SD_EESH_SX_SI_SJ_SK_EUlSX_E1_NS1_11comp_targetILNS1_3genE0ELNS1_11target_archE4294967295ELNS1_3gpuE0ELNS1_3repE0EEENS1_36merge_oddeven_config_static_selectorELNS0_4arch9wavefront6targetE0EEEvSJ_,@function
_ZN7rocprim17ROCPRIM_400000_NS6detail17trampoline_kernelINS0_14default_configENS1_38merge_sort_block_merge_config_selectorIiiEEZZNS1_27merge_sort_block_merge_implIS3_N6thrust23THRUST_200600_302600_NS6detail15normal_iteratorINS8_10device_ptrIiEEEESD_jNS1_19radix_merge_compareILb0ELb0EiNS0_19identity_decomposerEEEEE10hipError_tT0_T1_T2_jT3_P12ihipStream_tbPNSt15iterator_traitsISI_E10value_typeEPNSO_ISJ_E10value_typeEPSK_NS1_7vsmem_tEENKUlT_SI_SJ_SK_E_clIPiSD_S10_SD_EESH_SX_SI_SJ_SK_EUlSX_E1_NS1_11comp_targetILNS1_3genE0ELNS1_11target_archE4294967295ELNS1_3gpuE0ELNS1_3repE0EEENS1_36merge_oddeven_config_static_selectorELNS0_4arch9wavefront6targetE0EEEvSJ_: ; @_ZN7rocprim17ROCPRIM_400000_NS6detail17trampoline_kernelINS0_14default_configENS1_38merge_sort_block_merge_config_selectorIiiEEZZNS1_27merge_sort_block_merge_implIS3_N6thrust23THRUST_200600_302600_NS6detail15normal_iteratorINS8_10device_ptrIiEEEESD_jNS1_19radix_merge_compareILb0ELb0EiNS0_19identity_decomposerEEEEE10hipError_tT0_T1_T2_jT3_P12ihipStream_tbPNSt15iterator_traitsISI_E10value_typeEPNSO_ISJ_E10value_typeEPSK_NS1_7vsmem_tEENKUlT_SI_SJ_SK_E_clIPiSD_S10_SD_EESH_SX_SI_SJ_SK_EUlSX_E1_NS1_11comp_targetILNS1_3genE0ELNS1_11target_archE4294967295ELNS1_3gpuE0ELNS1_3repE0EEENS1_36merge_oddeven_config_static_selectorELNS0_4arch9wavefront6targetE0EEEvSJ_
; %bb.0:
	.section	.rodata,"a",@progbits
	.p2align	6, 0x0
	.amdhsa_kernel _ZN7rocprim17ROCPRIM_400000_NS6detail17trampoline_kernelINS0_14default_configENS1_38merge_sort_block_merge_config_selectorIiiEEZZNS1_27merge_sort_block_merge_implIS3_N6thrust23THRUST_200600_302600_NS6detail15normal_iteratorINS8_10device_ptrIiEEEESD_jNS1_19radix_merge_compareILb0ELb0EiNS0_19identity_decomposerEEEEE10hipError_tT0_T1_T2_jT3_P12ihipStream_tbPNSt15iterator_traitsISI_E10value_typeEPNSO_ISJ_E10value_typeEPSK_NS1_7vsmem_tEENKUlT_SI_SJ_SK_E_clIPiSD_S10_SD_EESH_SX_SI_SJ_SK_EUlSX_E1_NS1_11comp_targetILNS1_3genE0ELNS1_11target_archE4294967295ELNS1_3gpuE0ELNS1_3repE0EEENS1_36merge_oddeven_config_static_selectorELNS0_4arch9wavefront6targetE0EEEvSJ_
		.amdhsa_group_segment_fixed_size 0
		.amdhsa_private_segment_fixed_size 0
		.amdhsa_kernarg_size 48
		.amdhsa_user_sgpr_count 6
		.amdhsa_user_sgpr_private_segment_buffer 1
		.amdhsa_user_sgpr_dispatch_ptr 0
		.amdhsa_user_sgpr_queue_ptr 0
		.amdhsa_user_sgpr_kernarg_segment_ptr 1
		.amdhsa_user_sgpr_dispatch_id 0
		.amdhsa_user_sgpr_flat_scratch_init 0
		.amdhsa_user_sgpr_private_segment_size 0
		.amdhsa_wavefront_size32 1
		.amdhsa_uses_dynamic_stack 0
		.amdhsa_system_sgpr_private_segment_wavefront_offset 0
		.amdhsa_system_sgpr_workgroup_id_x 1
		.amdhsa_system_sgpr_workgroup_id_y 0
		.amdhsa_system_sgpr_workgroup_id_z 0
		.amdhsa_system_sgpr_workgroup_info 0
		.amdhsa_system_vgpr_workitem_id 0
		.amdhsa_next_free_vgpr 1
		.amdhsa_next_free_sgpr 1
		.amdhsa_reserve_vcc 0
		.amdhsa_reserve_flat_scratch 0
		.amdhsa_float_round_mode_32 0
		.amdhsa_float_round_mode_16_64 0
		.amdhsa_float_denorm_mode_32 3
		.amdhsa_float_denorm_mode_16_64 3
		.amdhsa_dx10_clamp 1
		.amdhsa_ieee_mode 1
		.amdhsa_fp16_overflow 0
		.amdhsa_workgroup_processor_mode 1
		.amdhsa_memory_ordered 1
		.amdhsa_forward_progress 1
		.amdhsa_shared_vgpr_count 0
		.amdhsa_exception_fp_ieee_invalid_op 0
		.amdhsa_exception_fp_denorm_src 0
		.amdhsa_exception_fp_ieee_div_zero 0
		.amdhsa_exception_fp_ieee_overflow 0
		.amdhsa_exception_fp_ieee_underflow 0
		.amdhsa_exception_fp_ieee_inexact 0
		.amdhsa_exception_int_div_zero 0
	.end_amdhsa_kernel
	.section	.text._ZN7rocprim17ROCPRIM_400000_NS6detail17trampoline_kernelINS0_14default_configENS1_38merge_sort_block_merge_config_selectorIiiEEZZNS1_27merge_sort_block_merge_implIS3_N6thrust23THRUST_200600_302600_NS6detail15normal_iteratorINS8_10device_ptrIiEEEESD_jNS1_19radix_merge_compareILb0ELb0EiNS0_19identity_decomposerEEEEE10hipError_tT0_T1_T2_jT3_P12ihipStream_tbPNSt15iterator_traitsISI_E10value_typeEPNSO_ISJ_E10value_typeEPSK_NS1_7vsmem_tEENKUlT_SI_SJ_SK_E_clIPiSD_S10_SD_EESH_SX_SI_SJ_SK_EUlSX_E1_NS1_11comp_targetILNS1_3genE0ELNS1_11target_archE4294967295ELNS1_3gpuE0ELNS1_3repE0EEENS1_36merge_oddeven_config_static_selectorELNS0_4arch9wavefront6targetE0EEEvSJ_,"axG",@progbits,_ZN7rocprim17ROCPRIM_400000_NS6detail17trampoline_kernelINS0_14default_configENS1_38merge_sort_block_merge_config_selectorIiiEEZZNS1_27merge_sort_block_merge_implIS3_N6thrust23THRUST_200600_302600_NS6detail15normal_iteratorINS8_10device_ptrIiEEEESD_jNS1_19radix_merge_compareILb0ELb0EiNS0_19identity_decomposerEEEEE10hipError_tT0_T1_T2_jT3_P12ihipStream_tbPNSt15iterator_traitsISI_E10value_typeEPNSO_ISJ_E10value_typeEPSK_NS1_7vsmem_tEENKUlT_SI_SJ_SK_E_clIPiSD_S10_SD_EESH_SX_SI_SJ_SK_EUlSX_E1_NS1_11comp_targetILNS1_3genE0ELNS1_11target_archE4294967295ELNS1_3gpuE0ELNS1_3repE0EEENS1_36merge_oddeven_config_static_selectorELNS0_4arch9wavefront6targetE0EEEvSJ_,comdat
.Lfunc_end724:
	.size	_ZN7rocprim17ROCPRIM_400000_NS6detail17trampoline_kernelINS0_14default_configENS1_38merge_sort_block_merge_config_selectorIiiEEZZNS1_27merge_sort_block_merge_implIS3_N6thrust23THRUST_200600_302600_NS6detail15normal_iteratorINS8_10device_ptrIiEEEESD_jNS1_19radix_merge_compareILb0ELb0EiNS0_19identity_decomposerEEEEE10hipError_tT0_T1_T2_jT3_P12ihipStream_tbPNSt15iterator_traitsISI_E10value_typeEPNSO_ISJ_E10value_typeEPSK_NS1_7vsmem_tEENKUlT_SI_SJ_SK_E_clIPiSD_S10_SD_EESH_SX_SI_SJ_SK_EUlSX_E1_NS1_11comp_targetILNS1_3genE0ELNS1_11target_archE4294967295ELNS1_3gpuE0ELNS1_3repE0EEENS1_36merge_oddeven_config_static_selectorELNS0_4arch9wavefront6targetE0EEEvSJ_, .Lfunc_end724-_ZN7rocprim17ROCPRIM_400000_NS6detail17trampoline_kernelINS0_14default_configENS1_38merge_sort_block_merge_config_selectorIiiEEZZNS1_27merge_sort_block_merge_implIS3_N6thrust23THRUST_200600_302600_NS6detail15normal_iteratorINS8_10device_ptrIiEEEESD_jNS1_19radix_merge_compareILb0ELb0EiNS0_19identity_decomposerEEEEE10hipError_tT0_T1_T2_jT3_P12ihipStream_tbPNSt15iterator_traitsISI_E10value_typeEPNSO_ISJ_E10value_typeEPSK_NS1_7vsmem_tEENKUlT_SI_SJ_SK_E_clIPiSD_S10_SD_EESH_SX_SI_SJ_SK_EUlSX_E1_NS1_11comp_targetILNS1_3genE0ELNS1_11target_archE4294967295ELNS1_3gpuE0ELNS1_3repE0EEENS1_36merge_oddeven_config_static_selectorELNS0_4arch9wavefront6targetE0EEEvSJ_
                                        ; -- End function
	.set _ZN7rocprim17ROCPRIM_400000_NS6detail17trampoline_kernelINS0_14default_configENS1_38merge_sort_block_merge_config_selectorIiiEEZZNS1_27merge_sort_block_merge_implIS3_N6thrust23THRUST_200600_302600_NS6detail15normal_iteratorINS8_10device_ptrIiEEEESD_jNS1_19radix_merge_compareILb0ELb0EiNS0_19identity_decomposerEEEEE10hipError_tT0_T1_T2_jT3_P12ihipStream_tbPNSt15iterator_traitsISI_E10value_typeEPNSO_ISJ_E10value_typeEPSK_NS1_7vsmem_tEENKUlT_SI_SJ_SK_E_clIPiSD_S10_SD_EESH_SX_SI_SJ_SK_EUlSX_E1_NS1_11comp_targetILNS1_3genE0ELNS1_11target_archE4294967295ELNS1_3gpuE0ELNS1_3repE0EEENS1_36merge_oddeven_config_static_selectorELNS0_4arch9wavefront6targetE0EEEvSJ_.num_vgpr, 0
	.set _ZN7rocprim17ROCPRIM_400000_NS6detail17trampoline_kernelINS0_14default_configENS1_38merge_sort_block_merge_config_selectorIiiEEZZNS1_27merge_sort_block_merge_implIS3_N6thrust23THRUST_200600_302600_NS6detail15normal_iteratorINS8_10device_ptrIiEEEESD_jNS1_19radix_merge_compareILb0ELb0EiNS0_19identity_decomposerEEEEE10hipError_tT0_T1_T2_jT3_P12ihipStream_tbPNSt15iterator_traitsISI_E10value_typeEPNSO_ISJ_E10value_typeEPSK_NS1_7vsmem_tEENKUlT_SI_SJ_SK_E_clIPiSD_S10_SD_EESH_SX_SI_SJ_SK_EUlSX_E1_NS1_11comp_targetILNS1_3genE0ELNS1_11target_archE4294967295ELNS1_3gpuE0ELNS1_3repE0EEENS1_36merge_oddeven_config_static_selectorELNS0_4arch9wavefront6targetE0EEEvSJ_.num_agpr, 0
	.set _ZN7rocprim17ROCPRIM_400000_NS6detail17trampoline_kernelINS0_14default_configENS1_38merge_sort_block_merge_config_selectorIiiEEZZNS1_27merge_sort_block_merge_implIS3_N6thrust23THRUST_200600_302600_NS6detail15normal_iteratorINS8_10device_ptrIiEEEESD_jNS1_19radix_merge_compareILb0ELb0EiNS0_19identity_decomposerEEEEE10hipError_tT0_T1_T2_jT3_P12ihipStream_tbPNSt15iterator_traitsISI_E10value_typeEPNSO_ISJ_E10value_typeEPSK_NS1_7vsmem_tEENKUlT_SI_SJ_SK_E_clIPiSD_S10_SD_EESH_SX_SI_SJ_SK_EUlSX_E1_NS1_11comp_targetILNS1_3genE0ELNS1_11target_archE4294967295ELNS1_3gpuE0ELNS1_3repE0EEENS1_36merge_oddeven_config_static_selectorELNS0_4arch9wavefront6targetE0EEEvSJ_.numbered_sgpr, 0
	.set _ZN7rocprim17ROCPRIM_400000_NS6detail17trampoline_kernelINS0_14default_configENS1_38merge_sort_block_merge_config_selectorIiiEEZZNS1_27merge_sort_block_merge_implIS3_N6thrust23THRUST_200600_302600_NS6detail15normal_iteratorINS8_10device_ptrIiEEEESD_jNS1_19radix_merge_compareILb0ELb0EiNS0_19identity_decomposerEEEEE10hipError_tT0_T1_T2_jT3_P12ihipStream_tbPNSt15iterator_traitsISI_E10value_typeEPNSO_ISJ_E10value_typeEPSK_NS1_7vsmem_tEENKUlT_SI_SJ_SK_E_clIPiSD_S10_SD_EESH_SX_SI_SJ_SK_EUlSX_E1_NS1_11comp_targetILNS1_3genE0ELNS1_11target_archE4294967295ELNS1_3gpuE0ELNS1_3repE0EEENS1_36merge_oddeven_config_static_selectorELNS0_4arch9wavefront6targetE0EEEvSJ_.num_named_barrier, 0
	.set _ZN7rocprim17ROCPRIM_400000_NS6detail17trampoline_kernelINS0_14default_configENS1_38merge_sort_block_merge_config_selectorIiiEEZZNS1_27merge_sort_block_merge_implIS3_N6thrust23THRUST_200600_302600_NS6detail15normal_iteratorINS8_10device_ptrIiEEEESD_jNS1_19radix_merge_compareILb0ELb0EiNS0_19identity_decomposerEEEEE10hipError_tT0_T1_T2_jT3_P12ihipStream_tbPNSt15iterator_traitsISI_E10value_typeEPNSO_ISJ_E10value_typeEPSK_NS1_7vsmem_tEENKUlT_SI_SJ_SK_E_clIPiSD_S10_SD_EESH_SX_SI_SJ_SK_EUlSX_E1_NS1_11comp_targetILNS1_3genE0ELNS1_11target_archE4294967295ELNS1_3gpuE0ELNS1_3repE0EEENS1_36merge_oddeven_config_static_selectorELNS0_4arch9wavefront6targetE0EEEvSJ_.private_seg_size, 0
	.set _ZN7rocprim17ROCPRIM_400000_NS6detail17trampoline_kernelINS0_14default_configENS1_38merge_sort_block_merge_config_selectorIiiEEZZNS1_27merge_sort_block_merge_implIS3_N6thrust23THRUST_200600_302600_NS6detail15normal_iteratorINS8_10device_ptrIiEEEESD_jNS1_19radix_merge_compareILb0ELb0EiNS0_19identity_decomposerEEEEE10hipError_tT0_T1_T2_jT3_P12ihipStream_tbPNSt15iterator_traitsISI_E10value_typeEPNSO_ISJ_E10value_typeEPSK_NS1_7vsmem_tEENKUlT_SI_SJ_SK_E_clIPiSD_S10_SD_EESH_SX_SI_SJ_SK_EUlSX_E1_NS1_11comp_targetILNS1_3genE0ELNS1_11target_archE4294967295ELNS1_3gpuE0ELNS1_3repE0EEENS1_36merge_oddeven_config_static_selectorELNS0_4arch9wavefront6targetE0EEEvSJ_.uses_vcc, 0
	.set _ZN7rocprim17ROCPRIM_400000_NS6detail17trampoline_kernelINS0_14default_configENS1_38merge_sort_block_merge_config_selectorIiiEEZZNS1_27merge_sort_block_merge_implIS3_N6thrust23THRUST_200600_302600_NS6detail15normal_iteratorINS8_10device_ptrIiEEEESD_jNS1_19radix_merge_compareILb0ELb0EiNS0_19identity_decomposerEEEEE10hipError_tT0_T1_T2_jT3_P12ihipStream_tbPNSt15iterator_traitsISI_E10value_typeEPNSO_ISJ_E10value_typeEPSK_NS1_7vsmem_tEENKUlT_SI_SJ_SK_E_clIPiSD_S10_SD_EESH_SX_SI_SJ_SK_EUlSX_E1_NS1_11comp_targetILNS1_3genE0ELNS1_11target_archE4294967295ELNS1_3gpuE0ELNS1_3repE0EEENS1_36merge_oddeven_config_static_selectorELNS0_4arch9wavefront6targetE0EEEvSJ_.uses_flat_scratch, 0
	.set _ZN7rocprim17ROCPRIM_400000_NS6detail17trampoline_kernelINS0_14default_configENS1_38merge_sort_block_merge_config_selectorIiiEEZZNS1_27merge_sort_block_merge_implIS3_N6thrust23THRUST_200600_302600_NS6detail15normal_iteratorINS8_10device_ptrIiEEEESD_jNS1_19radix_merge_compareILb0ELb0EiNS0_19identity_decomposerEEEEE10hipError_tT0_T1_T2_jT3_P12ihipStream_tbPNSt15iterator_traitsISI_E10value_typeEPNSO_ISJ_E10value_typeEPSK_NS1_7vsmem_tEENKUlT_SI_SJ_SK_E_clIPiSD_S10_SD_EESH_SX_SI_SJ_SK_EUlSX_E1_NS1_11comp_targetILNS1_3genE0ELNS1_11target_archE4294967295ELNS1_3gpuE0ELNS1_3repE0EEENS1_36merge_oddeven_config_static_selectorELNS0_4arch9wavefront6targetE0EEEvSJ_.has_dyn_sized_stack, 0
	.set _ZN7rocprim17ROCPRIM_400000_NS6detail17trampoline_kernelINS0_14default_configENS1_38merge_sort_block_merge_config_selectorIiiEEZZNS1_27merge_sort_block_merge_implIS3_N6thrust23THRUST_200600_302600_NS6detail15normal_iteratorINS8_10device_ptrIiEEEESD_jNS1_19radix_merge_compareILb0ELb0EiNS0_19identity_decomposerEEEEE10hipError_tT0_T1_T2_jT3_P12ihipStream_tbPNSt15iterator_traitsISI_E10value_typeEPNSO_ISJ_E10value_typeEPSK_NS1_7vsmem_tEENKUlT_SI_SJ_SK_E_clIPiSD_S10_SD_EESH_SX_SI_SJ_SK_EUlSX_E1_NS1_11comp_targetILNS1_3genE0ELNS1_11target_archE4294967295ELNS1_3gpuE0ELNS1_3repE0EEENS1_36merge_oddeven_config_static_selectorELNS0_4arch9wavefront6targetE0EEEvSJ_.has_recursion, 0
	.set _ZN7rocprim17ROCPRIM_400000_NS6detail17trampoline_kernelINS0_14default_configENS1_38merge_sort_block_merge_config_selectorIiiEEZZNS1_27merge_sort_block_merge_implIS3_N6thrust23THRUST_200600_302600_NS6detail15normal_iteratorINS8_10device_ptrIiEEEESD_jNS1_19radix_merge_compareILb0ELb0EiNS0_19identity_decomposerEEEEE10hipError_tT0_T1_T2_jT3_P12ihipStream_tbPNSt15iterator_traitsISI_E10value_typeEPNSO_ISJ_E10value_typeEPSK_NS1_7vsmem_tEENKUlT_SI_SJ_SK_E_clIPiSD_S10_SD_EESH_SX_SI_SJ_SK_EUlSX_E1_NS1_11comp_targetILNS1_3genE0ELNS1_11target_archE4294967295ELNS1_3gpuE0ELNS1_3repE0EEENS1_36merge_oddeven_config_static_selectorELNS0_4arch9wavefront6targetE0EEEvSJ_.has_indirect_call, 0
	.section	.AMDGPU.csdata,"",@progbits
; Kernel info:
; codeLenInByte = 0
; TotalNumSgprs: 0
; NumVgprs: 0
; ScratchSize: 0
; MemoryBound: 0
; FloatMode: 240
; IeeeMode: 1
; LDSByteSize: 0 bytes/workgroup (compile time only)
; SGPRBlocks: 0
; VGPRBlocks: 0
; NumSGPRsForWavesPerEU: 1
; NumVGPRsForWavesPerEU: 1
; Occupancy: 16
; WaveLimiterHint : 0
; COMPUTE_PGM_RSRC2:SCRATCH_EN: 0
; COMPUTE_PGM_RSRC2:USER_SGPR: 6
; COMPUTE_PGM_RSRC2:TRAP_HANDLER: 0
; COMPUTE_PGM_RSRC2:TGID_X_EN: 1
; COMPUTE_PGM_RSRC2:TGID_Y_EN: 0
; COMPUTE_PGM_RSRC2:TGID_Z_EN: 0
; COMPUTE_PGM_RSRC2:TIDIG_COMP_CNT: 0
	.section	.text._ZN7rocprim17ROCPRIM_400000_NS6detail17trampoline_kernelINS0_14default_configENS1_38merge_sort_block_merge_config_selectorIiiEEZZNS1_27merge_sort_block_merge_implIS3_N6thrust23THRUST_200600_302600_NS6detail15normal_iteratorINS8_10device_ptrIiEEEESD_jNS1_19radix_merge_compareILb0ELb0EiNS0_19identity_decomposerEEEEE10hipError_tT0_T1_T2_jT3_P12ihipStream_tbPNSt15iterator_traitsISI_E10value_typeEPNSO_ISJ_E10value_typeEPSK_NS1_7vsmem_tEENKUlT_SI_SJ_SK_E_clIPiSD_S10_SD_EESH_SX_SI_SJ_SK_EUlSX_E1_NS1_11comp_targetILNS1_3genE10ELNS1_11target_archE1201ELNS1_3gpuE5ELNS1_3repE0EEENS1_36merge_oddeven_config_static_selectorELNS0_4arch9wavefront6targetE0EEEvSJ_,"axG",@progbits,_ZN7rocprim17ROCPRIM_400000_NS6detail17trampoline_kernelINS0_14default_configENS1_38merge_sort_block_merge_config_selectorIiiEEZZNS1_27merge_sort_block_merge_implIS3_N6thrust23THRUST_200600_302600_NS6detail15normal_iteratorINS8_10device_ptrIiEEEESD_jNS1_19radix_merge_compareILb0ELb0EiNS0_19identity_decomposerEEEEE10hipError_tT0_T1_T2_jT3_P12ihipStream_tbPNSt15iterator_traitsISI_E10value_typeEPNSO_ISJ_E10value_typeEPSK_NS1_7vsmem_tEENKUlT_SI_SJ_SK_E_clIPiSD_S10_SD_EESH_SX_SI_SJ_SK_EUlSX_E1_NS1_11comp_targetILNS1_3genE10ELNS1_11target_archE1201ELNS1_3gpuE5ELNS1_3repE0EEENS1_36merge_oddeven_config_static_selectorELNS0_4arch9wavefront6targetE0EEEvSJ_,comdat
	.protected	_ZN7rocprim17ROCPRIM_400000_NS6detail17trampoline_kernelINS0_14default_configENS1_38merge_sort_block_merge_config_selectorIiiEEZZNS1_27merge_sort_block_merge_implIS3_N6thrust23THRUST_200600_302600_NS6detail15normal_iteratorINS8_10device_ptrIiEEEESD_jNS1_19radix_merge_compareILb0ELb0EiNS0_19identity_decomposerEEEEE10hipError_tT0_T1_T2_jT3_P12ihipStream_tbPNSt15iterator_traitsISI_E10value_typeEPNSO_ISJ_E10value_typeEPSK_NS1_7vsmem_tEENKUlT_SI_SJ_SK_E_clIPiSD_S10_SD_EESH_SX_SI_SJ_SK_EUlSX_E1_NS1_11comp_targetILNS1_3genE10ELNS1_11target_archE1201ELNS1_3gpuE5ELNS1_3repE0EEENS1_36merge_oddeven_config_static_selectorELNS0_4arch9wavefront6targetE0EEEvSJ_ ; -- Begin function _ZN7rocprim17ROCPRIM_400000_NS6detail17trampoline_kernelINS0_14default_configENS1_38merge_sort_block_merge_config_selectorIiiEEZZNS1_27merge_sort_block_merge_implIS3_N6thrust23THRUST_200600_302600_NS6detail15normal_iteratorINS8_10device_ptrIiEEEESD_jNS1_19radix_merge_compareILb0ELb0EiNS0_19identity_decomposerEEEEE10hipError_tT0_T1_T2_jT3_P12ihipStream_tbPNSt15iterator_traitsISI_E10value_typeEPNSO_ISJ_E10value_typeEPSK_NS1_7vsmem_tEENKUlT_SI_SJ_SK_E_clIPiSD_S10_SD_EESH_SX_SI_SJ_SK_EUlSX_E1_NS1_11comp_targetILNS1_3genE10ELNS1_11target_archE1201ELNS1_3gpuE5ELNS1_3repE0EEENS1_36merge_oddeven_config_static_selectorELNS0_4arch9wavefront6targetE0EEEvSJ_
	.globl	_ZN7rocprim17ROCPRIM_400000_NS6detail17trampoline_kernelINS0_14default_configENS1_38merge_sort_block_merge_config_selectorIiiEEZZNS1_27merge_sort_block_merge_implIS3_N6thrust23THRUST_200600_302600_NS6detail15normal_iteratorINS8_10device_ptrIiEEEESD_jNS1_19radix_merge_compareILb0ELb0EiNS0_19identity_decomposerEEEEE10hipError_tT0_T1_T2_jT3_P12ihipStream_tbPNSt15iterator_traitsISI_E10value_typeEPNSO_ISJ_E10value_typeEPSK_NS1_7vsmem_tEENKUlT_SI_SJ_SK_E_clIPiSD_S10_SD_EESH_SX_SI_SJ_SK_EUlSX_E1_NS1_11comp_targetILNS1_3genE10ELNS1_11target_archE1201ELNS1_3gpuE5ELNS1_3repE0EEENS1_36merge_oddeven_config_static_selectorELNS0_4arch9wavefront6targetE0EEEvSJ_
	.p2align	8
	.type	_ZN7rocprim17ROCPRIM_400000_NS6detail17trampoline_kernelINS0_14default_configENS1_38merge_sort_block_merge_config_selectorIiiEEZZNS1_27merge_sort_block_merge_implIS3_N6thrust23THRUST_200600_302600_NS6detail15normal_iteratorINS8_10device_ptrIiEEEESD_jNS1_19radix_merge_compareILb0ELb0EiNS0_19identity_decomposerEEEEE10hipError_tT0_T1_T2_jT3_P12ihipStream_tbPNSt15iterator_traitsISI_E10value_typeEPNSO_ISJ_E10value_typeEPSK_NS1_7vsmem_tEENKUlT_SI_SJ_SK_E_clIPiSD_S10_SD_EESH_SX_SI_SJ_SK_EUlSX_E1_NS1_11comp_targetILNS1_3genE10ELNS1_11target_archE1201ELNS1_3gpuE5ELNS1_3repE0EEENS1_36merge_oddeven_config_static_selectorELNS0_4arch9wavefront6targetE0EEEvSJ_,@function
_ZN7rocprim17ROCPRIM_400000_NS6detail17trampoline_kernelINS0_14default_configENS1_38merge_sort_block_merge_config_selectorIiiEEZZNS1_27merge_sort_block_merge_implIS3_N6thrust23THRUST_200600_302600_NS6detail15normal_iteratorINS8_10device_ptrIiEEEESD_jNS1_19radix_merge_compareILb0ELb0EiNS0_19identity_decomposerEEEEE10hipError_tT0_T1_T2_jT3_P12ihipStream_tbPNSt15iterator_traitsISI_E10value_typeEPNSO_ISJ_E10value_typeEPSK_NS1_7vsmem_tEENKUlT_SI_SJ_SK_E_clIPiSD_S10_SD_EESH_SX_SI_SJ_SK_EUlSX_E1_NS1_11comp_targetILNS1_3genE10ELNS1_11target_archE1201ELNS1_3gpuE5ELNS1_3repE0EEENS1_36merge_oddeven_config_static_selectorELNS0_4arch9wavefront6targetE0EEEvSJ_: ; @_ZN7rocprim17ROCPRIM_400000_NS6detail17trampoline_kernelINS0_14default_configENS1_38merge_sort_block_merge_config_selectorIiiEEZZNS1_27merge_sort_block_merge_implIS3_N6thrust23THRUST_200600_302600_NS6detail15normal_iteratorINS8_10device_ptrIiEEEESD_jNS1_19radix_merge_compareILb0ELb0EiNS0_19identity_decomposerEEEEE10hipError_tT0_T1_T2_jT3_P12ihipStream_tbPNSt15iterator_traitsISI_E10value_typeEPNSO_ISJ_E10value_typeEPSK_NS1_7vsmem_tEENKUlT_SI_SJ_SK_E_clIPiSD_S10_SD_EESH_SX_SI_SJ_SK_EUlSX_E1_NS1_11comp_targetILNS1_3genE10ELNS1_11target_archE1201ELNS1_3gpuE5ELNS1_3repE0EEENS1_36merge_oddeven_config_static_selectorELNS0_4arch9wavefront6targetE0EEEvSJ_
; %bb.0:
	.section	.rodata,"a",@progbits
	.p2align	6, 0x0
	.amdhsa_kernel _ZN7rocprim17ROCPRIM_400000_NS6detail17trampoline_kernelINS0_14default_configENS1_38merge_sort_block_merge_config_selectorIiiEEZZNS1_27merge_sort_block_merge_implIS3_N6thrust23THRUST_200600_302600_NS6detail15normal_iteratorINS8_10device_ptrIiEEEESD_jNS1_19radix_merge_compareILb0ELb0EiNS0_19identity_decomposerEEEEE10hipError_tT0_T1_T2_jT3_P12ihipStream_tbPNSt15iterator_traitsISI_E10value_typeEPNSO_ISJ_E10value_typeEPSK_NS1_7vsmem_tEENKUlT_SI_SJ_SK_E_clIPiSD_S10_SD_EESH_SX_SI_SJ_SK_EUlSX_E1_NS1_11comp_targetILNS1_3genE10ELNS1_11target_archE1201ELNS1_3gpuE5ELNS1_3repE0EEENS1_36merge_oddeven_config_static_selectorELNS0_4arch9wavefront6targetE0EEEvSJ_
		.amdhsa_group_segment_fixed_size 0
		.amdhsa_private_segment_fixed_size 0
		.amdhsa_kernarg_size 48
		.amdhsa_user_sgpr_count 6
		.amdhsa_user_sgpr_private_segment_buffer 1
		.amdhsa_user_sgpr_dispatch_ptr 0
		.amdhsa_user_sgpr_queue_ptr 0
		.amdhsa_user_sgpr_kernarg_segment_ptr 1
		.amdhsa_user_sgpr_dispatch_id 0
		.amdhsa_user_sgpr_flat_scratch_init 0
		.amdhsa_user_sgpr_private_segment_size 0
		.amdhsa_wavefront_size32 1
		.amdhsa_uses_dynamic_stack 0
		.amdhsa_system_sgpr_private_segment_wavefront_offset 0
		.amdhsa_system_sgpr_workgroup_id_x 1
		.amdhsa_system_sgpr_workgroup_id_y 0
		.amdhsa_system_sgpr_workgroup_id_z 0
		.amdhsa_system_sgpr_workgroup_info 0
		.amdhsa_system_vgpr_workitem_id 0
		.amdhsa_next_free_vgpr 1
		.amdhsa_next_free_sgpr 1
		.amdhsa_reserve_vcc 0
		.amdhsa_reserve_flat_scratch 0
		.amdhsa_float_round_mode_32 0
		.amdhsa_float_round_mode_16_64 0
		.amdhsa_float_denorm_mode_32 3
		.amdhsa_float_denorm_mode_16_64 3
		.amdhsa_dx10_clamp 1
		.amdhsa_ieee_mode 1
		.amdhsa_fp16_overflow 0
		.amdhsa_workgroup_processor_mode 1
		.amdhsa_memory_ordered 1
		.amdhsa_forward_progress 1
		.amdhsa_shared_vgpr_count 0
		.amdhsa_exception_fp_ieee_invalid_op 0
		.amdhsa_exception_fp_denorm_src 0
		.amdhsa_exception_fp_ieee_div_zero 0
		.amdhsa_exception_fp_ieee_overflow 0
		.amdhsa_exception_fp_ieee_underflow 0
		.amdhsa_exception_fp_ieee_inexact 0
		.amdhsa_exception_int_div_zero 0
	.end_amdhsa_kernel
	.section	.text._ZN7rocprim17ROCPRIM_400000_NS6detail17trampoline_kernelINS0_14default_configENS1_38merge_sort_block_merge_config_selectorIiiEEZZNS1_27merge_sort_block_merge_implIS3_N6thrust23THRUST_200600_302600_NS6detail15normal_iteratorINS8_10device_ptrIiEEEESD_jNS1_19radix_merge_compareILb0ELb0EiNS0_19identity_decomposerEEEEE10hipError_tT0_T1_T2_jT3_P12ihipStream_tbPNSt15iterator_traitsISI_E10value_typeEPNSO_ISJ_E10value_typeEPSK_NS1_7vsmem_tEENKUlT_SI_SJ_SK_E_clIPiSD_S10_SD_EESH_SX_SI_SJ_SK_EUlSX_E1_NS1_11comp_targetILNS1_3genE10ELNS1_11target_archE1201ELNS1_3gpuE5ELNS1_3repE0EEENS1_36merge_oddeven_config_static_selectorELNS0_4arch9wavefront6targetE0EEEvSJ_,"axG",@progbits,_ZN7rocprim17ROCPRIM_400000_NS6detail17trampoline_kernelINS0_14default_configENS1_38merge_sort_block_merge_config_selectorIiiEEZZNS1_27merge_sort_block_merge_implIS3_N6thrust23THRUST_200600_302600_NS6detail15normal_iteratorINS8_10device_ptrIiEEEESD_jNS1_19radix_merge_compareILb0ELb0EiNS0_19identity_decomposerEEEEE10hipError_tT0_T1_T2_jT3_P12ihipStream_tbPNSt15iterator_traitsISI_E10value_typeEPNSO_ISJ_E10value_typeEPSK_NS1_7vsmem_tEENKUlT_SI_SJ_SK_E_clIPiSD_S10_SD_EESH_SX_SI_SJ_SK_EUlSX_E1_NS1_11comp_targetILNS1_3genE10ELNS1_11target_archE1201ELNS1_3gpuE5ELNS1_3repE0EEENS1_36merge_oddeven_config_static_selectorELNS0_4arch9wavefront6targetE0EEEvSJ_,comdat
.Lfunc_end725:
	.size	_ZN7rocprim17ROCPRIM_400000_NS6detail17trampoline_kernelINS0_14default_configENS1_38merge_sort_block_merge_config_selectorIiiEEZZNS1_27merge_sort_block_merge_implIS3_N6thrust23THRUST_200600_302600_NS6detail15normal_iteratorINS8_10device_ptrIiEEEESD_jNS1_19radix_merge_compareILb0ELb0EiNS0_19identity_decomposerEEEEE10hipError_tT0_T1_T2_jT3_P12ihipStream_tbPNSt15iterator_traitsISI_E10value_typeEPNSO_ISJ_E10value_typeEPSK_NS1_7vsmem_tEENKUlT_SI_SJ_SK_E_clIPiSD_S10_SD_EESH_SX_SI_SJ_SK_EUlSX_E1_NS1_11comp_targetILNS1_3genE10ELNS1_11target_archE1201ELNS1_3gpuE5ELNS1_3repE0EEENS1_36merge_oddeven_config_static_selectorELNS0_4arch9wavefront6targetE0EEEvSJ_, .Lfunc_end725-_ZN7rocprim17ROCPRIM_400000_NS6detail17trampoline_kernelINS0_14default_configENS1_38merge_sort_block_merge_config_selectorIiiEEZZNS1_27merge_sort_block_merge_implIS3_N6thrust23THRUST_200600_302600_NS6detail15normal_iteratorINS8_10device_ptrIiEEEESD_jNS1_19radix_merge_compareILb0ELb0EiNS0_19identity_decomposerEEEEE10hipError_tT0_T1_T2_jT3_P12ihipStream_tbPNSt15iterator_traitsISI_E10value_typeEPNSO_ISJ_E10value_typeEPSK_NS1_7vsmem_tEENKUlT_SI_SJ_SK_E_clIPiSD_S10_SD_EESH_SX_SI_SJ_SK_EUlSX_E1_NS1_11comp_targetILNS1_3genE10ELNS1_11target_archE1201ELNS1_3gpuE5ELNS1_3repE0EEENS1_36merge_oddeven_config_static_selectorELNS0_4arch9wavefront6targetE0EEEvSJ_
                                        ; -- End function
	.set _ZN7rocprim17ROCPRIM_400000_NS6detail17trampoline_kernelINS0_14default_configENS1_38merge_sort_block_merge_config_selectorIiiEEZZNS1_27merge_sort_block_merge_implIS3_N6thrust23THRUST_200600_302600_NS6detail15normal_iteratorINS8_10device_ptrIiEEEESD_jNS1_19radix_merge_compareILb0ELb0EiNS0_19identity_decomposerEEEEE10hipError_tT0_T1_T2_jT3_P12ihipStream_tbPNSt15iterator_traitsISI_E10value_typeEPNSO_ISJ_E10value_typeEPSK_NS1_7vsmem_tEENKUlT_SI_SJ_SK_E_clIPiSD_S10_SD_EESH_SX_SI_SJ_SK_EUlSX_E1_NS1_11comp_targetILNS1_3genE10ELNS1_11target_archE1201ELNS1_3gpuE5ELNS1_3repE0EEENS1_36merge_oddeven_config_static_selectorELNS0_4arch9wavefront6targetE0EEEvSJ_.num_vgpr, 0
	.set _ZN7rocprim17ROCPRIM_400000_NS6detail17trampoline_kernelINS0_14default_configENS1_38merge_sort_block_merge_config_selectorIiiEEZZNS1_27merge_sort_block_merge_implIS3_N6thrust23THRUST_200600_302600_NS6detail15normal_iteratorINS8_10device_ptrIiEEEESD_jNS1_19radix_merge_compareILb0ELb0EiNS0_19identity_decomposerEEEEE10hipError_tT0_T1_T2_jT3_P12ihipStream_tbPNSt15iterator_traitsISI_E10value_typeEPNSO_ISJ_E10value_typeEPSK_NS1_7vsmem_tEENKUlT_SI_SJ_SK_E_clIPiSD_S10_SD_EESH_SX_SI_SJ_SK_EUlSX_E1_NS1_11comp_targetILNS1_3genE10ELNS1_11target_archE1201ELNS1_3gpuE5ELNS1_3repE0EEENS1_36merge_oddeven_config_static_selectorELNS0_4arch9wavefront6targetE0EEEvSJ_.num_agpr, 0
	.set _ZN7rocprim17ROCPRIM_400000_NS6detail17trampoline_kernelINS0_14default_configENS1_38merge_sort_block_merge_config_selectorIiiEEZZNS1_27merge_sort_block_merge_implIS3_N6thrust23THRUST_200600_302600_NS6detail15normal_iteratorINS8_10device_ptrIiEEEESD_jNS1_19radix_merge_compareILb0ELb0EiNS0_19identity_decomposerEEEEE10hipError_tT0_T1_T2_jT3_P12ihipStream_tbPNSt15iterator_traitsISI_E10value_typeEPNSO_ISJ_E10value_typeEPSK_NS1_7vsmem_tEENKUlT_SI_SJ_SK_E_clIPiSD_S10_SD_EESH_SX_SI_SJ_SK_EUlSX_E1_NS1_11comp_targetILNS1_3genE10ELNS1_11target_archE1201ELNS1_3gpuE5ELNS1_3repE0EEENS1_36merge_oddeven_config_static_selectorELNS0_4arch9wavefront6targetE0EEEvSJ_.numbered_sgpr, 0
	.set _ZN7rocprim17ROCPRIM_400000_NS6detail17trampoline_kernelINS0_14default_configENS1_38merge_sort_block_merge_config_selectorIiiEEZZNS1_27merge_sort_block_merge_implIS3_N6thrust23THRUST_200600_302600_NS6detail15normal_iteratorINS8_10device_ptrIiEEEESD_jNS1_19radix_merge_compareILb0ELb0EiNS0_19identity_decomposerEEEEE10hipError_tT0_T1_T2_jT3_P12ihipStream_tbPNSt15iterator_traitsISI_E10value_typeEPNSO_ISJ_E10value_typeEPSK_NS1_7vsmem_tEENKUlT_SI_SJ_SK_E_clIPiSD_S10_SD_EESH_SX_SI_SJ_SK_EUlSX_E1_NS1_11comp_targetILNS1_3genE10ELNS1_11target_archE1201ELNS1_3gpuE5ELNS1_3repE0EEENS1_36merge_oddeven_config_static_selectorELNS0_4arch9wavefront6targetE0EEEvSJ_.num_named_barrier, 0
	.set _ZN7rocprim17ROCPRIM_400000_NS6detail17trampoline_kernelINS0_14default_configENS1_38merge_sort_block_merge_config_selectorIiiEEZZNS1_27merge_sort_block_merge_implIS3_N6thrust23THRUST_200600_302600_NS6detail15normal_iteratorINS8_10device_ptrIiEEEESD_jNS1_19radix_merge_compareILb0ELb0EiNS0_19identity_decomposerEEEEE10hipError_tT0_T1_T2_jT3_P12ihipStream_tbPNSt15iterator_traitsISI_E10value_typeEPNSO_ISJ_E10value_typeEPSK_NS1_7vsmem_tEENKUlT_SI_SJ_SK_E_clIPiSD_S10_SD_EESH_SX_SI_SJ_SK_EUlSX_E1_NS1_11comp_targetILNS1_3genE10ELNS1_11target_archE1201ELNS1_3gpuE5ELNS1_3repE0EEENS1_36merge_oddeven_config_static_selectorELNS0_4arch9wavefront6targetE0EEEvSJ_.private_seg_size, 0
	.set _ZN7rocprim17ROCPRIM_400000_NS6detail17trampoline_kernelINS0_14default_configENS1_38merge_sort_block_merge_config_selectorIiiEEZZNS1_27merge_sort_block_merge_implIS3_N6thrust23THRUST_200600_302600_NS6detail15normal_iteratorINS8_10device_ptrIiEEEESD_jNS1_19radix_merge_compareILb0ELb0EiNS0_19identity_decomposerEEEEE10hipError_tT0_T1_T2_jT3_P12ihipStream_tbPNSt15iterator_traitsISI_E10value_typeEPNSO_ISJ_E10value_typeEPSK_NS1_7vsmem_tEENKUlT_SI_SJ_SK_E_clIPiSD_S10_SD_EESH_SX_SI_SJ_SK_EUlSX_E1_NS1_11comp_targetILNS1_3genE10ELNS1_11target_archE1201ELNS1_3gpuE5ELNS1_3repE0EEENS1_36merge_oddeven_config_static_selectorELNS0_4arch9wavefront6targetE0EEEvSJ_.uses_vcc, 0
	.set _ZN7rocprim17ROCPRIM_400000_NS6detail17trampoline_kernelINS0_14default_configENS1_38merge_sort_block_merge_config_selectorIiiEEZZNS1_27merge_sort_block_merge_implIS3_N6thrust23THRUST_200600_302600_NS6detail15normal_iteratorINS8_10device_ptrIiEEEESD_jNS1_19radix_merge_compareILb0ELb0EiNS0_19identity_decomposerEEEEE10hipError_tT0_T1_T2_jT3_P12ihipStream_tbPNSt15iterator_traitsISI_E10value_typeEPNSO_ISJ_E10value_typeEPSK_NS1_7vsmem_tEENKUlT_SI_SJ_SK_E_clIPiSD_S10_SD_EESH_SX_SI_SJ_SK_EUlSX_E1_NS1_11comp_targetILNS1_3genE10ELNS1_11target_archE1201ELNS1_3gpuE5ELNS1_3repE0EEENS1_36merge_oddeven_config_static_selectorELNS0_4arch9wavefront6targetE0EEEvSJ_.uses_flat_scratch, 0
	.set _ZN7rocprim17ROCPRIM_400000_NS6detail17trampoline_kernelINS0_14default_configENS1_38merge_sort_block_merge_config_selectorIiiEEZZNS1_27merge_sort_block_merge_implIS3_N6thrust23THRUST_200600_302600_NS6detail15normal_iteratorINS8_10device_ptrIiEEEESD_jNS1_19radix_merge_compareILb0ELb0EiNS0_19identity_decomposerEEEEE10hipError_tT0_T1_T2_jT3_P12ihipStream_tbPNSt15iterator_traitsISI_E10value_typeEPNSO_ISJ_E10value_typeEPSK_NS1_7vsmem_tEENKUlT_SI_SJ_SK_E_clIPiSD_S10_SD_EESH_SX_SI_SJ_SK_EUlSX_E1_NS1_11comp_targetILNS1_3genE10ELNS1_11target_archE1201ELNS1_3gpuE5ELNS1_3repE0EEENS1_36merge_oddeven_config_static_selectorELNS0_4arch9wavefront6targetE0EEEvSJ_.has_dyn_sized_stack, 0
	.set _ZN7rocprim17ROCPRIM_400000_NS6detail17trampoline_kernelINS0_14default_configENS1_38merge_sort_block_merge_config_selectorIiiEEZZNS1_27merge_sort_block_merge_implIS3_N6thrust23THRUST_200600_302600_NS6detail15normal_iteratorINS8_10device_ptrIiEEEESD_jNS1_19radix_merge_compareILb0ELb0EiNS0_19identity_decomposerEEEEE10hipError_tT0_T1_T2_jT3_P12ihipStream_tbPNSt15iterator_traitsISI_E10value_typeEPNSO_ISJ_E10value_typeEPSK_NS1_7vsmem_tEENKUlT_SI_SJ_SK_E_clIPiSD_S10_SD_EESH_SX_SI_SJ_SK_EUlSX_E1_NS1_11comp_targetILNS1_3genE10ELNS1_11target_archE1201ELNS1_3gpuE5ELNS1_3repE0EEENS1_36merge_oddeven_config_static_selectorELNS0_4arch9wavefront6targetE0EEEvSJ_.has_recursion, 0
	.set _ZN7rocprim17ROCPRIM_400000_NS6detail17trampoline_kernelINS0_14default_configENS1_38merge_sort_block_merge_config_selectorIiiEEZZNS1_27merge_sort_block_merge_implIS3_N6thrust23THRUST_200600_302600_NS6detail15normal_iteratorINS8_10device_ptrIiEEEESD_jNS1_19radix_merge_compareILb0ELb0EiNS0_19identity_decomposerEEEEE10hipError_tT0_T1_T2_jT3_P12ihipStream_tbPNSt15iterator_traitsISI_E10value_typeEPNSO_ISJ_E10value_typeEPSK_NS1_7vsmem_tEENKUlT_SI_SJ_SK_E_clIPiSD_S10_SD_EESH_SX_SI_SJ_SK_EUlSX_E1_NS1_11comp_targetILNS1_3genE10ELNS1_11target_archE1201ELNS1_3gpuE5ELNS1_3repE0EEENS1_36merge_oddeven_config_static_selectorELNS0_4arch9wavefront6targetE0EEEvSJ_.has_indirect_call, 0
	.section	.AMDGPU.csdata,"",@progbits
; Kernel info:
; codeLenInByte = 0
; TotalNumSgprs: 0
; NumVgprs: 0
; ScratchSize: 0
; MemoryBound: 0
; FloatMode: 240
; IeeeMode: 1
; LDSByteSize: 0 bytes/workgroup (compile time only)
; SGPRBlocks: 0
; VGPRBlocks: 0
; NumSGPRsForWavesPerEU: 1
; NumVGPRsForWavesPerEU: 1
; Occupancy: 16
; WaveLimiterHint : 0
; COMPUTE_PGM_RSRC2:SCRATCH_EN: 0
; COMPUTE_PGM_RSRC2:USER_SGPR: 6
; COMPUTE_PGM_RSRC2:TRAP_HANDLER: 0
; COMPUTE_PGM_RSRC2:TGID_X_EN: 1
; COMPUTE_PGM_RSRC2:TGID_Y_EN: 0
; COMPUTE_PGM_RSRC2:TGID_Z_EN: 0
; COMPUTE_PGM_RSRC2:TIDIG_COMP_CNT: 0
	.section	.text._ZN7rocprim17ROCPRIM_400000_NS6detail17trampoline_kernelINS0_14default_configENS1_38merge_sort_block_merge_config_selectorIiiEEZZNS1_27merge_sort_block_merge_implIS3_N6thrust23THRUST_200600_302600_NS6detail15normal_iteratorINS8_10device_ptrIiEEEESD_jNS1_19radix_merge_compareILb0ELb0EiNS0_19identity_decomposerEEEEE10hipError_tT0_T1_T2_jT3_P12ihipStream_tbPNSt15iterator_traitsISI_E10value_typeEPNSO_ISJ_E10value_typeEPSK_NS1_7vsmem_tEENKUlT_SI_SJ_SK_E_clIPiSD_S10_SD_EESH_SX_SI_SJ_SK_EUlSX_E1_NS1_11comp_targetILNS1_3genE5ELNS1_11target_archE942ELNS1_3gpuE9ELNS1_3repE0EEENS1_36merge_oddeven_config_static_selectorELNS0_4arch9wavefront6targetE0EEEvSJ_,"axG",@progbits,_ZN7rocprim17ROCPRIM_400000_NS6detail17trampoline_kernelINS0_14default_configENS1_38merge_sort_block_merge_config_selectorIiiEEZZNS1_27merge_sort_block_merge_implIS3_N6thrust23THRUST_200600_302600_NS6detail15normal_iteratorINS8_10device_ptrIiEEEESD_jNS1_19radix_merge_compareILb0ELb0EiNS0_19identity_decomposerEEEEE10hipError_tT0_T1_T2_jT3_P12ihipStream_tbPNSt15iterator_traitsISI_E10value_typeEPNSO_ISJ_E10value_typeEPSK_NS1_7vsmem_tEENKUlT_SI_SJ_SK_E_clIPiSD_S10_SD_EESH_SX_SI_SJ_SK_EUlSX_E1_NS1_11comp_targetILNS1_3genE5ELNS1_11target_archE942ELNS1_3gpuE9ELNS1_3repE0EEENS1_36merge_oddeven_config_static_selectorELNS0_4arch9wavefront6targetE0EEEvSJ_,comdat
	.protected	_ZN7rocprim17ROCPRIM_400000_NS6detail17trampoline_kernelINS0_14default_configENS1_38merge_sort_block_merge_config_selectorIiiEEZZNS1_27merge_sort_block_merge_implIS3_N6thrust23THRUST_200600_302600_NS6detail15normal_iteratorINS8_10device_ptrIiEEEESD_jNS1_19radix_merge_compareILb0ELb0EiNS0_19identity_decomposerEEEEE10hipError_tT0_T1_T2_jT3_P12ihipStream_tbPNSt15iterator_traitsISI_E10value_typeEPNSO_ISJ_E10value_typeEPSK_NS1_7vsmem_tEENKUlT_SI_SJ_SK_E_clIPiSD_S10_SD_EESH_SX_SI_SJ_SK_EUlSX_E1_NS1_11comp_targetILNS1_3genE5ELNS1_11target_archE942ELNS1_3gpuE9ELNS1_3repE0EEENS1_36merge_oddeven_config_static_selectorELNS0_4arch9wavefront6targetE0EEEvSJ_ ; -- Begin function _ZN7rocprim17ROCPRIM_400000_NS6detail17trampoline_kernelINS0_14default_configENS1_38merge_sort_block_merge_config_selectorIiiEEZZNS1_27merge_sort_block_merge_implIS3_N6thrust23THRUST_200600_302600_NS6detail15normal_iteratorINS8_10device_ptrIiEEEESD_jNS1_19radix_merge_compareILb0ELb0EiNS0_19identity_decomposerEEEEE10hipError_tT0_T1_T2_jT3_P12ihipStream_tbPNSt15iterator_traitsISI_E10value_typeEPNSO_ISJ_E10value_typeEPSK_NS1_7vsmem_tEENKUlT_SI_SJ_SK_E_clIPiSD_S10_SD_EESH_SX_SI_SJ_SK_EUlSX_E1_NS1_11comp_targetILNS1_3genE5ELNS1_11target_archE942ELNS1_3gpuE9ELNS1_3repE0EEENS1_36merge_oddeven_config_static_selectorELNS0_4arch9wavefront6targetE0EEEvSJ_
	.globl	_ZN7rocprim17ROCPRIM_400000_NS6detail17trampoline_kernelINS0_14default_configENS1_38merge_sort_block_merge_config_selectorIiiEEZZNS1_27merge_sort_block_merge_implIS3_N6thrust23THRUST_200600_302600_NS6detail15normal_iteratorINS8_10device_ptrIiEEEESD_jNS1_19radix_merge_compareILb0ELb0EiNS0_19identity_decomposerEEEEE10hipError_tT0_T1_T2_jT3_P12ihipStream_tbPNSt15iterator_traitsISI_E10value_typeEPNSO_ISJ_E10value_typeEPSK_NS1_7vsmem_tEENKUlT_SI_SJ_SK_E_clIPiSD_S10_SD_EESH_SX_SI_SJ_SK_EUlSX_E1_NS1_11comp_targetILNS1_3genE5ELNS1_11target_archE942ELNS1_3gpuE9ELNS1_3repE0EEENS1_36merge_oddeven_config_static_selectorELNS0_4arch9wavefront6targetE0EEEvSJ_
	.p2align	8
	.type	_ZN7rocprim17ROCPRIM_400000_NS6detail17trampoline_kernelINS0_14default_configENS1_38merge_sort_block_merge_config_selectorIiiEEZZNS1_27merge_sort_block_merge_implIS3_N6thrust23THRUST_200600_302600_NS6detail15normal_iteratorINS8_10device_ptrIiEEEESD_jNS1_19radix_merge_compareILb0ELb0EiNS0_19identity_decomposerEEEEE10hipError_tT0_T1_T2_jT3_P12ihipStream_tbPNSt15iterator_traitsISI_E10value_typeEPNSO_ISJ_E10value_typeEPSK_NS1_7vsmem_tEENKUlT_SI_SJ_SK_E_clIPiSD_S10_SD_EESH_SX_SI_SJ_SK_EUlSX_E1_NS1_11comp_targetILNS1_3genE5ELNS1_11target_archE942ELNS1_3gpuE9ELNS1_3repE0EEENS1_36merge_oddeven_config_static_selectorELNS0_4arch9wavefront6targetE0EEEvSJ_,@function
_ZN7rocprim17ROCPRIM_400000_NS6detail17trampoline_kernelINS0_14default_configENS1_38merge_sort_block_merge_config_selectorIiiEEZZNS1_27merge_sort_block_merge_implIS3_N6thrust23THRUST_200600_302600_NS6detail15normal_iteratorINS8_10device_ptrIiEEEESD_jNS1_19radix_merge_compareILb0ELb0EiNS0_19identity_decomposerEEEEE10hipError_tT0_T1_T2_jT3_P12ihipStream_tbPNSt15iterator_traitsISI_E10value_typeEPNSO_ISJ_E10value_typeEPSK_NS1_7vsmem_tEENKUlT_SI_SJ_SK_E_clIPiSD_S10_SD_EESH_SX_SI_SJ_SK_EUlSX_E1_NS1_11comp_targetILNS1_3genE5ELNS1_11target_archE942ELNS1_3gpuE9ELNS1_3repE0EEENS1_36merge_oddeven_config_static_selectorELNS0_4arch9wavefront6targetE0EEEvSJ_: ; @_ZN7rocprim17ROCPRIM_400000_NS6detail17trampoline_kernelINS0_14default_configENS1_38merge_sort_block_merge_config_selectorIiiEEZZNS1_27merge_sort_block_merge_implIS3_N6thrust23THRUST_200600_302600_NS6detail15normal_iteratorINS8_10device_ptrIiEEEESD_jNS1_19radix_merge_compareILb0ELb0EiNS0_19identity_decomposerEEEEE10hipError_tT0_T1_T2_jT3_P12ihipStream_tbPNSt15iterator_traitsISI_E10value_typeEPNSO_ISJ_E10value_typeEPSK_NS1_7vsmem_tEENKUlT_SI_SJ_SK_E_clIPiSD_S10_SD_EESH_SX_SI_SJ_SK_EUlSX_E1_NS1_11comp_targetILNS1_3genE5ELNS1_11target_archE942ELNS1_3gpuE9ELNS1_3repE0EEENS1_36merge_oddeven_config_static_selectorELNS0_4arch9wavefront6targetE0EEEvSJ_
; %bb.0:
	.section	.rodata,"a",@progbits
	.p2align	6, 0x0
	.amdhsa_kernel _ZN7rocprim17ROCPRIM_400000_NS6detail17trampoline_kernelINS0_14default_configENS1_38merge_sort_block_merge_config_selectorIiiEEZZNS1_27merge_sort_block_merge_implIS3_N6thrust23THRUST_200600_302600_NS6detail15normal_iteratorINS8_10device_ptrIiEEEESD_jNS1_19radix_merge_compareILb0ELb0EiNS0_19identity_decomposerEEEEE10hipError_tT0_T1_T2_jT3_P12ihipStream_tbPNSt15iterator_traitsISI_E10value_typeEPNSO_ISJ_E10value_typeEPSK_NS1_7vsmem_tEENKUlT_SI_SJ_SK_E_clIPiSD_S10_SD_EESH_SX_SI_SJ_SK_EUlSX_E1_NS1_11comp_targetILNS1_3genE5ELNS1_11target_archE942ELNS1_3gpuE9ELNS1_3repE0EEENS1_36merge_oddeven_config_static_selectorELNS0_4arch9wavefront6targetE0EEEvSJ_
		.amdhsa_group_segment_fixed_size 0
		.amdhsa_private_segment_fixed_size 0
		.amdhsa_kernarg_size 48
		.amdhsa_user_sgpr_count 6
		.amdhsa_user_sgpr_private_segment_buffer 1
		.amdhsa_user_sgpr_dispatch_ptr 0
		.amdhsa_user_sgpr_queue_ptr 0
		.amdhsa_user_sgpr_kernarg_segment_ptr 1
		.amdhsa_user_sgpr_dispatch_id 0
		.amdhsa_user_sgpr_flat_scratch_init 0
		.amdhsa_user_sgpr_private_segment_size 0
		.amdhsa_wavefront_size32 1
		.amdhsa_uses_dynamic_stack 0
		.amdhsa_system_sgpr_private_segment_wavefront_offset 0
		.amdhsa_system_sgpr_workgroup_id_x 1
		.amdhsa_system_sgpr_workgroup_id_y 0
		.amdhsa_system_sgpr_workgroup_id_z 0
		.amdhsa_system_sgpr_workgroup_info 0
		.amdhsa_system_vgpr_workitem_id 0
		.amdhsa_next_free_vgpr 1
		.amdhsa_next_free_sgpr 1
		.amdhsa_reserve_vcc 0
		.amdhsa_reserve_flat_scratch 0
		.amdhsa_float_round_mode_32 0
		.amdhsa_float_round_mode_16_64 0
		.amdhsa_float_denorm_mode_32 3
		.amdhsa_float_denorm_mode_16_64 3
		.amdhsa_dx10_clamp 1
		.amdhsa_ieee_mode 1
		.amdhsa_fp16_overflow 0
		.amdhsa_workgroup_processor_mode 1
		.amdhsa_memory_ordered 1
		.amdhsa_forward_progress 1
		.amdhsa_shared_vgpr_count 0
		.amdhsa_exception_fp_ieee_invalid_op 0
		.amdhsa_exception_fp_denorm_src 0
		.amdhsa_exception_fp_ieee_div_zero 0
		.amdhsa_exception_fp_ieee_overflow 0
		.amdhsa_exception_fp_ieee_underflow 0
		.amdhsa_exception_fp_ieee_inexact 0
		.amdhsa_exception_int_div_zero 0
	.end_amdhsa_kernel
	.section	.text._ZN7rocprim17ROCPRIM_400000_NS6detail17trampoline_kernelINS0_14default_configENS1_38merge_sort_block_merge_config_selectorIiiEEZZNS1_27merge_sort_block_merge_implIS3_N6thrust23THRUST_200600_302600_NS6detail15normal_iteratorINS8_10device_ptrIiEEEESD_jNS1_19radix_merge_compareILb0ELb0EiNS0_19identity_decomposerEEEEE10hipError_tT0_T1_T2_jT3_P12ihipStream_tbPNSt15iterator_traitsISI_E10value_typeEPNSO_ISJ_E10value_typeEPSK_NS1_7vsmem_tEENKUlT_SI_SJ_SK_E_clIPiSD_S10_SD_EESH_SX_SI_SJ_SK_EUlSX_E1_NS1_11comp_targetILNS1_3genE5ELNS1_11target_archE942ELNS1_3gpuE9ELNS1_3repE0EEENS1_36merge_oddeven_config_static_selectorELNS0_4arch9wavefront6targetE0EEEvSJ_,"axG",@progbits,_ZN7rocprim17ROCPRIM_400000_NS6detail17trampoline_kernelINS0_14default_configENS1_38merge_sort_block_merge_config_selectorIiiEEZZNS1_27merge_sort_block_merge_implIS3_N6thrust23THRUST_200600_302600_NS6detail15normal_iteratorINS8_10device_ptrIiEEEESD_jNS1_19radix_merge_compareILb0ELb0EiNS0_19identity_decomposerEEEEE10hipError_tT0_T1_T2_jT3_P12ihipStream_tbPNSt15iterator_traitsISI_E10value_typeEPNSO_ISJ_E10value_typeEPSK_NS1_7vsmem_tEENKUlT_SI_SJ_SK_E_clIPiSD_S10_SD_EESH_SX_SI_SJ_SK_EUlSX_E1_NS1_11comp_targetILNS1_3genE5ELNS1_11target_archE942ELNS1_3gpuE9ELNS1_3repE0EEENS1_36merge_oddeven_config_static_selectorELNS0_4arch9wavefront6targetE0EEEvSJ_,comdat
.Lfunc_end726:
	.size	_ZN7rocprim17ROCPRIM_400000_NS6detail17trampoline_kernelINS0_14default_configENS1_38merge_sort_block_merge_config_selectorIiiEEZZNS1_27merge_sort_block_merge_implIS3_N6thrust23THRUST_200600_302600_NS6detail15normal_iteratorINS8_10device_ptrIiEEEESD_jNS1_19radix_merge_compareILb0ELb0EiNS0_19identity_decomposerEEEEE10hipError_tT0_T1_T2_jT3_P12ihipStream_tbPNSt15iterator_traitsISI_E10value_typeEPNSO_ISJ_E10value_typeEPSK_NS1_7vsmem_tEENKUlT_SI_SJ_SK_E_clIPiSD_S10_SD_EESH_SX_SI_SJ_SK_EUlSX_E1_NS1_11comp_targetILNS1_3genE5ELNS1_11target_archE942ELNS1_3gpuE9ELNS1_3repE0EEENS1_36merge_oddeven_config_static_selectorELNS0_4arch9wavefront6targetE0EEEvSJ_, .Lfunc_end726-_ZN7rocprim17ROCPRIM_400000_NS6detail17trampoline_kernelINS0_14default_configENS1_38merge_sort_block_merge_config_selectorIiiEEZZNS1_27merge_sort_block_merge_implIS3_N6thrust23THRUST_200600_302600_NS6detail15normal_iteratorINS8_10device_ptrIiEEEESD_jNS1_19radix_merge_compareILb0ELb0EiNS0_19identity_decomposerEEEEE10hipError_tT0_T1_T2_jT3_P12ihipStream_tbPNSt15iterator_traitsISI_E10value_typeEPNSO_ISJ_E10value_typeEPSK_NS1_7vsmem_tEENKUlT_SI_SJ_SK_E_clIPiSD_S10_SD_EESH_SX_SI_SJ_SK_EUlSX_E1_NS1_11comp_targetILNS1_3genE5ELNS1_11target_archE942ELNS1_3gpuE9ELNS1_3repE0EEENS1_36merge_oddeven_config_static_selectorELNS0_4arch9wavefront6targetE0EEEvSJ_
                                        ; -- End function
	.set _ZN7rocprim17ROCPRIM_400000_NS6detail17trampoline_kernelINS0_14default_configENS1_38merge_sort_block_merge_config_selectorIiiEEZZNS1_27merge_sort_block_merge_implIS3_N6thrust23THRUST_200600_302600_NS6detail15normal_iteratorINS8_10device_ptrIiEEEESD_jNS1_19radix_merge_compareILb0ELb0EiNS0_19identity_decomposerEEEEE10hipError_tT0_T1_T2_jT3_P12ihipStream_tbPNSt15iterator_traitsISI_E10value_typeEPNSO_ISJ_E10value_typeEPSK_NS1_7vsmem_tEENKUlT_SI_SJ_SK_E_clIPiSD_S10_SD_EESH_SX_SI_SJ_SK_EUlSX_E1_NS1_11comp_targetILNS1_3genE5ELNS1_11target_archE942ELNS1_3gpuE9ELNS1_3repE0EEENS1_36merge_oddeven_config_static_selectorELNS0_4arch9wavefront6targetE0EEEvSJ_.num_vgpr, 0
	.set _ZN7rocprim17ROCPRIM_400000_NS6detail17trampoline_kernelINS0_14default_configENS1_38merge_sort_block_merge_config_selectorIiiEEZZNS1_27merge_sort_block_merge_implIS3_N6thrust23THRUST_200600_302600_NS6detail15normal_iteratorINS8_10device_ptrIiEEEESD_jNS1_19radix_merge_compareILb0ELb0EiNS0_19identity_decomposerEEEEE10hipError_tT0_T1_T2_jT3_P12ihipStream_tbPNSt15iterator_traitsISI_E10value_typeEPNSO_ISJ_E10value_typeEPSK_NS1_7vsmem_tEENKUlT_SI_SJ_SK_E_clIPiSD_S10_SD_EESH_SX_SI_SJ_SK_EUlSX_E1_NS1_11comp_targetILNS1_3genE5ELNS1_11target_archE942ELNS1_3gpuE9ELNS1_3repE0EEENS1_36merge_oddeven_config_static_selectorELNS0_4arch9wavefront6targetE0EEEvSJ_.num_agpr, 0
	.set _ZN7rocprim17ROCPRIM_400000_NS6detail17trampoline_kernelINS0_14default_configENS1_38merge_sort_block_merge_config_selectorIiiEEZZNS1_27merge_sort_block_merge_implIS3_N6thrust23THRUST_200600_302600_NS6detail15normal_iteratorINS8_10device_ptrIiEEEESD_jNS1_19radix_merge_compareILb0ELb0EiNS0_19identity_decomposerEEEEE10hipError_tT0_T1_T2_jT3_P12ihipStream_tbPNSt15iterator_traitsISI_E10value_typeEPNSO_ISJ_E10value_typeEPSK_NS1_7vsmem_tEENKUlT_SI_SJ_SK_E_clIPiSD_S10_SD_EESH_SX_SI_SJ_SK_EUlSX_E1_NS1_11comp_targetILNS1_3genE5ELNS1_11target_archE942ELNS1_3gpuE9ELNS1_3repE0EEENS1_36merge_oddeven_config_static_selectorELNS0_4arch9wavefront6targetE0EEEvSJ_.numbered_sgpr, 0
	.set _ZN7rocprim17ROCPRIM_400000_NS6detail17trampoline_kernelINS0_14default_configENS1_38merge_sort_block_merge_config_selectorIiiEEZZNS1_27merge_sort_block_merge_implIS3_N6thrust23THRUST_200600_302600_NS6detail15normal_iteratorINS8_10device_ptrIiEEEESD_jNS1_19radix_merge_compareILb0ELb0EiNS0_19identity_decomposerEEEEE10hipError_tT0_T1_T2_jT3_P12ihipStream_tbPNSt15iterator_traitsISI_E10value_typeEPNSO_ISJ_E10value_typeEPSK_NS1_7vsmem_tEENKUlT_SI_SJ_SK_E_clIPiSD_S10_SD_EESH_SX_SI_SJ_SK_EUlSX_E1_NS1_11comp_targetILNS1_3genE5ELNS1_11target_archE942ELNS1_3gpuE9ELNS1_3repE0EEENS1_36merge_oddeven_config_static_selectorELNS0_4arch9wavefront6targetE0EEEvSJ_.num_named_barrier, 0
	.set _ZN7rocprim17ROCPRIM_400000_NS6detail17trampoline_kernelINS0_14default_configENS1_38merge_sort_block_merge_config_selectorIiiEEZZNS1_27merge_sort_block_merge_implIS3_N6thrust23THRUST_200600_302600_NS6detail15normal_iteratorINS8_10device_ptrIiEEEESD_jNS1_19radix_merge_compareILb0ELb0EiNS0_19identity_decomposerEEEEE10hipError_tT0_T1_T2_jT3_P12ihipStream_tbPNSt15iterator_traitsISI_E10value_typeEPNSO_ISJ_E10value_typeEPSK_NS1_7vsmem_tEENKUlT_SI_SJ_SK_E_clIPiSD_S10_SD_EESH_SX_SI_SJ_SK_EUlSX_E1_NS1_11comp_targetILNS1_3genE5ELNS1_11target_archE942ELNS1_3gpuE9ELNS1_3repE0EEENS1_36merge_oddeven_config_static_selectorELNS0_4arch9wavefront6targetE0EEEvSJ_.private_seg_size, 0
	.set _ZN7rocprim17ROCPRIM_400000_NS6detail17trampoline_kernelINS0_14default_configENS1_38merge_sort_block_merge_config_selectorIiiEEZZNS1_27merge_sort_block_merge_implIS3_N6thrust23THRUST_200600_302600_NS6detail15normal_iteratorINS8_10device_ptrIiEEEESD_jNS1_19radix_merge_compareILb0ELb0EiNS0_19identity_decomposerEEEEE10hipError_tT0_T1_T2_jT3_P12ihipStream_tbPNSt15iterator_traitsISI_E10value_typeEPNSO_ISJ_E10value_typeEPSK_NS1_7vsmem_tEENKUlT_SI_SJ_SK_E_clIPiSD_S10_SD_EESH_SX_SI_SJ_SK_EUlSX_E1_NS1_11comp_targetILNS1_3genE5ELNS1_11target_archE942ELNS1_3gpuE9ELNS1_3repE0EEENS1_36merge_oddeven_config_static_selectorELNS0_4arch9wavefront6targetE0EEEvSJ_.uses_vcc, 0
	.set _ZN7rocprim17ROCPRIM_400000_NS6detail17trampoline_kernelINS0_14default_configENS1_38merge_sort_block_merge_config_selectorIiiEEZZNS1_27merge_sort_block_merge_implIS3_N6thrust23THRUST_200600_302600_NS6detail15normal_iteratorINS8_10device_ptrIiEEEESD_jNS1_19radix_merge_compareILb0ELb0EiNS0_19identity_decomposerEEEEE10hipError_tT0_T1_T2_jT3_P12ihipStream_tbPNSt15iterator_traitsISI_E10value_typeEPNSO_ISJ_E10value_typeEPSK_NS1_7vsmem_tEENKUlT_SI_SJ_SK_E_clIPiSD_S10_SD_EESH_SX_SI_SJ_SK_EUlSX_E1_NS1_11comp_targetILNS1_3genE5ELNS1_11target_archE942ELNS1_3gpuE9ELNS1_3repE0EEENS1_36merge_oddeven_config_static_selectorELNS0_4arch9wavefront6targetE0EEEvSJ_.uses_flat_scratch, 0
	.set _ZN7rocprim17ROCPRIM_400000_NS6detail17trampoline_kernelINS0_14default_configENS1_38merge_sort_block_merge_config_selectorIiiEEZZNS1_27merge_sort_block_merge_implIS3_N6thrust23THRUST_200600_302600_NS6detail15normal_iteratorINS8_10device_ptrIiEEEESD_jNS1_19radix_merge_compareILb0ELb0EiNS0_19identity_decomposerEEEEE10hipError_tT0_T1_T2_jT3_P12ihipStream_tbPNSt15iterator_traitsISI_E10value_typeEPNSO_ISJ_E10value_typeEPSK_NS1_7vsmem_tEENKUlT_SI_SJ_SK_E_clIPiSD_S10_SD_EESH_SX_SI_SJ_SK_EUlSX_E1_NS1_11comp_targetILNS1_3genE5ELNS1_11target_archE942ELNS1_3gpuE9ELNS1_3repE0EEENS1_36merge_oddeven_config_static_selectorELNS0_4arch9wavefront6targetE0EEEvSJ_.has_dyn_sized_stack, 0
	.set _ZN7rocprim17ROCPRIM_400000_NS6detail17trampoline_kernelINS0_14default_configENS1_38merge_sort_block_merge_config_selectorIiiEEZZNS1_27merge_sort_block_merge_implIS3_N6thrust23THRUST_200600_302600_NS6detail15normal_iteratorINS8_10device_ptrIiEEEESD_jNS1_19radix_merge_compareILb0ELb0EiNS0_19identity_decomposerEEEEE10hipError_tT0_T1_T2_jT3_P12ihipStream_tbPNSt15iterator_traitsISI_E10value_typeEPNSO_ISJ_E10value_typeEPSK_NS1_7vsmem_tEENKUlT_SI_SJ_SK_E_clIPiSD_S10_SD_EESH_SX_SI_SJ_SK_EUlSX_E1_NS1_11comp_targetILNS1_3genE5ELNS1_11target_archE942ELNS1_3gpuE9ELNS1_3repE0EEENS1_36merge_oddeven_config_static_selectorELNS0_4arch9wavefront6targetE0EEEvSJ_.has_recursion, 0
	.set _ZN7rocprim17ROCPRIM_400000_NS6detail17trampoline_kernelINS0_14default_configENS1_38merge_sort_block_merge_config_selectorIiiEEZZNS1_27merge_sort_block_merge_implIS3_N6thrust23THRUST_200600_302600_NS6detail15normal_iteratorINS8_10device_ptrIiEEEESD_jNS1_19radix_merge_compareILb0ELb0EiNS0_19identity_decomposerEEEEE10hipError_tT0_T1_T2_jT3_P12ihipStream_tbPNSt15iterator_traitsISI_E10value_typeEPNSO_ISJ_E10value_typeEPSK_NS1_7vsmem_tEENKUlT_SI_SJ_SK_E_clIPiSD_S10_SD_EESH_SX_SI_SJ_SK_EUlSX_E1_NS1_11comp_targetILNS1_3genE5ELNS1_11target_archE942ELNS1_3gpuE9ELNS1_3repE0EEENS1_36merge_oddeven_config_static_selectorELNS0_4arch9wavefront6targetE0EEEvSJ_.has_indirect_call, 0
	.section	.AMDGPU.csdata,"",@progbits
; Kernel info:
; codeLenInByte = 0
; TotalNumSgprs: 0
; NumVgprs: 0
; ScratchSize: 0
; MemoryBound: 0
; FloatMode: 240
; IeeeMode: 1
; LDSByteSize: 0 bytes/workgroup (compile time only)
; SGPRBlocks: 0
; VGPRBlocks: 0
; NumSGPRsForWavesPerEU: 1
; NumVGPRsForWavesPerEU: 1
; Occupancy: 16
; WaveLimiterHint : 0
; COMPUTE_PGM_RSRC2:SCRATCH_EN: 0
; COMPUTE_PGM_RSRC2:USER_SGPR: 6
; COMPUTE_PGM_RSRC2:TRAP_HANDLER: 0
; COMPUTE_PGM_RSRC2:TGID_X_EN: 1
; COMPUTE_PGM_RSRC2:TGID_Y_EN: 0
; COMPUTE_PGM_RSRC2:TGID_Z_EN: 0
; COMPUTE_PGM_RSRC2:TIDIG_COMP_CNT: 0
	.section	.text._ZN7rocprim17ROCPRIM_400000_NS6detail17trampoline_kernelINS0_14default_configENS1_38merge_sort_block_merge_config_selectorIiiEEZZNS1_27merge_sort_block_merge_implIS3_N6thrust23THRUST_200600_302600_NS6detail15normal_iteratorINS8_10device_ptrIiEEEESD_jNS1_19radix_merge_compareILb0ELb0EiNS0_19identity_decomposerEEEEE10hipError_tT0_T1_T2_jT3_P12ihipStream_tbPNSt15iterator_traitsISI_E10value_typeEPNSO_ISJ_E10value_typeEPSK_NS1_7vsmem_tEENKUlT_SI_SJ_SK_E_clIPiSD_S10_SD_EESH_SX_SI_SJ_SK_EUlSX_E1_NS1_11comp_targetILNS1_3genE4ELNS1_11target_archE910ELNS1_3gpuE8ELNS1_3repE0EEENS1_36merge_oddeven_config_static_selectorELNS0_4arch9wavefront6targetE0EEEvSJ_,"axG",@progbits,_ZN7rocprim17ROCPRIM_400000_NS6detail17trampoline_kernelINS0_14default_configENS1_38merge_sort_block_merge_config_selectorIiiEEZZNS1_27merge_sort_block_merge_implIS3_N6thrust23THRUST_200600_302600_NS6detail15normal_iteratorINS8_10device_ptrIiEEEESD_jNS1_19radix_merge_compareILb0ELb0EiNS0_19identity_decomposerEEEEE10hipError_tT0_T1_T2_jT3_P12ihipStream_tbPNSt15iterator_traitsISI_E10value_typeEPNSO_ISJ_E10value_typeEPSK_NS1_7vsmem_tEENKUlT_SI_SJ_SK_E_clIPiSD_S10_SD_EESH_SX_SI_SJ_SK_EUlSX_E1_NS1_11comp_targetILNS1_3genE4ELNS1_11target_archE910ELNS1_3gpuE8ELNS1_3repE0EEENS1_36merge_oddeven_config_static_selectorELNS0_4arch9wavefront6targetE0EEEvSJ_,comdat
	.protected	_ZN7rocprim17ROCPRIM_400000_NS6detail17trampoline_kernelINS0_14default_configENS1_38merge_sort_block_merge_config_selectorIiiEEZZNS1_27merge_sort_block_merge_implIS3_N6thrust23THRUST_200600_302600_NS6detail15normal_iteratorINS8_10device_ptrIiEEEESD_jNS1_19radix_merge_compareILb0ELb0EiNS0_19identity_decomposerEEEEE10hipError_tT0_T1_T2_jT3_P12ihipStream_tbPNSt15iterator_traitsISI_E10value_typeEPNSO_ISJ_E10value_typeEPSK_NS1_7vsmem_tEENKUlT_SI_SJ_SK_E_clIPiSD_S10_SD_EESH_SX_SI_SJ_SK_EUlSX_E1_NS1_11comp_targetILNS1_3genE4ELNS1_11target_archE910ELNS1_3gpuE8ELNS1_3repE0EEENS1_36merge_oddeven_config_static_selectorELNS0_4arch9wavefront6targetE0EEEvSJ_ ; -- Begin function _ZN7rocprim17ROCPRIM_400000_NS6detail17trampoline_kernelINS0_14default_configENS1_38merge_sort_block_merge_config_selectorIiiEEZZNS1_27merge_sort_block_merge_implIS3_N6thrust23THRUST_200600_302600_NS6detail15normal_iteratorINS8_10device_ptrIiEEEESD_jNS1_19radix_merge_compareILb0ELb0EiNS0_19identity_decomposerEEEEE10hipError_tT0_T1_T2_jT3_P12ihipStream_tbPNSt15iterator_traitsISI_E10value_typeEPNSO_ISJ_E10value_typeEPSK_NS1_7vsmem_tEENKUlT_SI_SJ_SK_E_clIPiSD_S10_SD_EESH_SX_SI_SJ_SK_EUlSX_E1_NS1_11comp_targetILNS1_3genE4ELNS1_11target_archE910ELNS1_3gpuE8ELNS1_3repE0EEENS1_36merge_oddeven_config_static_selectorELNS0_4arch9wavefront6targetE0EEEvSJ_
	.globl	_ZN7rocprim17ROCPRIM_400000_NS6detail17trampoline_kernelINS0_14default_configENS1_38merge_sort_block_merge_config_selectorIiiEEZZNS1_27merge_sort_block_merge_implIS3_N6thrust23THRUST_200600_302600_NS6detail15normal_iteratorINS8_10device_ptrIiEEEESD_jNS1_19radix_merge_compareILb0ELb0EiNS0_19identity_decomposerEEEEE10hipError_tT0_T1_T2_jT3_P12ihipStream_tbPNSt15iterator_traitsISI_E10value_typeEPNSO_ISJ_E10value_typeEPSK_NS1_7vsmem_tEENKUlT_SI_SJ_SK_E_clIPiSD_S10_SD_EESH_SX_SI_SJ_SK_EUlSX_E1_NS1_11comp_targetILNS1_3genE4ELNS1_11target_archE910ELNS1_3gpuE8ELNS1_3repE0EEENS1_36merge_oddeven_config_static_selectorELNS0_4arch9wavefront6targetE0EEEvSJ_
	.p2align	8
	.type	_ZN7rocprim17ROCPRIM_400000_NS6detail17trampoline_kernelINS0_14default_configENS1_38merge_sort_block_merge_config_selectorIiiEEZZNS1_27merge_sort_block_merge_implIS3_N6thrust23THRUST_200600_302600_NS6detail15normal_iteratorINS8_10device_ptrIiEEEESD_jNS1_19radix_merge_compareILb0ELb0EiNS0_19identity_decomposerEEEEE10hipError_tT0_T1_T2_jT3_P12ihipStream_tbPNSt15iterator_traitsISI_E10value_typeEPNSO_ISJ_E10value_typeEPSK_NS1_7vsmem_tEENKUlT_SI_SJ_SK_E_clIPiSD_S10_SD_EESH_SX_SI_SJ_SK_EUlSX_E1_NS1_11comp_targetILNS1_3genE4ELNS1_11target_archE910ELNS1_3gpuE8ELNS1_3repE0EEENS1_36merge_oddeven_config_static_selectorELNS0_4arch9wavefront6targetE0EEEvSJ_,@function
_ZN7rocprim17ROCPRIM_400000_NS6detail17trampoline_kernelINS0_14default_configENS1_38merge_sort_block_merge_config_selectorIiiEEZZNS1_27merge_sort_block_merge_implIS3_N6thrust23THRUST_200600_302600_NS6detail15normal_iteratorINS8_10device_ptrIiEEEESD_jNS1_19radix_merge_compareILb0ELb0EiNS0_19identity_decomposerEEEEE10hipError_tT0_T1_T2_jT3_P12ihipStream_tbPNSt15iterator_traitsISI_E10value_typeEPNSO_ISJ_E10value_typeEPSK_NS1_7vsmem_tEENKUlT_SI_SJ_SK_E_clIPiSD_S10_SD_EESH_SX_SI_SJ_SK_EUlSX_E1_NS1_11comp_targetILNS1_3genE4ELNS1_11target_archE910ELNS1_3gpuE8ELNS1_3repE0EEENS1_36merge_oddeven_config_static_selectorELNS0_4arch9wavefront6targetE0EEEvSJ_: ; @_ZN7rocprim17ROCPRIM_400000_NS6detail17trampoline_kernelINS0_14default_configENS1_38merge_sort_block_merge_config_selectorIiiEEZZNS1_27merge_sort_block_merge_implIS3_N6thrust23THRUST_200600_302600_NS6detail15normal_iteratorINS8_10device_ptrIiEEEESD_jNS1_19radix_merge_compareILb0ELb0EiNS0_19identity_decomposerEEEEE10hipError_tT0_T1_T2_jT3_P12ihipStream_tbPNSt15iterator_traitsISI_E10value_typeEPNSO_ISJ_E10value_typeEPSK_NS1_7vsmem_tEENKUlT_SI_SJ_SK_E_clIPiSD_S10_SD_EESH_SX_SI_SJ_SK_EUlSX_E1_NS1_11comp_targetILNS1_3genE4ELNS1_11target_archE910ELNS1_3gpuE8ELNS1_3repE0EEENS1_36merge_oddeven_config_static_selectorELNS0_4arch9wavefront6targetE0EEEvSJ_
; %bb.0:
	.section	.rodata,"a",@progbits
	.p2align	6, 0x0
	.amdhsa_kernel _ZN7rocprim17ROCPRIM_400000_NS6detail17trampoline_kernelINS0_14default_configENS1_38merge_sort_block_merge_config_selectorIiiEEZZNS1_27merge_sort_block_merge_implIS3_N6thrust23THRUST_200600_302600_NS6detail15normal_iteratorINS8_10device_ptrIiEEEESD_jNS1_19radix_merge_compareILb0ELb0EiNS0_19identity_decomposerEEEEE10hipError_tT0_T1_T2_jT3_P12ihipStream_tbPNSt15iterator_traitsISI_E10value_typeEPNSO_ISJ_E10value_typeEPSK_NS1_7vsmem_tEENKUlT_SI_SJ_SK_E_clIPiSD_S10_SD_EESH_SX_SI_SJ_SK_EUlSX_E1_NS1_11comp_targetILNS1_3genE4ELNS1_11target_archE910ELNS1_3gpuE8ELNS1_3repE0EEENS1_36merge_oddeven_config_static_selectorELNS0_4arch9wavefront6targetE0EEEvSJ_
		.amdhsa_group_segment_fixed_size 0
		.amdhsa_private_segment_fixed_size 0
		.amdhsa_kernarg_size 48
		.amdhsa_user_sgpr_count 6
		.amdhsa_user_sgpr_private_segment_buffer 1
		.amdhsa_user_sgpr_dispatch_ptr 0
		.amdhsa_user_sgpr_queue_ptr 0
		.amdhsa_user_sgpr_kernarg_segment_ptr 1
		.amdhsa_user_sgpr_dispatch_id 0
		.amdhsa_user_sgpr_flat_scratch_init 0
		.amdhsa_user_sgpr_private_segment_size 0
		.amdhsa_wavefront_size32 1
		.amdhsa_uses_dynamic_stack 0
		.amdhsa_system_sgpr_private_segment_wavefront_offset 0
		.amdhsa_system_sgpr_workgroup_id_x 1
		.amdhsa_system_sgpr_workgroup_id_y 0
		.amdhsa_system_sgpr_workgroup_id_z 0
		.amdhsa_system_sgpr_workgroup_info 0
		.amdhsa_system_vgpr_workitem_id 0
		.amdhsa_next_free_vgpr 1
		.amdhsa_next_free_sgpr 1
		.amdhsa_reserve_vcc 0
		.amdhsa_reserve_flat_scratch 0
		.amdhsa_float_round_mode_32 0
		.amdhsa_float_round_mode_16_64 0
		.amdhsa_float_denorm_mode_32 3
		.amdhsa_float_denorm_mode_16_64 3
		.amdhsa_dx10_clamp 1
		.amdhsa_ieee_mode 1
		.amdhsa_fp16_overflow 0
		.amdhsa_workgroup_processor_mode 1
		.amdhsa_memory_ordered 1
		.amdhsa_forward_progress 1
		.amdhsa_shared_vgpr_count 0
		.amdhsa_exception_fp_ieee_invalid_op 0
		.amdhsa_exception_fp_denorm_src 0
		.amdhsa_exception_fp_ieee_div_zero 0
		.amdhsa_exception_fp_ieee_overflow 0
		.amdhsa_exception_fp_ieee_underflow 0
		.amdhsa_exception_fp_ieee_inexact 0
		.amdhsa_exception_int_div_zero 0
	.end_amdhsa_kernel
	.section	.text._ZN7rocprim17ROCPRIM_400000_NS6detail17trampoline_kernelINS0_14default_configENS1_38merge_sort_block_merge_config_selectorIiiEEZZNS1_27merge_sort_block_merge_implIS3_N6thrust23THRUST_200600_302600_NS6detail15normal_iteratorINS8_10device_ptrIiEEEESD_jNS1_19radix_merge_compareILb0ELb0EiNS0_19identity_decomposerEEEEE10hipError_tT0_T1_T2_jT3_P12ihipStream_tbPNSt15iterator_traitsISI_E10value_typeEPNSO_ISJ_E10value_typeEPSK_NS1_7vsmem_tEENKUlT_SI_SJ_SK_E_clIPiSD_S10_SD_EESH_SX_SI_SJ_SK_EUlSX_E1_NS1_11comp_targetILNS1_3genE4ELNS1_11target_archE910ELNS1_3gpuE8ELNS1_3repE0EEENS1_36merge_oddeven_config_static_selectorELNS0_4arch9wavefront6targetE0EEEvSJ_,"axG",@progbits,_ZN7rocprim17ROCPRIM_400000_NS6detail17trampoline_kernelINS0_14default_configENS1_38merge_sort_block_merge_config_selectorIiiEEZZNS1_27merge_sort_block_merge_implIS3_N6thrust23THRUST_200600_302600_NS6detail15normal_iteratorINS8_10device_ptrIiEEEESD_jNS1_19radix_merge_compareILb0ELb0EiNS0_19identity_decomposerEEEEE10hipError_tT0_T1_T2_jT3_P12ihipStream_tbPNSt15iterator_traitsISI_E10value_typeEPNSO_ISJ_E10value_typeEPSK_NS1_7vsmem_tEENKUlT_SI_SJ_SK_E_clIPiSD_S10_SD_EESH_SX_SI_SJ_SK_EUlSX_E1_NS1_11comp_targetILNS1_3genE4ELNS1_11target_archE910ELNS1_3gpuE8ELNS1_3repE0EEENS1_36merge_oddeven_config_static_selectorELNS0_4arch9wavefront6targetE0EEEvSJ_,comdat
.Lfunc_end727:
	.size	_ZN7rocprim17ROCPRIM_400000_NS6detail17trampoline_kernelINS0_14default_configENS1_38merge_sort_block_merge_config_selectorIiiEEZZNS1_27merge_sort_block_merge_implIS3_N6thrust23THRUST_200600_302600_NS6detail15normal_iteratorINS8_10device_ptrIiEEEESD_jNS1_19radix_merge_compareILb0ELb0EiNS0_19identity_decomposerEEEEE10hipError_tT0_T1_T2_jT3_P12ihipStream_tbPNSt15iterator_traitsISI_E10value_typeEPNSO_ISJ_E10value_typeEPSK_NS1_7vsmem_tEENKUlT_SI_SJ_SK_E_clIPiSD_S10_SD_EESH_SX_SI_SJ_SK_EUlSX_E1_NS1_11comp_targetILNS1_3genE4ELNS1_11target_archE910ELNS1_3gpuE8ELNS1_3repE0EEENS1_36merge_oddeven_config_static_selectorELNS0_4arch9wavefront6targetE0EEEvSJ_, .Lfunc_end727-_ZN7rocprim17ROCPRIM_400000_NS6detail17trampoline_kernelINS0_14default_configENS1_38merge_sort_block_merge_config_selectorIiiEEZZNS1_27merge_sort_block_merge_implIS3_N6thrust23THRUST_200600_302600_NS6detail15normal_iteratorINS8_10device_ptrIiEEEESD_jNS1_19radix_merge_compareILb0ELb0EiNS0_19identity_decomposerEEEEE10hipError_tT0_T1_T2_jT3_P12ihipStream_tbPNSt15iterator_traitsISI_E10value_typeEPNSO_ISJ_E10value_typeEPSK_NS1_7vsmem_tEENKUlT_SI_SJ_SK_E_clIPiSD_S10_SD_EESH_SX_SI_SJ_SK_EUlSX_E1_NS1_11comp_targetILNS1_3genE4ELNS1_11target_archE910ELNS1_3gpuE8ELNS1_3repE0EEENS1_36merge_oddeven_config_static_selectorELNS0_4arch9wavefront6targetE0EEEvSJ_
                                        ; -- End function
	.set _ZN7rocprim17ROCPRIM_400000_NS6detail17trampoline_kernelINS0_14default_configENS1_38merge_sort_block_merge_config_selectorIiiEEZZNS1_27merge_sort_block_merge_implIS3_N6thrust23THRUST_200600_302600_NS6detail15normal_iteratorINS8_10device_ptrIiEEEESD_jNS1_19radix_merge_compareILb0ELb0EiNS0_19identity_decomposerEEEEE10hipError_tT0_T1_T2_jT3_P12ihipStream_tbPNSt15iterator_traitsISI_E10value_typeEPNSO_ISJ_E10value_typeEPSK_NS1_7vsmem_tEENKUlT_SI_SJ_SK_E_clIPiSD_S10_SD_EESH_SX_SI_SJ_SK_EUlSX_E1_NS1_11comp_targetILNS1_3genE4ELNS1_11target_archE910ELNS1_3gpuE8ELNS1_3repE0EEENS1_36merge_oddeven_config_static_selectorELNS0_4arch9wavefront6targetE0EEEvSJ_.num_vgpr, 0
	.set _ZN7rocprim17ROCPRIM_400000_NS6detail17trampoline_kernelINS0_14default_configENS1_38merge_sort_block_merge_config_selectorIiiEEZZNS1_27merge_sort_block_merge_implIS3_N6thrust23THRUST_200600_302600_NS6detail15normal_iteratorINS8_10device_ptrIiEEEESD_jNS1_19radix_merge_compareILb0ELb0EiNS0_19identity_decomposerEEEEE10hipError_tT0_T1_T2_jT3_P12ihipStream_tbPNSt15iterator_traitsISI_E10value_typeEPNSO_ISJ_E10value_typeEPSK_NS1_7vsmem_tEENKUlT_SI_SJ_SK_E_clIPiSD_S10_SD_EESH_SX_SI_SJ_SK_EUlSX_E1_NS1_11comp_targetILNS1_3genE4ELNS1_11target_archE910ELNS1_3gpuE8ELNS1_3repE0EEENS1_36merge_oddeven_config_static_selectorELNS0_4arch9wavefront6targetE0EEEvSJ_.num_agpr, 0
	.set _ZN7rocprim17ROCPRIM_400000_NS6detail17trampoline_kernelINS0_14default_configENS1_38merge_sort_block_merge_config_selectorIiiEEZZNS1_27merge_sort_block_merge_implIS3_N6thrust23THRUST_200600_302600_NS6detail15normal_iteratorINS8_10device_ptrIiEEEESD_jNS1_19radix_merge_compareILb0ELb0EiNS0_19identity_decomposerEEEEE10hipError_tT0_T1_T2_jT3_P12ihipStream_tbPNSt15iterator_traitsISI_E10value_typeEPNSO_ISJ_E10value_typeEPSK_NS1_7vsmem_tEENKUlT_SI_SJ_SK_E_clIPiSD_S10_SD_EESH_SX_SI_SJ_SK_EUlSX_E1_NS1_11comp_targetILNS1_3genE4ELNS1_11target_archE910ELNS1_3gpuE8ELNS1_3repE0EEENS1_36merge_oddeven_config_static_selectorELNS0_4arch9wavefront6targetE0EEEvSJ_.numbered_sgpr, 0
	.set _ZN7rocprim17ROCPRIM_400000_NS6detail17trampoline_kernelINS0_14default_configENS1_38merge_sort_block_merge_config_selectorIiiEEZZNS1_27merge_sort_block_merge_implIS3_N6thrust23THRUST_200600_302600_NS6detail15normal_iteratorINS8_10device_ptrIiEEEESD_jNS1_19radix_merge_compareILb0ELb0EiNS0_19identity_decomposerEEEEE10hipError_tT0_T1_T2_jT3_P12ihipStream_tbPNSt15iterator_traitsISI_E10value_typeEPNSO_ISJ_E10value_typeEPSK_NS1_7vsmem_tEENKUlT_SI_SJ_SK_E_clIPiSD_S10_SD_EESH_SX_SI_SJ_SK_EUlSX_E1_NS1_11comp_targetILNS1_3genE4ELNS1_11target_archE910ELNS1_3gpuE8ELNS1_3repE0EEENS1_36merge_oddeven_config_static_selectorELNS0_4arch9wavefront6targetE0EEEvSJ_.num_named_barrier, 0
	.set _ZN7rocprim17ROCPRIM_400000_NS6detail17trampoline_kernelINS0_14default_configENS1_38merge_sort_block_merge_config_selectorIiiEEZZNS1_27merge_sort_block_merge_implIS3_N6thrust23THRUST_200600_302600_NS6detail15normal_iteratorINS8_10device_ptrIiEEEESD_jNS1_19radix_merge_compareILb0ELb0EiNS0_19identity_decomposerEEEEE10hipError_tT0_T1_T2_jT3_P12ihipStream_tbPNSt15iterator_traitsISI_E10value_typeEPNSO_ISJ_E10value_typeEPSK_NS1_7vsmem_tEENKUlT_SI_SJ_SK_E_clIPiSD_S10_SD_EESH_SX_SI_SJ_SK_EUlSX_E1_NS1_11comp_targetILNS1_3genE4ELNS1_11target_archE910ELNS1_3gpuE8ELNS1_3repE0EEENS1_36merge_oddeven_config_static_selectorELNS0_4arch9wavefront6targetE0EEEvSJ_.private_seg_size, 0
	.set _ZN7rocprim17ROCPRIM_400000_NS6detail17trampoline_kernelINS0_14default_configENS1_38merge_sort_block_merge_config_selectorIiiEEZZNS1_27merge_sort_block_merge_implIS3_N6thrust23THRUST_200600_302600_NS6detail15normal_iteratorINS8_10device_ptrIiEEEESD_jNS1_19radix_merge_compareILb0ELb0EiNS0_19identity_decomposerEEEEE10hipError_tT0_T1_T2_jT3_P12ihipStream_tbPNSt15iterator_traitsISI_E10value_typeEPNSO_ISJ_E10value_typeEPSK_NS1_7vsmem_tEENKUlT_SI_SJ_SK_E_clIPiSD_S10_SD_EESH_SX_SI_SJ_SK_EUlSX_E1_NS1_11comp_targetILNS1_3genE4ELNS1_11target_archE910ELNS1_3gpuE8ELNS1_3repE0EEENS1_36merge_oddeven_config_static_selectorELNS0_4arch9wavefront6targetE0EEEvSJ_.uses_vcc, 0
	.set _ZN7rocprim17ROCPRIM_400000_NS6detail17trampoline_kernelINS0_14default_configENS1_38merge_sort_block_merge_config_selectorIiiEEZZNS1_27merge_sort_block_merge_implIS3_N6thrust23THRUST_200600_302600_NS6detail15normal_iteratorINS8_10device_ptrIiEEEESD_jNS1_19radix_merge_compareILb0ELb0EiNS0_19identity_decomposerEEEEE10hipError_tT0_T1_T2_jT3_P12ihipStream_tbPNSt15iterator_traitsISI_E10value_typeEPNSO_ISJ_E10value_typeEPSK_NS1_7vsmem_tEENKUlT_SI_SJ_SK_E_clIPiSD_S10_SD_EESH_SX_SI_SJ_SK_EUlSX_E1_NS1_11comp_targetILNS1_3genE4ELNS1_11target_archE910ELNS1_3gpuE8ELNS1_3repE0EEENS1_36merge_oddeven_config_static_selectorELNS0_4arch9wavefront6targetE0EEEvSJ_.uses_flat_scratch, 0
	.set _ZN7rocprim17ROCPRIM_400000_NS6detail17trampoline_kernelINS0_14default_configENS1_38merge_sort_block_merge_config_selectorIiiEEZZNS1_27merge_sort_block_merge_implIS3_N6thrust23THRUST_200600_302600_NS6detail15normal_iteratorINS8_10device_ptrIiEEEESD_jNS1_19radix_merge_compareILb0ELb0EiNS0_19identity_decomposerEEEEE10hipError_tT0_T1_T2_jT3_P12ihipStream_tbPNSt15iterator_traitsISI_E10value_typeEPNSO_ISJ_E10value_typeEPSK_NS1_7vsmem_tEENKUlT_SI_SJ_SK_E_clIPiSD_S10_SD_EESH_SX_SI_SJ_SK_EUlSX_E1_NS1_11comp_targetILNS1_3genE4ELNS1_11target_archE910ELNS1_3gpuE8ELNS1_3repE0EEENS1_36merge_oddeven_config_static_selectorELNS0_4arch9wavefront6targetE0EEEvSJ_.has_dyn_sized_stack, 0
	.set _ZN7rocprim17ROCPRIM_400000_NS6detail17trampoline_kernelINS0_14default_configENS1_38merge_sort_block_merge_config_selectorIiiEEZZNS1_27merge_sort_block_merge_implIS3_N6thrust23THRUST_200600_302600_NS6detail15normal_iteratorINS8_10device_ptrIiEEEESD_jNS1_19radix_merge_compareILb0ELb0EiNS0_19identity_decomposerEEEEE10hipError_tT0_T1_T2_jT3_P12ihipStream_tbPNSt15iterator_traitsISI_E10value_typeEPNSO_ISJ_E10value_typeEPSK_NS1_7vsmem_tEENKUlT_SI_SJ_SK_E_clIPiSD_S10_SD_EESH_SX_SI_SJ_SK_EUlSX_E1_NS1_11comp_targetILNS1_3genE4ELNS1_11target_archE910ELNS1_3gpuE8ELNS1_3repE0EEENS1_36merge_oddeven_config_static_selectorELNS0_4arch9wavefront6targetE0EEEvSJ_.has_recursion, 0
	.set _ZN7rocprim17ROCPRIM_400000_NS6detail17trampoline_kernelINS0_14default_configENS1_38merge_sort_block_merge_config_selectorIiiEEZZNS1_27merge_sort_block_merge_implIS3_N6thrust23THRUST_200600_302600_NS6detail15normal_iteratorINS8_10device_ptrIiEEEESD_jNS1_19radix_merge_compareILb0ELb0EiNS0_19identity_decomposerEEEEE10hipError_tT0_T1_T2_jT3_P12ihipStream_tbPNSt15iterator_traitsISI_E10value_typeEPNSO_ISJ_E10value_typeEPSK_NS1_7vsmem_tEENKUlT_SI_SJ_SK_E_clIPiSD_S10_SD_EESH_SX_SI_SJ_SK_EUlSX_E1_NS1_11comp_targetILNS1_3genE4ELNS1_11target_archE910ELNS1_3gpuE8ELNS1_3repE0EEENS1_36merge_oddeven_config_static_selectorELNS0_4arch9wavefront6targetE0EEEvSJ_.has_indirect_call, 0
	.section	.AMDGPU.csdata,"",@progbits
; Kernel info:
; codeLenInByte = 0
; TotalNumSgprs: 0
; NumVgprs: 0
; ScratchSize: 0
; MemoryBound: 0
; FloatMode: 240
; IeeeMode: 1
; LDSByteSize: 0 bytes/workgroup (compile time only)
; SGPRBlocks: 0
; VGPRBlocks: 0
; NumSGPRsForWavesPerEU: 1
; NumVGPRsForWavesPerEU: 1
; Occupancy: 16
; WaveLimiterHint : 0
; COMPUTE_PGM_RSRC2:SCRATCH_EN: 0
; COMPUTE_PGM_RSRC2:USER_SGPR: 6
; COMPUTE_PGM_RSRC2:TRAP_HANDLER: 0
; COMPUTE_PGM_RSRC2:TGID_X_EN: 1
; COMPUTE_PGM_RSRC2:TGID_Y_EN: 0
; COMPUTE_PGM_RSRC2:TGID_Z_EN: 0
; COMPUTE_PGM_RSRC2:TIDIG_COMP_CNT: 0
	.section	.text._ZN7rocprim17ROCPRIM_400000_NS6detail17trampoline_kernelINS0_14default_configENS1_38merge_sort_block_merge_config_selectorIiiEEZZNS1_27merge_sort_block_merge_implIS3_N6thrust23THRUST_200600_302600_NS6detail15normal_iteratorINS8_10device_ptrIiEEEESD_jNS1_19radix_merge_compareILb0ELb0EiNS0_19identity_decomposerEEEEE10hipError_tT0_T1_T2_jT3_P12ihipStream_tbPNSt15iterator_traitsISI_E10value_typeEPNSO_ISJ_E10value_typeEPSK_NS1_7vsmem_tEENKUlT_SI_SJ_SK_E_clIPiSD_S10_SD_EESH_SX_SI_SJ_SK_EUlSX_E1_NS1_11comp_targetILNS1_3genE3ELNS1_11target_archE908ELNS1_3gpuE7ELNS1_3repE0EEENS1_36merge_oddeven_config_static_selectorELNS0_4arch9wavefront6targetE0EEEvSJ_,"axG",@progbits,_ZN7rocprim17ROCPRIM_400000_NS6detail17trampoline_kernelINS0_14default_configENS1_38merge_sort_block_merge_config_selectorIiiEEZZNS1_27merge_sort_block_merge_implIS3_N6thrust23THRUST_200600_302600_NS6detail15normal_iteratorINS8_10device_ptrIiEEEESD_jNS1_19radix_merge_compareILb0ELb0EiNS0_19identity_decomposerEEEEE10hipError_tT0_T1_T2_jT3_P12ihipStream_tbPNSt15iterator_traitsISI_E10value_typeEPNSO_ISJ_E10value_typeEPSK_NS1_7vsmem_tEENKUlT_SI_SJ_SK_E_clIPiSD_S10_SD_EESH_SX_SI_SJ_SK_EUlSX_E1_NS1_11comp_targetILNS1_3genE3ELNS1_11target_archE908ELNS1_3gpuE7ELNS1_3repE0EEENS1_36merge_oddeven_config_static_selectorELNS0_4arch9wavefront6targetE0EEEvSJ_,comdat
	.protected	_ZN7rocprim17ROCPRIM_400000_NS6detail17trampoline_kernelINS0_14default_configENS1_38merge_sort_block_merge_config_selectorIiiEEZZNS1_27merge_sort_block_merge_implIS3_N6thrust23THRUST_200600_302600_NS6detail15normal_iteratorINS8_10device_ptrIiEEEESD_jNS1_19radix_merge_compareILb0ELb0EiNS0_19identity_decomposerEEEEE10hipError_tT0_T1_T2_jT3_P12ihipStream_tbPNSt15iterator_traitsISI_E10value_typeEPNSO_ISJ_E10value_typeEPSK_NS1_7vsmem_tEENKUlT_SI_SJ_SK_E_clIPiSD_S10_SD_EESH_SX_SI_SJ_SK_EUlSX_E1_NS1_11comp_targetILNS1_3genE3ELNS1_11target_archE908ELNS1_3gpuE7ELNS1_3repE0EEENS1_36merge_oddeven_config_static_selectorELNS0_4arch9wavefront6targetE0EEEvSJ_ ; -- Begin function _ZN7rocprim17ROCPRIM_400000_NS6detail17trampoline_kernelINS0_14default_configENS1_38merge_sort_block_merge_config_selectorIiiEEZZNS1_27merge_sort_block_merge_implIS3_N6thrust23THRUST_200600_302600_NS6detail15normal_iteratorINS8_10device_ptrIiEEEESD_jNS1_19radix_merge_compareILb0ELb0EiNS0_19identity_decomposerEEEEE10hipError_tT0_T1_T2_jT3_P12ihipStream_tbPNSt15iterator_traitsISI_E10value_typeEPNSO_ISJ_E10value_typeEPSK_NS1_7vsmem_tEENKUlT_SI_SJ_SK_E_clIPiSD_S10_SD_EESH_SX_SI_SJ_SK_EUlSX_E1_NS1_11comp_targetILNS1_3genE3ELNS1_11target_archE908ELNS1_3gpuE7ELNS1_3repE0EEENS1_36merge_oddeven_config_static_selectorELNS0_4arch9wavefront6targetE0EEEvSJ_
	.globl	_ZN7rocprim17ROCPRIM_400000_NS6detail17trampoline_kernelINS0_14default_configENS1_38merge_sort_block_merge_config_selectorIiiEEZZNS1_27merge_sort_block_merge_implIS3_N6thrust23THRUST_200600_302600_NS6detail15normal_iteratorINS8_10device_ptrIiEEEESD_jNS1_19radix_merge_compareILb0ELb0EiNS0_19identity_decomposerEEEEE10hipError_tT0_T1_T2_jT3_P12ihipStream_tbPNSt15iterator_traitsISI_E10value_typeEPNSO_ISJ_E10value_typeEPSK_NS1_7vsmem_tEENKUlT_SI_SJ_SK_E_clIPiSD_S10_SD_EESH_SX_SI_SJ_SK_EUlSX_E1_NS1_11comp_targetILNS1_3genE3ELNS1_11target_archE908ELNS1_3gpuE7ELNS1_3repE0EEENS1_36merge_oddeven_config_static_selectorELNS0_4arch9wavefront6targetE0EEEvSJ_
	.p2align	8
	.type	_ZN7rocprim17ROCPRIM_400000_NS6detail17trampoline_kernelINS0_14default_configENS1_38merge_sort_block_merge_config_selectorIiiEEZZNS1_27merge_sort_block_merge_implIS3_N6thrust23THRUST_200600_302600_NS6detail15normal_iteratorINS8_10device_ptrIiEEEESD_jNS1_19radix_merge_compareILb0ELb0EiNS0_19identity_decomposerEEEEE10hipError_tT0_T1_T2_jT3_P12ihipStream_tbPNSt15iterator_traitsISI_E10value_typeEPNSO_ISJ_E10value_typeEPSK_NS1_7vsmem_tEENKUlT_SI_SJ_SK_E_clIPiSD_S10_SD_EESH_SX_SI_SJ_SK_EUlSX_E1_NS1_11comp_targetILNS1_3genE3ELNS1_11target_archE908ELNS1_3gpuE7ELNS1_3repE0EEENS1_36merge_oddeven_config_static_selectorELNS0_4arch9wavefront6targetE0EEEvSJ_,@function
_ZN7rocprim17ROCPRIM_400000_NS6detail17trampoline_kernelINS0_14default_configENS1_38merge_sort_block_merge_config_selectorIiiEEZZNS1_27merge_sort_block_merge_implIS3_N6thrust23THRUST_200600_302600_NS6detail15normal_iteratorINS8_10device_ptrIiEEEESD_jNS1_19radix_merge_compareILb0ELb0EiNS0_19identity_decomposerEEEEE10hipError_tT0_T1_T2_jT3_P12ihipStream_tbPNSt15iterator_traitsISI_E10value_typeEPNSO_ISJ_E10value_typeEPSK_NS1_7vsmem_tEENKUlT_SI_SJ_SK_E_clIPiSD_S10_SD_EESH_SX_SI_SJ_SK_EUlSX_E1_NS1_11comp_targetILNS1_3genE3ELNS1_11target_archE908ELNS1_3gpuE7ELNS1_3repE0EEENS1_36merge_oddeven_config_static_selectorELNS0_4arch9wavefront6targetE0EEEvSJ_: ; @_ZN7rocprim17ROCPRIM_400000_NS6detail17trampoline_kernelINS0_14default_configENS1_38merge_sort_block_merge_config_selectorIiiEEZZNS1_27merge_sort_block_merge_implIS3_N6thrust23THRUST_200600_302600_NS6detail15normal_iteratorINS8_10device_ptrIiEEEESD_jNS1_19radix_merge_compareILb0ELb0EiNS0_19identity_decomposerEEEEE10hipError_tT0_T1_T2_jT3_P12ihipStream_tbPNSt15iterator_traitsISI_E10value_typeEPNSO_ISJ_E10value_typeEPSK_NS1_7vsmem_tEENKUlT_SI_SJ_SK_E_clIPiSD_S10_SD_EESH_SX_SI_SJ_SK_EUlSX_E1_NS1_11comp_targetILNS1_3genE3ELNS1_11target_archE908ELNS1_3gpuE7ELNS1_3repE0EEENS1_36merge_oddeven_config_static_selectorELNS0_4arch9wavefront6targetE0EEEvSJ_
; %bb.0:
	.section	.rodata,"a",@progbits
	.p2align	6, 0x0
	.amdhsa_kernel _ZN7rocprim17ROCPRIM_400000_NS6detail17trampoline_kernelINS0_14default_configENS1_38merge_sort_block_merge_config_selectorIiiEEZZNS1_27merge_sort_block_merge_implIS3_N6thrust23THRUST_200600_302600_NS6detail15normal_iteratorINS8_10device_ptrIiEEEESD_jNS1_19radix_merge_compareILb0ELb0EiNS0_19identity_decomposerEEEEE10hipError_tT0_T1_T2_jT3_P12ihipStream_tbPNSt15iterator_traitsISI_E10value_typeEPNSO_ISJ_E10value_typeEPSK_NS1_7vsmem_tEENKUlT_SI_SJ_SK_E_clIPiSD_S10_SD_EESH_SX_SI_SJ_SK_EUlSX_E1_NS1_11comp_targetILNS1_3genE3ELNS1_11target_archE908ELNS1_3gpuE7ELNS1_3repE0EEENS1_36merge_oddeven_config_static_selectorELNS0_4arch9wavefront6targetE0EEEvSJ_
		.amdhsa_group_segment_fixed_size 0
		.amdhsa_private_segment_fixed_size 0
		.amdhsa_kernarg_size 48
		.amdhsa_user_sgpr_count 6
		.amdhsa_user_sgpr_private_segment_buffer 1
		.amdhsa_user_sgpr_dispatch_ptr 0
		.amdhsa_user_sgpr_queue_ptr 0
		.amdhsa_user_sgpr_kernarg_segment_ptr 1
		.amdhsa_user_sgpr_dispatch_id 0
		.amdhsa_user_sgpr_flat_scratch_init 0
		.amdhsa_user_sgpr_private_segment_size 0
		.amdhsa_wavefront_size32 1
		.amdhsa_uses_dynamic_stack 0
		.amdhsa_system_sgpr_private_segment_wavefront_offset 0
		.amdhsa_system_sgpr_workgroup_id_x 1
		.amdhsa_system_sgpr_workgroup_id_y 0
		.amdhsa_system_sgpr_workgroup_id_z 0
		.amdhsa_system_sgpr_workgroup_info 0
		.amdhsa_system_vgpr_workitem_id 0
		.amdhsa_next_free_vgpr 1
		.amdhsa_next_free_sgpr 1
		.amdhsa_reserve_vcc 0
		.amdhsa_reserve_flat_scratch 0
		.amdhsa_float_round_mode_32 0
		.amdhsa_float_round_mode_16_64 0
		.amdhsa_float_denorm_mode_32 3
		.amdhsa_float_denorm_mode_16_64 3
		.amdhsa_dx10_clamp 1
		.amdhsa_ieee_mode 1
		.amdhsa_fp16_overflow 0
		.amdhsa_workgroup_processor_mode 1
		.amdhsa_memory_ordered 1
		.amdhsa_forward_progress 1
		.amdhsa_shared_vgpr_count 0
		.amdhsa_exception_fp_ieee_invalid_op 0
		.amdhsa_exception_fp_denorm_src 0
		.amdhsa_exception_fp_ieee_div_zero 0
		.amdhsa_exception_fp_ieee_overflow 0
		.amdhsa_exception_fp_ieee_underflow 0
		.amdhsa_exception_fp_ieee_inexact 0
		.amdhsa_exception_int_div_zero 0
	.end_amdhsa_kernel
	.section	.text._ZN7rocprim17ROCPRIM_400000_NS6detail17trampoline_kernelINS0_14default_configENS1_38merge_sort_block_merge_config_selectorIiiEEZZNS1_27merge_sort_block_merge_implIS3_N6thrust23THRUST_200600_302600_NS6detail15normal_iteratorINS8_10device_ptrIiEEEESD_jNS1_19radix_merge_compareILb0ELb0EiNS0_19identity_decomposerEEEEE10hipError_tT0_T1_T2_jT3_P12ihipStream_tbPNSt15iterator_traitsISI_E10value_typeEPNSO_ISJ_E10value_typeEPSK_NS1_7vsmem_tEENKUlT_SI_SJ_SK_E_clIPiSD_S10_SD_EESH_SX_SI_SJ_SK_EUlSX_E1_NS1_11comp_targetILNS1_3genE3ELNS1_11target_archE908ELNS1_3gpuE7ELNS1_3repE0EEENS1_36merge_oddeven_config_static_selectorELNS0_4arch9wavefront6targetE0EEEvSJ_,"axG",@progbits,_ZN7rocprim17ROCPRIM_400000_NS6detail17trampoline_kernelINS0_14default_configENS1_38merge_sort_block_merge_config_selectorIiiEEZZNS1_27merge_sort_block_merge_implIS3_N6thrust23THRUST_200600_302600_NS6detail15normal_iteratorINS8_10device_ptrIiEEEESD_jNS1_19radix_merge_compareILb0ELb0EiNS0_19identity_decomposerEEEEE10hipError_tT0_T1_T2_jT3_P12ihipStream_tbPNSt15iterator_traitsISI_E10value_typeEPNSO_ISJ_E10value_typeEPSK_NS1_7vsmem_tEENKUlT_SI_SJ_SK_E_clIPiSD_S10_SD_EESH_SX_SI_SJ_SK_EUlSX_E1_NS1_11comp_targetILNS1_3genE3ELNS1_11target_archE908ELNS1_3gpuE7ELNS1_3repE0EEENS1_36merge_oddeven_config_static_selectorELNS0_4arch9wavefront6targetE0EEEvSJ_,comdat
.Lfunc_end728:
	.size	_ZN7rocprim17ROCPRIM_400000_NS6detail17trampoline_kernelINS0_14default_configENS1_38merge_sort_block_merge_config_selectorIiiEEZZNS1_27merge_sort_block_merge_implIS3_N6thrust23THRUST_200600_302600_NS6detail15normal_iteratorINS8_10device_ptrIiEEEESD_jNS1_19radix_merge_compareILb0ELb0EiNS0_19identity_decomposerEEEEE10hipError_tT0_T1_T2_jT3_P12ihipStream_tbPNSt15iterator_traitsISI_E10value_typeEPNSO_ISJ_E10value_typeEPSK_NS1_7vsmem_tEENKUlT_SI_SJ_SK_E_clIPiSD_S10_SD_EESH_SX_SI_SJ_SK_EUlSX_E1_NS1_11comp_targetILNS1_3genE3ELNS1_11target_archE908ELNS1_3gpuE7ELNS1_3repE0EEENS1_36merge_oddeven_config_static_selectorELNS0_4arch9wavefront6targetE0EEEvSJ_, .Lfunc_end728-_ZN7rocprim17ROCPRIM_400000_NS6detail17trampoline_kernelINS0_14default_configENS1_38merge_sort_block_merge_config_selectorIiiEEZZNS1_27merge_sort_block_merge_implIS3_N6thrust23THRUST_200600_302600_NS6detail15normal_iteratorINS8_10device_ptrIiEEEESD_jNS1_19radix_merge_compareILb0ELb0EiNS0_19identity_decomposerEEEEE10hipError_tT0_T1_T2_jT3_P12ihipStream_tbPNSt15iterator_traitsISI_E10value_typeEPNSO_ISJ_E10value_typeEPSK_NS1_7vsmem_tEENKUlT_SI_SJ_SK_E_clIPiSD_S10_SD_EESH_SX_SI_SJ_SK_EUlSX_E1_NS1_11comp_targetILNS1_3genE3ELNS1_11target_archE908ELNS1_3gpuE7ELNS1_3repE0EEENS1_36merge_oddeven_config_static_selectorELNS0_4arch9wavefront6targetE0EEEvSJ_
                                        ; -- End function
	.set _ZN7rocprim17ROCPRIM_400000_NS6detail17trampoline_kernelINS0_14default_configENS1_38merge_sort_block_merge_config_selectorIiiEEZZNS1_27merge_sort_block_merge_implIS3_N6thrust23THRUST_200600_302600_NS6detail15normal_iteratorINS8_10device_ptrIiEEEESD_jNS1_19radix_merge_compareILb0ELb0EiNS0_19identity_decomposerEEEEE10hipError_tT0_T1_T2_jT3_P12ihipStream_tbPNSt15iterator_traitsISI_E10value_typeEPNSO_ISJ_E10value_typeEPSK_NS1_7vsmem_tEENKUlT_SI_SJ_SK_E_clIPiSD_S10_SD_EESH_SX_SI_SJ_SK_EUlSX_E1_NS1_11comp_targetILNS1_3genE3ELNS1_11target_archE908ELNS1_3gpuE7ELNS1_3repE0EEENS1_36merge_oddeven_config_static_selectorELNS0_4arch9wavefront6targetE0EEEvSJ_.num_vgpr, 0
	.set _ZN7rocprim17ROCPRIM_400000_NS6detail17trampoline_kernelINS0_14default_configENS1_38merge_sort_block_merge_config_selectorIiiEEZZNS1_27merge_sort_block_merge_implIS3_N6thrust23THRUST_200600_302600_NS6detail15normal_iteratorINS8_10device_ptrIiEEEESD_jNS1_19radix_merge_compareILb0ELb0EiNS0_19identity_decomposerEEEEE10hipError_tT0_T1_T2_jT3_P12ihipStream_tbPNSt15iterator_traitsISI_E10value_typeEPNSO_ISJ_E10value_typeEPSK_NS1_7vsmem_tEENKUlT_SI_SJ_SK_E_clIPiSD_S10_SD_EESH_SX_SI_SJ_SK_EUlSX_E1_NS1_11comp_targetILNS1_3genE3ELNS1_11target_archE908ELNS1_3gpuE7ELNS1_3repE0EEENS1_36merge_oddeven_config_static_selectorELNS0_4arch9wavefront6targetE0EEEvSJ_.num_agpr, 0
	.set _ZN7rocprim17ROCPRIM_400000_NS6detail17trampoline_kernelINS0_14default_configENS1_38merge_sort_block_merge_config_selectorIiiEEZZNS1_27merge_sort_block_merge_implIS3_N6thrust23THRUST_200600_302600_NS6detail15normal_iteratorINS8_10device_ptrIiEEEESD_jNS1_19radix_merge_compareILb0ELb0EiNS0_19identity_decomposerEEEEE10hipError_tT0_T1_T2_jT3_P12ihipStream_tbPNSt15iterator_traitsISI_E10value_typeEPNSO_ISJ_E10value_typeEPSK_NS1_7vsmem_tEENKUlT_SI_SJ_SK_E_clIPiSD_S10_SD_EESH_SX_SI_SJ_SK_EUlSX_E1_NS1_11comp_targetILNS1_3genE3ELNS1_11target_archE908ELNS1_3gpuE7ELNS1_3repE0EEENS1_36merge_oddeven_config_static_selectorELNS0_4arch9wavefront6targetE0EEEvSJ_.numbered_sgpr, 0
	.set _ZN7rocprim17ROCPRIM_400000_NS6detail17trampoline_kernelINS0_14default_configENS1_38merge_sort_block_merge_config_selectorIiiEEZZNS1_27merge_sort_block_merge_implIS3_N6thrust23THRUST_200600_302600_NS6detail15normal_iteratorINS8_10device_ptrIiEEEESD_jNS1_19radix_merge_compareILb0ELb0EiNS0_19identity_decomposerEEEEE10hipError_tT0_T1_T2_jT3_P12ihipStream_tbPNSt15iterator_traitsISI_E10value_typeEPNSO_ISJ_E10value_typeEPSK_NS1_7vsmem_tEENKUlT_SI_SJ_SK_E_clIPiSD_S10_SD_EESH_SX_SI_SJ_SK_EUlSX_E1_NS1_11comp_targetILNS1_3genE3ELNS1_11target_archE908ELNS1_3gpuE7ELNS1_3repE0EEENS1_36merge_oddeven_config_static_selectorELNS0_4arch9wavefront6targetE0EEEvSJ_.num_named_barrier, 0
	.set _ZN7rocprim17ROCPRIM_400000_NS6detail17trampoline_kernelINS0_14default_configENS1_38merge_sort_block_merge_config_selectorIiiEEZZNS1_27merge_sort_block_merge_implIS3_N6thrust23THRUST_200600_302600_NS6detail15normal_iteratorINS8_10device_ptrIiEEEESD_jNS1_19radix_merge_compareILb0ELb0EiNS0_19identity_decomposerEEEEE10hipError_tT0_T1_T2_jT3_P12ihipStream_tbPNSt15iterator_traitsISI_E10value_typeEPNSO_ISJ_E10value_typeEPSK_NS1_7vsmem_tEENKUlT_SI_SJ_SK_E_clIPiSD_S10_SD_EESH_SX_SI_SJ_SK_EUlSX_E1_NS1_11comp_targetILNS1_3genE3ELNS1_11target_archE908ELNS1_3gpuE7ELNS1_3repE0EEENS1_36merge_oddeven_config_static_selectorELNS0_4arch9wavefront6targetE0EEEvSJ_.private_seg_size, 0
	.set _ZN7rocprim17ROCPRIM_400000_NS6detail17trampoline_kernelINS0_14default_configENS1_38merge_sort_block_merge_config_selectorIiiEEZZNS1_27merge_sort_block_merge_implIS3_N6thrust23THRUST_200600_302600_NS6detail15normal_iteratorINS8_10device_ptrIiEEEESD_jNS1_19radix_merge_compareILb0ELb0EiNS0_19identity_decomposerEEEEE10hipError_tT0_T1_T2_jT3_P12ihipStream_tbPNSt15iterator_traitsISI_E10value_typeEPNSO_ISJ_E10value_typeEPSK_NS1_7vsmem_tEENKUlT_SI_SJ_SK_E_clIPiSD_S10_SD_EESH_SX_SI_SJ_SK_EUlSX_E1_NS1_11comp_targetILNS1_3genE3ELNS1_11target_archE908ELNS1_3gpuE7ELNS1_3repE0EEENS1_36merge_oddeven_config_static_selectorELNS0_4arch9wavefront6targetE0EEEvSJ_.uses_vcc, 0
	.set _ZN7rocprim17ROCPRIM_400000_NS6detail17trampoline_kernelINS0_14default_configENS1_38merge_sort_block_merge_config_selectorIiiEEZZNS1_27merge_sort_block_merge_implIS3_N6thrust23THRUST_200600_302600_NS6detail15normal_iteratorINS8_10device_ptrIiEEEESD_jNS1_19radix_merge_compareILb0ELb0EiNS0_19identity_decomposerEEEEE10hipError_tT0_T1_T2_jT3_P12ihipStream_tbPNSt15iterator_traitsISI_E10value_typeEPNSO_ISJ_E10value_typeEPSK_NS1_7vsmem_tEENKUlT_SI_SJ_SK_E_clIPiSD_S10_SD_EESH_SX_SI_SJ_SK_EUlSX_E1_NS1_11comp_targetILNS1_3genE3ELNS1_11target_archE908ELNS1_3gpuE7ELNS1_3repE0EEENS1_36merge_oddeven_config_static_selectorELNS0_4arch9wavefront6targetE0EEEvSJ_.uses_flat_scratch, 0
	.set _ZN7rocprim17ROCPRIM_400000_NS6detail17trampoline_kernelINS0_14default_configENS1_38merge_sort_block_merge_config_selectorIiiEEZZNS1_27merge_sort_block_merge_implIS3_N6thrust23THRUST_200600_302600_NS6detail15normal_iteratorINS8_10device_ptrIiEEEESD_jNS1_19radix_merge_compareILb0ELb0EiNS0_19identity_decomposerEEEEE10hipError_tT0_T1_T2_jT3_P12ihipStream_tbPNSt15iterator_traitsISI_E10value_typeEPNSO_ISJ_E10value_typeEPSK_NS1_7vsmem_tEENKUlT_SI_SJ_SK_E_clIPiSD_S10_SD_EESH_SX_SI_SJ_SK_EUlSX_E1_NS1_11comp_targetILNS1_3genE3ELNS1_11target_archE908ELNS1_3gpuE7ELNS1_3repE0EEENS1_36merge_oddeven_config_static_selectorELNS0_4arch9wavefront6targetE0EEEvSJ_.has_dyn_sized_stack, 0
	.set _ZN7rocprim17ROCPRIM_400000_NS6detail17trampoline_kernelINS0_14default_configENS1_38merge_sort_block_merge_config_selectorIiiEEZZNS1_27merge_sort_block_merge_implIS3_N6thrust23THRUST_200600_302600_NS6detail15normal_iteratorINS8_10device_ptrIiEEEESD_jNS1_19radix_merge_compareILb0ELb0EiNS0_19identity_decomposerEEEEE10hipError_tT0_T1_T2_jT3_P12ihipStream_tbPNSt15iterator_traitsISI_E10value_typeEPNSO_ISJ_E10value_typeEPSK_NS1_7vsmem_tEENKUlT_SI_SJ_SK_E_clIPiSD_S10_SD_EESH_SX_SI_SJ_SK_EUlSX_E1_NS1_11comp_targetILNS1_3genE3ELNS1_11target_archE908ELNS1_3gpuE7ELNS1_3repE0EEENS1_36merge_oddeven_config_static_selectorELNS0_4arch9wavefront6targetE0EEEvSJ_.has_recursion, 0
	.set _ZN7rocprim17ROCPRIM_400000_NS6detail17trampoline_kernelINS0_14default_configENS1_38merge_sort_block_merge_config_selectorIiiEEZZNS1_27merge_sort_block_merge_implIS3_N6thrust23THRUST_200600_302600_NS6detail15normal_iteratorINS8_10device_ptrIiEEEESD_jNS1_19radix_merge_compareILb0ELb0EiNS0_19identity_decomposerEEEEE10hipError_tT0_T1_T2_jT3_P12ihipStream_tbPNSt15iterator_traitsISI_E10value_typeEPNSO_ISJ_E10value_typeEPSK_NS1_7vsmem_tEENKUlT_SI_SJ_SK_E_clIPiSD_S10_SD_EESH_SX_SI_SJ_SK_EUlSX_E1_NS1_11comp_targetILNS1_3genE3ELNS1_11target_archE908ELNS1_3gpuE7ELNS1_3repE0EEENS1_36merge_oddeven_config_static_selectorELNS0_4arch9wavefront6targetE0EEEvSJ_.has_indirect_call, 0
	.section	.AMDGPU.csdata,"",@progbits
; Kernel info:
; codeLenInByte = 0
; TotalNumSgprs: 0
; NumVgprs: 0
; ScratchSize: 0
; MemoryBound: 0
; FloatMode: 240
; IeeeMode: 1
; LDSByteSize: 0 bytes/workgroup (compile time only)
; SGPRBlocks: 0
; VGPRBlocks: 0
; NumSGPRsForWavesPerEU: 1
; NumVGPRsForWavesPerEU: 1
; Occupancy: 16
; WaveLimiterHint : 0
; COMPUTE_PGM_RSRC2:SCRATCH_EN: 0
; COMPUTE_PGM_RSRC2:USER_SGPR: 6
; COMPUTE_PGM_RSRC2:TRAP_HANDLER: 0
; COMPUTE_PGM_RSRC2:TGID_X_EN: 1
; COMPUTE_PGM_RSRC2:TGID_Y_EN: 0
; COMPUTE_PGM_RSRC2:TGID_Z_EN: 0
; COMPUTE_PGM_RSRC2:TIDIG_COMP_CNT: 0
	.section	.text._ZN7rocprim17ROCPRIM_400000_NS6detail17trampoline_kernelINS0_14default_configENS1_38merge_sort_block_merge_config_selectorIiiEEZZNS1_27merge_sort_block_merge_implIS3_N6thrust23THRUST_200600_302600_NS6detail15normal_iteratorINS8_10device_ptrIiEEEESD_jNS1_19radix_merge_compareILb0ELb0EiNS0_19identity_decomposerEEEEE10hipError_tT0_T1_T2_jT3_P12ihipStream_tbPNSt15iterator_traitsISI_E10value_typeEPNSO_ISJ_E10value_typeEPSK_NS1_7vsmem_tEENKUlT_SI_SJ_SK_E_clIPiSD_S10_SD_EESH_SX_SI_SJ_SK_EUlSX_E1_NS1_11comp_targetILNS1_3genE2ELNS1_11target_archE906ELNS1_3gpuE6ELNS1_3repE0EEENS1_36merge_oddeven_config_static_selectorELNS0_4arch9wavefront6targetE0EEEvSJ_,"axG",@progbits,_ZN7rocprim17ROCPRIM_400000_NS6detail17trampoline_kernelINS0_14default_configENS1_38merge_sort_block_merge_config_selectorIiiEEZZNS1_27merge_sort_block_merge_implIS3_N6thrust23THRUST_200600_302600_NS6detail15normal_iteratorINS8_10device_ptrIiEEEESD_jNS1_19radix_merge_compareILb0ELb0EiNS0_19identity_decomposerEEEEE10hipError_tT0_T1_T2_jT3_P12ihipStream_tbPNSt15iterator_traitsISI_E10value_typeEPNSO_ISJ_E10value_typeEPSK_NS1_7vsmem_tEENKUlT_SI_SJ_SK_E_clIPiSD_S10_SD_EESH_SX_SI_SJ_SK_EUlSX_E1_NS1_11comp_targetILNS1_3genE2ELNS1_11target_archE906ELNS1_3gpuE6ELNS1_3repE0EEENS1_36merge_oddeven_config_static_selectorELNS0_4arch9wavefront6targetE0EEEvSJ_,comdat
	.protected	_ZN7rocprim17ROCPRIM_400000_NS6detail17trampoline_kernelINS0_14default_configENS1_38merge_sort_block_merge_config_selectorIiiEEZZNS1_27merge_sort_block_merge_implIS3_N6thrust23THRUST_200600_302600_NS6detail15normal_iteratorINS8_10device_ptrIiEEEESD_jNS1_19radix_merge_compareILb0ELb0EiNS0_19identity_decomposerEEEEE10hipError_tT0_T1_T2_jT3_P12ihipStream_tbPNSt15iterator_traitsISI_E10value_typeEPNSO_ISJ_E10value_typeEPSK_NS1_7vsmem_tEENKUlT_SI_SJ_SK_E_clIPiSD_S10_SD_EESH_SX_SI_SJ_SK_EUlSX_E1_NS1_11comp_targetILNS1_3genE2ELNS1_11target_archE906ELNS1_3gpuE6ELNS1_3repE0EEENS1_36merge_oddeven_config_static_selectorELNS0_4arch9wavefront6targetE0EEEvSJ_ ; -- Begin function _ZN7rocprim17ROCPRIM_400000_NS6detail17trampoline_kernelINS0_14default_configENS1_38merge_sort_block_merge_config_selectorIiiEEZZNS1_27merge_sort_block_merge_implIS3_N6thrust23THRUST_200600_302600_NS6detail15normal_iteratorINS8_10device_ptrIiEEEESD_jNS1_19radix_merge_compareILb0ELb0EiNS0_19identity_decomposerEEEEE10hipError_tT0_T1_T2_jT3_P12ihipStream_tbPNSt15iterator_traitsISI_E10value_typeEPNSO_ISJ_E10value_typeEPSK_NS1_7vsmem_tEENKUlT_SI_SJ_SK_E_clIPiSD_S10_SD_EESH_SX_SI_SJ_SK_EUlSX_E1_NS1_11comp_targetILNS1_3genE2ELNS1_11target_archE906ELNS1_3gpuE6ELNS1_3repE0EEENS1_36merge_oddeven_config_static_selectorELNS0_4arch9wavefront6targetE0EEEvSJ_
	.globl	_ZN7rocprim17ROCPRIM_400000_NS6detail17trampoline_kernelINS0_14default_configENS1_38merge_sort_block_merge_config_selectorIiiEEZZNS1_27merge_sort_block_merge_implIS3_N6thrust23THRUST_200600_302600_NS6detail15normal_iteratorINS8_10device_ptrIiEEEESD_jNS1_19radix_merge_compareILb0ELb0EiNS0_19identity_decomposerEEEEE10hipError_tT0_T1_T2_jT3_P12ihipStream_tbPNSt15iterator_traitsISI_E10value_typeEPNSO_ISJ_E10value_typeEPSK_NS1_7vsmem_tEENKUlT_SI_SJ_SK_E_clIPiSD_S10_SD_EESH_SX_SI_SJ_SK_EUlSX_E1_NS1_11comp_targetILNS1_3genE2ELNS1_11target_archE906ELNS1_3gpuE6ELNS1_3repE0EEENS1_36merge_oddeven_config_static_selectorELNS0_4arch9wavefront6targetE0EEEvSJ_
	.p2align	8
	.type	_ZN7rocprim17ROCPRIM_400000_NS6detail17trampoline_kernelINS0_14default_configENS1_38merge_sort_block_merge_config_selectorIiiEEZZNS1_27merge_sort_block_merge_implIS3_N6thrust23THRUST_200600_302600_NS6detail15normal_iteratorINS8_10device_ptrIiEEEESD_jNS1_19radix_merge_compareILb0ELb0EiNS0_19identity_decomposerEEEEE10hipError_tT0_T1_T2_jT3_P12ihipStream_tbPNSt15iterator_traitsISI_E10value_typeEPNSO_ISJ_E10value_typeEPSK_NS1_7vsmem_tEENKUlT_SI_SJ_SK_E_clIPiSD_S10_SD_EESH_SX_SI_SJ_SK_EUlSX_E1_NS1_11comp_targetILNS1_3genE2ELNS1_11target_archE906ELNS1_3gpuE6ELNS1_3repE0EEENS1_36merge_oddeven_config_static_selectorELNS0_4arch9wavefront6targetE0EEEvSJ_,@function
_ZN7rocprim17ROCPRIM_400000_NS6detail17trampoline_kernelINS0_14default_configENS1_38merge_sort_block_merge_config_selectorIiiEEZZNS1_27merge_sort_block_merge_implIS3_N6thrust23THRUST_200600_302600_NS6detail15normal_iteratorINS8_10device_ptrIiEEEESD_jNS1_19radix_merge_compareILb0ELb0EiNS0_19identity_decomposerEEEEE10hipError_tT0_T1_T2_jT3_P12ihipStream_tbPNSt15iterator_traitsISI_E10value_typeEPNSO_ISJ_E10value_typeEPSK_NS1_7vsmem_tEENKUlT_SI_SJ_SK_E_clIPiSD_S10_SD_EESH_SX_SI_SJ_SK_EUlSX_E1_NS1_11comp_targetILNS1_3genE2ELNS1_11target_archE906ELNS1_3gpuE6ELNS1_3repE0EEENS1_36merge_oddeven_config_static_selectorELNS0_4arch9wavefront6targetE0EEEvSJ_: ; @_ZN7rocprim17ROCPRIM_400000_NS6detail17trampoline_kernelINS0_14default_configENS1_38merge_sort_block_merge_config_selectorIiiEEZZNS1_27merge_sort_block_merge_implIS3_N6thrust23THRUST_200600_302600_NS6detail15normal_iteratorINS8_10device_ptrIiEEEESD_jNS1_19radix_merge_compareILb0ELb0EiNS0_19identity_decomposerEEEEE10hipError_tT0_T1_T2_jT3_P12ihipStream_tbPNSt15iterator_traitsISI_E10value_typeEPNSO_ISJ_E10value_typeEPSK_NS1_7vsmem_tEENKUlT_SI_SJ_SK_E_clIPiSD_S10_SD_EESH_SX_SI_SJ_SK_EUlSX_E1_NS1_11comp_targetILNS1_3genE2ELNS1_11target_archE906ELNS1_3gpuE6ELNS1_3repE0EEENS1_36merge_oddeven_config_static_selectorELNS0_4arch9wavefront6targetE0EEEvSJ_
; %bb.0:
	.section	.rodata,"a",@progbits
	.p2align	6, 0x0
	.amdhsa_kernel _ZN7rocprim17ROCPRIM_400000_NS6detail17trampoline_kernelINS0_14default_configENS1_38merge_sort_block_merge_config_selectorIiiEEZZNS1_27merge_sort_block_merge_implIS3_N6thrust23THRUST_200600_302600_NS6detail15normal_iteratorINS8_10device_ptrIiEEEESD_jNS1_19radix_merge_compareILb0ELb0EiNS0_19identity_decomposerEEEEE10hipError_tT0_T1_T2_jT3_P12ihipStream_tbPNSt15iterator_traitsISI_E10value_typeEPNSO_ISJ_E10value_typeEPSK_NS1_7vsmem_tEENKUlT_SI_SJ_SK_E_clIPiSD_S10_SD_EESH_SX_SI_SJ_SK_EUlSX_E1_NS1_11comp_targetILNS1_3genE2ELNS1_11target_archE906ELNS1_3gpuE6ELNS1_3repE0EEENS1_36merge_oddeven_config_static_selectorELNS0_4arch9wavefront6targetE0EEEvSJ_
		.amdhsa_group_segment_fixed_size 0
		.amdhsa_private_segment_fixed_size 0
		.amdhsa_kernarg_size 48
		.amdhsa_user_sgpr_count 6
		.amdhsa_user_sgpr_private_segment_buffer 1
		.amdhsa_user_sgpr_dispatch_ptr 0
		.amdhsa_user_sgpr_queue_ptr 0
		.amdhsa_user_sgpr_kernarg_segment_ptr 1
		.amdhsa_user_sgpr_dispatch_id 0
		.amdhsa_user_sgpr_flat_scratch_init 0
		.amdhsa_user_sgpr_private_segment_size 0
		.amdhsa_wavefront_size32 1
		.amdhsa_uses_dynamic_stack 0
		.amdhsa_system_sgpr_private_segment_wavefront_offset 0
		.amdhsa_system_sgpr_workgroup_id_x 1
		.amdhsa_system_sgpr_workgroup_id_y 0
		.amdhsa_system_sgpr_workgroup_id_z 0
		.amdhsa_system_sgpr_workgroup_info 0
		.amdhsa_system_vgpr_workitem_id 0
		.amdhsa_next_free_vgpr 1
		.amdhsa_next_free_sgpr 1
		.amdhsa_reserve_vcc 0
		.amdhsa_reserve_flat_scratch 0
		.amdhsa_float_round_mode_32 0
		.amdhsa_float_round_mode_16_64 0
		.amdhsa_float_denorm_mode_32 3
		.amdhsa_float_denorm_mode_16_64 3
		.amdhsa_dx10_clamp 1
		.amdhsa_ieee_mode 1
		.amdhsa_fp16_overflow 0
		.amdhsa_workgroup_processor_mode 1
		.amdhsa_memory_ordered 1
		.amdhsa_forward_progress 1
		.amdhsa_shared_vgpr_count 0
		.amdhsa_exception_fp_ieee_invalid_op 0
		.amdhsa_exception_fp_denorm_src 0
		.amdhsa_exception_fp_ieee_div_zero 0
		.amdhsa_exception_fp_ieee_overflow 0
		.amdhsa_exception_fp_ieee_underflow 0
		.amdhsa_exception_fp_ieee_inexact 0
		.amdhsa_exception_int_div_zero 0
	.end_amdhsa_kernel
	.section	.text._ZN7rocprim17ROCPRIM_400000_NS6detail17trampoline_kernelINS0_14default_configENS1_38merge_sort_block_merge_config_selectorIiiEEZZNS1_27merge_sort_block_merge_implIS3_N6thrust23THRUST_200600_302600_NS6detail15normal_iteratorINS8_10device_ptrIiEEEESD_jNS1_19radix_merge_compareILb0ELb0EiNS0_19identity_decomposerEEEEE10hipError_tT0_T1_T2_jT3_P12ihipStream_tbPNSt15iterator_traitsISI_E10value_typeEPNSO_ISJ_E10value_typeEPSK_NS1_7vsmem_tEENKUlT_SI_SJ_SK_E_clIPiSD_S10_SD_EESH_SX_SI_SJ_SK_EUlSX_E1_NS1_11comp_targetILNS1_3genE2ELNS1_11target_archE906ELNS1_3gpuE6ELNS1_3repE0EEENS1_36merge_oddeven_config_static_selectorELNS0_4arch9wavefront6targetE0EEEvSJ_,"axG",@progbits,_ZN7rocprim17ROCPRIM_400000_NS6detail17trampoline_kernelINS0_14default_configENS1_38merge_sort_block_merge_config_selectorIiiEEZZNS1_27merge_sort_block_merge_implIS3_N6thrust23THRUST_200600_302600_NS6detail15normal_iteratorINS8_10device_ptrIiEEEESD_jNS1_19radix_merge_compareILb0ELb0EiNS0_19identity_decomposerEEEEE10hipError_tT0_T1_T2_jT3_P12ihipStream_tbPNSt15iterator_traitsISI_E10value_typeEPNSO_ISJ_E10value_typeEPSK_NS1_7vsmem_tEENKUlT_SI_SJ_SK_E_clIPiSD_S10_SD_EESH_SX_SI_SJ_SK_EUlSX_E1_NS1_11comp_targetILNS1_3genE2ELNS1_11target_archE906ELNS1_3gpuE6ELNS1_3repE0EEENS1_36merge_oddeven_config_static_selectorELNS0_4arch9wavefront6targetE0EEEvSJ_,comdat
.Lfunc_end729:
	.size	_ZN7rocprim17ROCPRIM_400000_NS6detail17trampoline_kernelINS0_14default_configENS1_38merge_sort_block_merge_config_selectorIiiEEZZNS1_27merge_sort_block_merge_implIS3_N6thrust23THRUST_200600_302600_NS6detail15normal_iteratorINS8_10device_ptrIiEEEESD_jNS1_19radix_merge_compareILb0ELb0EiNS0_19identity_decomposerEEEEE10hipError_tT0_T1_T2_jT3_P12ihipStream_tbPNSt15iterator_traitsISI_E10value_typeEPNSO_ISJ_E10value_typeEPSK_NS1_7vsmem_tEENKUlT_SI_SJ_SK_E_clIPiSD_S10_SD_EESH_SX_SI_SJ_SK_EUlSX_E1_NS1_11comp_targetILNS1_3genE2ELNS1_11target_archE906ELNS1_3gpuE6ELNS1_3repE0EEENS1_36merge_oddeven_config_static_selectorELNS0_4arch9wavefront6targetE0EEEvSJ_, .Lfunc_end729-_ZN7rocprim17ROCPRIM_400000_NS6detail17trampoline_kernelINS0_14default_configENS1_38merge_sort_block_merge_config_selectorIiiEEZZNS1_27merge_sort_block_merge_implIS3_N6thrust23THRUST_200600_302600_NS6detail15normal_iteratorINS8_10device_ptrIiEEEESD_jNS1_19radix_merge_compareILb0ELb0EiNS0_19identity_decomposerEEEEE10hipError_tT0_T1_T2_jT3_P12ihipStream_tbPNSt15iterator_traitsISI_E10value_typeEPNSO_ISJ_E10value_typeEPSK_NS1_7vsmem_tEENKUlT_SI_SJ_SK_E_clIPiSD_S10_SD_EESH_SX_SI_SJ_SK_EUlSX_E1_NS1_11comp_targetILNS1_3genE2ELNS1_11target_archE906ELNS1_3gpuE6ELNS1_3repE0EEENS1_36merge_oddeven_config_static_selectorELNS0_4arch9wavefront6targetE0EEEvSJ_
                                        ; -- End function
	.set _ZN7rocprim17ROCPRIM_400000_NS6detail17trampoline_kernelINS0_14default_configENS1_38merge_sort_block_merge_config_selectorIiiEEZZNS1_27merge_sort_block_merge_implIS3_N6thrust23THRUST_200600_302600_NS6detail15normal_iteratorINS8_10device_ptrIiEEEESD_jNS1_19radix_merge_compareILb0ELb0EiNS0_19identity_decomposerEEEEE10hipError_tT0_T1_T2_jT3_P12ihipStream_tbPNSt15iterator_traitsISI_E10value_typeEPNSO_ISJ_E10value_typeEPSK_NS1_7vsmem_tEENKUlT_SI_SJ_SK_E_clIPiSD_S10_SD_EESH_SX_SI_SJ_SK_EUlSX_E1_NS1_11comp_targetILNS1_3genE2ELNS1_11target_archE906ELNS1_3gpuE6ELNS1_3repE0EEENS1_36merge_oddeven_config_static_selectorELNS0_4arch9wavefront6targetE0EEEvSJ_.num_vgpr, 0
	.set _ZN7rocprim17ROCPRIM_400000_NS6detail17trampoline_kernelINS0_14default_configENS1_38merge_sort_block_merge_config_selectorIiiEEZZNS1_27merge_sort_block_merge_implIS3_N6thrust23THRUST_200600_302600_NS6detail15normal_iteratorINS8_10device_ptrIiEEEESD_jNS1_19radix_merge_compareILb0ELb0EiNS0_19identity_decomposerEEEEE10hipError_tT0_T1_T2_jT3_P12ihipStream_tbPNSt15iterator_traitsISI_E10value_typeEPNSO_ISJ_E10value_typeEPSK_NS1_7vsmem_tEENKUlT_SI_SJ_SK_E_clIPiSD_S10_SD_EESH_SX_SI_SJ_SK_EUlSX_E1_NS1_11comp_targetILNS1_3genE2ELNS1_11target_archE906ELNS1_3gpuE6ELNS1_3repE0EEENS1_36merge_oddeven_config_static_selectorELNS0_4arch9wavefront6targetE0EEEvSJ_.num_agpr, 0
	.set _ZN7rocprim17ROCPRIM_400000_NS6detail17trampoline_kernelINS0_14default_configENS1_38merge_sort_block_merge_config_selectorIiiEEZZNS1_27merge_sort_block_merge_implIS3_N6thrust23THRUST_200600_302600_NS6detail15normal_iteratorINS8_10device_ptrIiEEEESD_jNS1_19radix_merge_compareILb0ELb0EiNS0_19identity_decomposerEEEEE10hipError_tT0_T1_T2_jT3_P12ihipStream_tbPNSt15iterator_traitsISI_E10value_typeEPNSO_ISJ_E10value_typeEPSK_NS1_7vsmem_tEENKUlT_SI_SJ_SK_E_clIPiSD_S10_SD_EESH_SX_SI_SJ_SK_EUlSX_E1_NS1_11comp_targetILNS1_3genE2ELNS1_11target_archE906ELNS1_3gpuE6ELNS1_3repE0EEENS1_36merge_oddeven_config_static_selectorELNS0_4arch9wavefront6targetE0EEEvSJ_.numbered_sgpr, 0
	.set _ZN7rocprim17ROCPRIM_400000_NS6detail17trampoline_kernelINS0_14default_configENS1_38merge_sort_block_merge_config_selectorIiiEEZZNS1_27merge_sort_block_merge_implIS3_N6thrust23THRUST_200600_302600_NS6detail15normal_iteratorINS8_10device_ptrIiEEEESD_jNS1_19radix_merge_compareILb0ELb0EiNS0_19identity_decomposerEEEEE10hipError_tT0_T1_T2_jT3_P12ihipStream_tbPNSt15iterator_traitsISI_E10value_typeEPNSO_ISJ_E10value_typeEPSK_NS1_7vsmem_tEENKUlT_SI_SJ_SK_E_clIPiSD_S10_SD_EESH_SX_SI_SJ_SK_EUlSX_E1_NS1_11comp_targetILNS1_3genE2ELNS1_11target_archE906ELNS1_3gpuE6ELNS1_3repE0EEENS1_36merge_oddeven_config_static_selectorELNS0_4arch9wavefront6targetE0EEEvSJ_.num_named_barrier, 0
	.set _ZN7rocprim17ROCPRIM_400000_NS6detail17trampoline_kernelINS0_14default_configENS1_38merge_sort_block_merge_config_selectorIiiEEZZNS1_27merge_sort_block_merge_implIS3_N6thrust23THRUST_200600_302600_NS6detail15normal_iteratorINS8_10device_ptrIiEEEESD_jNS1_19radix_merge_compareILb0ELb0EiNS0_19identity_decomposerEEEEE10hipError_tT0_T1_T2_jT3_P12ihipStream_tbPNSt15iterator_traitsISI_E10value_typeEPNSO_ISJ_E10value_typeEPSK_NS1_7vsmem_tEENKUlT_SI_SJ_SK_E_clIPiSD_S10_SD_EESH_SX_SI_SJ_SK_EUlSX_E1_NS1_11comp_targetILNS1_3genE2ELNS1_11target_archE906ELNS1_3gpuE6ELNS1_3repE0EEENS1_36merge_oddeven_config_static_selectorELNS0_4arch9wavefront6targetE0EEEvSJ_.private_seg_size, 0
	.set _ZN7rocprim17ROCPRIM_400000_NS6detail17trampoline_kernelINS0_14default_configENS1_38merge_sort_block_merge_config_selectorIiiEEZZNS1_27merge_sort_block_merge_implIS3_N6thrust23THRUST_200600_302600_NS6detail15normal_iteratorINS8_10device_ptrIiEEEESD_jNS1_19radix_merge_compareILb0ELb0EiNS0_19identity_decomposerEEEEE10hipError_tT0_T1_T2_jT3_P12ihipStream_tbPNSt15iterator_traitsISI_E10value_typeEPNSO_ISJ_E10value_typeEPSK_NS1_7vsmem_tEENKUlT_SI_SJ_SK_E_clIPiSD_S10_SD_EESH_SX_SI_SJ_SK_EUlSX_E1_NS1_11comp_targetILNS1_3genE2ELNS1_11target_archE906ELNS1_3gpuE6ELNS1_3repE0EEENS1_36merge_oddeven_config_static_selectorELNS0_4arch9wavefront6targetE0EEEvSJ_.uses_vcc, 0
	.set _ZN7rocprim17ROCPRIM_400000_NS6detail17trampoline_kernelINS0_14default_configENS1_38merge_sort_block_merge_config_selectorIiiEEZZNS1_27merge_sort_block_merge_implIS3_N6thrust23THRUST_200600_302600_NS6detail15normal_iteratorINS8_10device_ptrIiEEEESD_jNS1_19radix_merge_compareILb0ELb0EiNS0_19identity_decomposerEEEEE10hipError_tT0_T1_T2_jT3_P12ihipStream_tbPNSt15iterator_traitsISI_E10value_typeEPNSO_ISJ_E10value_typeEPSK_NS1_7vsmem_tEENKUlT_SI_SJ_SK_E_clIPiSD_S10_SD_EESH_SX_SI_SJ_SK_EUlSX_E1_NS1_11comp_targetILNS1_3genE2ELNS1_11target_archE906ELNS1_3gpuE6ELNS1_3repE0EEENS1_36merge_oddeven_config_static_selectorELNS0_4arch9wavefront6targetE0EEEvSJ_.uses_flat_scratch, 0
	.set _ZN7rocprim17ROCPRIM_400000_NS6detail17trampoline_kernelINS0_14default_configENS1_38merge_sort_block_merge_config_selectorIiiEEZZNS1_27merge_sort_block_merge_implIS3_N6thrust23THRUST_200600_302600_NS6detail15normal_iteratorINS8_10device_ptrIiEEEESD_jNS1_19radix_merge_compareILb0ELb0EiNS0_19identity_decomposerEEEEE10hipError_tT0_T1_T2_jT3_P12ihipStream_tbPNSt15iterator_traitsISI_E10value_typeEPNSO_ISJ_E10value_typeEPSK_NS1_7vsmem_tEENKUlT_SI_SJ_SK_E_clIPiSD_S10_SD_EESH_SX_SI_SJ_SK_EUlSX_E1_NS1_11comp_targetILNS1_3genE2ELNS1_11target_archE906ELNS1_3gpuE6ELNS1_3repE0EEENS1_36merge_oddeven_config_static_selectorELNS0_4arch9wavefront6targetE0EEEvSJ_.has_dyn_sized_stack, 0
	.set _ZN7rocprim17ROCPRIM_400000_NS6detail17trampoline_kernelINS0_14default_configENS1_38merge_sort_block_merge_config_selectorIiiEEZZNS1_27merge_sort_block_merge_implIS3_N6thrust23THRUST_200600_302600_NS6detail15normal_iteratorINS8_10device_ptrIiEEEESD_jNS1_19radix_merge_compareILb0ELb0EiNS0_19identity_decomposerEEEEE10hipError_tT0_T1_T2_jT3_P12ihipStream_tbPNSt15iterator_traitsISI_E10value_typeEPNSO_ISJ_E10value_typeEPSK_NS1_7vsmem_tEENKUlT_SI_SJ_SK_E_clIPiSD_S10_SD_EESH_SX_SI_SJ_SK_EUlSX_E1_NS1_11comp_targetILNS1_3genE2ELNS1_11target_archE906ELNS1_3gpuE6ELNS1_3repE0EEENS1_36merge_oddeven_config_static_selectorELNS0_4arch9wavefront6targetE0EEEvSJ_.has_recursion, 0
	.set _ZN7rocprim17ROCPRIM_400000_NS6detail17trampoline_kernelINS0_14default_configENS1_38merge_sort_block_merge_config_selectorIiiEEZZNS1_27merge_sort_block_merge_implIS3_N6thrust23THRUST_200600_302600_NS6detail15normal_iteratorINS8_10device_ptrIiEEEESD_jNS1_19radix_merge_compareILb0ELb0EiNS0_19identity_decomposerEEEEE10hipError_tT0_T1_T2_jT3_P12ihipStream_tbPNSt15iterator_traitsISI_E10value_typeEPNSO_ISJ_E10value_typeEPSK_NS1_7vsmem_tEENKUlT_SI_SJ_SK_E_clIPiSD_S10_SD_EESH_SX_SI_SJ_SK_EUlSX_E1_NS1_11comp_targetILNS1_3genE2ELNS1_11target_archE906ELNS1_3gpuE6ELNS1_3repE0EEENS1_36merge_oddeven_config_static_selectorELNS0_4arch9wavefront6targetE0EEEvSJ_.has_indirect_call, 0
	.section	.AMDGPU.csdata,"",@progbits
; Kernel info:
; codeLenInByte = 0
; TotalNumSgprs: 0
; NumVgprs: 0
; ScratchSize: 0
; MemoryBound: 0
; FloatMode: 240
; IeeeMode: 1
; LDSByteSize: 0 bytes/workgroup (compile time only)
; SGPRBlocks: 0
; VGPRBlocks: 0
; NumSGPRsForWavesPerEU: 1
; NumVGPRsForWavesPerEU: 1
; Occupancy: 16
; WaveLimiterHint : 0
; COMPUTE_PGM_RSRC2:SCRATCH_EN: 0
; COMPUTE_PGM_RSRC2:USER_SGPR: 6
; COMPUTE_PGM_RSRC2:TRAP_HANDLER: 0
; COMPUTE_PGM_RSRC2:TGID_X_EN: 1
; COMPUTE_PGM_RSRC2:TGID_Y_EN: 0
; COMPUTE_PGM_RSRC2:TGID_Z_EN: 0
; COMPUTE_PGM_RSRC2:TIDIG_COMP_CNT: 0
	.section	.text._ZN7rocprim17ROCPRIM_400000_NS6detail17trampoline_kernelINS0_14default_configENS1_38merge_sort_block_merge_config_selectorIiiEEZZNS1_27merge_sort_block_merge_implIS3_N6thrust23THRUST_200600_302600_NS6detail15normal_iteratorINS8_10device_ptrIiEEEESD_jNS1_19radix_merge_compareILb0ELb0EiNS0_19identity_decomposerEEEEE10hipError_tT0_T1_T2_jT3_P12ihipStream_tbPNSt15iterator_traitsISI_E10value_typeEPNSO_ISJ_E10value_typeEPSK_NS1_7vsmem_tEENKUlT_SI_SJ_SK_E_clIPiSD_S10_SD_EESH_SX_SI_SJ_SK_EUlSX_E1_NS1_11comp_targetILNS1_3genE9ELNS1_11target_archE1100ELNS1_3gpuE3ELNS1_3repE0EEENS1_36merge_oddeven_config_static_selectorELNS0_4arch9wavefront6targetE0EEEvSJ_,"axG",@progbits,_ZN7rocprim17ROCPRIM_400000_NS6detail17trampoline_kernelINS0_14default_configENS1_38merge_sort_block_merge_config_selectorIiiEEZZNS1_27merge_sort_block_merge_implIS3_N6thrust23THRUST_200600_302600_NS6detail15normal_iteratorINS8_10device_ptrIiEEEESD_jNS1_19radix_merge_compareILb0ELb0EiNS0_19identity_decomposerEEEEE10hipError_tT0_T1_T2_jT3_P12ihipStream_tbPNSt15iterator_traitsISI_E10value_typeEPNSO_ISJ_E10value_typeEPSK_NS1_7vsmem_tEENKUlT_SI_SJ_SK_E_clIPiSD_S10_SD_EESH_SX_SI_SJ_SK_EUlSX_E1_NS1_11comp_targetILNS1_3genE9ELNS1_11target_archE1100ELNS1_3gpuE3ELNS1_3repE0EEENS1_36merge_oddeven_config_static_selectorELNS0_4arch9wavefront6targetE0EEEvSJ_,comdat
	.protected	_ZN7rocprim17ROCPRIM_400000_NS6detail17trampoline_kernelINS0_14default_configENS1_38merge_sort_block_merge_config_selectorIiiEEZZNS1_27merge_sort_block_merge_implIS3_N6thrust23THRUST_200600_302600_NS6detail15normal_iteratorINS8_10device_ptrIiEEEESD_jNS1_19radix_merge_compareILb0ELb0EiNS0_19identity_decomposerEEEEE10hipError_tT0_T1_T2_jT3_P12ihipStream_tbPNSt15iterator_traitsISI_E10value_typeEPNSO_ISJ_E10value_typeEPSK_NS1_7vsmem_tEENKUlT_SI_SJ_SK_E_clIPiSD_S10_SD_EESH_SX_SI_SJ_SK_EUlSX_E1_NS1_11comp_targetILNS1_3genE9ELNS1_11target_archE1100ELNS1_3gpuE3ELNS1_3repE0EEENS1_36merge_oddeven_config_static_selectorELNS0_4arch9wavefront6targetE0EEEvSJ_ ; -- Begin function _ZN7rocprim17ROCPRIM_400000_NS6detail17trampoline_kernelINS0_14default_configENS1_38merge_sort_block_merge_config_selectorIiiEEZZNS1_27merge_sort_block_merge_implIS3_N6thrust23THRUST_200600_302600_NS6detail15normal_iteratorINS8_10device_ptrIiEEEESD_jNS1_19radix_merge_compareILb0ELb0EiNS0_19identity_decomposerEEEEE10hipError_tT0_T1_T2_jT3_P12ihipStream_tbPNSt15iterator_traitsISI_E10value_typeEPNSO_ISJ_E10value_typeEPSK_NS1_7vsmem_tEENKUlT_SI_SJ_SK_E_clIPiSD_S10_SD_EESH_SX_SI_SJ_SK_EUlSX_E1_NS1_11comp_targetILNS1_3genE9ELNS1_11target_archE1100ELNS1_3gpuE3ELNS1_3repE0EEENS1_36merge_oddeven_config_static_selectorELNS0_4arch9wavefront6targetE0EEEvSJ_
	.globl	_ZN7rocprim17ROCPRIM_400000_NS6detail17trampoline_kernelINS0_14default_configENS1_38merge_sort_block_merge_config_selectorIiiEEZZNS1_27merge_sort_block_merge_implIS3_N6thrust23THRUST_200600_302600_NS6detail15normal_iteratorINS8_10device_ptrIiEEEESD_jNS1_19radix_merge_compareILb0ELb0EiNS0_19identity_decomposerEEEEE10hipError_tT0_T1_T2_jT3_P12ihipStream_tbPNSt15iterator_traitsISI_E10value_typeEPNSO_ISJ_E10value_typeEPSK_NS1_7vsmem_tEENKUlT_SI_SJ_SK_E_clIPiSD_S10_SD_EESH_SX_SI_SJ_SK_EUlSX_E1_NS1_11comp_targetILNS1_3genE9ELNS1_11target_archE1100ELNS1_3gpuE3ELNS1_3repE0EEENS1_36merge_oddeven_config_static_selectorELNS0_4arch9wavefront6targetE0EEEvSJ_
	.p2align	8
	.type	_ZN7rocprim17ROCPRIM_400000_NS6detail17trampoline_kernelINS0_14default_configENS1_38merge_sort_block_merge_config_selectorIiiEEZZNS1_27merge_sort_block_merge_implIS3_N6thrust23THRUST_200600_302600_NS6detail15normal_iteratorINS8_10device_ptrIiEEEESD_jNS1_19radix_merge_compareILb0ELb0EiNS0_19identity_decomposerEEEEE10hipError_tT0_T1_T2_jT3_P12ihipStream_tbPNSt15iterator_traitsISI_E10value_typeEPNSO_ISJ_E10value_typeEPSK_NS1_7vsmem_tEENKUlT_SI_SJ_SK_E_clIPiSD_S10_SD_EESH_SX_SI_SJ_SK_EUlSX_E1_NS1_11comp_targetILNS1_3genE9ELNS1_11target_archE1100ELNS1_3gpuE3ELNS1_3repE0EEENS1_36merge_oddeven_config_static_selectorELNS0_4arch9wavefront6targetE0EEEvSJ_,@function
_ZN7rocprim17ROCPRIM_400000_NS6detail17trampoline_kernelINS0_14default_configENS1_38merge_sort_block_merge_config_selectorIiiEEZZNS1_27merge_sort_block_merge_implIS3_N6thrust23THRUST_200600_302600_NS6detail15normal_iteratorINS8_10device_ptrIiEEEESD_jNS1_19radix_merge_compareILb0ELb0EiNS0_19identity_decomposerEEEEE10hipError_tT0_T1_T2_jT3_P12ihipStream_tbPNSt15iterator_traitsISI_E10value_typeEPNSO_ISJ_E10value_typeEPSK_NS1_7vsmem_tEENKUlT_SI_SJ_SK_E_clIPiSD_S10_SD_EESH_SX_SI_SJ_SK_EUlSX_E1_NS1_11comp_targetILNS1_3genE9ELNS1_11target_archE1100ELNS1_3gpuE3ELNS1_3repE0EEENS1_36merge_oddeven_config_static_selectorELNS0_4arch9wavefront6targetE0EEEvSJ_: ; @_ZN7rocprim17ROCPRIM_400000_NS6detail17trampoline_kernelINS0_14default_configENS1_38merge_sort_block_merge_config_selectorIiiEEZZNS1_27merge_sort_block_merge_implIS3_N6thrust23THRUST_200600_302600_NS6detail15normal_iteratorINS8_10device_ptrIiEEEESD_jNS1_19radix_merge_compareILb0ELb0EiNS0_19identity_decomposerEEEEE10hipError_tT0_T1_T2_jT3_P12ihipStream_tbPNSt15iterator_traitsISI_E10value_typeEPNSO_ISJ_E10value_typeEPSK_NS1_7vsmem_tEENKUlT_SI_SJ_SK_E_clIPiSD_S10_SD_EESH_SX_SI_SJ_SK_EUlSX_E1_NS1_11comp_targetILNS1_3genE9ELNS1_11target_archE1100ELNS1_3gpuE3ELNS1_3repE0EEENS1_36merge_oddeven_config_static_selectorELNS0_4arch9wavefront6targetE0EEEvSJ_
; %bb.0:
	.section	.rodata,"a",@progbits
	.p2align	6, 0x0
	.amdhsa_kernel _ZN7rocprim17ROCPRIM_400000_NS6detail17trampoline_kernelINS0_14default_configENS1_38merge_sort_block_merge_config_selectorIiiEEZZNS1_27merge_sort_block_merge_implIS3_N6thrust23THRUST_200600_302600_NS6detail15normal_iteratorINS8_10device_ptrIiEEEESD_jNS1_19radix_merge_compareILb0ELb0EiNS0_19identity_decomposerEEEEE10hipError_tT0_T1_T2_jT3_P12ihipStream_tbPNSt15iterator_traitsISI_E10value_typeEPNSO_ISJ_E10value_typeEPSK_NS1_7vsmem_tEENKUlT_SI_SJ_SK_E_clIPiSD_S10_SD_EESH_SX_SI_SJ_SK_EUlSX_E1_NS1_11comp_targetILNS1_3genE9ELNS1_11target_archE1100ELNS1_3gpuE3ELNS1_3repE0EEENS1_36merge_oddeven_config_static_selectorELNS0_4arch9wavefront6targetE0EEEvSJ_
		.amdhsa_group_segment_fixed_size 0
		.amdhsa_private_segment_fixed_size 0
		.amdhsa_kernarg_size 48
		.amdhsa_user_sgpr_count 6
		.amdhsa_user_sgpr_private_segment_buffer 1
		.amdhsa_user_sgpr_dispatch_ptr 0
		.amdhsa_user_sgpr_queue_ptr 0
		.amdhsa_user_sgpr_kernarg_segment_ptr 1
		.amdhsa_user_sgpr_dispatch_id 0
		.amdhsa_user_sgpr_flat_scratch_init 0
		.amdhsa_user_sgpr_private_segment_size 0
		.amdhsa_wavefront_size32 1
		.amdhsa_uses_dynamic_stack 0
		.amdhsa_system_sgpr_private_segment_wavefront_offset 0
		.amdhsa_system_sgpr_workgroup_id_x 1
		.amdhsa_system_sgpr_workgroup_id_y 0
		.amdhsa_system_sgpr_workgroup_id_z 0
		.amdhsa_system_sgpr_workgroup_info 0
		.amdhsa_system_vgpr_workitem_id 0
		.amdhsa_next_free_vgpr 1
		.amdhsa_next_free_sgpr 1
		.amdhsa_reserve_vcc 0
		.amdhsa_reserve_flat_scratch 0
		.amdhsa_float_round_mode_32 0
		.amdhsa_float_round_mode_16_64 0
		.amdhsa_float_denorm_mode_32 3
		.amdhsa_float_denorm_mode_16_64 3
		.amdhsa_dx10_clamp 1
		.amdhsa_ieee_mode 1
		.amdhsa_fp16_overflow 0
		.amdhsa_workgroup_processor_mode 1
		.amdhsa_memory_ordered 1
		.amdhsa_forward_progress 1
		.amdhsa_shared_vgpr_count 0
		.amdhsa_exception_fp_ieee_invalid_op 0
		.amdhsa_exception_fp_denorm_src 0
		.amdhsa_exception_fp_ieee_div_zero 0
		.amdhsa_exception_fp_ieee_overflow 0
		.amdhsa_exception_fp_ieee_underflow 0
		.amdhsa_exception_fp_ieee_inexact 0
		.amdhsa_exception_int_div_zero 0
	.end_amdhsa_kernel
	.section	.text._ZN7rocprim17ROCPRIM_400000_NS6detail17trampoline_kernelINS0_14default_configENS1_38merge_sort_block_merge_config_selectorIiiEEZZNS1_27merge_sort_block_merge_implIS3_N6thrust23THRUST_200600_302600_NS6detail15normal_iteratorINS8_10device_ptrIiEEEESD_jNS1_19radix_merge_compareILb0ELb0EiNS0_19identity_decomposerEEEEE10hipError_tT0_T1_T2_jT3_P12ihipStream_tbPNSt15iterator_traitsISI_E10value_typeEPNSO_ISJ_E10value_typeEPSK_NS1_7vsmem_tEENKUlT_SI_SJ_SK_E_clIPiSD_S10_SD_EESH_SX_SI_SJ_SK_EUlSX_E1_NS1_11comp_targetILNS1_3genE9ELNS1_11target_archE1100ELNS1_3gpuE3ELNS1_3repE0EEENS1_36merge_oddeven_config_static_selectorELNS0_4arch9wavefront6targetE0EEEvSJ_,"axG",@progbits,_ZN7rocprim17ROCPRIM_400000_NS6detail17trampoline_kernelINS0_14default_configENS1_38merge_sort_block_merge_config_selectorIiiEEZZNS1_27merge_sort_block_merge_implIS3_N6thrust23THRUST_200600_302600_NS6detail15normal_iteratorINS8_10device_ptrIiEEEESD_jNS1_19radix_merge_compareILb0ELb0EiNS0_19identity_decomposerEEEEE10hipError_tT0_T1_T2_jT3_P12ihipStream_tbPNSt15iterator_traitsISI_E10value_typeEPNSO_ISJ_E10value_typeEPSK_NS1_7vsmem_tEENKUlT_SI_SJ_SK_E_clIPiSD_S10_SD_EESH_SX_SI_SJ_SK_EUlSX_E1_NS1_11comp_targetILNS1_3genE9ELNS1_11target_archE1100ELNS1_3gpuE3ELNS1_3repE0EEENS1_36merge_oddeven_config_static_selectorELNS0_4arch9wavefront6targetE0EEEvSJ_,comdat
.Lfunc_end730:
	.size	_ZN7rocprim17ROCPRIM_400000_NS6detail17trampoline_kernelINS0_14default_configENS1_38merge_sort_block_merge_config_selectorIiiEEZZNS1_27merge_sort_block_merge_implIS3_N6thrust23THRUST_200600_302600_NS6detail15normal_iteratorINS8_10device_ptrIiEEEESD_jNS1_19radix_merge_compareILb0ELb0EiNS0_19identity_decomposerEEEEE10hipError_tT0_T1_T2_jT3_P12ihipStream_tbPNSt15iterator_traitsISI_E10value_typeEPNSO_ISJ_E10value_typeEPSK_NS1_7vsmem_tEENKUlT_SI_SJ_SK_E_clIPiSD_S10_SD_EESH_SX_SI_SJ_SK_EUlSX_E1_NS1_11comp_targetILNS1_3genE9ELNS1_11target_archE1100ELNS1_3gpuE3ELNS1_3repE0EEENS1_36merge_oddeven_config_static_selectorELNS0_4arch9wavefront6targetE0EEEvSJ_, .Lfunc_end730-_ZN7rocprim17ROCPRIM_400000_NS6detail17trampoline_kernelINS0_14default_configENS1_38merge_sort_block_merge_config_selectorIiiEEZZNS1_27merge_sort_block_merge_implIS3_N6thrust23THRUST_200600_302600_NS6detail15normal_iteratorINS8_10device_ptrIiEEEESD_jNS1_19radix_merge_compareILb0ELb0EiNS0_19identity_decomposerEEEEE10hipError_tT0_T1_T2_jT3_P12ihipStream_tbPNSt15iterator_traitsISI_E10value_typeEPNSO_ISJ_E10value_typeEPSK_NS1_7vsmem_tEENKUlT_SI_SJ_SK_E_clIPiSD_S10_SD_EESH_SX_SI_SJ_SK_EUlSX_E1_NS1_11comp_targetILNS1_3genE9ELNS1_11target_archE1100ELNS1_3gpuE3ELNS1_3repE0EEENS1_36merge_oddeven_config_static_selectorELNS0_4arch9wavefront6targetE0EEEvSJ_
                                        ; -- End function
	.set _ZN7rocprim17ROCPRIM_400000_NS6detail17trampoline_kernelINS0_14default_configENS1_38merge_sort_block_merge_config_selectorIiiEEZZNS1_27merge_sort_block_merge_implIS3_N6thrust23THRUST_200600_302600_NS6detail15normal_iteratorINS8_10device_ptrIiEEEESD_jNS1_19radix_merge_compareILb0ELb0EiNS0_19identity_decomposerEEEEE10hipError_tT0_T1_T2_jT3_P12ihipStream_tbPNSt15iterator_traitsISI_E10value_typeEPNSO_ISJ_E10value_typeEPSK_NS1_7vsmem_tEENKUlT_SI_SJ_SK_E_clIPiSD_S10_SD_EESH_SX_SI_SJ_SK_EUlSX_E1_NS1_11comp_targetILNS1_3genE9ELNS1_11target_archE1100ELNS1_3gpuE3ELNS1_3repE0EEENS1_36merge_oddeven_config_static_selectorELNS0_4arch9wavefront6targetE0EEEvSJ_.num_vgpr, 0
	.set _ZN7rocprim17ROCPRIM_400000_NS6detail17trampoline_kernelINS0_14default_configENS1_38merge_sort_block_merge_config_selectorIiiEEZZNS1_27merge_sort_block_merge_implIS3_N6thrust23THRUST_200600_302600_NS6detail15normal_iteratorINS8_10device_ptrIiEEEESD_jNS1_19radix_merge_compareILb0ELb0EiNS0_19identity_decomposerEEEEE10hipError_tT0_T1_T2_jT3_P12ihipStream_tbPNSt15iterator_traitsISI_E10value_typeEPNSO_ISJ_E10value_typeEPSK_NS1_7vsmem_tEENKUlT_SI_SJ_SK_E_clIPiSD_S10_SD_EESH_SX_SI_SJ_SK_EUlSX_E1_NS1_11comp_targetILNS1_3genE9ELNS1_11target_archE1100ELNS1_3gpuE3ELNS1_3repE0EEENS1_36merge_oddeven_config_static_selectorELNS0_4arch9wavefront6targetE0EEEvSJ_.num_agpr, 0
	.set _ZN7rocprim17ROCPRIM_400000_NS6detail17trampoline_kernelINS0_14default_configENS1_38merge_sort_block_merge_config_selectorIiiEEZZNS1_27merge_sort_block_merge_implIS3_N6thrust23THRUST_200600_302600_NS6detail15normal_iteratorINS8_10device_ptrIiEEEESD_jNS1_19radix_merge_compareILb0ELb0EiNS0_19identity_decomposerEEEEE10hipError_tT0_T1_T2_jT3_P12ihipStream_tbPNSt15iterator_traitsISI_E10value_typeEPNSO_ISJ_E10value_typeEPSK_NS1_7vsmem_tEENKUlT_SI_SJ_SK_E_clIPiSD_S10_SD_EESH_SX_SI_SJ_SK_EUlSX_E1_NS1_11comp_targetILNS1_3genE9ELNS1_11target_archE1100ELNS1_3gpuE3ELNS1_3repE0EEENS1_36merge_oddeven_config_static_selectorELNS0_4arch9wavefront6targetE0EEEvSJ_.numbered_sgpr, 0
	.set _ZN7rocprim17ROCPRIM_400000_NS6detail17trampoline_kernelINS0_14default_configENS1_38merge_sort_block_merge_config_selectorIiiEEZZNS1_27merge_sort_block_merge_implIS3_N6thrust23THRUST_200600_302600_NS6detail15normal_iteratorINS8_10device_ptrIiEEEESD_jNS1_19radix_merge_compareILb0ELb0EiNS0_19identity_decomposerEEEEE10hipError_tT0_T1_T2_jT3_P12ihipStream_tbPNSt15iterator_traitsISI_E10value_typeEPNSO_ISJ_E10value_typeEPSK_NS1_7vsmem_tEENKUlT_SI_SJ_SK_E_clIPiSD_S10_SD_EESH_SX_SI_SJ_SK_EUlSX_E1_NS1_11comp_targetILNS1_3genE9ELNS1_11target_archE1100ELNS1_3gpuE3ELNS1_3repE0EEENS1_36merge_oddeven_config_static_selectorELNS0_4arch9wavefront6targetE0EEEvSJ_.num_named_barrier, 0
	.set _ZN7rocprim17ROCPRIM_400000_NS6detail17trampoline_kernelINS0_14default_configENS1_38merge_sort_block_merge_config_selectorIiiEEZZNS1_27merge_sort_block_merge_implIS3_N6thrust23THRUST_200600_302600_NS6detail15normal_iteratorINS8_10device_ptrIiEEEESD_jNS1_19radix_merge_compareILb0ELb0EiNS0_19identity_decomposerEEEEE10hipError_tT0_T1_T2_jT3_P12ihipStream_tbPNSt15iterator_traitsISI_E10value_typeEPNSO_ISJ_E10value_typeEPSK_NS1_7vsmem_tEENKUlT_SI_SJ_SK_E_clIPiSD_S10_SD_EESH_SX_SI_SJ_SK_EUlSX_E1_NS1_11comp_targetILNS1_3genE9ELNS1_11target_archE1100ELNS1_3gpuE3ELNS1_3repE0EEENS1_36merge_oddeven_config_static_selectorELNS0_4arch9wavefront6targetE0EEEvSJ_.private_seg_size, 0
	.set _ZN7rocprim17ROCPRIM_400000_NS6detail17trampoline_kernelINS0_14default_configENS1_38merge_sort_block_merge_config_selectorIiiEEZZNS1_27merge_sort_block_merge_implIS3_N6thrust23THRUST_200600_302600_NS6detail15normal_iteratorINS8_10device_ptrIiEEEESD_jNS1_19radix_merge_compareILb0ELb0EiNS0_19identity_decomposerEEEEE10hipError_tT0_T1_T2_jT3_P12ihipStream_tbPNSt15iterator_traitsISI_E10value_typeEPNSO_ISJ_E10value_typeEPSK_NS1_7vsmem_tEENKUlT_SI_SJ_SK_E_clIPiSD_S10_SD_EESH_SX_SI_SJ_SK_EUlSX_E1_NS1_11comp_targetILNS1_3genE9ELNS1_11target_archE1100ELNS1_3gpuE3ELNS1_3repE0EEENS1_36merge_oddeven_config_static_selectorELNS0_4arch9wavefront6targetE0EEEvSJ_.uses_vcc, 0
	.set _ZN7rocprim17ROCPRIM_400000_NS6detail17trampoline_kernelINS0_14default_configENS1_38merge_sort_block_merge_config_selectorIiiEEZZNS1_27merge_sort_block_merge_implIS3_N6thrust23THRUST_200600_302600_NS6detail15normal_iteratorINS8_10device_ptrIiEEEESD_jNS1_19radix_merge_compareILb0ELb0EiNS0_19identity_decomposerEEEEE10hipError_tT0_T1_T2_jT3_P12ihipStream_tbPNSt15iterator_traitsISI_E10value_typeEPNSO_ISJ_E10value_typeEPSK_NS1_7vsmem_tEENKUlT_SI_SJ_SK_E_clIPiSD_S10_SD_EESH_SX_SI_SJ_SK_EUlSX_E1_NS1_11comp_targetILNS1_3genE9ELNS1_11target_archE1100ELNS1_3gpuE3ELNS1_3repE0EEENS1_36merge_oddeven_config_static_selectorELNS0_4arch9wavefront6targetE0EEEvSJ_.uses_flat_scratch, 0
	.set _ZN7rocprim17ROCPRIM_400000_NS6detail17trampoline_kernelINS0_14default_configENS1_38merge_sort_block_merge_config_selectorIiiEEZZNS1_27merge_sort_block_merge_implIS3_N6thrust23THRUST_200600_302600_NS6detail15normal_iteratorINS8_10device_ptrIiEEEESD_jNS1_19radix_merge_compareILb0ELb0EiNS0_19identity_decomposerEEEEE10hipError_tT0_T1_T2_jT3_P12ihipStream_tbPNSt15iterator_traitsISI_E10value_typeEPNSO_ISJ_E10value_typeEPSK_NS1_7vsmem_tEENKUlT_SI_SJ_SK_E_clIPiSD_S10_SD_EESH_SX_SI_SJ_SK_EUlSX_E1_NS1_11comp_targetILNS1_3genE9ELNS1_11target_archE1100ELNS1_3gpuE3ELNS1_3repE0EEENS1_36merge_oddeven_config_static_selectorELNS0_4arch9wavefront6targetE0EEEvSJ_.has_dyn_sized_stack, 0
	.set _ZN7rocprim17ROCPRIM_400000_NS6detail17trampoline_kernelINS0_14default_configENS1_38merge_sort_block_merge_config_selectorIiiEEZZNS1_27merge_sort_block_merge_implIS3_N6thrust23THRUST_200600_302600_NS6detail15normal_iteratorINS8_10device_ptrIiEEEESD_jNS1_19radix_merge_compareILb0ELb0EiNS0_19identity_decomposerEEEEE10hipError_tT0_T1_T2_jT3_P12ihipStream_tbPNSt15iterator_traitsISI_E10value_typeEPNSO_ISJ_E10value_typeEPSK_NS1_7vsmem_tEENKUlT_SI_SJ_SK_E_clIPiSD_S10_SD_EESH_SX_SI_SJ_SK_EUlSX_E1_NS1_11comp_targetILNS1_3genE9ELNS1_11target_archE1100ELNS1_3gpuE3ELNS1_3repE0EEENS1_36merge_oddeven_config_static_selectorELNS0_4arch9wavefront6targetE0EEEvSJ_.has_recursion, 0
	.set _ZN7rocprim17ROCPRIM_400000_NS6detail17trampoline_kernelINS0_14default_configENS1_38merge_sort_block_merge_config_selectorIiiEEZZNS1_27merge_sort_block_merge_implIS3_N6thrust23THRUST_200600_302600_NS6detail15normal_iteratorINS8_10device_ptrIiEEEESD_jNS1_19radix_merge_compareILb0ELb0EiNS0_19identity_decomposerEEEEE10hipError_tT0_T1_T2_jT3_P12ihipStream_tbPNSt15iterator_traitsISI_E10value_typeEPNSO_ISJ_E10value_typeEPSK_NS1_7vsmem_tEENKUlT_SI_SJ_SK_E_clIPiSD_S10_SD_EESH_SX_SI_SJ_SK_EUlSX_E1_NS1_11comp_targetILNS1_3genE9ELNS1_11target_archE1100ELNS1_3gpuE3ELNS1_3repE0EEENS1_36merge_oddeven_config_static_selectorELNS0_4arch9wavefront6targetE0EEEvSJ_.has_indirect_call, 0
	.section	.AMDGPU.csdata,"",@progbits
; Kernel info:
; codeLenInByte = 0
; TotalNumSgprs: 0
; NumVgprs: 0
; ScratchSize: 0
; MemoryBound: 0
; FloatMode: 240
; IeeeMode: 1
; LDSByteSize: 0 bytes/workgroup (compile time only)
; SGPRBlocks: 0
; VGPRBlocks: 0
; NumSGPRsForWavesPerEU: 1
; NumVGPRsForWavesPerEU: 1
; Occupancy: 16
; WaveLimiterHint : 0
; COMPUTE_PGM_RSRC2:SCRATCH_EN: 0
; COMPUTE_PGM_RSRC2:USER_SGPR: 6
; COMPUTE_PGM_RSRC2:TRAP_HANDLER: 0
; COMPUTE_PGM_RSRC2:TGID_X_EN: 1
; COMPUTE_PGM_RSRC2:TGID_Y_EN: 0
; COMPUTE_PGM_RSRC2:TGID_Z_EN: 0
; COMPUTE_PGM_RSRC2:TIDIG_COMP_CNT: 0
	.section	.text._ZN7rocprim17ROCPRIM_400000_NS6detail17trampoline_kernelINS0_14default_configENS1_38merge_sort_block_merge_config_selectorIiiEEZZNS1_27merge_sort_block_merge_implIS3_N6thrust23THRUST_200600_302600_NS6detail15normal_iteratorINS8_10device_ptrIiEEEESD_jNS1_19radix_merge_compareILb0ELb0EiNS0_19identity_decomposerEEEEE10hipError_tT0_T1_T2_jT3_P12ihipStream_tbPNSt15iterator_traitsISI_E10value_typeEPNSO_ISJ_E10value_typeEPSK_NS1_7vsmem_tEENKUlT_SI_SJ_SK_E_clIPiSD_S10_SD_EESH_SX_SI_SJ_SK_EUlSX_E1_NS1_11comp_targetILNS1_3genE8ELNS1_11target_archE1030ELNS1_3gpuE2ELNS1_3repE0EEENS1_36merge_oddeven_config_static_selectorELNS0_4arch9wavefront6targetE0EEEvSJ_,"axG",@progbits,_ZN7rocprim17ROCPRIM_400000_NS6detail17trampoline_kernelINS0_14default_configENS1_38merge_sort_block_merge_config_selectorIiiEEZZNS1_27merge_sort_block_merge_implIS3_N6thrust23THRUST_200600_302600_NS6detail15normal_iteratorINS8_10device_ptrIiEEEESD_jNS1_19radix_merge_compareILb0ELb0EiNS0_19identity_decomposerEEEEE10hipError_tT0_T1_T2_jT3_P12ihipStream_tbPNSt15iterator_traitsISI_E10value_typeEPNSO_ISJ_E10value_typeEPSK_NS1_7vsmem_tEENKUlT_SI_SJ_SK_E_clIPiSD_S10_SD_EESH_SX_SI_SJ_SK_EUlSX_E1_NS1_11comp_targetILNS1_3genE8ELNS1_11target_archE1030ELNS1_3gpuE2ELNS1_3repE0EEENS1_36merge_oddeven_config_static_selectorELNS0_4arch9wavefront6targetE0EEEvSJ_,comdat
	.protected	_ZN7rocprim17ROCPRIM_400000_NS6detail17trampoline_kernelINS0_14default_configENS1_38merge_sort_block_merge_config_selectorIiiEEZZNS1_27merge_sort_block_merge_implIS3_N6thrust23THRUST_200600_302600_NS6detail15normal_iteratorINS8_10device_ptrIiEEEESD_jNS1_19radix_merge_compareILb0ELb0EiNS0_19identity_decomposerEEEEE10hipError_tT0_T1_T2_jT3_P12ihipStream_tbPNSt15iterator_traitsISI_E10value_typeEPNSO_ISJ_E10value_typeEPSK_NS1_7vsmem_tEENKUlT_SI_SJ_SK_E_clIPiSD_S10_SD_EESH_SX_SI_SJ_SK_EUlSX_E1_NS1_11comp_targetILNS1_3genE8ELNS1_11target_archE1030ELNS1_3gpuE2ELNS1_3repE0EEENS1_36merge_oddeven_config_static_selectorELNS0_4arch9wavefront6targetE0EEEvSJ_ ; -- Begin function _ZN7rocprim17ROCPRIM_400000_NS6detail17trampoline_kernelINS0_14default_configENS1_38merge_sort_block_merge_config_selectorIiiEEZZNS1_27merge_sort_block_merge_implIS3_N6thrust23THRUST_200600_302600_NS6detail15normal_iteratorINS8_10device_ptrIiEEEESD_jNS1_19radix_merge_compareILb0ELb0EiNS0_19identity_decomposerEEEEE10hipError_tT0_T1_T2_jT3_P12ihipStream_tbPNSt15iterator_traitsISI_E10value_typeEPNSO_ISJ_E10value_typeEPSK_NS1_7vsmem_tEENKUlT_SI_SJ_SK_E_clIPiSD_S10_SD_EESH_SX_SI_SJ_SK_EUlSX_E1_NS1_11comp_targetILNS1_3genE8ELNS1_11target_archE1030ELNS1_3gpuE2ELNS1_3repE0EEENS1_36merge_oddeven_config_static_selectorELNS0_4arch9wavefront6targetE0EEEvSJ_
	.globl	_ZN7rocprim17ROCPRIM_400000_NS6detail17trampoline_kernelINS0_14default_configENS1_38merge_sort_block_merge_config_selectorIiiEEZZNS1_27merge_sort_block_merge_implIS3_N6thrust23THRUST_200600_302600_NS6detail15normal_iteratorINS8_10device_ptrIiEEEESD_jNS1_19radix_merge_compareILb0ELb0EiNS0_19identity_decomposerEEEEE10hipError_tT0_T1_T2_jT3_P12ihipStream_tbPNSt15iterator_traitsISI_E10value_typeEPNSO_ISJ_E10value_typeEPSK_NS1_7vsmem_tEENKUlT_SI_SJ_SK_E_clIPiSD_S10_SD_EESH_SX_SI_SJ_SK_EUlSX_E1_NS1_11comp_targetILNS1_3genE8ELNS1_11target_archE1030ELNS1_3gpuE2ELNS1_3repE0EEENS1_36merge_oddeven_config_static_selectorELNS0_4arch9wavefront6targetE0EEEvSJ_
	.p2align	8
	.type	_ZN7rocprim17ROCPRIM_400000_NS6detail17trampoline_kernelINS0_14default_configENS1_38merge_sort_block_merge_config_selectorIiiEEZZNS1_27merge_sort_block_merge_implIS3_N6thrust23THRUST_200600_302600_NS6detail15normal_iteratorINS8_10device_ptrIiEEEESD_jNS1_19radix_merge_compareILb0ELb0EiNS0_19identity_decomposerEEEEE10hipError_tT0_T1_T2_jT3_P12ihipStream_tbPNSt15iterator_traitsISI_E10value_typeEPNSO_ISJ_E10value_typeEPSK_NS1_7vsmem_tEENKUlT_SI_SJ_SK_E_clIPiSD_S10_SD_EESH_SX_SI_SJ_SK_EUlSX_E1_NS1_11comp_targetILNS1_3genE8ELNS1_11target_archE1030ELNS1_3gpuE2ELNS1_3repE0EEENS1_36merge_oddeven_config_static_selectorELNS0_4arch9wavefront6targetE0EEEvSJ_,@function
_ZN7rocprim17ROCPRIM_400000_NS6detail17trampoline_kernelINS0_14default_configENS1_38merge_sort_block_merge_config_selectorIiiEEZZNS1_27merge_sort_block_merge_implIS3_N6thrust23THRUST_200600_302600_NS6detail15normal_iteratorINS8_10device_ptrIiEEEESD_jNS1_19radix_merge_compareILb0ELb0EiNS0_19identity_decomposerEEEEE10hipError_tT0_T1_T2_jT3_P12ihipStream_tbPNSt15iterator_traitsISI_E10value_typeEPNSO_ISJ_E10value_typeEPSK_NS1_7vsmem_tEENKUlT_SI_SJ_SK_E_clIPiSD_S10_SD_EESH_SX_SI_SJ_SK_EUlSX_E1_NS1_11comp_targetILNS1_3genE8ELNS1_11target_archE1030ELNS1_3gpuE2ELNS1_3repE0EEENS1_36merge_oddeven_config_static_selectorELNS0_4arch9wavefront6targetE0EEEvSJ_: ; @_ZN7rocprim17ROCPRIM_400000_NS6detail17trampoline_kernelINS0_14default_configENS1_38merge_sort_block_merge_config_selectorIiiEEZZNS1_27merge_sort_block_merge_implIS3_N6thrust23THRUST_200600_302600_NS6detail15normal_iteratorINS8_10device_ptrIiEEEESD_jNS1_19radix_merge_compareILb0ELb0EiNS0_19identity_decomposerEEEEE10hipError_tT0_T1_T2_jT3_P12ihipStream_tbPNSt15iterator_traitsISI_E10value_typeEPNSO_ISJ_E10value_typeEPSK_NS1_7vsmem_tEENKUlT_SI_SJ_SK_E_clIPiSD_S10_SD_EESH_SX_SI_SJ_SK_EUlSX_E1_NS1_11comp_targetILNS1_3genE8ELNS1_11target_archE1030ELNS1_3gpuE2ELNS1_3repE0EEENS1_36merge_oddeven_config_static_selectorELNS0_4arch9wavefront6targetE0EEEvSJ_
; %bb.0:
	s_load_dword s7, s[4:5], 0x20
	s_waitcnt lgkmcnt(0)
	s_lshr_b32 s0, s7, 8
	s_cmp_eq_u32 s6, s0
	s_cselect_b32 s16, -1, 0
	s_cmp_lg_u32 s6, s0
	s_cselect_b32 s0, -1, 0
	s_lshl_b32 s2, s6, 8
	s_sub_i32 s1, s7, s2
	v_cmp_gt_u32_e64 s1, s1, v0
	s_or_b32 s0, s0, s1
	s_and_saveexec_b32 s3, s0
	s_cbranch_execz .LBB731_24
; %bb.1:
	s_load_dwordx8 s[8:15], s[4:5], 0x0
	s_mov_b32 s3, 0
	v_lshlrev_b32_e32 v1, 2, v0
	s_lshl_b64 s[18:19], s[2:3], 2
	s_load_dword s4, s[4:5], 0x24
	v_add_nc_u32_e32 v0, s2, v0
	s_mov_b32 s2, -1
	s_waitcnt lgkmcnt(0)
	s_add_u32 s20, s8, s18
	s_addc_u32 s21, s9, s19
	s_add_u32 s12, s12, s18
	s_addc_u32 s13, s13, s19
	s_lshr_b32 s0, s4, 8
	s_clause 0x1
	global_load_dword v2, v1, s[12:13]
	global_load_dword v3, v1, s[20:21]
	s_sub_i32 s3, 0, s0
	s_and_b32 s3, s6, s3
	s_and_b32 s0, s3, s0
	s_lshl_b32 s5, s3, 8
	s_sub_i32 s3, 0, s4
	s_cmp_eq_u32 s0, 0
	s_cselect_b32 s0, -1, 0
	s_and_b32 s6, s0, exec_lo
	s_cselect_b32 s3, s4, s3
	s_add_i32 s3, s3, s5
	s_cmp_gt_u32 s7, s3
	s_cbranch_scc1 .LBB731_9
; %bb.2:
	s_and_b32 vcc_lo, exec_lo, s16
	s_cbranch_vccz .LBB731_6
; %bb.3:
	s_mov_b32 s2, exec_lo
	v_cmpx_gt_u32_e64 s7, v0
	s_cbranch_execz .LBB731_5
; %bb.4:
	v_mov_b32_e32 v1, 0
	v_lshlrev_b64 v[4:5], 2, v[0:1]
	v_add_co_u32 v6, vcc_lo, s10, v4
	v_add_co_ci_u32_e64 v7, null, s11, v5, vcc_lo
	v_add_co_u32 v4, vcc_lo, s14, v4
	v_add_co_ci_u32_e64 v5, null, s15, v5, vcc_lo
	s_waitcnt vmcnt(0)
	global_store_dword v[6:7], v3, off
	global_store_dword v[4:5], v2, off
.LBB731_5:
	s_or_b32 exec_lo, exec_lo, s2
	s_mov_b32 s2, 0
.LBB731_6:
	s_andn2_b32 vcc_lo, exec_lo, s2
	s_cbranch_vccnz .LBB731_8
; %bb.7:
	v_mov_b32_e32 v1, 0
	v_lshlrev_b64 v[4:5], 2, v[0:1]
	v_add_co_u32 v6, vcc_lo, s10, v4
	v_add_co_ci_u32_e64 v7, null, s11, v5, vcc_lo
	v_add_co_u32 v4, vcc_lo, s14, v4
	v_add_co_ci_u32_e64 v5, null, s15, v5, vcc_lo
	s_waitcnt vmcnt(0)
	global_store_dword v[6:7], v3, off
	global_store_dword v[4:5], v2, off
.LBB731_8:
	s_mov_b32 s2, 0
.LBB731_9:
	s_andn2_b32 vcc_lo, exec_lo, s2
	s_cbranch_vccnz .LBB731_24
; %bb.10:
	s_min_u32 s2, s3, s7
	s_andn2_b32 vcc_lo, exec_lo, s16
	s_add_i32 s6, s5, s2
	s_min_u32 s5, s5, s2
	v_subrev_nc_u32_e32 v0, s6, v0
	s_add_i32 s4, s2, s4
	s_min_u32 s4, s4, s7
	v_add_nc_u32_e32 v4, s5, v0
	s_mov_b32 s5, -1
	s_cbranch_vccnz .LBB731_18
; %bb.11:
	s_and_saveexec_b32 s5, s1
	s_cbranch_execz .LBB731_17
; %bb.12:
	v_mov_b32_e32 v5, s2
	s_cmp_ge_u32 s3, s4
	s_cbranch_scc1 .LBB731_16
; %bb.13:
	v_mov_b32_e32 v6, s4
	v_mov_b32_e32 v5, s2
	v_mov_b32_e32 v1, 0
	s_mov_b32 s1, 0
	.p2align	6
.LBB731_14:                             ; =>This Inner Loop Header: Depth=1
	v_add_nc_u32_e32 v0, v5, v6
	v_lshrrev_b32_e32 v0, 1, v0
	v_lshlrev_b64 v[7:8], 2, v[0:1]
	v_add_co_u32 v7, vcc_lo, s8, v7
	v_add_co_ci_u32_e64 v8, null, s9, v8, vcc_lo
	global_load_dword v7, v[7:8], off
	s_waitcnt vmcnt(0)
	v_cmp_gt_i32_e32 vcc_lo, v3, v7
	v_cndmask_b32_e64 v8, 0, 1, vcc_lo
	v_cmp_le_i32_e32 vcc_lo, v7, v3
	v_cndmask_b32_e64 v7, 0, 1, vcc_lo
	v_cndmask_b32_e64 v7, v7, v8, s0
	v_add_nc_u32_e32 v8, 1, v0
	v_and_b32_e32 v7, 1, v7
	v_cmp_eq_u32_e32 vcc_lo, 1, v7
	v_cndmask_b32_e32 v6, v0, v6, vcc_lo
	v_cndmask_b32_e32 v5, v5, v8, vcc_lo
	v_cmp_ge_u32_e32 vcc_lo, v5, v6
	s_or_b32 s1, vcc_lo, s1
	s_andn2_b32 exec_lo, exec_lo, s1
	s_cbranch_execnz .LBB731_14
; %bb.15:
	s_or_b32 exec_lo, exec_lo, s1
.LBB731_16:
	v_add_nc_u32_e32 v0, v5, v4
	v_mov_b32_e32 v1, 0
	v_lshlrev_b64 v[0:1], 2, v[0:1]
	v_add_co_u32 v5, vcc_lo, s10, v0
	v_add_co_ci_u32_e64 v6, null, s11, v1, vcc_lo
	v_add_co_u32 v0, vcc_lo, s14, v0
	v_add_co_ci_u32_e64 v1, null, s15, v1, vcc_lo
	s_waitcnt vmcnt(0)
	global_store_dword v[5:6], v3, off
	global_store_dword v[0:1], v2, off
.LBB731_17:
	s_or_b32 exec_lo, exec_lo, s5
	s_mov_b32 s5, 0
.LBB731_18:
	s_andn2_b32 vcc_lo, exec_lo, s5
	s_cbranch_vccnz .LBB731_24
; %bb.19:
	v_mov_b32_e32 v5, s2
	s_cmp_ge_u32 s3, s4
	s_cbranch_scc1 .LBB731_23
; %bb.20:
	v_mov_b32_e32 v6, s4
	v_mov_b32_e32 v5, s2
	;; [unrolled: 1-line block ×3, first 2 shown]
	s_mov_b32 s1, 0
	.p2align	6
.LBB731_21:                             ; =>This Inner Loop Header: Depth=1
	v_add_nc_u32_e32 v0, v5, v6
	v_lshrrev_b32_e32 v0, 1, v0
	v_lshlrev_b64 v[7:8], 2, v[0:1]
	v_add_co_u32 v7, vcc_lo, s8, v7
	v_add_co_ci_u32_e64 v8, null, s9, v8, vcc_lo
	global_load_dword v7, v[7:8], off
	s_waitcnt vmcnt(0)
	v_cmp_gt_i32_e32 vcc_lo, v3, v7
	v_cndmask_b32_e64 v8, 0, 1, vcc_lo
	v_cmp_le_i32_e32 vcc_lo, v7, v3
	v_cndmask_b32_e64 v7, 0, 1, vcc_lo
	v_cndmask_b32_e64 v7, v7, v8, s0
	v_add_nc_u32_e32 v8, 1, v0
	v_and_b32_e32 v7, 1, v7
	v_cmp_eq_u32_e32 vcc_lo, 1, v7
	v_cndmask_b32_e32 v6, v0, v6, vcc_lo
	v_cndmask_b32_e32 v5, v5, v8, vcc_lo
	v_cmp_ge_u32_e32 vcc_lo, v5, v6
	s_or_b32 s1, vcc_lo, s1
	s_andn2_b32 exec_lo, exec_lo, s1
	s_cbranch_execnz .LBB731_21
; %bb.22:
	s_or_b32 exec_lo, exec_lo, s1
.LBB731_23:
	v_add_nc_u32_e32 v0, v5, v4
	v_mov_b32_e32 v1, 0
	v_lshlrev_b64 v[0:1], 2, v[0:1]
	v_add_co_u32 v4, vcc_lo, s10, v0
	v_add_co_ci_u32_e64 v5, null, s11, v1, vcc_lo
	v_add_co_u32 v0, vcc_lo, s14, v0
	v_add_co_ci_u32_e64 v1, null, s15, v1, vcc_lo
	s_waitcnt vmcnt(0)
	global_store_dword v[4:5], v3, off
	global_store_dword v[0:1], v2, off
.LBB731_24:
	s_endpgm
	.section	.rodata,"a",@progbits
	.p2align	6, 0x0
	.amdhsa_kernel _ZN7rocprim17ROCPRIM_400000_NS6detail17trampoline_kernelINS0_14default_configENS1_38merge_sort_block_merge_config_selectorIiiEEZZNS1_27merge_sort_block_merge_implIS3_N6thrust23THRUST_200600_302600_NS6detail15normal_iteratorINS8_10device_ptrIiEEEESD_jNS1_19radix_merge_compareILb0ELb0EiNS0_19identity_decomposerEEEEE10hipError_tT0_T1_T2_jT3_P12ihipStream_tbPNSt15iterator_traitsISI_E10value_typeEPNSO_ISJ_E10value_typeEPSK_NS1_7vsmem_tEENKUlT_SI_SJ_SK_E_clIPiSD_S10_SD_EESH_SX_SI_SJ_SK_EUlSX_E1_NS1_11comp_targetILNS1_3genE8ELNS1_11target_archE1030ELNS1_3gpuE2ELNS1_3repE0EEENS1_36merge_oddeven_config_static_selectorELNS0_4arch9wavefront6targetE0EEEvSJ_
		.amdhsa_group_segment_fixed_size 0
		.amdhsa_private_segment_fixed_size 0
		.amdhsa_kernarg_size 48
		.amdhsa_user_sgpr_count 6
		.amdhsa_user_sgpr_private_segment_buffer 1
		.amdhsa_user_sgpr_dispatch_ptr 0
		.amdhsa_user_sgpr_queue_ptr 0
		.amdhsa_user_sgpr_kernarg_segment_ptr 1
		.amdhsa_user_sgpr_dispatch_id 0
		.amdhsa_user_sgpr_flat_scratch_init 0
		.amdhsa_user_sgpr_private_segment_size 0
		.amdhsa_wavefront_size32 1
		.amdhsa_uses_dynamic_stack 0
		.amdhsa_system_sgpr_private_segment_wavefront_offset 0
		.amdhsa_system_sgpr_workgroup_id_x 1
		.amdhsa_system_sgpr_workgroup_id_y 0
		.amdhsa_system_sgpr_workgroup_id_z 0
		.amdhsa_system_sgpr_workgroup_info 0
		.amdhsa_system_vgpr_workitem_id 0
		.amdhsa_next_free_vgpr 9
		.amdhsa_next_free_sgpr 22
		.amdhsa_reserve_vcc 1
		.amdhsa_reserve_flat_scratch 0
		.amdhsa_float_round_mode_32 0
		.amdhsa_float_round_mode_16_64 0
		.amdhsa_float_denorm_mode_32 3
		.amdhsa_float_denorm_mode_16_64 3
		.amdhsa_dx10_clamp 1
		.amdhsa_ieee_mode 1
		.amdhsa_fp16_overflow 0
		.amdhsa_workgroup_processor_mode 1
		.amdhsa_memory_ordered 1
		.amdhsa_forward_progress 1
		.amdhsa_shared_vgpr_count 0
		.amdhsa_exception_fp_ieee_invalid_op 0
		.amdhsa_exception_fp_denorm_src 0
		.amdhsa_exception_fp_ieee_div_zero 0
		.amdhsa_exception_fp_ieee_overflow 0
		.amdhsa_exception_fp_ieee_underflow 0
		.amdhsa_exception_fp_ieee_inexact 0
		.amdhsa_exception_int_div_zero 0
	.end_amdhsa_kernel
	.section	.text._ZN7rocprim17ROCPRIM_400000_NS6detail17trampoline_kernelINS0_14default_configENS1_38merge_sort_block_merge_config_selectorIiiEEZZNS1_27merge_sort_block_merge_implIS3_N6thrust23THRUST_200600_302600_NS6detail15normal_iteratorINS8_10device_ptrIiEEEESD_jNS1_19radix_merge_compareILb0ELb0EiNS0_19identity_decomposerEEEEE10hipError_tT0_T1_T2_jT3_P12ihipStream_tbPNSt15iterator_traitsISI_E10value_typeEPNSO_ISJ_E10value_typeEPSK_NS1_7vsmem_tEENKUlT_SI_SJ_SK_E_clIPiSD_S10_SD_EESH_SX_SI_SJ_SK_EUlSX_E1_NS1_11comp_targetILNS1_3genE8ELNS1_11target_archE1030ELNS1_3gpuE2ELNS1_3repE0EEENS1_36merge_oddeven_config_static_selectorELNS0_4arch9wavefront6targetE0EEEvSJ_,"axG",@progbits,_ZN7rocprim17ROCPRIM_400000_NS6detail17trampoline_kernelINS0_14default_configENS1_38merge_sort_block_merge_config_selectorIiiEEZZNS1_27merge_sort_block_merge_implIS3_N6thrust23THRUST_200600_302600_NS6detail15normal_iteratorINS8_10device_ptrIiEEEESD_jNS1_19radix_merge_compareILb0ELb0EiNS0_19identity_decomposerEEEEE10hipError_tT0_T1_T2_jT3_P12ihipStream_tbPNSt15iterator_traitsISI_E10value_typeEPNSO_ISJ_E10value_typeEPSK_NS1_7vsmem_tEENKUlT_SI_SJ_SK_E_clIPiSD_S10_SD_EESH_SX_SI_SJ_SK_EUlSX_E1_NS1_11comp_targetILNS1_3genE8ELNS1_11target_archE1030ELNS1_3gpuE2ELNS1_3repE0EEENS1_36merge_oddeven_config_static_selectorELNS0_4arch9wavefront6targetE0EEEvSJ_,comdat
.Lfunc_end731:
	.size	_ZN7rocprim17ROCPRIM_400000_NS6detail17trampoline_kernelINS0_14default_configENS1_38merge_sort_block_merge_config_selectorIiiEEZZNS1_27merge_sort_block_merge_implIS3_N6thrust23THRUST_200600_302600_NS6detail15normal_iteratorINS8_10device_ptrIiEEEESD_jNS1_19radix_merge_compareILb0ELb0EiNS0_19identity_decomposerEEEEE10hipError_tT0_T1_T2_jT3_P12ihipStream_tbPNSt15iterator_traitsISI_E10value_typeEPNSO_ISJ_E10value_typeEPSK_NS1_7vsmem_tEENKUlT_SI_SJ_SK_E_clIPiSD_S10_SD_EESH_SX_SI_SJ_SK_EUlSX_E1_NS1_11comp_targetILNS1_3genE8ELNS1_11target_archE1030ELNS1_3gpuE2ELNS1_3repE0EEENS1_36merge_oddeven_config_static_selectorELNS0_4arch9wavefront6targetE0EEEvSJ_, .Lfunc_end731-_ZN7rocprim17ROCPRIM_400000_NS6detail17trampoline_kernelINS0_14default_configENS1_38merge_sort_block_merge_config_selectorIiiEEZZNS1_27merge_sort_block_merge_implIS3_N6thrust23THRUST_200600_302600_NS6detail15normal_iteratorINS8_10device_ptrIiEEEESD_jNS1_19radix_merge_compareILb0ELb0EiNS0_19identity_decomposerEEEEE10hipError_tT0_T1_T2_jT3_P12ihipStream_tbPNSt15iterator_traitsISI_E10value_typeEPNSO_ISJ_E10value_typeEPSK_NS1_7vsmem_tEENKUlT_SI_SJ_SK_E_clIPiSD_S10_SD_EESH_SX_SI_SJ_SK_EUlSX_E1_NS1_11comp_targetILNS1_3genE8ELNS1_11target_archE1030ELNS1_3gpuE2ELNS1_3repE0EEENS1_36merge_oddeven_config_static_selectorELNS0_4arch9wavefront6targetE0EEEvSJ_
                                        ; -- End function
	.set _ZN7rocprim17ROCPRIM_400000_NS6detail17trampoline_kernelINS0_14default_configENS1_38merge_sort_block_merge_config_selectorIiiEEZZNS1_27merge_sort_block_merge_implIS3_N6thrust23THRUST_200600_302600_NS6detail15normal_iteratorINS8_10device_ptrIiEEEESD_jNS1_19radix_merge_compareILb0ELb0EiNS0_19identity_decomposerEEEEE10hipError_tT0_T1_T2_jT3_P12ihipStream_tbPNSt15iterator_traitsISI_E10value_typeEPNSO_ISJ_E10value_typeEPSK_NS1_7vsmem_tEENKUlT_SI_SJ_SK_E_clIPiSD_S10_SD_EESH_SX_SI_SJ_SK_EUlSX_E1_NS1_11comp_targetILNS1_3genE8ELNS1_11target_archE1030ELNS1_3gpuE2ELNS1_3repE0EEENS1_36merge_oddeven_config_static_selectorELNS0_4arch9wavefront6targetE0EEEvSJ_.num_vgpr, 9
	.set _ZN7rocprim17ROCPRIM_400000_NS6detail17trampoline_kernelINS0_14default_configENS1_38merge_sort_block_merge_config_selectorIiiEEZZNS1_27merge_sort_block_merge_implIS3_N6thrust23THRUST_200600_302600_NS6detail15normal_iteratorINS8_10device_ptrIiEEEESD_jNS1_19radix_merge_compareILb0ELb0EiNS0_19identity_decomposerEEEEE10hipError_tT0_T1_T2_jT3_P12ihipStream_tbPNSt15iterator_traitsISI_E10value_typeEPNSO_ISJ_E10value_typeEPSK_NS1_7vsmem_tEENKUlT_SI_SJ_SK_E_clIPiSD_S10_SD_EESH_SX_SI_SJ_SK_EUlSX_E1_NS1_11comp_targetILNS1_3genE8ELNS1_11target_archE1030ELNS1_3gpuE2ELNS1_3repE0EEENS1_36merge_oddeven_config_static_selectorELNS0_4arch9wavefront6targetE0EEEvSJ_.num_agpr, 0
	.set _ZN7rocprim17ROCPRIM_400000_NS6detail17trampoline_kernelINS0_14default_configENS1_38merge_sort_block_merge_config_selectorIiiEEZZNS1_27merge_sort_block_merge_implIS3_N6thrust23THRUST_200600_302600_NS6detail15normal_iteratorINS8_10device_ptrIiEEEESD_jNS1_19radix_merge_compareILb0ELb0EiNS0_19identity_decomposerEEEEE10hipError_tT0_T1_T2_jT3_P12ihipStream_tbPNSt15iterator_traitsISI_E10value_typeEPNSO_ISJ_E10value_typeEPSK_NS1_7vsmem_tEENKUlT_SI_SJ_SK_E_clIPiSD_S10_SD_EESH_SX_SI_SJ_SK_EUlSX_E1_NS1_11comp_targetILNS1_3genE8ELNS1_11target_archE1030ELNS1_3gpuE2ELNS1_3repE0EEENS1_36merge_oddeven_config_static_selectorELNS0_4arch9wavefront6targetE0EEEvSJ_.numbered_sgpr, 22
	.set _ZN7rocprim17ROCPRIM_400000_NS6detail17trampoline_kernelINS0_14default_configENS1_38merge_sort_block_merge_config_selectorIiiEEZZNS1_27merge_sort_block_merge_implIS3_N6thrust23THRUST_200600_302600_NS6detail15normal_iteratorINS8_10device_ptrIiEEEESD_jNS1_19radix_merge_compareILb0ELb0EiNS0_19identity_decomposerEEEEE10hipError_tT0_T1_T2_jT3_P12ihipStream_tbPNSt15iterator_traitsISI_E10value_typeEPNSO_ISJ_E10value_typeEPSK_NS1_7vsmem_tEENKUlT_SI_SJ_SK_E_clIPiSD_S10_SD_EESH_SX_SI_SJ_SK_EUlSX_E1_NS1_11comp_targetILNS1_3genE8ELNS1_11target_archE1030ELNS1_3gpuE2ELNS1_3repE0EEENS1_36merge_oddeven_config_static_selectorELNS0_4arch9wavefront6targetE0EEEvSJ_.num_named_barrier, 0
	.set _ZN7rocprim17ROCPRIM_400000_NS6detail17trampoline_kernelINS0_14default_configENS1_38merge_sort_block_merge_config_selectorIiiEEZZNS1_27merge_sort_block_merge_implIS3_N6thrust23THRUST_200600_302600_NS6detail15normal_iteratorINS8_10device_ptrIiEEEESD_jNS1_19radix_merge_compareILb0ELb0EiNS0_19identity_decomposerEEEEE10hipError_tT0_T1_T2_jT3_P12ihipStream_tbPNSt15iterator_traitsISI_E10value_typeEPNSO_ISJ_E10value_typeEPSK_NS1_7vsmem_tEENKUlT_SI_SJ_SK_E_clIPiSD_S10_SD_EESH_SX_SI_SJ_SK_EUlSX_E1_NS1_11comp_targetILNS1_3genE8ELNS1_11target_archE1030ELNS1_3gpuE2ELNS1_3repE0EEENS1_36merge_oddeven_config_static_selectorELNS0_4arch9wavefront6targetE0EEEvSJ_.private_seg_size, 0
	.set _ZN7rocprim17ROCPRIM_400000_NS6detail17trampoline_kernelINS0_14default_configENS1_38merge_sort_block_merge_config_selectorIiiEEZZNS1_27merge_sort_block_merge_implIS3_N6thrust23THRUST_200600_302600_NS6detail15normal_iteratorINS8_10device_ptrIiEEEESD_jNS1_19radix_merge_compareILb0ELb0EiNS0_19identity_decomposerEEEEE10hipError_tT0_T1_T2_jT3_P12ihipStream_tbPNSt15iterator_traitsISI_E10value_typeEPNSO_ISJ_E10value_typeEPSK_NS1_7vsmem_tEENKUlT_SI_SJ_SK_E_clIPiSD_S10_SD_EESH_SX_SI_SJ_SK_EUlSX_E1_NS1_11comp_targetILNS1_3genE8ELNS1_11target_archE1030ELNS1_3gpuE2ELNS1_3repE0EEENS1_36merge_oddeven_config_static_selectorELNS0_4arch9wavefront6targetE0EEEvSJ_.uses_vcc, 1
	.set _ZN7rocprim17ROCPRIM_400000_NS6detail17trampoline_kernelINS0_14default_configENS1_38merge_sort_block_merge_config_selectorIiiEEZZNS1_27merge_sort_block_merge_implIS3_N6thrust23THRUST_200600_302600_NS6detail15normal_iteratorINS8_10device_ptrIiEEEESD_jNS1_19radix_merge_compareILb0ELb0EiNS0_19identity_decomposerEEEEE10hipError_tT0_T1_T2_jT3_P12ihipStream_tbPNSt15iterator_traitsISI_E10value_typeEPNSO_ISJ_E10value_typeEPSK_NS1_7vsmem_tEENKUlT_SI_SJ_SK_E_clIPiSD_S10_SD_EESH_SX_SI_SJ_SK_EUlSX_E1_NS1_11comp_targetILNS1_3genE8ELNS1_11target_archE1030ELNS1_3gpuE2ELNS1_3repE0EEENS1_36merge_oddeven_config_static_selectorELNS0_4arch9wavefront6targetE0EEEvSJ_.uses_flat_scratch, 0
	.set _ZN7rocprim17ROCPRIM_400000_NS6detail17trampoline_kernelINS0_14default_configENS1_38merge_sort_block_merge_config_selectorIiiEEZZNS1_27merge_sort_block_merge_implIS3_N6thrust23THRUST_200600_302600_NS6detail15normal_iteratorINS8_10device_ptrIiEEEESD_jNS1_19radix_merge_compareILb0ELb0EiNS0_19identity_decomposerEEEEE10hipError_tT0_T1_T2_jT3_P12ihipStream_tbPNSt15iterator_traitsISI_E10value_typeEPNSO_ISJ_E10value_typeEPSK_NS1_7vsmem_tEENKUlT_SI_SJ_SK_E_clIPiSD_S10_SD_EESH_SX_SI_SJ_SK_EUlSX_E1_NS1_11comp_targetILNS1_3genE8ELNS1_11target_archE1030ELNS1_3gpuE2ELNS1_3repE0EEENS1_36merge_oddeven_config_static_selectorELNS0_4arch9wavefront6targetE0EEEvSJ_.has_dyn_sized_stack, 0
	.set _ZN7rocprim17ROCPRIM_400000_NS6detail17trampoline_kernelINS0_14default_configENS1_38merge_sort_block_merge_config_selectorIiiEEZZNS1_27merge_sort_block_merge_implIS3_N6thrust23THRUST_200600_302600_NS6detail15normal_iteratorINS8_10device_ptrIiEEEESD_jNS1_19radix_merge_compareILb0ELb0EiNS0_19identity_decomposerEEEEE10hipError_tT0_T1_T2_jT3_P12ihipStream_tbPNSt15iterator_traitsISI_E10value_typeEPNSO_ISJ_E10value_typeEPSK_NS1_7vsmem_tEENKUlT_SI_SJ_SK_E_clIPiSD_S10_SD_EESH_SX_SI_SJ_SK_EUlSX_E1_NS1_11comp_targetILNS1_3genE8ELNS1_11target_archE1030ELNS1_3gpuE2ELNS1_3repE0EEENS1_36merge_oddeven_config_static_selectorELNS0_4arch9wavefront6targetE0EEEvSJ_.has_recursion, 0
	.set _ZN7rocprim17ROCPRIM_400000_NS6detail17trampoline_kernelINS0_14default_configENS1_38merge_sort_block_merge_config_selectorIiiEEZZNS1_27merge_sort_block_merge_implIS3_N6thrust23THRUST_200600_302600_NS6detail15normal_iteratorINS8_10device_ptrIiEEEESD_jNS1_19radix_merge_compareILb0ELb0EiNS0_19identity_decomposerEEEEE10hipError_tT0_T1_T2_jT3_P12ihipStream_tbPNSt15iterator_traitsISI_E10value_typeEPNSO_ISJ_E10value_typeEPSK_NS1_7vsmem_tEENKUlT_SI_SJ_SK_E_clIPiSD_S10_SD_EESH_SX_SI_SJ_SK_EUlSX_E1_NS1_11comp_targetILNS1_3genE8ELNS1_11target_archE1030ELNS1_3gpuE2ELNS1_3repE0EEENS1_36merge_oddeven_config_static_selectorELNS0_4arch9wavefront6targetE0EEEvSJ_.has_indirect_call, 0
	.section	.AMDGPU.csdata,"",@progbits
; Kernel info:
; codeLenInByte = 892
; TotalNumSgprs: 24
; NumVgprs: 9
; ScratchSize: 0
; MemoryBound: 0
; FloatMode: 240
; IeeeMode: 1
; LDSByteSize: 0 bytes/workgroup (compile time only)
; SGPRBlocks: 0
; VGPRBlocks: 1
; NumSGPRsForWavesPerEU: 24
; NumVGPRsForWavesPerEU: 9
; Occupancy: 16
; WaveLimiterHint : 0
; COMPUTE_PGM_RSRC2:SCRATCH_EN: 0
; COMPUTE_PGM_RSRC2:USER_SGPR: 6
; COMPUTE_PGM_RSRC2:TRAP_HANDLER: 0
; COMPUTE_PGM_RSRC2:TGID_X_EN: 1
; COMPUTE_PGM_RSRC2:TGID_Y_EN: 0
; COMPUTE_PGM_RSRC2:TGID_Z_EN: 0
; COMPUTE_PGM_RSRC2:TIDIG_COMP_CNT: 0
	.section	.text._ZN7rocprim17ROCPRIM_400000_NS6detail17trampoline_kernelINS0_14default_configENS1_38merge_sort_block_merge_config_selectorIiiEEZZNS1_27merge_sort_block_merge_implIS3_N6thrust23THRUST_200600_302600_NS6detail15normal_iteratorINS8_10device_ptrIiEEEESD_jNS1_19radix_merge_compareILb0ELb0EiNS0_19identity_decomposerEEEEE10hipError_tT0_T1_T2_jT3_P12ihipStream_tbPNSt15iterator_traitsISI_E10value_typeEPNSO_ISJ_E10value_typeEPSK_NS1_7vsmem_tEENKUlT_SI_SJ_SK_E_clISD_PiSD_S10_EESH_SX_SI_SJ_SK_EUlSX_E_NS1_11comp_targetILNS1_3genE0ELNS1_11target_archE4294967295ELNS1_3gpuE0ELNS1_3repE0EEENS1_48merge_mergepath_partition_config_static_selectorELNS0_4arch9wavefront6targetE0EEEvSJ_,"axG",@progbits,_ZN7rocprim17ROCPRIM_400000_NS6detail17trampoline_kernelINS0_14default_configENS1_38merge_sort_block_merge_config_selectorIiiEEZZNS1_27merge_sort_block_merge_implIS3_N6thrust23THRUST_200600_302600_NS6detail15normal_iteratorINS8_10device_ptrIiEEEESD_jNS1_19radix_merge_compareILb0ELb0EiNS0_19identity_decomposerEEEEE10hipError_tT0_T1_T2_jT3_P12ihipStream_tbPNSt15iterator_traitsISI_E10value_typeEPNSO_ISJ_E10value_typeEPSK_NS1_7vsmem_tEENKUlT_SI_SJ_SK_E_clISD_PiSD_S10_EESH_SX_SI_SJ_SK_EUlSX_E_NS1_11comp_targetILNS1_3genE0ELNS1_11target_archE4294967295ELNS1_3gpuE0ELNS1_3repE0EEENS1_48merge_mergepath_partition_config_static_selectorELNS0_4arch9wavefront6targetE0EEEvSJ_,comdat
	.protected	_ZN7rocprim17ROCPRIM_400000_NS6detail17trampoline_kernelINS0_14default_configENS1_38merge_sort_block_merge_config_selectorIiiEEZZNS1_27merge_sort_block_merge_implIS3_N6thrust23THRUST_200600_302600_NS6detail15normal_iteratorINS8_10device_ptrIiEEEESD_jNS1_19radix_merge_compareILb0ELb0EiNS0_19identity_decomposerEEEEE10hipError_tT0_T1_T2_jT3_P12ihipStream_tbPNSt15iterator_traitsISI_E10value_typeEPNSO_ISJ_E10value_typeEPSK_NS1_7vsmem_tEENKUlT_SI_SJ_SK_E_clISD_PiSD_S10_EESH_SX_SI_SJ_SK_EUlSX_E_NS1_11comp_targetILNS1_3genE0ELNS1_11target_archE4294967295ELNS1_3gpuE0ELNS1_3repE0EEENS1_48merge_mergepath_partition_config_static_selectorELNS0_4arch9wavefront6targetE0EEEvSJ_ ; -- Begin function _ZN7rocprim17ROCPRIM_400000_NS6detail17trampoline_kernelINS0_14default_configENS1_38merge_sort_block_merge_config_selectorIiiEEZZNS1_27merge_sort_block_merge_implIS3_N6thrust23THRUST_200600_302600_NS6detail15normal_iteratorINS8_10device_ptrIiEEEESD_jNS1_19radix_merge_compareILb0ELb0EiNS0_19identity_decomposerEEEEE10hipError_tT0_T1_T2_jT3_P12ihipStream_tbPNSt15iterator_traitsISI_E10value_typeEPNSO_ISJ_E10value_typeEPSK_NS1_7vsmem_tEENKUlT_SI_SJ_SK_E_clISD_PiSD_S10_EESH_SX_SI_SJ_SK_EUlSX_E_NS1_11comp_targetILNS1_3genE0ELNS1_11target_archE4294967295ELNS1_3gpuE0ELNS1_3repE0EEENS1_48merge_mergepath_partition_config_static_selectorELNS0_4arch9wavefront6targetE0EEEvSJ_
	.globl	_ZN7rocprim17ROCPRIM_400000_NS6detail17trampoline_kernelINS0_14default_configENS1_38merge_sort_block_merge_config_selectorIiiEEZZNS1_27merge_sort_block_merge_implIS3_N6thrust23THRUST_200600_302600_NS6detail15normal_iteratorINS8_10device_ptrIiEEEESD_jNS1_19radix_merge_compareILb0ELb0EiNS0_19identity_decomposerEEEEE10hipError_tT0_T1_T2_jT3_P12ihipStream_tbPNSt15iterator_traitsISI_E10value_typeEPNSO_ISJ_E10value_typeEPSK_NS1_7vsmem_tEENKUlT_SI_SJ_SK_E_clISD_PiSD_S10_EESH_SX_SI_SJ_SK_EUlSX_E_NS1_11comp_targetILNS1_3genE0ELNS1_11target_archE4294967295ELNS1_3gpuE0ELNS1_3repE0EEENS1_48merge_mergepath_partition_config_static_selectorELNS0_4arch9wavefront6targetE0EEEvSJ_
	.p2align	8
	.type	_ZN7rocprim17ROCPRIM_400000_NS6detail17trampoline_kernelINS0_14default_configENS1_38merge_sort_block_merge_config_selectorIiiEEZZNS1_27merge_sort_block_merge_implIS3_N6thrust23THRUST_200600_302600_NS6detail15normal_iteratorINS8_10device_ptrIiEEEESD_jNS1_19radix_merge_compareILb0ELb0EiNS0_19identity_decomposerEEEEE10hipError_tT0_T1_T2_jT3_P12ihipStream_tbPNSt15iterator_traitsISI_E10value_typeEPNSO_ISJ_E10value_typeEPSK_NS1_7vsmem_tEENKUlT_SI_SJ_SK_E_clISD_PiSD_S10_EESH_SX_SI_SJ_SK_EUlSX_E_NS1_11comp_targetILNS1_3genE0ELNS1_11target_archE4294967295ELNS1_3gpuE0ELNS1_3repE0EEENS1_48merge_mergepath_partition_config_static_selectorELNS0_4arch9wavefront6targetE0EEEvSJ_,@function
_ZN7rocprim17ROCPRIM_400000_NS6detail17trampoline_kernelINS0_14default_configENS1_38merge_sort_block_merge_config_selectorIiiEEZZNS1_27merge_sort_block_merge_implIS3_N6thrust23THRUST_200600_302600_NS6detail15normal_iteratorINS8_10device_ptrIiEEEESD_jNS1_19radix_merge_compareILb0ELb0EiNS0_19identity_decomposerEEEEE10hipError_tT0_T1_T2_jT3_P12ihipStream_tbPNSt15iterator_traitsISI_E10value_typeEPNSO_ISJ_E10value_typeEPSK_NS1_7vsmem_tEENKUlT_SI_SJ_SK_E_clISD_PiSD_S10_EESH_SX_SI_SJ_SK_EUlSX_E_NS1_11comp_targetILNS1_3genE0ELNS1_11target_archE4294967295ELNS1_3gpuE0ELNS1_3repE0EEENS1_48merge_mergepath_partition_config_static_selectorELNS0_4arch9wavefront6targetE0EEEvSJ_: ; @_ZN7rocprim17ROCPRIM_400000_NS6detail17trampoline_kernelINS0_14default_configENS1_38merge_sort_block_merge_config_selectorIiiEEZZNS1_27merge_sort_block_merge_implIS3_N6thrust23THRUST_200600_302600_NS6detail15normal_iteratorINS8_10device_ptrIiEEEESD_jNS1_19radix_merge_compareILb0ELb0EiNS0_19identity_decomposerEEEEE10hipError_tT0_T1_T2_jT3_P12ihipStream_tbPNSt15iterator_traitsISI_E10value_typeEPNSO_ISJ_E10value_typeEPSK_NS1_7vsmem_tEENKUlT_SI_SJ_SK_E_clISD_PiSD_S10_EESH_SX_SI_SJ_SK_EUlSX_E_NS1_11comp_targetILNS1_3genE0ELNS1_11target_archE4294967295ELNS1_3gpuE0ELNS1_3repE0EEENS1_48merge_mergepath_partition_config_static_selectorELNS0_4arch9wavefront6targetE0EEEvSJ_
; %bb.0:
	.section	.rodata,"a",@progbits
	.p2align	6, 0x0
	.amdhsa_kernel _ZN7rocprim17ROCPRIM_400000_NS6detail17trampoline_kernelINS0_14default_configENS1_38merge_sort_block_merge_config_selectorIiiEEZZNS1_27merge_sort_block_merge_implIS3_N6thrust23THRUST_200600_302600_NS6detail15normal_iteratorINS8_10device_ptrIiEEEESD_jNS1_19radix_merge_compareILb0ELb0EiNS0_19identity_decomposerEEEEE10hipError_tT0_T1_T2_jT3_P12ihipStream_tbPNSt15iterator_traitsISI_E10value_typeEPNSO_ISJ_E10value_typeEPSK_NS1_7vsmem_tEENKUlT_SI_SJ_SK_E_clISD_PiSD_S10_EESH_SX_SI_SJ_SK_EUlSX_E_NS1_11comp_targetILNS1_3genE0ELNS1_11target_archE4294967295ELNS1_3gpuE0ELNS1_3repE0EEENS1_48merge_mergepath_partition_config_static_selectorELNS0_4arch9wavefront6targetE0EEEvSJ_
		.amdhsa_group_segment_fixed_size 0
		.amdhsa_private_segment_fixed_size 0
		.amdhsa_kernarg_size 40
		.amdhsa_user_sgpr_count 6
		.amdhsa_user_sgpr_private_segment_buffer 1
		.amdhsa_user_sgpr_dispatch_ptr 0
		.amdhsa_user_sgpr_queue_ptr 0
		.amdhsa_user_sgpr_kernarg_segment_ptr 1
		.amdhsa_user_sgpr_dispatch_id 0
		.amdhsa_user_sgpr_flat_scratch_init 0
		.amdhsa_user_sgpr_private_segment_size 0
		.amdhsa_wavefront_size32 1
		.amdhsa_uses_dynamic_stack 0
		.amdhsa_system_sgpr_private_segment_wavefront_offset 0
		.amdhsa_system_sgpr_workgroup_id_x 1
		.amdhsa_system_sgpr_workgroup_id_y 0
		.amdhsa_system_sgpr_workgroup_id_z 0
		.amdhsa_system_sgpr_workgroup_info 0
		.amdhsa_system_vgpr_workitem_id 0
		.amdhsa_next_free_vgpr 1
		.amdhsa_next_free_sgpr 1
		.amdhsa_reserve_vcc 0
		.amdhsa_reserve_flat_scratch 0
		.amdhsa_float_round_mode_32 0
		.amdhsa_float_round_mode_16_64 0
		.amdhsa_float_denorm_mode_32 3
		.amdhsa_float_denorm_mode_16_64 3
		.amdhsa_dx10_clamp 1
		.amdhsa_ieee_mode 1
		.amdhsa_fp16_overflow 0
		.amdhsa_workgroup_processor_mode 1
		.amdhsa_memory_ordered 1
		.amdhsa_forward_progress 1
		.amdhsa_shared_vgpr_count 0
		.amdhsa_exception_fp_ieee_invalid_op 0
		.amdhsa_exception_fp_denorm_src 0
		.amdhsa_exception_fp_ieee_div_zero 0
		.amdhsa_exception_fp_ieee_overflow 0
		.amdhsa_exception_fp_ieee_underflow 0
		.amdhsa_exception_fp_ieee_inexact 0
		.amdhsa_exception_int_div_zero 0
	.end_amdhsa_kernel
	.section	.text._ZN7rocprim17ROCPRIM_400000_NS6detail17trampoline_kernelINS0_14default_configENS1_38merge_sort_block_merge_config_selectorIiiEEZZNS1_27merge_sort_block_merge_implIS3_N6thrust23THRUST_200600_302600_NS6detail15normal_iteratorINS8_10device_ptrIiEEEESD_jNS1_19radix_merge_compareILb0ELb0EiNS0_19identity_decomposerEEEEE10hipError_tT0_T1_T2_jT3_P12ihipStream_tbPNSt15iterator_traitsISI_E10value_typeEPNSO_ISJ_E10value_typeEPSK_NS1_7vsmem_tEENKUlT_SI_SJ_SK_E_clISD_PiSD_S10_EESH_SX_SI_SJ_SK_EUlSX_E_NS1_11comp_targetILNS1_3genE0ELNS1_11target_archE4294967295ELNS1_3gpuE0ELNS1_3repE0EEENS1_48merge_mergepath_partition_config_static_selectorELNS0_4arch9wavefront6targetE0EEEvSJ_,"axG",@progbits,_ZN7rocprim17ROCPRIM_400000_NS6detail17trampoline_kernelINS0_14default_configENS1_38merge_sort_block_merge_config_selectorIiiEEZZNS1_27merge_sort_block_merge_implIS3_N6thrust23THRUST_200600_302600_NS6detail15normal_iteratorINS8_10device_ptrIiEEEESD_jNS1_19radix_merge_compareILb0ELb0EiNS0_19identity_decomposerEEEEE10hipError_tT0_T1_T2_jT3_P12ihipStream_tbPNSt15iterator_traitsISI_E10value_typeEPNSO_ISJ_E10value_typeEPSK_NS1_7vsmem_tEENKUlT_SI_SJ_SK_E_clISD_PiSD_S10_EESH_SX_SI_SJ_SK_EUlSX_E_NS1_11comp_targetILNS1_3genE0ELNS1_11target_archE4294967295ELNS1_3gpuE0ELNS1_3repE0EEENS1_48merge_mergepath_partition_config_static_selectorELNS0_4arch9wavefront6targetE0EEEvSJ_,comdat
.Lfunc_end732:
	.size	_ZN7rocprim17ROCPRIM_400000_NS6detail17trampoline_kernelINS0_14default_configENS1_38merge_sort_block_merge_config_selectorIiiEEZZNS1_27merge_sort_block_merge_implIS3_N6thrust23THRUST_200600_302600_NS6detail15normal_iteratorINS8_10device_ptrIiEEEESD_jNS1_19radix_merge_compareILb0ELb0EiNS0_19identity_decomposerEEEEE10hipError_tT0_T1_T2_jT3_P12ihipStream_tbPNSt15iterator_traitsISI_E10value_typeEPNSO_ISJ_E10value_typeEPSK_NS1_7vsmem_tEENKUlT_SI_SJ_SK_E_clISD_PiSD_S10_EESH_SX_SI_SJ_SK_EUlSX_E_NS1_11comp_targetILNS1_3genE0ELNS1_11target_archE4294967295ELNS1_3gpuE0ELNS1_3repE0EEENS1_48merge_mergepath_partition_config_static_selectorELNS0_4arch9wavefront6targetE0EEEvSJ_, .Lfunc_end732-_ZN7rocprim17ROCPRIM_400000_NS6detail17trampoline_kernelINS0_14default_configENS1_38merge_sort_block_merge_config_selectorIiiEEZZNS1_27merge_sort_block_merge_implIS3_N6thrust23THRUST_200600_302600_NS6detail15normal_iteratorINS8_10device_ptrIiEEEESD_jNS1_19radix_merge_compareILb0ELb0EiNS0_19identity_decomposerEEEEE10hipError_tT0_T1_T2_jT3_P12ihipStream_tbPNSt15iterator_traitsISI_E10value_typeEPNSO_ISJ_E10value_typeEPSK_NS1_7vsmem_tEENKUlT_SI_SJ_SK_E_clISD_PiSD_S10_EESH_SX_SI_SJ_SK_EUlSX_E_NS1_11comp_targetILNS1_3genE0ELNS1_11target_archE4294967295ELNS1_3gpuE0ELNS1_3repE0EEENS1_48merge_mergepath_partition_config_static_selectorELNS0_4arch9wavefront6targetE0EEEvSJ_
                                        ; -- End function
	.set _ZN7rocprim17ROCPRIM_400000_NS6detail17trampoline_kernelINS0_14default_configENS1_38merge_sort_block_merge_config_selectorIiiEEZZNS1_27merge_sort_block_merge_implIS3_N6thrust23THRUST_200600_302600_NS6detail15normal_iteratorINS8_10device_ptrIiEEEESD_jNS1_19radix_merge_compareILb0ELb0EiNS0_19identity_decomposerEEEEE10hipError_tT0_T1_T2_jT3_P12ihipStream_tbPNSt15iterator_traitsISI_E10value_typeEPNSO_ISJ_E10value_typeEPSK_NS1_7vsmem_tEENKUlT_SI_SJ_SK_E_clISD_PiSD_S10_EESH_SX_SI_SJ_SK_EUlSX_E_NS1_11comp_targetILNS1_3genE0ELNS1_11target_archE4294967295ELNS1_3gpuE0ELNS1_3repE0EEENS1_48merge_mergepath_partition_config_static_selectorELNS0_4arch9wavefront6targetE0EEEvSJ_.num_vgpr, 0
	.set _ZN7rocprim17ROCPRIM_400000_NS6detail17trampoline_kernelINS0_14default_configENS1_38merge_sort_block_merge_config_selectorIiiEEZZNS1_27merge_sort_block_merge_implIS3_N6thrust23THRUST_200600_302600_NS6detail15normal_iteratorINS8_10device_ptrIiEEEESD_jNS1_19radix_merge_compareILb0ELb0EiNS0_19identity_decomposerEEEEE10hipError_tT0_T1_T2_jT3_P12ihipStream_tbPNSt15iterator_traitsISI_E10value_typeEPNSO_ISJ_E10value_typeEPSK_NS1_7vsmem_tEENKUlT_SI_SJ_SK_E_clISD_PiSD_S10_EESH_SX_SI_SJ_SK_EUlSX_E_NS1_11comp_targetILNS1_3genE0ELNS1_11target_archE4294967295ELNS1_3gpuE0ELNS1_3repE0EEENS1_48merge_mergepath_partition_config_static_selectorELNS0_4arch9wavefront6targetE0EEEvSJ_.num_agpr, 0
	.set _ZN7rocprim17ROCPRIM_400000_NS6detail17trampoline_kernelINS0_14default_configENS1_38merge_sort_block_merge_config_selectorIiiEEZZNS1_27merge_sort_block_merge_implIS3_N6thrust23THRUST_200600_302600_NS6detail15normal_iteratorINS8_10device_ptrIiEEEESD_jNS1_19radix_merge_compareILb0ELb0EiNS0_19identity_decomposerEEEEE10hipError_tT0_T1_T2_jT3_P12ihipStream_tbPNSt15iterator_traitsISI_E10value_typeEPNSO_ISJ_E10value_typeEPSK_NS1_7vsmem_tEENKUlT_SI_SJ_SK_E_clISD_PiSD_S10_EESH_SX_SI_SJ_SK_EUlSX_E_NS1_11comp_targetILNS1_3genE0ELNS1_11target_archE4294967295ELNS1_3gpuE0ELNS1_3repE0EEENS1_48merge_mergepath_partition_config_static_selectorELNS0_4arch9wavefront6targetE0EEEvSJ_.numbered_sgpr, 0
	.set _ZN7rocprim17ROCPRIM_400000_NS6detail17trampoline_kernelINS0_14default_configENS1_38merge_sort_block_merge_config_selectorIiiEEZZNS1_27merge_sort_block_merge_implIS3_N6thrust23THRUST_200600_302600_NS6detail15normal_iteratorINS8_10device_ptrIiEEEESD_jNS1_19radix_merge_compareILb0ELb0EiNS0_19identity_decomposerEEEEE10hipError_tT0_T1_T2_jT3_P12ihipStream_tbPNSt15iterator_traitsISI_E10value_typeEPNSO_ISJ_E10value_typeEPSK_NS1_7vsmem_tEENKUlT_SI_SJ_SK_E_clISD_PiSD_S10_EESH_SX_SI_SJ_SK_EUlSX_E_NS1_11comp_targetILNS1_3genE0ELNS1_11target_archE4294967295ELNS1_3gpuE0ELNS1_3repE0EEENS1_48merge_mergepath_partition_config_static_selectorELNS0_4arch9wavefront6targetE0EEEvSJ_.num_named_barrier, 0
	.set _ZN7rocprim17ROCPRIM_400000_NS6detail17trampoline_kernelINS0_14default_configENS1_38merge_sort_block_merge_config_selectorIiiEEZZNS1_27merge_sort_block_merge_implIS3_N6thrust23THRUST_200600_302600_NS6detail15normal_iteratorINS8_10device_ptrIiEEEESD_jNS1_19radix_merge_compareILb0ELb0EiNS0_19identity_decomposerEEEEE10hipError_tT0_T1_T2_jT3_P12ihipStream_tbPNSt15iterator_traitsISI_E10value_typeEPNSO_ISJ_E10value_typeEPSK_NS1_7vsmem_tEENKUlT_SI_SJ_SK_E_clISD_PiSD_S10_EESH_SX_SI_SJ_SK_EUlSX_E_NS1_11comp_targetILNS1_3genE0ELNS1_11target_archE4294967295ELNS1_3gpuE0ELNS1_3repE0EEENS1_48merge_mergepath_partition_config_static_selectorELNS0_4arch9wavefront6targetE0EEEvSJ_.private_seg_size, 0
	.set _ZN7rocprim17ROCPRIM_400000_NS6detail17trampoline_kernelINS0_14default_configENS1_38merge_sort_block_merge_config_selectorIiiEEZZNS1_27merge_sort_block_merge_implIS3_N6thrust23THRUST_200600_302600_NS6detail15normal_iteratorINS8_10device_ptrIiEEEESD_jNS1_19radix_merge_compareILb0ELb0EiNS0_19identity_decomposerEEEEE10hipError_tT0_T1_T2_jT3_P12ihipStream_tbPNSt15iterator_traitsISI_E10value_typeEPNSO_ISJ_E10value_typeEPSK_NS1_7vsmem_tEENKUlT_SI_SJ_SK_E_clISD_PiSD_S10_EESH_SX_SI_SJ_SK_EUlSX_E_NS1_11comp_targetILNS1_3genE0ELNS1_11target_archE4294967295ELNS1_3gpuE0ELNS1_3repE0EEENS1_48merge_mergepath_partition_config_static_selectorELNS0_4arch9wavefront6targetE0EEEvSJ_.uses_vcc, 0
	.set _ZN7rocprim17ROCPRIM_400000_NS6detail17trampoline_kernelINS0_14default_configENS1_38merge_sort_block_merge_config_selectorIiiEEZZNS1_27merge_sort_block_merge_implIS3_N6thrust23THRUST_200600_302600_NS6detail15normal_iteratorINS8_10device_ptrIiEEEESD_jNS1_19radix_merge_compareILb0ELb0EiNS0_19identity_decomposerEEEEE10hipError_tT0_T1_T2_jT3_P12ihipStream_tbPNSt15iterator_traitsISI_E10value_typeEPNSO_ISJ_E10value_typeEPSK_NS1_7vsmem_tEENKUlT_SI_SJ_SK_E_clISD_PiSD_S10_EESH_SX_SI_SJ_SK_EUlSX_E_NS1_11comp_targetILNS1_3genE0ELNS1_11target_archE4294967295ELNS1_3gpuE0ELNS1_3repE0EEENS1_48merge_mergepath_partition_config_static_selectorELNS0_4arch9wavefront6targetE0EEEvSJ_.uses_flat_scratch, 0
	.set _ZN7rocprim17ROCPRIM_400000_NS6detail17trampoline_kernelINS0_14default_configENS1_38merge_sort_block_merge_config_selectorIiiEEZZNS1_27merge_sort_block_merge_implIS3_N6thrust23THRUST_200600_302600_NS6detail15normal_iteratorINS8_10device_ptrIiEEEESD_jNS1_19radix_merge_compareILb0ELb0EiNS0_19identity_decomposerEEEEE10hipError_tT0_T1_T2_jT3_P12ihipStream_tbPNSt15iterator_traitsISI_E10value_typeEPNSO_ISJ_E10value_typeEPSK_NS1_7vsmem_tEENKUlT_SI_SJ_SK_E_clISD_PiSD_S10_EESH_SX_SI_SJ_SK_EUlSX_E_NS1_11comp_targetILNS1_3genE0ELNS1_11target_archE4294967295ELNS1_3gpuE0ELNS1_3repE0EEENS1_48merge_mergepath_partition_config_static_selectorELNS0_4arch9wavefront6targetE0EEEvSJ_.has_dyn_sized_stack, 0
	.set _ZN7rocprim17ROCPRIM_400000_NS6detail17trampoline_kernelINS0_14default_configENS1_38merge_sort_block_merge_config_selectorIiiEEZZNS1_27merge_sort_block_merge_implIS3_N6thrust23THRUST_200600_302600_NS6detail15normal_iteratorINS8_10device_ptrIiEEEESD_jNS1_19radix_merge_compareILb0ELb0EiNS0_19identity_decomposerEEEEE10hipError_tT0_T1_T2_jT3_P12ihipStream_tbPNSt15iterator_traitsISI_E10value_typeEPNSO_ISJ_E10value_typeEPSK_NS1_7vsmem_tEENKUlT_SI_SJ_SK_E_clISD_PiSD_S10_EESH_SX_SI_SJ_SK_EUlSX_E_NS1_11comp_targetILNS1_3genE0ELNS1_11target_archE4294967295ELNS1_3gpuE0ELNS1_3repE0EEENS1_48merge_mergepath_partition_config_static_selectorELNS0_4arch9wavefront6targetE0EEEvSJ_.has_recursion, 0
	.set _ZN7rocprim17ROCPRIM_400000_NS6detail17trampoline_kernelINS0_14default_configENS1_38merge_sort_block_merge_config_selectorIiiEEZZNS1_27merge_sort_block_merge_implIS3_N6thrust23THRUST_200600_302600_NS6detail15normal_iteratorINS8_10device_ptrIiEEEESD_jNS1_19radix_merge_compareILb0ELb0EiNS0_19identity_decomposerEEEEE10hipError_tT0_T1_T2_jT3_P12ihipStream_tbPNSt15iterator_traitsISI_E10value_typeEPNSO_ISJ_E10value_typeEPSK_NS1_7vsmem_tEENKUlT_SI_SJ_SK_E_clISD_PiSD_S10_EESH_SX_SI_SJ_SK_EUlSX_E_NS1_11comp_targetILNS1_3genE0ELNS1_11target_archE4294967295ELNS1_3gpuE0ELNS1_3repE0EEENS1_48merge_mergepath_partition_config_static_selectorELNS0_4arch9wavefront6targetE0EEEvSJ_.has_indirect_call, 0
	.section	.AMDGPU.csdata,"",@progbits
; Kernel info:
; codeLenInByte = 0
; TotalNumSgprs: 0
; NumVgprs: 0
; ScratchSize: 0
; MemoryBound: 0
; FloatMode: 240
; IeeeMode: 1
; LDSByteSize: 0 bytes/workgroup (compile time only)
; SGPRBlocks: 0
; VGPRBlocks: 0
; NumSGPRsForWavesPerEU: 1
; NumVGPRsForWavesPerEU: 1
; Occupancy: 16
; WaveLimiterHint : 0
; COMPUTE_PGM_RSRC2:SCRATCH_EN: 0
; COMPUTE_PGM_RSRC2:USER_SGPR: 6
; COMPUTE_PGM_RSRC2:TRAP_HANDLER: 0
; COMPUTE_PGM_RSRC2:TGID_X_EN: 1
; COMPUTE_PGM_RSRC2:TGID_Y_EN: 0
; COMPUTE_PGM_RSRC2:TGID_Z_EN: 0
; COMPUTE_PGM_RSRC2:TIDIG_COMP_CNT: 0
	.section	.text._ZN7rocprim17ROCPRIM_400000_NS6detail17trampoline_kernelINS0_14default_configENS1_38merge_sort_block_merge_config_selectorIiiEEZZNS1_27merge_sort_block_merge_implIS3_N6thrust23THRUST_200600_302600_NS6detail15normal_iteratorINS8_10device_ptrIiEEEESD_jNS1_19radix_merge_compareILb0ELb0EiNS0_19identity_decomposerEEEEE10hipError_tT0_T1_T2_jT3_P12ihipStream_tbPNSt15iterator_traitsISI_E10value_typeEPNSO_ISJ_E10value_typeEPSK_NS1_7vsmem_tEENKUlT_SI_SJ_SK_E_clISD_PiSD_S10_EESH_SX_SI_SJ_SK_EUlSX_E_NS1_11comp_targetILNS1_3genE10ELNS1_11target_archE1201ELNS1_3gpuE5ELNS1_3repE0EEENS1_48merge_mergepath_partition_config_static_selectorELNS0_4arch9wavefront6targetE0EEEvSJ_,"axG",@progbits,_ZN7rocprim17ROCPRIM_400000_NS6detail17trampoline_kernelINS0_14default_configENS1_38merge_sort_block_merge_config_selectorIiiEEZZNS1_27merge_sort_block_merge_implIS3_N6thrust23THRUST_200600_302600_NS6detail15normal_iteratorINS8_10device_ptrIiEEEESD_jNS1_19radix_merge_compareILb0ELb0EiNS0_19identity_decomposerEEEEE10hipError_tT0_T1_T2_jT3_P12ihipStream_tbPNSt15iterator_traitsISI_E10value_typeEPNSO_ISJ_E10value_typeEPSK_NS1_7vsmem_tEENKUlT_SI_SJ_SK_E_clISD_PiSD_S10_EESH_SX_SI_SJ_SK_EUlSX_E_NS1_11comp_targetILNS1_3genE10ELNS1_11target_archE1201ELNS1_3gpuE5ELNS1_3repE0EEENS1_48merge_mergepath_partition_config_static_selectorELNS0_4arch9wavefront6targetE0EEEvSJ_,comdat
	.protected	_ZN7rocprim17ROCPRIM_400000_NS6detail17trampoline_kernelINS0_14default_configENS1_38merge_sort_block_merge_config_selectorIiiEEZZNS1_27merge_sort_block_merge_implIS3_N6thrust23THRUST_200600_302600_NS6detail15normal_iteratorINS8_10device_ptrIiEEEESD_jNS1_19radix_merge_compareILb0ELb0EiNS0_19identity_decomposerEEEEE10hipError_tT0_T1_T2_jT3_P12ihipStream_tbPNSt15iterator_traitsISI_E10value_typeEPNSO_ISJ_E10value_typeEPSK_NS1_7vsmem_tEENKUlT_SI_SJ_SK_E_clISD_PiSD_S10_EESH_SX_SI_SJ_SK_EUlSX_E_NS1_11comp_targetILNS1_3genE10ELNS1_11target_archE1201ELNS1_3gpuE5ELNS1_3repE0EEENS1_48merge_mergepath_partition_config_static_selectorELNS0_4arch9wavefront6targetE0EEEvSJ_ ; -- Begin function _ZN7rocprim17ROCPRIM_400000_NS6detail17trampoline_kernelINS0_14default_configENS1_38merge_sort_block_merge_config_selectorIiiEEZZNS1_27merge_sort_block_merge_implIS3_N6thrust23THRUST_200600_302600_NS6detail15normal_iteratorINS8_10device_ptrIiEEEESD_jNS1_19radix_merge_compareILb0ELb0EiNS0_19identity_decomposerEEEEE10hipError_tT0_T1_T2_jT3_P12ihipStream_tbPNSt15iterator_traitsISI_E10value_typeEPNSO_ISJ_E10value_typeEPSK_NS1_7vsmem_tEENKUlT_SI_SJ_SK_E_clISD_PiSD_S10_EESH_SX_SI_SJ_SK_EUlSX_E_NS1_11comp_targetILNS1_3genE10ELNS1_11target_archE1201ELNS1_3gpuE5ELNS1_3repE0EEENS1_48merge_mergepath_partition_config_static_selectorELNS0_4arch9wavefront6targetE0EEEvSJ_
	.globl	_ZN7rocprim17ROCPRIM_400000_NS6detail17trampoline_kernelINS0_14default_configENS1_38merge_sort_block_merge_config_selectorIiiEEZZNS1_27merge_sort_block_merge_implIS3_N6thrust23THRUST_200600_302600_NS6detail15normal_iteratorINS8_10device_ptrIiEEEESD_jNS1_19radix_merge_compareILb0ELb0EiNS0_19identity_decomposerEEEEE10hipError_tT0_T1_T2_jT3_P12ihipStream_tbPNSt15iterator_traitsISI_E10value_typeEPNSO_ISJ_E10value_typeEPSK_NS1_7vsmem_tEENKUlT_SI_SJ_SK_E_clISD_PiSD_S10_EESH_SX_SI_SJ_SK_EUlSX_E_NS1_11comp_targetILNS1_3genE10ELNS1_11target_archE1201ELNS1_3gpuE5ELNS1_3repE0EEENS1_48merge_mergepath_partition_config_static_selectorELNS0_4arch9wavefront6targetE0EEEvSJ_
	.p2align	8
	.type	_ZN7rocprim17ROCPRIM_400000_NS6detail17trampoline_kernelINS0_14default_configENS1_38merge_sort_block_merge_config_selectorIiiEEZZNS1_27merge_sort_block_merge_implIS3_N6thrust23THRUST_200600_302600_NS6detail15normal_iteratorINS8_10device_ptrIiEEEESD_jNS1_19radix_merge_compareILb0ELb0EiNS0_19identity_decomposerEEEEE10hipError_tT0_T1_T2_jT3_P12ihipStream_tbPNSt15iterator_traitsISI_E10value_typeEPNSO_ISJ_E10value_typeEPSK_NS1_7vsmem_tEENKUlT_SI_SJ_SK_E_clISD_PiSD_S10_EESH_SX_SI_SJ_SK_EUlSX_E_NS1_11comp_targetILNS1_3genE10ELNS1_11target_archE1201ELNS1_3gpuE5ELNS1_3repE0EEENS1_48merge_mergepath_partition_config_static_selectorELNS0_4arch9wavefront6targetE0EEEvSJ_,@function
_ZN7rocprim17ROCPRIM_400000_NS6detail17trampoline_kernelINS0_14default_configENS1_38merge_sort_block_merge_config_selectorIiiEEZZNS1_27merge_sort_block_merge_implIS3_N6thrust23THRUST_200600_302600_NS6detail15normal_iteratorINS8_10device_ptrIiEEEESD_jNS1_19radix_merge_compareILb0ELb0EiNS0_19identity_decomposerEEEEE10hipError_tT0_T1_T2_jT3_P12ihipStream_tbPNSt15iterator_traitsISI_E10value_typeEPNSO_ISJ_E10value_typeEPSK_NS1_7vsmem_tEENKUlT_SI_SJ_SK_E_clISD_PiSD_S10_EESH_SX_SI_SJ_SK_EUlSX_E_NS1_11comp_targetILNS1_3genE10ELNS1_11target_archE1201ELNS1_3gpuE5ELNS1_3repE0EEENS1_48merge_mergepath_partition_config_static_selectorELNS0_4arch9wavefront6targetE0EEEvSJ_: ; @_ZN7rocprim17ROCPRIM_400000_NS6detail17trampoline_kernelINS0_14default_configENS1_38merge_sort_block_merge_config_selectorIiiEEZZNS1_27merge_sort_block_merge_implIS3_N6thrust23THRUST_200600_302600_NS6detail15normal_iteratorINS8_10device_ptrIiEEEESD_jNS1_19radix_merge_compareILb0ELb0EiNS0_19identity_decomposerEEEEE10hipError_tT0_T1_T2_jT3_P12ihipStream_tbPNSt15iterator_traitsISI_E10value_typeEPNSO_ISJ_E10value_typeEPSK_NS1_7vsmem_tEENKUlT_SI_SJ_SK_E_clISD_PiSD_S10_EESH_SX_SI_SJ_SK_EUlSX_E_NS1_11comp_targetILNS1_3genE10ELNS1_11target_archE1201ELNS1_3gpuE5ELNS1_3repE0EEENS1_48merge_mergepath_partition_config_static_selectorELNS0_4arch9wavefront6targetE0EEEvSJ_
; %bb.0:
	.section	.rodata,"a",@progbits
	.p2align	6, 0x0
	.amdhsa_kernel _ZN7rocprim17ROCPRIM_400000_NS6detail17trampoline_kernelINS0_14default_configENS1_38merge_sort_block_merge_config_selectorIiiEEZZNS1_27merge_sort_block_merge_implIS3_N6thrust23THRUST_200600_302600_NS6detail15normal_iteratorINS8_10device_ptrIiEEEESD_jNS1_19radix_merge_compareILb0ELb0EiNS0_19identity_decomposerEEEEE10hipError_tT0_T1_T2_jT3_P12ihipStream_tbPNSt15iterator_traitsISI_E10value_typeEPNSO_ISJ_E10value_typeEPSK_NS1_7vsmem_tEENKUlT_SI_SJ_SK_E_clISD_PiSD_S10_EESH_SX_SI_SJ_SK_EUlSX_E_NS1_11comp_targetILNS1_3genE10ELNS1_11target_archE1201ELNS1_3gpuE5ELNS1_3repE0EEENS1_48merge_mergepath_partition_config_static_selectorELNS0_4arch9wavefront6targetE0EEEvSJ_
		.amdhsa_group_segment_fixed_size 0
		.amdhsa_private_segment_fixed_size 0
		.amdhsa_kernarg_size 40
		.amdhsa_user_sgpr_count 6
		.amdhsa_user_sgpr_private_segment_buffer 1
		.amdhsa_user_sgpr_dispatch_ptr 0
		.amdhsa_user_sgpr_queue_ptr 0
		.amdhsa_user_sgpr_kernarg_segment_ptr 1
		.amdhsa_user_sgpr_dispatch_id 0
		.amdhsa_user_sgpr_flat_scratch_init 0
		.amdhsa_user_sgpr_private_segment_size 0
		.amdhsa_wavefront_size32 1
		.amdhsa_uses_dynamic_stack 0
		.amdhsa_system_sgpr_private_segment_wavefront_offset 0
		.amdhsa_system_sgpr_workgroup_id_x 1
		.amdhsa_system_sgpr_workgroup_id_y 0
		.amdhsa_system_sgpr_workgroup_id_z 0
		.amdhsa_system_sgpr_workgroup_info 0
		.amdhsa_system_vgpr_workitem_id 0
		.amdhsa_next_free_vgpr 1
		.amdhsa_next_free_sgpr 1
		.amdhsa_reserve_vcc 0
		.amdhsa_reserve_flat_scratch 0
		.amdhsa_float_round_mode_32 0
		.amdhsa_float_round_mode_16_64 0
		.amdhsa_float_denorm_mode_32 3
		.amdhsa_float_denorm_mode_16_64 3
		.amdhsa_dx10_clamp 1
		.amdhsa_ieee_mode 1
		.amdhsa_fp16_overflow 0
		.amdhsa_workgroup_processor_mode 1
		.amdhsa_memory_ordered 1
		.amdhsa_forward_progress 1
		.amdhsa_shared_vgpr_count 0
		.amdhsa_exception_fp_ieee_invalid_op 0
		.amdhsa_exception_fp_denorm_src 0
		.amdhsa_exception_fp_ieee_div_zero 0
		.amdhsa_exception_fp_ieee_overflow 0
		.amdhsa_exception_fp_ieee_underflow 0
		.amdhsa_exception_fp_ieee_inexact 0
		.amdhsa_exception_int_div_zero 0
	.end_amdhsa_kernel
	.section	.text._ZN7rocprim17ROCPRIM_400000_NS6detail17trampoline_kernelINS0_14default_configENS1_38merge_sort_block_merge_config_selectorIiiEEZZNS1_27merge_sort_block_merge_implIS3_N6thrust23THRUST_200600_302600_NS6detail15normal_iteratorINS8_10device_ptrIiEEEESD_jNS1_19radix_merge_compareILb0ELb0EiNS0_19identity_decomposerEEEEE10hipError_tT0_T1_T2_jT3_P12ihipStream_tbPNSt15iterator_traitsISI_E10value_typeEPNSO_ISJ_E10value_typeEPSK_NS1_7vsmem_tEENKUlT_SI_SJ_SK_E_clISD_PiSD_S10_EESH_SX_SI_SJ_SK_EUlSX_E_NS1_11comp_targetILNS1_3genE10ELNS1_11target_archE1201ELNS1_3gpuE5ELNS1_3repE0EEENS1_48merge_mergepath_partition_config_static_selectorELNS0_4arch9wavefront6targetE0EEEvSJ_,"axG",@progbits,_ZN7rocprim17ROCPRIM_400000_NS6detail17trampoline_kernelINS0_14default_configENS1_38merge_sort_block_merge_config_selectorIiiEEZZNS1_27merge_sort_block_merge_implIS3_N6thrust23THRUST_200600_302600_NS6detail15normal_iteratorINS8_10device_ptrIiEEEESD_jNS1_19radix_merge_compareILb0ELb0EiNS0_19identity_decomposerEEEEE10hipError_tT0_T1_T2_jT3_P12ihipStream_tbPNSt15iterator_traitsISI_E10value_typeEPNSO_ISJ_E10value_typeEPSK_NS1_7vsmem_tEENKUlT_SI_SJ_SK_E_clISD_PiSD_S10_EESH_SX_SI_SJ_SK_EUlSX_E_NS1_11comp_targetILNS1_3genE10ELNS1_11target_archE1201ELNS1_3gpuE5ELNS1_3repE0EEENS1_48merge_mergepath_partition_config_static_selectorELNS0_4arch9wavefront6targetE0EEEvSJ_,comdat
.Lfunc_end733:
	.size	_ZN7rocprim17ROCPRIM_400000_NS6detail17trampoline_kernelINS0_14default_configENS1_38merge_sort_block_merge_config_selectorIiiEEZZNS1_27merge_sort_block_merge_implIS3_N6thrust23THRUST_200600_302600_NS6detail15normal_iteratorINS8_10device_ptrIiEEEESD_jNS1_19radix_merge_compareILb0ELb0EiNS0_19identity_decomposerEEEEE10hipError_tT0_T1_T2_jT3_P12ihipStream_tbPNSt15iterator_traitsISI_E10value_typeEPNSO_ISJ_E10value_typeEPSK_NS1_7vsmem_tEENKUlT_SI_SJ_SK_E_clISD_PiSD_S10_EESH_SX_SI_SJ_SK_EUlSX_E_NS1_11comp_targetILNS1_3genE10ELNS1_11target_archE1201ELNS1_3gpuE5ELNS1_3repE0EEENS1_48merge_mergepath_partition_config_static_selectorELNS0_4arch9wavefront6targetE0EEEvSJ_, .Lfunc_end733-_ZN7rocprim17ROCPRIM_400000_NS6detail17trampoline_kernelINS0_14default_configENS1_38merge_sort_block_merge_config_selectorIiiEEZZNS1_27merge_sort_block_merge_implIS3_N6thrust23THRUST_200600_302600_NS6detail15normal_iteratorINS8_10device_ptrIiEEEESD_jNS1_19radix_merge_compareILb0ELb0EiNS0_19identity_decomposerEEEEE10hipError_tT0_T1_T2_jT3_P12ihipStream_tbPNSt15iterator_traitsISI_E10value_typeEPNSO_ISJ_E10value_typeEPSK_NS1_7vsmem_tEENKUlT_SI_SJ_SK_E_clISD_PiSD_S10_EESH_SX_SI_SJ_SK_EUlSX_E_NS1_11comp_targetILNS1_3genE10ELNS1_11target_archE1201ELNS1_3gpuE5ELNS1_3repE0EEENS1_48merge_mergepath_partition_config_static_selectorELNS0_4arch9wavefront6targetE0EEEvSJ_
                                        ; -- End function
	.set _ZN7rocprim17ROCPRIM_400000_NS6detail17trampoline_kernelINS0_14default_configENS1_38merge_sort_block_merge_config_selectorIiiEEZZNS1_27merge_sort_block_merge_implIS3_N6thrust23THRUST_200600_302600_NS6detail15normal_iteratorINS8_10device_ptrIiEEEESD_jNS1_19radix_merge_compareILb0ELb0EiNS0_19identity_decomposerEEEEE10hipError_tT0_T1_T2_jT3_P12ihipStream_tbPNSt15iterator_traitsISI_E10value_typeEPNSO_ISJ_E10value_typeEPSK_NS1_7vsmem_tEENKUlT_SI_SJ_SK_E_clISD_PiSD_S10_EESH_SX_SI_SJ_SK_EUlSX_E_NS1_11comp_targetILNS1_3genE10ELNS1_11target_archE1201ELNS1_3gpuE5ELNS1_3repE0EEENS1_48merge_mergepath_partition_config_static_selectorELNS0_4arch9wavefront6targetE0EEEvSJ_.num_vgpr, 0
	.set _ZN7rocprim17ROCPRIM_400000_NS6detail17trampoline_kernelINS0_14default_configENS1_38merge_sort_block_merge_config_selectorIiiEEZZNS1_27merge_sort_block_merge_implIS3_N6thrust23THRUST_200600_302600_NS6detail15normal_iteratorINS8_10device_ptrIiEEEESD_jNS1_19radix_merge_compareILb0ELb0EiNS0_19identity_decomposerEEEEE10hipError_tT0_T1_T2_jT3_P12ihipStream_tbPNSt15iterator_traitsISI_E10value_typeEPNSO_ISJ_E10value_typeEPSK_NS1_7vsmem_tEENKUlT_SI_SJ_SK_E_clISD_PiSD_S10_EESH_SX_SI_SJ_SK_EUlSX_E_NS1_11comp_targetILNS1_3genE10ELNS1_11target_archE1201ELNS1_3gpuE5ELNS1_3repE0EEENS1_48merge_mergepath_partition_config_static_selectorELNS0_4arch9wavefront6targetE0EEEvSJ_.num_agpr, 0
	.set _ZN7rocprim17ROCPRIM_400000_NS6detail17trampoline_kernelINS0_14default_configENS1_38merge_sort_block_merge_config_selectorIiiEEZZNS1_27merge_sort_block_merge_implIS3_N6thrust23THRUST_200600_302600_NS6detail15normal_iteratorINS8_10device_ptrIiEEEESD_jNS1_19radix_merge_compareILb0ELb0EiNS0_19identity_decomposerEEEEE10hipError_tT0_T1_T2_jT3_P12ihipStream_tbPNSt15iterator_traitsISI_E10value_typeEPNSO_ISJ_E10value_typeEPSK_NS1_7vsmem_tEENKUlT_SI_SJ_SK_E_clISD_PiSD_S10_EESH_SX_SI_SJ_SK_EUlSX_E_NS1_11comp_targetILNS1_3genE10ELNS1_11target_archE1201ELNS1_3gpuE5ELNS1_3repE0EEENS1_48merge_mergepath_partition_config_static_selectorELNS0_4arch9wavefront6targetE0EEEvSJ_.numbered_sgpr, 0
	.set _ZN7rocprim17ROCPRIM_400000_NS6detail17trampoline_kernelINS0_14default_configENS1_38merge_sort_block_merge_config_selectorIiiEEZZNS1_27merge_sort_block_merge_implIS3_N6thrust23THRUST_200600_302600_NS6detail15normal_iteratorINS8_10device_ptrIiEEEESD_jNS1_19radix_merge_compareILb0ELb0EiNS0_19identity_decomposerEEEEE10hipError_tT0_T1_T2_jT3_P12ihipStream_tbPNSt15iterator_traitsISI_E10value_typeEPNSO_ISJ_E10value_typeEPSK_NS1_7vsmem_tEENKUlT_SI_SJ_SK_E_clISD_PiSD_S10_EESH_SX_SI_SJ_SK_EUlSX_E_NS1_11comp_targetILNS1_3genE10ELNS1_11target_archE1201ELNS1_3gpuE5ELNS1_3repE0EEENS1_48merge_mergepath_partition_config_static_selectorELNS0_4arch9wavefront6targetE0EEEvSJ_.num_named_barrier, 0
	.set _ZN7rocprim17ROCPRIM_400000_NS6detail17trampoline_kernelINS0_14default_configENS1_38merge_sort_block_merge_config_selectorIiiEEZZNS1_27merge_sort_block_merge_implIS3_N6thrust23THRUST_200600_302600_NS6detail15normal_iteratorINS8_10device_ptrIiEEEESD_jNS1_19radix_merge_compareILb0ELb0EiNS0_19identity_decomposerEEEEE10hipError_tT0_T1_T2_jT3_P12ihipStream_tbPNSt15iterator_traitsISI_E10value_typeEPNSO_ISJ_E10value_typeEPSK_NS1_7vsmem_tEENKUlT_SI_SJ_SK_E_clISD_PiSD_S10_EESH_SX_SI_SJ_SK_EUlSX_E_NS1_11comp_targetILNS1_3genE10ELNS1_11target_archE1201ELNS1_3gpuE5ELNS1_3repE0EEENS1_48merge_mergepath_partition_config_static_selectorELNS0_4arch9wavefront6targetE0EEEvSJ_.private_seg_size, 0
	.set _ZN7rocprim17ROCPRIM_400000_NS6detail17trampoline_kernelINS0_14default_configENS1_38merge_sort_block_merge_config_selectorIiiEEZZNS1_27merge_sort_block_merge_implIS3_N6thrust23THRUST_200600_302600_NS6detail15normal_iteratorINS8_10device_ptrIiEEEESD_jNS1_19radix_merge_compareILb0ELb0EiNS0_19identity_decomposerEEEEE10hipError_tT0_T1_T2_jT3_P12ihipStream_tbPNSt15iterator_traitsISI_E10value_typeEPNSO_ISJ_E10value_typeEPSK_NS1_7vsmem_tEENKUlT_SI_SJ_SK_E_clISD_PiSD_S10_EESH_SX_SI_SJ_SK_EUlSX_E_NS1_11comp_targetILNS1_3genE10ELNS1_11target_archE1201ELNS1_3gpuE5ELNS1_3repE0EEENS1_48merge_mergepath_partition_config_static_selectorELNS0_4arch9wavefront6targetE0EEEvSJ_.uses_vcc, 0
	.set _ZN7rocprim17ROCPRIM_400000_NS6detail17trampoline_kernelINS0_14default_configENS1_38merge_sort_block_merge_config_selectorIiiEEZZNS1_27merge_sort_block_merge_implIS3_N6thrust23THRUST_200600_302600_NS6detail15normal_iteratorINS8_10device_ptrIiEEEESD_jNS1_19radix_merge_compareILb0ELb0EiNS0_19identity_decomposerEEEEE10hipError_tT0_T1_T2_jT3_P12ihipStream_tbPNSt15iterator_traitsISI_E10value_typeEPNSO_ISJ_E10value_typeEPSK_NS1_7vsmem_tEENKUlT_SI_SJ_SK_E_clISD_PiSD_S10_EESH_SX_SI_SJ_SK_EUlSX_E_NS1_11comp_targetILNS1_3genE10ELNS1_11target_archE1201ELNS1_3gpuE5ELNS1_3repE0EEENS1_48merge_mergepath_partition_config_static_selectorELNS0_4arch9wavefront6targetE0EEEvSJ_.uses_flat_scratch, 0
	.set _ZN7rocprim17ROCPRIM_400000_NS6detail17trampoline_kernelINS0_14default_configENS1_38merge_sort_block_merge_config_selectorIiiEEZZNS1_27merge_sort_block_merge_implIS3_N6thrust23THRUST_200600_302600_NS6detail15normal_iteratorINS8_10device_ptrIiEEEESD_jNS1_19radix_merge_compareILb0ELb0EiNS0_19identity_decomposerEEEEE10hipError_tT0_T1_T2_jT3_P12ihipStream_tbPNSt15iterator_traitsISI_E10value_typeEPNSO_ISJ_E10value_typeEPSK_NS1_7vsmem_tEENKUlT_SI_SJ_SK_E_clISD_PiSD_S10_EESH_SX_SI_SJ_SK_EUlSX_E_NS1_11comp_targetILNS1_3genE10ELNS1_11target_archE1201ELNS1_3gpuE5ELNS1_3repE0EEENS1_48merge_mergepath_partition_config_static_selectorELNS0_4arch9wavefront6targetE0EEEvSJ_.has_dyn_sized_stack, 0
	.set _ZN7rocprim17ROCPRIM_400000_NS6detail17trampoline_kernelINS0_14default_configENS1_38merge_sort_block_merge_config_selectorIiiEEZZNS1_27merge_sort_block_merge_implIS3_N6thrust23THRUST_200600_302600_NS6detail15normal_iteratorINS8_10device_ptrIiEEEESD_jNS1_19radix_merge_compareILb0ELb0EiNS0_19identity_decomposerEEEEE10hipError_tT0_T1_T2_jT3_P12ihipStream_tbPNSt15iterator_traitsISI_E10value_typeEPNSO_ISJ_E10value_typeEPSK_NS1_7vsmem_tEENKUlT_SI_SJ_SK_E_clISD_PiSD_S10_EESH_SX_SI_SJ_SK_EUlSX_E_NS1_11comp_targetILNS1_3genE10ELNS1_11target_archE1201ELNS1_3gpuE5ELNS1_3repE0EEENS1_48merge_mergepath_partition_config_static_selectorELNS0_4arch9wavefront6targetE0EEEvSJ_.has_recursion, 0
	.set _ZN7rocprim17ROCPRIM_400000_NS6detail17trampoline_kernelINS0_14default_configENS1_38merge_sort_block_merge_config_selectorIiiEEZZNS1_27merge_sort_block_merge_implIS3_N6thrust23THRUST_200600_302600_NS6detail15normal_iteratorINS8_10device_ptrIiEEEESD_jNS1_19radix_merge_compareILb0ELb0EiNS0_19identity_decomposerEEEEE10hipError_tT0_T1_T2_jT3_P12ihipStream_tbPNSt15iterator_traitsISI_E10value_typeEPNSO_ISJ_E10value_typeEPSK_NS1_7vsmem_tEENKUlT_SI_SJ_SK_E_clISD_PiSD_S10_EESH_SX_SI_SJ_SK_EUlSX_E_NS1_11comp_targetILNS1_3genE10ELNS1_11target_archE1201ELNS1_3gpuE5ELNS1_3repE0EEENS1_48merge_mergepath_partition_config_static_selectorELNS0_4arch9wavefront6targetE0EEEvSJ_.has_indirect_call, 0
	.section	.AMDGPU.csdata,"",@progbits
; Kernel info:
; codeLenInByte = 0
; TotalNumSgprs: 0
; NumVgprs: 0
; ScratchSize: 0
; MemoryBound: 0
; FloatMode: 240
; IeeeMode: 1
; LDSByteSize: 0 bytes/workgroup (compile time only)
; SGPRBlocks: 0
; VGPRBlocks: 0
; NumSGPRsForWavesPerEU: 1
; NumVGPRsForWavesPerEU: 1
; Occupancy: 16
; WaveLimiterHint : 0
; COMPUTE_PGM_RSRC2:SCRATCH_EN: 0
; COMPUTE_PGM_RSRC2:USER_SGPR: 6
; COMPUTE_PGM_RSRC2:TRAP_HANDLER: 0
; COMPUTE_PGM_RSRC2:TGID_X_EN: 1
; COMPUTE_PGM_RSRC2:TGID_Y_EN: 0
; COMPUTE_PGM_RSRC2:TGID_Z_EN: 0
; COMPUTE_PGM_RSRC2:TIDIG_COMP_CNT: 0
	.section	.text._ZN7rocprim17ROCPRIM_400000_NS6detail17trampoline_kernelINS0_14default_configENS1_38merge_sort_block_merge_config_selectorIiiEEZZNS1_27merge_sort_block_merge_implIS3_N6thrust23THRUST_200600_302600_NS6detail15normal_iteratorINS8_10device_ptrIiEEEESD_jNS1_19radix_merge_compareILb0ELb0EiNS0_19identity_decomposerEEEEE10hipError_tT0_T1_T2_jT3_P12ihipStream_tbPNSt15iterator_traitsISI_E10value_typeEPNSO_ISJ_E10value_typeEPSK_NS1_7vsmem_tEENKUlT_SI_SJ_SK_E_clISD_PiSD_S10_EESH_SX_SI_SJ_SK_EUlSX_E_NS1_11comp_targetILNS1_3genE5ELNS1_11target_archE942ELNS1_3gpuE9ELNS1_3repE0EEENS1_48merge_mergepath_partition_config_static_selectorELNS0_4arch9wavefront6targetE0EEEvSJ_,"axG",@progbits,_ZN7rocprim17ROCPRIM_400000_NS6detail17trampoline_kernelINS0_14default_configENS1_38merge_sort_block_merge_config_selectorIiiEEZZNS1_27merge_sort_block_merge_implIS3_N6thrust23THRUST_200600_302600_NS6detail15normal_iteratorINS8_10device_ptrIiEEEESD_jNS1_19radix_merge_compareILb0ELb0EiNS0_19identity_decomposerEEEEE10hipError_tT0_T1_T2_jT3_P12ihipStream_tbPNSt15iterator_traitsISI_E10value_typeEPNSO_ISJ_E10value_typeEPSK_NS1_7vsmem_tEENKUlT_SI_SJ_SK_E_clISD_PiSD_S10_EESH_SX_SI_SJ_SK_EUlSX_E_NS1_11comp_targetILNS1_3genE5ELNS1_11target_archE942ELNS1_3gpuE9ELNS1_3repE0EEENS1_48merge_mergepath_partition_config_static_selectorELNS0_4arch9wavefront6targetE0EEEvSJ_,comdat
	.protected	_ZN7rocprim17ROCPRIM_400000_NS6detail17trampoline_kernelINS0_14default_configENS1_38merge_sort_block_merge_config_selectorIiiEEZZNS1_27merge_sort_block_merge_implIS3_N6thrust23THRUST_200600_302600_NS6detail15normal_iteratorINS8_10device_ptrIiEEEESD_jNS1_19radix_merge_compareILb0ELb0EiNS0_19identity_decomposerEEEEE10hipError_tT0_T1_T2_jT3_P12ihipStream_tbPNSt15iterator_traitsISI_E10value_typeEPNSO_ISJ_E10value_typeEPSK_NS1_7vsmem_tEENKUlT_SI_SJ_SK_E_clISD_PiSD_S10_EESH_SX_SI_SJ_SK_EUlSX_E_NS1_11comp_targetILNS1_3genE5ELNS1_11target_archE942ELNS1_3gpuE9ELNS1_3repE0EEENS1_48merge_mergepath_partition_config_static_selectorELNS0_4arch9wavefront6targetE0EEEvSJ_ ; -- Begin function _ZN7rocprim17ROCPRIM_400000_NS6detail17trampoline_kernelINS0_14default_configENS1_38merge_sort_block_merge_config_selectorIiiEEZZNS1_27merge_sort_block_merge_implIS3_N6thrust23THRUST_200600_302600_NS6detail15normal_iteratorINS8_10device_ptrIiEEEESD_jNS1_19radix_merge_compareILb0ELb0EiNS0_19identity_decomposerEEEEE10hipError_tT0_T1_T2_jT3_P12ihipStream_tbPNSt15iterator_traitsISI_E10value_typeEPNSO_ISJ_E10value_typeEPSK_NS1_7vsmem_tEENKUlT_SI_SJ_SK_E_clISD_PiSD_S10_EESH_SX_SI_SJ_SK_EUlSX_E_NS1_11comp_targetILNS1_3genE5ELNS1_11target_archE942ELNS1_3gpuE9ELNS1_3repE0EEENS1_48merge_mergepath_partition_config_static_selectorELNS0_4arch9wavefront6targetE0EEEvSJ_
	.globl	_ZN7rocprim17ROCPRIM_400000_NS6detail17trampoline_kernelINS0_14default_configENS1_38merge_sort_block_merge_config_selectorIiiEEZZNS1_27merge_sort_block_merge_implIS3_N6thrust23THRUST_200600_302600_NS6detail15normal_iteratorINS8_10device_ptrIiEEEESD_jNS1_19radix_merge_compareILb0ELb0EiNS0_19identity_decomposerEEEEE10hipError_tT0_T1_T2_jT3_P12ihipStream_tbPNSt15iterator_traitsISI_E10value_typeEPNSO_ISJ_E10value_typeEPSK_NS1_7vsmem_tEENKUlT_SI_SJ_SK_E_clISD_PiSD_S10_EESH_SX_SI_SJ_SK_EUlSX_E_NS1_11comp_targetILNS1_3genE5ELNS1_11target_archE942ELNS1_3gpuE9ELNS1_3repE0EEENS1_48merge_mergepath_partition_config_static_selectorELNS0_4arch9wavefront6targetE0EEEvSJ_
	.p2align	8
	.type	_ZN7rocprim17ROCPRIM_400000_NS6detail17trampoline_kernelINS0_14default_configENS1_38merge_sort_block_merge_config_selectorIiiEEZZNS1_27merge_sort_block_merge_implIS3_N6thrust23THRUST_200600_302600_NS6detail15normal_iteratorINS8_10device_ptrIiEEEESD_jNS1_19radix_merge_compareILb0ELb0EiNS0_19identity_decomposerEEEEE10hipError_tT0_T1_T2_jT3_P12ihipStream_tbPNSt15iterator_traitsISI_E10value_typeEPNSO_ISJ_E10value_typeEPSK_NS1_7vsmem_tEENKUlT_SI_SJ_SK_E_clISD_PiSD_S10_EESH_SX_SI_SJ_SK_EUlSX_E_NS1_11comp_targetILNS1_3genE5ELNS1_11target_archE942ELNS1_3gpuE9ELNS1_3repE0EEENS1_48merge_mergepath_partition_config_static_selectorELNS0_4arch9wavefront6targetE0EEEvSJ_,@function
_ZN7rocprim17ROCPRIM_400000_NS6detail17trampoline_kernelINS0_14default_configENS1_38merge_sort_block_merge_config_selectorIiiEEZZNS1_27merge_sort_block_merge_implIS3_N6thrust23THRUST_200600_302600_NS6detail15normal_iteratorINS8_10device_ptrIiEEEESD_jNS1_19radix_merge_compareILb0ELb0EiNS0_19identity_decomposerEEEEE10hipError_tT0_T1_T2_jT3_P12ihipStream_tbPNSt15iterator_traitsISI_E10value_typeEPNSO_ISJ_E10value_typeEPSK_NS1_7vsmem_tEENKUlT_SI_SJ_SK_E_clISD_PiSD_S10_EESH_SX_SI_SJ_SK_EUlSX_E_NS1_11comp_targetILNS1_3genE5ELNS1_11target_archE942ELNS1_3gpuE9ELNS1_3repE0EEENS1_48merge_mergepath_partition_config_static_selectorELNS0_4arch9wavefront6targetE0EEEvSJ_: ; @_ZN7rocprim17ROCPRIM_400000_NS6detail17trampoline_kernelINS0_14default_configENS1_38merge_sort_block_merge_config_selectorIiiEEZZNS1_27merge_sort_block_merge_implIS3_N6thrust23THRUST_200600_302600_NS6detail15normal_iteratorINS8_10device_ptrIiEEEESD_jNS1_19radix_merge_compareILb0ELb0EiNS0_19identity_decomposerEEEEE10hipError_tT0_T1_T2_jT3_P12ihipStream_tbPNSt15iterator_traitsISI_E10value_typeEPNSO_ISJ_E10value_typeEPSK_NS1_7vsmem_tEENKUlT_SI_SJ_SK_E_clISD_PiSD_S10_EESH_SX_SI_SJ_SK_EUlSX_E_NS1_11comp_targetILNS1_3genE5ELNS1_11target_archE942ELNS1_3gpuE9ELNS1_3repE0EEENS1_48merge_mergepath_partition_config_static_selectorELNS0_4arch9wavefront6targetE0EEEvSJ_
; %bb.0:
	.section	.rodata,"a",@progbits
	.p2align	6, 0x0
	.amdhsa_kernel _ZN7rocprim17ROCPRIM_400000_NS6detail17trampoline_kernelINS0_14default_configENS1_38merge_sort_block_merge_config_selectorIiiEEZZNS1_27merge_sort_block_merge_implIS3_N6thrust23THRUST_200600_302600_NS6detail15normal_iteratorINS8_10device_ptrIiEEEESD_jNS1_19radix_merge_compareILb0ELb0EiNS0_19identity_decomposerEEEEE10hipError_tT0_T1_T2_jT3_P12ihipStream_tbPNSt15iterator_traitsISI_E10value_typeEPNSO_ISJ_E10value_typeEPSK_NS1_7vsmem_tEENKUlT_SI_SJ_SK_E_clISD_PiSD_S10_EESH_SX_SI_SJ_SK_EUlSX_E_NS1_11comp_targetILNS1_3genE5ELNS1_11target_archE942ELNS1_3gpuE9ELNS1_3repE0EEENS1_48merge_mergepath_partition_config_static_selectorELNS0_4arch9wavefront6targetE0EEEvSJ_
		.amdhsa_group_segment_fixed_size 0
		.amdhsa_private_segment_fixed_size 0
		.amdhsa_kernarg_size 40
		.amdhsa_user_sgpr_count 6
		.amdhsa_user_sgpr_private_segment_buffer 1
		.amdhsa_user_sgpr_dispatch_ptr 0
		.amdhsa_user_sgpr_queue_ptr 0
		.amdhsa_user_sgpr_kernarg_segment_ptr 1
		.amdhsa_user_sgpr_dispatch_id 0
		.amdhsa_user_sgpr_flat_scratch_init 0
		.amdhsa_user_sgpr_private_segment_size 0
		.amdhsa_wavefront_size32 1
		.amdhsa_uses_dynamic_stack 0
		.amdhsa_system_sgpr_private_segment_wavefront_offset 0
		.amdhsa_system_sgpr_workgroup_id_x 1
		.amdhsa_system_sgpr_workgroup_id_y 0
		.amdhsa_system_sgpr_workgroup_id_z 0
		.amdhsa_system_sgpr_workgroup_info 0
		.amdhsa_system_vgpr_workitem_id 0
		.amdhsa_next_free_vgpr 1
		.amdhsa_next_free_sgpr 1
		.amdhsa_reserve_vcc 0
		.amdhsa_reserve_flat_scratch 0
		.amdhsa_float_round_mode_32 0
		.amdhsa_float_round_mode_16_64 0
		.amdhsa_float_denorm_mode_32 3
		.amdhsa_float_denorm_mode_16_64 3
		.amdhsa_dx10_clamp 1
		.amdhsa_ieee_mode 1
		.amdhsa_fp16_overflow 0
		.amdhsa_workgroup_processor_mode 1
		.amdhsa_memory_ordered 1
		.amdhsa_forward_progress 1
		.amdhsa_shared_vgpr_count 0
		.amdhsa_exception_fp_ieee_invalid_op 0
		.amdhsa_exception_fp_denorm_src 0
		.amdhsa_exception_fp_ieee_div_zero 0
		.amdhsa_exception_fp_ieee_overflow 0
		.amdhsa_exception_fp_ieee_underflow 0
		.amdhsa_exception_fp_ieee_inexact 0
		.amdhsa_exception_int_div_zero 0
	.end_amdhsa_kernel
	.section	.text._ZN7rocprim17ROCPRIM_400000_NS6detail17trampoline_kernelINS0_14default_configENS1_38merge_sort_block_merge_config_selectorIiiEEZZNS1_27merge_sort_block_merge_implIS3_N6thrust23THRUST_200600_302600_NS6detail15normal_iteratorINS8_10device_ptrIiEEEESD_jNS1_19radix_merge_compareILb0ELb0EiNS0_19identity_decomposerEEEEE10hipError_tT0_T1_T2_jT3_P12ihipStream_tbPNSt15iterator_traitsISI_E10value_typeEPNSO_ISJ_E10value_typeEPSK_NS1_7vsmem_tEENKUlT_SI_SJ_SK_E_clISD_PiSD_S10_EESH_SX_SI_SJ_SK_EUlSX_E_NS1_11comp_targetILNS1_3genE5ELNS1_11target_archE942ELNS1_3gpuE9ELNS1_3repE0EEENS1_48merge_mergepath_partition_config_static_selectorELNS0_4arch9wavefront6targetE0EEEvSJ_,"axG",@progbits,_ZN7rocprim17ROCPRIM_400000_NS6detail17trampoline_kernelINS0_14default_configENS1_38merge_sort_block_merge_config_selectorIiiEEZZNS1_27merge_sort_block_merge_implIS3_N6thrust23THRUST_200600_302600_NS6detail15normal_iteratorINS8_10device_ptrIiEEEESD_jNS1_19radix_merge_compareILb0ELb0EiNS0_19identity_decomposerEEEEE10hipError_tT0_T1_T2_jT3_P12ihipStream_tbPNSt15iterator_traitsISI_E10value_typeEPNSO_ISJ_E10value_typeEPSK_NS1_7vsmem_tEENKUlT_SI_SJ_SK_E_clISD_PiSD_S10_EESH_SX_SI_SJ_SK_EUlSX_E_NS1_11comp_targetILNS1_3genE5ELNS1_11target_archE942ELNS1_3gpuE9ELNS1_3repE0EEENS1_48merge_mergepath_partition_config_static_selectorELNS0_4arch9wavefront6targetE0EEEvSJ_,comdat
.Lfunc_end734:
	.size	_ZN7rocprim17ROCPRIM_400000_NS6detail17trampoline_kernelINS0_14default_configENS1_38merge_sort_block_merge_config_selectorIiiEEZZNS1_27merge_sort_block_merge_implIS3_N6thrust23THRUST_200600_302600_NS6detail15normal_iteratorINS8_10device_ptrIiEEEESD_jNS1_19radix_merge_compareILb0ELb0EiNS0_19identity_decomposerEEEEE10hipError_tT0_T1_T2_jT3_P12ihipStream_tbPNSt15iterator_traitsISI_E10value_typeEPNSO_ISJ_E10value_typeEPSK_NS1_7vsmem_tEENKUlT_SI_SJ_SK_E_clISD_PiSD_S10_EESH_SX_SI_SJ_SK_EUlSX_E_NS1_11comp_targetILNS1_3genE5ELNS1_11target_archE942ELNS1_3gpuE9ELNS1_3repE0EEENS1_48merge_mergepath_partition_config_static_selectorELNS0_4arch9wavefront6targetE0EEEvSJ_, .Lfunc_end734-_ZN7rocprim17ROCPRIM_400000_NS6detail17trampoline_kernelINS0_14default_configENS1_38merge_sort_block_merge_config_selectorIiiEEZZNS1_27merge_sort_block_merge_implIS3_N6thrust23THRUST_200600_302600_NS6detail15normal_iteratorINS8_10device_ptrIiEEEESD_jNS1_19radix_merge_compareILb0ELb0EiNS0_19identity_decomposerEEEEE10hipError_tT0_T1_T2_jT3_P12ihipStream_tbPNSt15iterator_traitsISI_E10value_typeEPNSO_ISJ_E10value_typeEPSK_NS1_7vsmem_tEENKUlT_SI_SJ_SK_E_clISD_PiSD_S10_EESH_SX_SI_SJ_SK_EUlSX_E_NS1_11comp_targetILNS1_3genE5ELNS1_11target_archE942ELNS1_3gpuE9ELNS1_3repE0EEENS1_48merge_mergepath_partition_config_static_selectorELNS0_4arch9wavefront6targetE0EEEvSJ_
                                        ; -- End function
	.set _ZN7rocprim17ROCPRIM_400000_NS6detail17trampoline_kernelINS0_14default_configENS1_38merge_sort_block_merge_config_selectorIiiEEZZNS1_27merge_sort_block_merge_implIS3_N6thrust23THRUST_200600_302600_NS6detail15normal_iteratorINS8_10device_ptrIiEEEESD_jNS1_19radix_merge_compareILb0ELb0EiNS0_19identity_decomposerEEEEE10hipError_tT0_T1_T2_jT3_P12ihipStream_tbPNSt15iterator_traitsISI_E10value_typeEPNSO_ISJ_E10value_typeEPSK_NS1_7vsmem_tEENKUlT_SI_SJ_SK_E_clISD_PiSD_S10_EESH_SX_SI_SJ_SK_EUlSX_E_NS1_11comp_targetILNS1_3genE5ELNS1_11target_archE942ELNS1_3gpuE9ELNS1_3repE0EEENS1_48merge_mergepath_partition_config_static_selectorELNS0_4arch9wavefront6targetE0EEEvSJ_.num_vgpr, 0
	.set _ZN7rocprim17ROCPRIM_400000_NS6detail17trampoline_kernelINS0_14default_configENS1_38merge_sort_block_merge_config_selectorIiiEEZZNS1_27merge_sort_block_merge_implIS3_N6thrust23THRUST_200600_302600_NS6detail15normal_iteratorINS8_10device_ptrIiEEEESD_jNS1_19radix_merge_compareILb0ELb0EiNS0_19identity_decomposerEEEEE10hipError_tT0_T1_T2_jT3_P12ihipStream_tbPNSt15iterator_traitsISI_E10value_typeEPNSO_ISJ_E10value_typeEPSK_NS1_7vsmem_tEENKUlT_SI_SJ_SK_E_clISD_PiSD_S10_EESH_SX_SI_SJ_SK_EUlSX_E_NS1_11comp_targetILNS1_3genE5ELNS1_11target_archE942ELNS1_3gpuE9ELNS1_3repE0EEENS1_48merge_mergepath_partition_config_static_selectorELNS0_4arch9wavefront6targetE0EEEvSJ_.num_agpr, 0
	.set _ZN7rocprim17ROCPRIM_400000_NS6detail17trampoline_kernelINS0_14default_configENS1_38merge_sort_block_merge_config_selectorIiiEEZZNS1_27merge_sort_block_merge_implIS3_N6thrust23THRUST_200600_302600_NS6detail15normal_iteratorINS8_10device_ptrIiEEEESD_jNS1_19radix_merge_compareILb0ELb0EiNS0_19identity_decomposerEEEEE10hipError_tT0_T1_T2_jT3_P12ihipStream_tbPNSt15iterator_traitsISI_E10value_typeEPNSO_ISJ_E10value_typeEPSK_NS1_7vsmem_tEENKUlT_SI_SJ_SK_E_clISD_PiSD_S10_EESH_SX_SI_SJ_SK_EUlSX_E_NS1_11comp_targetILNS1_3genE5ELNS1_11target_archE942ELNS1_3gpuE9ELNS1_3repE0EEENS1_48merge_mergepath_partition_config_static_selectorELNS0_4arch9wavefront6targetE0EEEvSJ_.numbered_sgpr, 0
	.set _ZN7rocprim17ROCPRIM_400000_NS6detail17trampoline_kernelINS0_14default_configENS1_38merge_sort_block_merge_config_selectorIiiEEZZNS1_27merge_sort_block_merge_implIS3_N6thrust23THRUST_200600_302600_NS6detail15normal_iteratorINS8_10device_ptrIiEEEESD_jNS1_19radix_merge_compareILb0ELb0EiNS0_19identity_decomposerEEEEE10hipError_tT0_T1_T2_jT3_P12ihipStream_tbPNSt15iterator_traitsISI_E10value_typeEPNSO_ISJ_E10value_typeEPSK_NS1_7vsmem_tEENKUlT_SI_SJ_SK_E_clISD_PiSD_S10_EESH_SX_SI_SJ_SK_EUlSX_E_NS1_11comp_targetILNS1_3genE5ELNS1_11target_archE942ELNS1_3gpuE9ELNS1_3repE0EEENS1_48merge_mergepath_partition_config_static_selectorELNS0_4arch9wavefront6targetE0EEEvSJ_.num_named_barrier, 0
	.set _ZN7rocprim17ROCPRIM_400000_NS6detail17trampoline_kernelINS0_14default_configENS1_38merge_sort_block_merge_config_selectorIiiEEZZNS1_27merge_sort_block_merge_implIS3_N6thrust23THRUST_200600_302600_NS6detail15normal_iteratorINS8_10device_ptrIiEEEESD_jNS1_19radix_merge_compareILb0ELb0EiNS0_19identity_decomposerEEEEE10hipError_tT0_T1_T2_jT3_P12ihipStream_tbPNSt15iterator_traitsISI_E10value_typeEPNSO_ISJ_E10value_typeEPSK_NS1_7vsmem_tEENKUlT_SI_SJ_SK_E_clISD_PiSD_S10_EESH_SX_SI_SJ_SK_EUlSX_E_NS1_11comp_targetILNS1_3genE5ELNS1_11target_archE942ELNS1_3gpuE9ELNS1_3repE0EEENS1_48merge_mergepath_partition_config_static_selectorELNS0_4arch9wavefront6targetE0EEEvSJ_.private_seg_size, 0
	.set _ZN7rocprim17ROCPRIM_400000_NS6detail17trampoline_kernelINS0_14default_configENS1_38merge_sort_block_merge_config_selectorIiiEEZZNS1_27merge_sort_block_merge_implIS3_N6thrust23THRUST_200600_302600_NS6detail15normal_iteratorINS8_10device_ptrIiEEEESD_jNS1_19radix_merge_compareILb0ELb0EiNS0_19identity_decomposerEEEEE10hipError_tT0_T1_T2_jT3_P12ihipStream_tbPNSt15iterator_traitsISI_E10value_typeEPNSO_ISJ_E10value_typeEPSK_NS1_7vsmem_tEENKUlT_SI_SJ_SK_E_clISD_PiSD_S10_EESH_SX_SI_SJ_SK_EUlSX_E_NS1_11comp_targetILNS1_3genE5ELNS1_11target_archE942ELNS1_3gpuE9ELNS1_3repE0EEENS1_48merge_mergepath_partition_config_static_selectorELNS0_4arch9wavefront6targetE0EEEvSJ_.uses_vcc, 0
	.set _ZN7rocprim17ROCPRIM_400000_NS6detail17trampoline_kernelINS0_14default_configENS1_38merge_sort_block_merge_config_selectorIiiEEZZNS1_27merge_sort_block_merge_implIS3_N6thrust23THRUST_200600_302600_NS6detail15normal_iteratorINS8_10device_ptrIiEEEESD_jNS1_19radix_merge_compareILb0ELb0EiNS0_19identity_decomposerEEEEE10hipError_tT0_T1_T2_jT3_P12ihipStream_tbPNSt15iterator_traitsISI_E10value_typeEPNSO_ISJ_E10value_typeEPSK_NS1_7vsmem_tEENKUlT_SI_SJ_SK_E_clISD_PiSD_S10_EESH_SX_SI_SJ_SK_EUlSX_E_NS1_11comp_targetILNS1_3genE5ELNS1_11target_archE942ELNS1_3gpuE9ELNS1_3repE0EEENS1_48merge_mergepath_partition_config_static_selectorELNS0_4arch9wavefront6targetE0EEEvSJ_.uses_flat_scratch, 0
	.set _ZN7rocprim17ROCPRIM_400000_NS6detail17trampoline_kernelINS0_14default_configENS1_38merge_sort_block_merge_config_selectorIiiEEZZNS1_27merge_sort_block_merge_implIS3_N6thrust23THRUST_200600_302600_NS6detail15normal_iteratorINS8_10device_ptrIiEEEESD_jNS1_19radix_merge_compareILb0ELb0EiNS0_19identity_decomposerEEEEE10hipError_tT0_T1_T2_jT3_P12ihipStream_tbPNSt15iterator_traitsISI_E10value_typeEPNSO_ISJ_E10value_typeEPSK_NS1_7vsmem_tEENKUlT_SI_SJ_SK_E_clISD_PiSD_S10_EESH_SX_SI_SJ_SK_EUlSX_E_NS1_11comp_targetILNS1_3genE5ELNS1_11target_archE942ELNS1_3gpuE9ELNS1_3repE0EEENS1_48merge_mergepath_partition_config_static_selectorELNS0_4arch9wavefront6targetE0EEEvSJ_.has_dyn_sized_stack, 0
	.set _ZN7rocprim17ROCPRIM_400000_NS6detail17trampoline_kernelINS0_14default_configENS1_38merge_sort_block_merge_config_selectorIiiEEZZNS1_27merge_sort_block_merge_implIS3_N6thrust23THRUST_200600_302600_NS6detail15normal_iteratorINS8_10device_ptrIiEEEESD_jNS1_19radix_merge_compareILb0ELb0EiNS0_19identity_decomposerEEEEE10hipError_tT0_T1_T2_jT3_P12ihipStream_tbPNSt15iterator_traitsISI_E10value_typeEPNSO_ISJ_E10value_typeEPSK_NS1_7vsmem_tEENKUlT_SI_SJ_SK_E_clISD_PiSD_S10_EESH_SX_SI_SJ_SK_EUlSX_E_NS1_11comp_targetILNS1_3genE5ELNS1_11target_archE942ELNS1_3gpuE9ELNS1_3repE0EEENS1_48merge_mergepath_partition_config_static_selectorELNS0_4arch9wavefront6targetE0EEEvSJ_.has_recursion, 0
	.set _ZN7rocprim17ROCPRIM_400000_NS6detail17trampoline_kernelINS0_14default_configENS1_38merge_sort_block_merge_config_selectorIiiEEZZNS1_27merge_sort_block_merge_implIS3_N6thrust23THRUST_200600_302600_NS6detail15normal_iteratorINS8_10device_ptrIiEEEESD_jNS1_19radix_merge_compareILb0ELb0EiNS0_19identity_decomposerEEEEE10hipError_tT0_T1_T2_jT3_P12ihipStream_tbPNSt15iterator_traitsISI_E10value_typeEPNSO_ISJ_E10value_typeEPSK_NS1_7vsmem_tEENKUlT_SI_SJ_SK_E_clISD_PiSD_S10_EESH_SX_SI_SJ_SK_EUlSX_E_NS1_11comp_targetILNS1_3genE5ELNS1_11target_archE942ELNS1_3gpuE9ELNS1_3repE0EEENS1_48merge_mergepath_partition_config_static_selectorELNS0_4arch9wavefront6targetE0EEEvSJ_.has_indirect_call, 0
	.section	.AMDGPU.csdata,"",@progbits
; Kernel info:
; codeLenInByte = 0
; TotalNumSgprs: 0
; NumVgprs: 0
; ScratchSize: 0
; MemoryBound: 0
; FloatMode: 240
; IeeeMode: 1
; LDSByteSize: 0 bytes/workgroup (compile time only)
; SGPRBlocks: 0
; VGPRBlocks: 0
; NumSGPRsForWavesPerEU: 1
; NumVGPRsForWavesPerEU: 1
; Occupancy: 16
; WaveLimiterHint : 0
; COMPUTE_PGM_RSRC2:SCRATCH_EN: 0
; COMPUTE_PGM_RSRC2:USER_SGPR: 6
; COMPUTE_PGM_RSRC2:TRAP_HANDLER: 0
; COMPUTE_PGM_RSRC2:TGID_X_EN: 1
; COMPUTE_PGM_RSRC2:TGID_Y_EN: 0
; COMPUTE_PGM_RSRC2:TGID_Z_EN: 0
; COMPUTE_PGM_RSRC2:TIDIG_COMP_CNT: 0
	.section	.text._ZN7rocprim17ROCPRIM_400000_NS6detail17trampoline_kernelINS0_14default_configENS1_38merge_sort_block_merge_config_selectorIiiEEZZNS1_27merge_sort_block_merge_implIS3_N6thrust23THRUST_200600_302600_NS6detail15normal_iteratorINS8_10device_ptrIiEEEESD_jNS1_19radix_merge_compareILb0ELb0EiNS0_19identity_decomposerEEEEE10hipError_tT0_T1_T2_jT3_P12ihipStream_tbPNSt15iterator_traitsISI_E10value_typeEPNSO_ISJ_E10value_typeEPSK_NS1_7vsmem_tEENKUlT_SI_SJ_SK_E_clISD_PiSD_S10_EESH_SX_SI_SJ_SK_EUlSX_E_NS1_11comp_targetILNS1_3genE4ELNS1_11target_archE910ELNS1_3gpuE8ELNS1_3repE0EEENS1_48merge_mergepath_partition_config_static_selectorELNS0_4arch9wavefront6targetE0EEEvSJ_,"axG",@progbits,_ZN7rocprim17ROCPRIM_400000_NS6detail17trampoline_kernelINS0_14default_configENS1_38merge_sort_block_merge_config_selectorIiiEEZZNS1_27merge_sort_block_merge_implIS3_N6thrust23THRUST_200600_302600_NS6detail15normal_iteratorINS8_10device_ptrIiEEEESD_jNS1_19radix_merge_compareILb0ELb0EiNS0_19identity_decomposerEEEEE10hipError_tT0_T1_T2_jT3_P12ihipStream_tbPNSt15iterator_traitsISI_E10value_typeEPNSO_ISJ_E10value_typeEPSK_NS1_7vsmem_tEENKUlT_SI_SJ_SK_E_clISD_PiSD_S10_EESH_SX_SI_SJ_SK_EUlSX_E_NS1_11comp_targetILNS1_3genE4ELNS1_11target_archE910ELNS1_3gpuE8ELNS1_3repE0EEENS1_48merge_mergepath_partition_config_static_selectorELNS0_4arch9wavefront6targetE0EEEvSJ_,comdat
	.protected	_ZN7rocprim17ROCPRIM_400000_NS6detail17trampoline_kernelINS0_14default_configENS1_38merge_sort_block_merge_config_selectorIiiEEZZNS1_27merge_sort_block_merge_implIS3_N6thrust23THRUST_200600_302600_NS6detail15normal_iteratorINS8_10device_ptrIiEEEESD_jNS1_19radix_merge_compareILb0ELb0EiNS0_19identity_decomposerEEEEE10hipError_tT0_T1_T2_jT3_P12ihipStream_tbPNSt15iterator_traitsISI_E10value_typeEPNSO_ISJ_E10value_typeEPSK_NS1_7vsmem_tEENKUlT_SI_SJ_SK_E_clISD_PiSD_S10_EESH_SX_SI_SJ_SK_EUlSX_E_NS1_11comp_targetILNS1_3genE4ELNS1_11target_archE910ELNS1_3gpuE8ELNS1_3repE0EEENS1_48merge_mergepath_partition_config_static_selectorELNS0_4arch9wavefront6targetE0EEEvSJ_ ; -- Begin function _ZN7rocprim17ROCPRIM_400000_NS6detail17trampoline_kernelINS0_14default_configENS1_38merge_sort_block_merge_config_selectorIiiEEZZNS1_27merge_sort_block_merge_implIS3_N6thrust23THRUST_200600_302600_NS6detail15normal_iteratorINS8_10device_ptrIiEEEESD_jNS1_19radix_merge_compareILb0ELb0EiNS0_19identity_decomposerEEEEE10hipError_tT0_T1_T2_jT3_P12ihipStream_tbPNSt15iterator_traitsISI_E10value_typeEPNSO_ISJ_E10value_typeEPSK_NS1_7vsmem_tEENKUlT_SI_SJ_SK_E_clISD_PiSD_S10_EESH_SX_SI_SJ_SK_EUlSX_E_NS1_11comp_targetILNS1_3genE4ELNS1_11target_archE910ELNS1_3gpuE8ELNS1_3repE0EEENS1_48merge_mergepath_partition_config_static_selectorELNS0_4arch9wavefront6targetE0EEEvSJ_
	.globl	_ZN7rocprim17ROCPRIM_400000_NS6detail17trampoline_kernelINS0_14default_configENS1_38merge_sort_block_merge_config_selectorIiiEEZZNS1_27merge_sort_block_merge_implIS3_N6thrust23THRUST_200600_302600_NS6detail15normal_iteratorINS8_10device_ptrIiEEEESD_jNS1_19radix_merge_compareILb0ELb0EiNS0_19identity_decomposerEEEEE10hipError_tT0_T1_T2_jT3_P12ihipStream_tbPNSt15iterator_traitsISI_E10value_typeEPNSO_ISJ_E10value_typeEPSK_NS1_7vsmem_tEENKUlT_SI_SJ_SK_E_clISD_PiSD_S10_EESH_SX_SI_SJ_SK_EUlSX_E_NS1_11comp_targetILNS1_3genE4ELNS1_11target_archE910ELNS1_3gpuE8ELNS1_3repE0EEENS1_48merge_mergepath_partition_config_static_selectorELNS0_4arch9wavefront6targetE0EEEvSJ_
	.p2align	8
	.type	_ZN7rocprim17ROCPRIM_400000_NS6detail17trampoline_kernelINS0_14default_configENS1_38merge_sort_block_merge_config_selectorIiiEEZZNS1_27merge_sort_block_merge_implIS3_N6thrust23THRUST_200600_302600_NS6detail15normal_iteratorINS8_10device_ptrIiEEEESD_jNS1_19radix_merge_compareILb0ELb0EiNS0_19identity_decomposerEEEEE10hipError_tT0_T1_T2_jT3_P12ihipStream_tbPNSt15iterator_traitsISI_E10value_typeEPNSO_ISJ_E10value_typeEPSK_NS1_7vsmem_tEENKUlT_SI_SJ_SK_E_clISD_PiSD_S10_EESH_SX_SI_SJ_SK_EUlSX_E_NS1_11comp_targetILNS1_3genE4ELNS1_11target_archE910ELNS1_3gpuE8ELNS1_3repE0EEENS1_48merge_mergepath_partition_config_static_selectorELNS0_4arch9wavefront6targetE0EEEvSJ_,@function
_ZN7rocprim17ROCPRIM_400000_NS6detail17trampoline_kernelINS0_14default_configENS1_38merge_sort_block_merge_config_selectorIiiEEZZNS1_27merge_sort_block_merge_implIS3_N6thrust23THRUST_200600_302600_NS6detail15normal_iteratorINS8_10device_ptrIiEEEESD_jNS1_19radix_merge_compareILb0ELb0EiNS0_19identity_decomposerEEEEE10hipError_tT0_T1_T2_jT3_P12ihipStream_tbPNSt15iterator_traitsISI_E10value_typeEPNSO_ISJ_E10value_typeEPSK_NS1_7vsmem_tEENKUlT_SI_SJ_SK_E_clISD_PiSD_S10_EESH_SX_SI_SJ_SK_EUlSX_E_NS1_11comp_targetILNS1_3genE4ELNS1_11target_archE910ELNS1_3gpuE8ELNS1_3repE0EEENS1_48merge_mergepath_partition_config_static_selectorELNS0_4arch9wavefront6targetE0EEEvSJ_: ; @_ZN7rocprim17ROCPRIM_400000_NS6detail17trampoline_kernelINS0_14default_configENS1_38merge_sort_block_merge_config_selectorIiiEEZZNS1_27merge_sort_block_merge_implIS3_N6thrust23THRUST_200600_302600_NS6detail15normal_iteratorINS8_10device_ptrIiEEEESD_jNS1_19radix_merge_compareILb0ELb0EiNS0_19identity_decomposerEEEEE10hipError_tT0_T1_T2_jT3_P12ihipStream_tbPNSt15iterator_traitsISI_E10value_typeEPNSO_ISJ_E10value_typeEPSK_NS1_7vsmem_tEENKUlT_SI_SJ_SK_E_clISD_PiSD_S10_EESH_SX_SI_SJ_SK_EUlSX_E_NS1_11comp_targetILNS1_3genE4ELNS1_11target_archE910ELNS1_3gpuE8ELNS1_3repE0EEENS1_48merge_mergepath_partition_config_static_selectorELNS0_4arch9wavefront6targetE0EEEvSJ_
; %bb.0:
	.section	.rodata,"a",@progbits
	.p2align	6, 0x0
	.amdhsa_kernel _ZN7rocprim17ROCPRIM_400000_NS6detail17trampoline_kernelINS0_14default_configENS1_38merge_sort_block_merge_config_selectorIiiEEZZNS1_27merge_sort_block_merge_implIS3_N6thrust23THRUST_200600_302600_NS6detail15normal_iteratorINS8_10device_ptrIiEEEESD_jNS1_19radix_merge_compareILb0ELb0EiNS0_19identity_decomposerEEEEE10hipError_tT0_T1_T2_jT3_P12ihipStream_tbPNSt15iterator_traitsISI_E10value_typeEPNSO_ISJ_E10value_typeEPSK_NS1_7vsmem_tEENKUlT_SI_SJ_SK_E_clISD_PiSD_S10_EESH_SX_SI_SJ_SK_EUlSX_E_NS1_11comp_targetILNS1_3genE4ELNS1_11target_archE910ELNS1_3gpuE8ELNS1_3repE0EEENS1_48merge_mergepath_partition_config_static_selectorELNS0_4arch9wavefront6targetE0EEEvSJ_
		.amdhsa_group_segment_fixed_size 0
		.amdhsa_private_segment_fixed_size 0
		.amdhsa_kernarg_size 40
		.amdhsa_user_sgpr_count 6
		.amdhsa_user_sgpr_private_segment_buffer 1
		.amdhsa_user_sgpr_dispatch_ptr 0
		.amdhsa_user_sgpr_queue_ptr 0
		.amdhsa_user_sgpr_kernarg_segment_ptr 1
		.amdhsa_user_sgpr_dispatch_id 0
		.amdhsa_user_sgpr_flat_scratch_init 0
		.amdhsa_user_sgpr_private_segment_size 0
		.amdhsa_wavefront_size32 1
		.amdhsa_uses_dynamic_stack 0
		.amdhsa_system_sgpr_private_segment_wavefront_offset 0
		.amdhsa_system_sgpr_workgroup_id_x 1
		.amdhsa_system_sgpr_workgroup_id_y 0
		.amdhsa_system_sgpr_workgroup_id_z 0
		.amdhsa_system_sgpr_workgroup_info 0
		.amdhsa_system_vgpr_workitem_id 0
		.amdhsa_next_free_vgpr 1
		.amdhsa_next_free_sgpr 1
		.amdhsa_reserve_vcc 0
		.amdhsa_reserve_flat_scratch 0
		.amdhsa_float_round_mode_32 0
		.amdhsa_float_round_mode_16_64 0
		.amdhsa_float_denorm_mode_32 3
		.amdhsa_float_denorm_mode_16_64 3
		.amdhsa_dx10_clamp 1
		.amdhsa_ieee_mode 1
		.amdhsa_fp16_overflow 0
		.amdhsa_workgroup_processor_mode 1
		.amdhsa_memory_ordered 1
		.amdhsa_forward_progress 1
		.amdhsa_shared_vgpr_count 0
		.amdhsa_exception_fp_ieee_invalid_op 0
		.amdhsa_exception_fp_denorm_src 0
		.amdhsa_exception_fp_ieee_div_zero 0
		.amdhsa_exception_fp_ieee_overflow 0
		.amdhsa_exception_fp_ieee_underflow 0
		.amdhsa_exception_fp_ieee_inexact 0
		.amdhsa_exception_int_div_zero 0
	.end_amdhsa_kernel
	.section	.text._ZN7rocprim17ROCPRIM_400000_NS6detail17trampoline_kernelINS0_14default_configENS1_38merge_sort_block_merge_config_selectorIiiEEZZNS1_27merge_sort_block_merge_implIS3_N6thrust23THRUST_200600_302600_NS6detail15normal_iteratorINS8_10device_ptrIiEEEESD_jNS1_19radix_merge_compareILb0ELb0EiNS0_19identity_decomposerEEEEE10hipError_tT0_T1_T2_jT3_P12ihipStream_tbPNSt15iterator_traitsISI_E10value_typeEPNSO_ISJ_E10value_typeEPSK_NS1_7vsmem_tEENKUlT_SI_SJ_SK_E_clISD_PiSD_S10_EESH_SX_SI_SJ_SK_EUlSX_E_NS1_11comp_targetILNS1_3genE4ELNS1_11target_archE910ELNS1_3gpuE8ELNS1_3repE0EEENS1_48merge_mergepath_partition_config_static_selectorELNS0_4arch9wavefront6targetE0EEEvSJ_,"axG",@progbits,_ZN7rocprim17ROCPRIM_400000_NS6detail17trampoline_kernelINS0_14default_configENS1_38merge_sort_block_merge_config_selectorIiiEEZZNS1_27merge_sort_block_merge_implIS3_N6thrust23THRUST_200600_302600_NS6detail15normal_iteratorINS8_10device_ptrIiEEEESD_jNS1_19radix_merge_compareILb0ELb0EiNS0_19identity_decomposerEEEEE10hipError_tT0_T1_T2_jT3_P12ihipStream_tbPNSt15iterator_traitsISI_E10value_typeEPNSO_ISJ_E10value_typeEPSK_NS1_7vsmem_tEENKUlT_SI_SJ_SK_E_clISD_PiSD_S10_EESH_SX_SI_SJ_SK_EUlSX_E_NS1_11comp_targetILNS1_3genE4ELNS1_11target_archE910ELNS1_3gpuE8ELNS1_3repE0EEENS1_48merge_mergepath_partition_config_static_selectorELNS0_4arch9wavefront6targetE0EEEvSJ_,comdat
.Lfunc_end735:
	.size	_ZN7rocprim17ROCPRIM_400000_NS6detail17trampoline_kernelINS0_14default_configENS1_38merge_sort_block_merge_config_selectorIiiEEZZNS1_27merge_sort_block_merge_implIS3_N6thrust23THRUST_200600_302600_NS6detail15normal_iteratorINS8_10device_ptrIiEEEESD_jNS1_19radix_merge_compareILb0ELb0EiNS0_19identity_decomposerEEEEE10hipError_tT0_T1_T2_jT3_P12ihipStream_tbPNSt15iterator_traitsISI_E10value_typeEPNSO_ISJ_E10value_typeEPSK_NS1_7vsmem_tEENKUlT_SI_SJ_SK_E_clISD_PiSD_S10_EESH_SX_SI_SJ_SK_EUlSX_E_NS1_11comp_targetILNS1_3genE4ELNS1_11target_archE910ELNS1_3gpuE8ELNS1_3repE0EEENS1_48merge_mergepath_partition_config_static_selectorELNS0_4arch9wavefront6targetE0EEEvSJ_, .Lfunc_end735-_ZN7rocprim17ROCPRIM_400000_NS6detail17trampoline_kernelINS0_14default_configENS1_38merge_sort_block_merge_config_selectorIiiEEZZNS1_27merge_sort_block_merge_implIS3_N6thrust23THRUST_200600_302600_NS6detail15normal_iteratorINS8_10device_ptrIiEEEESD_jNS1_19radix_merge_compareILb0ELb0EiNS0_19identity_decomposerEEEEE10hipError_tT0_T1_T2_jT3_P12ihipStream_tbPNSt15iterator_traitsISI_E10value_typeEPNSO_ISJ_E10value_typeEPSK_NS1_7vsmem_tEENKUlT_SI_SJ_SK_E_clISD_PiSD_S10_EESH_SX_SI_SJ_SK_EUlSX_E_NS1_11comp_targetILNS1_3genE4ELNS1_11target_archE910ELNS1_3gpuE8ELNS1_3repE0EEENS1_48merge_mergepath_partition_config_static_selectorELNS0_4arch9wavefront6targetE0EEEvSJ_
                                        ; -- End function
	.set _ZN7rocprim17ROCPRIM_400000_NS6detail17trampoline_kernelINS0_14default_configENS1_38merge_sort_block_merge_config_selectorIiiEEZZNS1_27merge_sort_block_merge_implIS3_N6thrust23THRUST_200600_302600_NS6detail15normal_iteratorINS8_10device_ptrIiEEEESD_jNS1_19radix_merge_compareILb0ELb0EiNS0_19identity_decomposerEEEEE10hipError_tT0_T1_T2_jT3_P12ihipStream_tbPNSt15iterator_traitsISI_E10value_typeEPNSO_ISJ_E10value_typeEPSK_NS1_7vsmem_tEENKUlT_SI_SJ_SK_E_clISD_PiSD_S10_EESH_SX_SI_SJ_SK_EUlSX_E_NS1_11comp_targetILNS1_3genE4ELNS1_11target_archE910ELNS1_3gpuE8ELNS1_3repE0EEENS1_48merge_mergepath_partition_config_static_selectorELNS0_4arch9wavefront6targetE0EEEvSJ_.num_vgpr, 0
	.set _ZN7rocprim17ROCPRIM_400000_NS6detail17trampoline_kernelINS0_14default_configENS1_38merge_sort_block_merge_config_selectorIiiEEZZNS1_27merge_sort_block_merge_implIS3_N6thrust23THRUST_200600_302600_NS6detail15normal_iteratorINS8_10device_ptrIiEEEESD_jNS1_19radix_merge_compareILb0ELb0EiNS0_19identity_decomposerEEEEE10hipError_tT0_T1_T2_jT3_P12ihipStream_tbPNSt15iterator_traitsISI_E10value_typeEPNSO_ISJ_E10value_typeEPSK_NS1_7vsmem_tEENKUlT_SI_SJ_SK_E_clISD_PiSD_S10_EESH_SX_SI_SJ_SK_EUlSX_E_NS1_11comp_targetILNS1_3genE4ELNS1_11target_archE910ELNS1_3gpuE8ELNS1_3repE0EEENS1_48merge_mergepath_partition_config_static_selectorELNS0_4arch9wavefront6targetE0EEEvSJ_.num_agpr, 0
	.set _ZN7rocprim17ROCPRIM_400000_NS6detail17trampoline_kernelINS0_14default_configENS1_38merge_sort_block_merge_config_selectorIiiEEZZNS1_27merge_sort_block_merge_implIS3_N6thrust23THRUST_200600_302600_NS6detail15normal_iteratorINS8_10device_ptrIiEEEESD_jNS1_19radix_merge_compareILb0ELb0EiNS0_19identity_decomposerEEEEE10hipError_tT0_T1_T2_jT3_P12ihipStream_tbPNSt15iterator_traitsISI_E10value_typeEPNSO_ISJ_E10value_typeEPSK_NS1_7vsmem_tEENKUlT_SI_SJ_SK_E_clISD_PiSD_S10_EESH_SX_SI_SJ_SK_EUlSX_E_NS1_11comp_targetILNS1_3genE4ELNS1_11target_archE910ELNS1_3gpuE8ELNS1_3repE0EEENS1_48merge_mergepath_partition_config_static_selectorELNS0_4arch9wavefront6targetE0EEEvSJ_.numbered_sgpr, 0
	.set _ZN7rocprim17ROCPRIM_400000_NS6detail17trampoline_kernelINS0_14default_configENS1_38merge_sort_block_merge_config_selectorIiiEEZZNS1_27merge_sort_block_merge_implIS3_N6thrust23THRUST_200600_302600_NS6detail15normal_iteratorINS8_10device_ptrIiEEEESD_jNS1_19radix_merge_compareILb0ELb0EiNS0_19identity_decomposerEEEEE10hipError_tT0_T1_T2_jT3_P12ihipStream_tbPNSt15iterator_traitsISI_E10value_typeEPNSO_ISJ_E10value_typeEPSK_NS1_7vsmem_tEENKUlT_SI_SJ_SK_E_clISD_PiSD_S10_EESH_SX_SI_SJ_SK_EUlSX_E_NS1_11comp_targetILNS1_3genE4ELNS1_11target_archE910ELNS1_3gpuE8ELNS1_3repE0EEENS1_48merge_mergepath_partition_config_static_selectorELNS0_4arch9wavefront6targetE0EEEvSJ_.num_named_barrier, 0
	.set _ZN7rocprim17ROCPRIM_400000_NS6detail17trampoline_kernelINS0_14default_configENS1_38merge_sort_block_merge_config_selectorIiiEEZZNS1_27merge_sort_block_merge_implIS3_N6thrust23THRUST_200600_302600_NS6detail15normal_iteratorINS8_10device_ptrIiEEEESD_jNS1_19radix_merge_compareILb0ELb0EiNS0_19identity_decomposerEEEEE10hipError_tT0_T1_T2_jT3_P12ihipStream_tbPNSt15iterator_traitsISI_E10value_typeEPNSO_ISJ_E10value_typeEPSK_NS1_7vsmem_tEENKUlT_SI_SJ_SK_E_clISD_PiSD_S10_EESH_SX_SI_SJ_SK_EUlSX_E_NS1_11comp_targetILNS1_3genE4ELNS1_11target_archE910ELNS1_3gpuE8ELNS1_3repE0EEENS1_48merge_mergepath_partition_config_static_selectorELNS0_4arch9wavefront6targetE0EEEvSJ_.private_seg_size, 0
	.set _ZN7rocprim17ROCPRIM_400000_NS6detail17trampoline_kernelINS0_14default_configENS1_38merge_sort_block_merge_config_selectorIiiEEZZNS1_27merge_sort_block_merge_implIS3_N6thrust23THRUST_200600_302600_NS6detail15normal_iteratorINS8_10device_ptrIiEEEESD_jNS1_19radix_merge_compareILb0ELb0EiNS0_19identity_decomposerEEEEE10hipError_tT0_T1_T2_jT3_P12ihipStream_tbPNSt15iterator_traitsISI_E10value_typeEPNSO_ISJ_E10value_typeEPSK_NS1_7vsmem_tEENKUlT_SI_SJ_SK_E_clISD_PiSD_S10_EESH_SX_SI_SJ_SK_EUlSX_E_NS1_11comp_targetILNS1_3genE4ELNS1_11target_archE910ELNS1_3gpuE8ELNS1_3repE0EEENS1_48merge_mergepath_partition_config_static_selectorELNS0_4arch9wavefront6targetE0EEEvSJ_.uses_vcc, 0
	.set _ZN7rocprim17ROCPRIM_400000_NS6detail17trampoline_kernelINS0_14default_configENS1_38merge_sort_block_merge_config_selectorIiiEEZZNS1_27merge_sort_block_merge_implIS3_N6thrust23THRUST_200600_302600_NS6detail15normal_iteratorINS8_10device_ptrIiEEEESD_jNS1_19radix_merge_compareILb0ELb0EiNS0_19identity_decomposerEEEEE10hipError_tT0_T1_T2_jT3_P12ihipStream_tbPNSt15iterator_traitsISI_E10value_typeEPNSO_ISJ_E10value_typeEPSK_NS1_7vsmem_tEENKUlT_SI_SJ_SK_E_clISD_PiSD_S10_EESH_SX_SI_SJ_SK_EUlSX_E_NS1_11comp_targetILNS1_3genE4ELNS1_11target_archE910ELNS1_3gpuE8ELNS1_3repE0EEENS1_48merge_mergepath_partition_config_static_selectorELNS0_4arch9wavefront6targetE0EEEvSJ_.uses_flat_scratch, 0
	.set _ZN7rocprim17ROCPRIM_400000_NS6detail17trampoline_kernelINS0_14default_configENS1_38merge_sort_block_merge_config_selectorIiiEEZZNS1_27merge_sort_block_merge_implIS3_N6thrust23THRUST_200600_302600_NS6detail15normal_iteratorINS8_10device_ptrIiEEEESD_jNS1_19radix_merge_compareILb0ELb0EiNS0_19identity_decomposerEEEEE10hipError_tT0_T1_T2_jT3_P12ihipStream_tbPNSt15iterator_traitsISI_E10value_typeEPNSO_ISJ_E10value_typeEPSK_NS1_7vsmem_tEENKUlT_SI_SJ_SK_E_clISD_PiSD_S10_EESH_SX_SI_SJ_SK_EUlSX_E_NS1_11comp_targetILNS1_3genE4ELNS1_11target_archE910ELNS1_3gpuE8ELNS1_3repE0EEENS1_48merge_mergepath_partition_config_static_selectorELNS0_4arch9wavefront6targetE0EEEvSJ_.has_dyn_sized_stack, 0
	.set _ZN7rocprim17ROCPRIM_400000_NS6detail17trampoline_kernelINS0_14default_configENS1_38merge_sort_block_merge_config_selectorIiiEEZZNS1_27merge_sort_block_merge_implIS3_N6thrust23THRUST_200600_302600_NS6detail15normal_iteratorINS8_10device_ptrIiEEEESD_jNS1_19radix_merge_compareILb0ELb0EiNS0_19identity_decomposerEEEEE10hipError_tT0_T1_T2_jT3_P12ihipStream_tbPNSt15iterator_traitsISI_E10value_typeEPNSO_ISJ_E10value_typeEPSK_NS1_7vsmem_tEENKUlT_SI_SJ_SK_E_clISD_PiSD_S10_EESH_SX_SI_SJ_SK_EUlSX_E_NS1_11comp_targetILNS1_3genE4ELNS1_11target_archE910ELNS1_3gpuE8ELNS1_3repE0EEENS1_48merge_mergepath_partition_config_static_selectorELNS0_4arch9wavefront6targetE0EEEvSJ_.has_recursion, 0
	.set _ZN7rocprim17ROCPRIM_400000_NS6detail17trampoline_kernelINS0_14default_configENS1_38merge_sort_block_merge_config_selectorIiiEEZZNS1_27merge_sort_block_merge_implIS3_N6thrust23THRUST_200600_302600_NS6detail15normal_iteratorINS8_10device_ptrIiEEEESD_jNS1_19radix_merge_compareILb0ELb0EiNS0_19identity_decomposerEEEEE10hipError_tT0_T1_T2_jT3_P12ihipStream_tbPNSt15iterator_traitsISI_E10value_typeEPNSO_ISJ_E10value_typeEPSK_NS1_7vsmem_tEENKUlT_SI_SJ_SK_E_clISD_PiSD_S10_EESH_SX_SI_SJ_SK_EUlSX_E_NS1_11comp_targetILNS1_3genE4ELNS1_11target_archE910ELNS1_3gpuE8ELNS1_3repE0EEENS1_48merge_mergepath_partition_config_static_selectorELNS0_4arch9wavefront6targetE0EEEvSJ_.has_indirect_call, 0
	.section	.AMDGPU.csdata,"",@progbits
; Kernel info:
; codeLenInByte = 0
; TotalNumSgprs: 0
; NumVgprs: 0
; ScratchSize: 0
; MemoryBound: 0
; FloatMode: 240
; IeeeMode: 1
; LDSByteSize: 0 bytes/workgroup (compile time only)
; SGPRBlocks: 0
; VGPRBlocks: 0
; NumSGPRsForWavesPerEU: 1
; NumVGPRsForWavesPerEU: 1
; Occupancy: 16
; WaveLimiterHint : 0
; COMPUTE_PGM_RSRC2:SCRATCH_EN: 0
; COMPUTE_PGM_RSRC2:USER_SGPR: 6
; COMPUTE_PGM_RSRC2:TRAP_HANDLER: 0
; COMPUTE_PGM_RSRC2:TGID_X_EN: 1
; COMPUTE_PGM_RSRC2:TGID_Y_EN: 0
; COMPUTE_PGM_RSRC2:TGID_Z_EN: 0
; COMPUTE_PGM_RSRC2:TIDIG_COMP_CNT: 0
	.section	.text._ZN7rocprim17ROCPRIM_400000_NS6detail17trampoline_kernelINS0_14default_configENS1_38merge_sort_block_merge_config_selectorIiiEEZZNS1_27merge_sort_block_merge_implIS3_N6thrust23THRUST_200600_302600_NS6detail15normal_iteratorINS8_10device_ptrIiEEEESD_jNS1_19radix_merge_compareILb0ELb0EiNS0_19identity_decomposerEEEEE10hipError_tT0_T1_T2_jT3_P12ihipStream_tbPNSt15iterator_traitsISI_E10value_typeEPNSO_ISJ_E10value_typeEPSK_NS1_7vsmem_tEENKUlT_SI_SJ_SK_E_clISD_PiSD_S10_EESH_SX_SI_SJ_SK_EUlSX_E_NS1_11comp_targetILNS1_3genE3ELNS1_11target_archE908ELNS1_3gpuE7ELNS1_3repE0EEENS1_48merge_mergepath_partition_config_static_selectorELNS0_4arch9wavefront6targetE0EEEvSJ_,"axG",@progbits,_ZN7rocprim17ROCPRIM_400000_NS6detail17trampoline_kernelINS0_14default_configENS1_38merge_sort_block_merge_config_selectorIiiEEZZNS1_27merge_sort_block_merge_implIS3_N6thrust23THRUST_200600_302600_NS6detail15normal_iteratorINS8_10device_ptrIiEEEESD_jNS1_19radix_merge_compareILb0ELb0EiNS0_19identity_decomposerEEEEE10hipError_tT0_T1_T2_jT3_P12ihipStream_tbPNSt15iterator_traitsISI_E10value_typeEPNSO_ISJ_E10value_typeEPSK_NS1_7vsmem_tEENKUlT_SI_SJ_SK_E_clISD_PiSD_S10_EESH_SX_SI_SJ_SK_EUlSX_E_NS1_11comp_targetILNS1_3genE3ELNS1_11target_archE908ELNS1_3gpuE7ELNS1_3repE0EEENS1_48merge_mergepath_partition_config_static_selectorELNS0_4arch9wavefront6targetE0EEEvSJ_,comdat
	.protected	_ZN7rocprim17ROCPRIM_400000_NS6detail17trampoline_kernelINS0_14default_configENS1_38merge_sort_block_merge_config_selectorIiiEEZZNS1_27merge_sort_block_merge_implIS3_N6thrust23THRUST_200600_302600_NS6detail15normal_iteratorINS8_10device_ptrIiEEEESD_jNS1_19radix_merge_compareILb0ELb0EiNS0_19identity_decomposerEEEEE10hipError_tT0_T1_T2_jT3_P12ihipStream_tbPNSt15iterator_traitsISI_E10value_typeEPNSO_ISJ_E10value_typeEPSK_NS1_7vsmem_tEENKUlT_SI_SJ_SK_E_clISD_PiSD_S10_EESH_SX_SI_SJ_SK_EUlSX_E_NS1_11comp_targetILNS1_3genE3ELNS1_11target_archE908ELNS1_3gpuE7ELNS1_3repE0EEENS1_48merge_mergepath_partition_config_static_selectorELNS0_4arch9wavefront6targetE0EEEvSJ_ ; -- Begin function _ZN7rocprim17ROCPRIM_400000_NS6detail17trampoline_kernelINS0_14default_configENS1_38merge_sort_block_merge_config_selectorIiiEEZZNS1_27merge_sort_block_merge_implIS3_N6thrust23THRUST_200600_302600_NS6detail15normal_iteratorINS8_10device_ptrIiEEEESD_jNS1_19radix_merge_compareILb0ELb0EiNS0_19identity_decomposerEEEEE10hipError_tT0_T1_T2_jT3_P12ihipStream_tbPNSt15iterator_traitsISI_E10value_typeEPNSO_ISJ_E10value_typeEPSK_NS1_7vsmem_tEENKUlT_SI_SJ_SK_E_clISD_PiSD_S10_EESH_SX_SI_SJ_SK_EUlSX_E_NS1_11comp_targetILNS1_3genE3ELNS1_11target_archE908ELNS1_3gpuE7ELNS1_3repE0EEENS1_48merge_mergepath_partition_config_static_selectorELNS0_4arch9wavefront6targetE0EEEvSJ_
	.globl	_ZN7rocprim17ROCPRIM_400000_NS6detail17trampoline_kernelINS0_14default_configENS1_38merge_sort_block_merge_config_selectorIiiEEZZNS1_27merge_sort_block_merge_implIS3_N6thrust23THRUST_200600_302600_NS6detail15normal_iteratorINS8_10device_ptrIiEEEESD_jNS1_19radix_merge_compareILb0ELb0EiNS0_19identity_decomposerEEEEE10hipError_tT0_T1_T2_jT3_P12ihipStream_tbPNSt15iterator_traitsISI_E10value_typeEPNSO_ISJ_E10value_typeEPSK_NS1_7vsmem_tEENKUlT_SI_SJ_SK_E_clISD_PiSD_S10_EESH_SX_SI_SJ_SK_EUlSX_E_NS1_11comp_targetILNS1_3genE3ELNS1_11target_archE908ELNS1_3gpuE7ELNS1_3repE0EEENS1_48merge_mergepath_partition_config_static_selectorELNS0_4arch9wavefront6targetE0EEEvSJ_
	.p2align	8
	.type	_ZN7rocprim17ROCPRIM_400000_NS6detail17trampoline_kernelINS0_14default_configENS1_38merge_sort_block_merge_config_selectorIiiEEZZNS1_27merge_sort_block_merge_implIS3_N6thrust23THRUST_200600_302600_NS6detail15normal_iteratorINS8_10device_ptrIiEEEESD_jNS1_19radix_merge_compareILb0ELb0EiNS0_19identity_decomposerEEEEE10hipError_tT0_T1_T2_jT3_P12ihipStream_tbPNSt15iterator_traitsISI_E10value_typeEPNSO_ISJ_E10value_typeEPSK_NS1_7vsmem_tEENKUlT_SI_SJ_SK_E_clISD_PiSD_S10_EESH_SX_SI_SJ_SK_EUlSX_E_NS1_11comp_targetILNS1_3genE3ELNS1_11target_archE908ELNS1_3gpuE7ELNS1_3repE0EEENS1_48merge_mergepath_partition_config_static_selectorELNS0_4arch9wavefront6targetE0EEEvSJ_,@function
_ZN7rocprim17ROCPRIM_400000_NS6detail17trampoline_kernelINS0_14default_configENS1_38merge_sort_block_merge_config_selectorIiiEEZZNS1_27merge_sort_block_merge_implIS3_N6thrust23THRUST_200600_302600_NS6detail15normal_iteratorINS8_10device_ptrIiEEEESD_jNS1_19radix_merge_compareILb0ELb0EiNS0_19identity_decomposerEEEEE10hipError_tT0_T1_T2_jT3_P12ihipStream_tbPNSt15iterator_traitsISI_E10value_typeEPNSO_ISJ_E10value_typeEPSK_NS1_7vsmem_tEENKUlT_SI_SJ_SK_E_clISD_PiSD_S10_EESH_SX_SI_SJ_SK_EUlSX_E_NS1_11comp_targetILNS1_3genE3ELNS1_11target_archE908ELNS1_3gpuE7ELNS1_3repE0EEENS1_48merge_mergepath_partition_config_static_selectorELNS0_4arch9wavefront6targetE0EEEvSJ_: ; @_ZN7rocprim17ROCPRIM_400000_NS6detail17trampoline_kernelINS0_14default_configENS1_38merge_sort_block_merge_config_selectorIiiEEZZNS1_27merge_sort_block_merge_implIS3_N6thrust23THRUST_200600_302600_NS6detail15normal_iteratorINS8_10device_ptrIiEEEESD_jNS1_19radix_merge_compareILb0ELb0EiNS0_19identity_decomposerEEEEE10hipError_tT0_T1_T2_jT3_P12ihipStream_tbPNSt15iterator_traitsISI_E10value_typeEPNSO_ISJ_E10value_typeEPSK_NS1_7vsmem_tEENKUlT_SI_SJ_SK_E_clISD_PiSD_S10_EESH_SX_SI_SJ_SK_EUlSX_E_NS1_11comp_targetILNS1_3genE3ELNS1_11target_archE908ELNS1_3gpuE7ELNS1_3repE0EEENS1_48merge_mergepath_partition_config_static_selectorELNS0_4arch9wavefront6targetE0EEEvSJ_
; %bb.0:
	.section	.rodata,"a",@progbits
	.p2align	6, 0x0
	.amdhsa_kernel _ZN7rocprim17ROCPRIM_400000_NS6detail17trampoline_kernelINS0_14default_configENS1_38merge_sort_block_merge_config_selectorIiiEEZZNS1_27merge_sort_block_merge_implIS3_N6thrust23THRUST_200600_302600_NS6detail15normal_iteratorINS8_10device_ptrIiEEEESD_jNS1_19radix_merge_compareILb0ELb0EiNS0_19identity_decomposerEEEEE10hipError_tT0_T1_T2_jT3_P12ihipStream_tbPNSt15iterator_traitsISI_E10value_typeEPNSO_ISJ_E10value_typeEPSK_NS1_7vsmem_tEENKUlT_SI_SJ_SK_E_clISD_PiSD_S10_EESH_SX_SI_SJ_SK_EUlSX_E_NS1_11comp_targetILNS1_3genE3ELNS1_11target_archE908ELNS1_3gpuE7ELNS1_3repE0EEENS1_48merge_mergepath_partition_config_static_selectorELNS0_4arch9wavefront6targetE0EEEvSJ_
		.amdhsa_group_segment_fixed_size 0
		.amdhsa_private_segment_fixed_size 0
		.amdhsa_kernarg_size 40
		.amdhsa_user_sgpr_count 6
		.amdhsa_user_sgpr_private_segment_buffer 1
		.amdhsa_user_sgpr_dispatch_ptr 0
		.amdhsa_user_sgpr_queue_ptr 0
		.amdhsa_user_sgpr_kernarg_segment_ptr 1
		.amdhsa_user_sgpr_dispatch_id 0
		.amdhsa_user_sgpr_flat_scratch_init 0
		.amdhsa_user_sgpr_private_segment_size 0
		.amdhsa_wavefront_size32 1
		.amdhsa_uses_dynamic_stack 0
		.amdhsa_system_sgpr_private_segment_wavefront_offset 0
		.amdhsa_system_sgpr_workgroup_id_x 1
		.amdhsa_system_sgpr_workgroup_id_y 0
		.amdhsa_system_sgpr_workgroup_id_z 0
		.amdhsa_system_sgpr_workgroup_info 0
		.amdhsa_system_vgpr_workitem_id 0
		.amdhsa_next_free_vgpr 1
		.amdhsa_next_free_sgpr 1
		.amdhsa_reserve_vcc 0
		.amdhsa_reserve_flat_scratch 0
		.amdhsa_float_round_mode_32 0
		.amdhsa_float_round_mode_16_64 0
		.amdhsa_float_denorm_mode_32 3
		.amdhsa_float_denorm_mode_16_64 3
		.amdhsa_dx10_clamp 1
		.amdhsa_ieee_mode 1
		.amdhsa_fp16_overflow 0
		.amdhsa_workgroup_processor_mode 1
		.amdhsa_memory_ordered 1
		.amdhsa_forward_progress 1
		.amdhsa_shared_vgpr_count 0
		.amdhsa_exception_fp_ieee_invalid_op 0
		.amdhsa_exception_fp_denorm_src 0
		.amdhsa_exception_fp_ieee_div_zero 0
		.amdhsa_exception_fp_ieee_overflow 0
		.amdhsa_exception_fp_ieee_underflow 0
		.amdhsa_exception_fp_ieee_inexact 0
		.amdhsa_exception_int_div_zero 0
	.end_amdhsa_kernel
	.section	.text._ZN7rocprim17ROCPRIM_400000_NS6detail17trampoline_kernelINS0_14default_configENS1_38merge_sort_block_merge_config_selectorIiiEEZZNS1_27merge_sort_block_merge_implIS3_N6thrust23THRUST_200600_302600_NS6detail15normal_iteratorINS8_10device_ptrIiEEEESD_jNS1_19radix_merge_compareILb0ELb0EiNS0_19identity_decomposerEEEEE10hipError_tT0_T1_T2_jT3_P12ihipStream_tbPNSt15iterator_traitsISI_E10value_typeEPNSO_ISJ_E10value_typeEPSK_NS1_7vsmem_tEENKUlT_SI_SJ_SK_E_clISD_PiSD_S10_EESH_SX_SI_SJ_SK_EUlSX_E_NS1_11comp_targetILNS1_3genE3ELNS1_11target_archE908ELNS1_3gpuE7ELNS1_3repE0EEENS1_48merge_mergepath_partition_config_static_selectorELNS0_4arch9wavefront6targetE0EEEvSJ_,"axG",@progbits,_ZN7rocprim17ROCPRIM_400000_NS6detail17trampoline_kernelINS0_14default_configENS1_38merge_sort_block_merge_config_selectorIiiEEZZNS1_27merge_sort_block_merge_implIS3_N6thrust23THRUST_200600_302600_NS6detail15normal_iteratorINS8_10device_ptrIiEEEESD_jNS1_19radix_merge_compareILb0ELb0EiNS0_19identity_decomposerEEEEE10hipError_tT0_T1_T2_jT3_P12ihipStream_tbPNSt15iterator_traitsISI_E10value_typeEPNSO_ISJ_E10value_typeEPSK_NS1_7vsmem_tEENKUlT_SI_SJ_SK_E_clISD_PiSD_S10_EESH_SX_SI_SJ_SK_EUlSX_E_NS1_11comp_targetILNS1_3genE3ELNS1_11target_archE908ELNS1_3gpuE7ELNS1_3repE0EEENS1_48merge_mergepath_partition_config_static_selectorELNS0_4arch9wavefront6targetE0EEEvSJ_,comdat
.Lfunc_end736:
	.size	_ZN7rocprim17ROCPRIM_400000_NS6detail17trampoline_kernelINS0_14default_configENS1_38merge_sort_block_merge_config_selectorIiiEEZZNS1_27merge_sort_block_merge_implIS3_N6thrust23THRUST_200600_302600_NS6detail15normal_iteratorINS8_10device_ptrIiEEEESD_jNS1_19radix_merge_compareILb0ELb0EiNS0_19identity_decomposerEEEEE10hipError_tT0_T1_T2_jT3_P12ihipStream_tbPNSt15iterator_traitsISI_E10value_typeEPNSO_ISJ_E10value_typeEPSK_NS1_7vsmem_tEENKUlT_SI_SJ_SK_E_clISD_PiSD_S10_EESH_SX_SI_SJ_SK_EUlSX_E_NS1_11comp_targetILNS1_3genE3ELNS1_11target_archE908ELNS1_3gpuE7ELNS1_3repE0EEENS1_48merge_mergepath_partition_config_static_selectorELNS0_4arch9wavefront6targetE0EEEvSJ_, .Lfunc_end736-_ZN7rocprim17ROCPRIM_400000_NS6detail17trampoline_kernelINS0_14default_configENS1_38merge_sort_block_merge_config_selectorIiiEEZZNS1_27merge_sort_block_merge_implIS3_N6thrust23THRUST_200600_302600_NS6detail15normal_iteratorINS8_10device_ptrIiEEEESD_jNS1_19radix_merge_compareILb0ELb0EiNS0_19identity_decomposerEEEEE10hipError_tT0_T1_T2_jT3_P12ihipStream_tbPNSt15iterator_traitsISI_E10value_typeEPNSO_ISJ_E10value_typeEPSK_NS1_7vsmem_tEENKUlT_SI_SJ_SK_E_clISD_PiSD_S10_EESH_SX_SI_SJ_SK_EUlSX_E_NS1_11comp_targetILNS1_3genE3ELNS1_11target_archE908ELNS1_3gpuE7ELNS1_3repE0EEENS1_48merge_mergepath_partition_config_static_selectorELNS0_4arch9wavefront6targetE0EEEvSJ_
                                        ; -- End function
	.set _ZN7rocprim17ROCPRIM_400000_NS6detail17trampoline_kernelINS0_14default_configENS1_38merge_sort_block_merge_config_selectorIiiEEZZNS1_27merge_sort_block_merge_implIS3_N6thrust23THRUST_200600_302600_NS6detail15normal_iteratorINS8_10device_ptrIiEEEESD_jNS1_19radix_merge_compareILb0ELb0EiNS0_19identity_decomposerEEEEE10hipError_tT0_T1_T2_jT3_P12ihipStream_tbPNSt15iterator_traitsISI_E10value_typeEPNSO_ISJ_E10value_typeEPSK_NS1_7vsmem_tEENKUlT_SI_SJ_SK_E_clISD_PiSD_S10_EESH_SX_SI_SJ_SK_EUlSX_E_NS1_11comp_targetILNS1_3genE3ELNS1_11target_archE908ELNS1_3gpuE7ELNS1_3repE0EEENS1_48merge_mergepath_partition_config_static_selectorELNS0_4arch9wavefront6targetE0EEEvSJ_.num_vgpr, 0
	.set _ZN7rocprim17ROCPRIM_400000_NS6detail17trampoline_kernelINS0_14default_configENS1_38merge_sort_block_merge_config_selectorIiiEEZZNS1_27merge_sort_block_merge_implIS3_N6thrust23THRUST_200600_302600_NS6detail15normal_iteratorINS8_10device_ptrIiEEEESD_jNS1_19radix_merge_compareILb0ELb0EiNS0_19identity_decomposerEEEEE10hipError_tT0_T1_T2_jT3_P12ihipStream_tbPNSt15iterator_traitsISI_E10value_typeEPNSO_ISJ_E10value_typeEPSK_NS1_7vsmem_tEENKUlT_SI_SJ_SK_E_clISD_PiSD_S10_EESH_SX_SI_SJ_SK_EUlSX_E_NS1_11comp_targetILNS1_3genE3ELNS1_11target_archE908ELNS1_3gpuE7ELNS1_3repE0EEENS1_48merge_mergepath_partition_config_static_selectorELNS0_4arch9wavefront6targetE0EEEvSJ_.num_agpr, 0
	.set _ZN7rocprim17ROCPRIM_400000_NS6detail17trampoline_kernelINS0_14default_configENS1_38merge_sort_block_merge_config_selectorIiiEEZZNS1_27merge_sort_block_merge_implIS3_N6thrust23THRUST_200600_302600_NS6detail15normal_iteratorINS8_10device_ptrIiEEEESD_jNS1_19radix_merge_compareILb0ELb0EiNS0_19identity_decomposerEEEEE10hipError_tT0_T1_T2_jT3_P12ihipStream_tbPNSt15iterator_traitsISI_E10value_typeEPNSO_ISJ_E10value_typeEPSK_NS1_7vsmem_tEENKUlT_SI_SJ_SK_E_clISD_PiSD_S10_EESH_SX_SI_SJ_SK_EUlSX_E_NS1_11comp_targetILNS1_3genE3ELNS1_11target_archE908ELNS1_3gpuE7ELNS1_3repE0EEENS1_48merge_mergepath_partition_config_static_selectorELNS0_4arch9wavefront6targetE0EEEvSJ_.numbered_sgpr, 0
	.set _ZN7rocprim17ROCPRIM_400000_NS6detail17trampoline_kernelINS0_14default_configENS1_38merge_sort_block_merge_config_selectorIiiEEZZNS1_27merge_sort_block_merge_implIS3_N6thrust23THRUST_200600_302600_NS6detail15normal_iteratorINS8_10device_ptrIiEEEESD_jNS1_19radix_merge_compareILb0ELb0EiNS0_19identity_decomposerEEEEE10hipError_tT0_T1_T2_jT3_P12ihipStream_tbPNSt15iterator_traitsISI_E10value_typeEPNSO_ISJ_E10value_typeEPSK_NS1_7vsmem_tEENKUlT_SI_SJ_SK_E_clISD_PiSD_S10_EESH_SX_SI_SJ_SK_EUlSX_E_NS1_11comp_targetILNS1_3genE3ELNS1_11target_archE908ELNS1_3gpuE7ELNS1_3repE0EEENS1_48merge_mergepath_partition_config_static_selectorELNS0_4arch9wavefront6targetE0EEEvSJ_.num_named_barrier, 0
	.set _ZN7rocprim17ROCPRIM_400000_NS6detail17trampoline_kernelINS0_14default_configENS1_38merge_sort_block_merge_config_selectorIiiEEZZNS1_27merge_sort_block_merge_implIS3_N6thrust23THRUST_200600_302600_NS6detail15normal_iteratorINS8_10device_ptrIiEEEESD_jNS1_19radix_merge_compareILb0ELb0EiNS0_19identity_decomposerEEEEE10hipError_tT0_T1_T2_jT3_P12ihipStream_tbPNSt15iterator_traitsISI_E10value_typeEPNSO_ISJ_E10value_typeEPSK_NS1_7vsmem_tEENKUlT_SI_SJ_SK_E_clISD_PiSD_S10_EESH_SX_SI_SJ_SK_EUlSX_E_NS1_11comp_targetILNS1_3genE3ELNS1_11target_archE908ELNS1_3gpuE7ELNS1_3repE0EEENS1_48merge_mergepath_partition_config_static_selectorELNS0_4arch9wavefront6targetE0EEEvSJ_.private_seg_size, 0
	.set _ZN7rocprim17ROCPRIM_400000_NS6detail17trampoline_kernelINS0_14default_configENS1_38merge_sort_block_merge_config_selectorIiiEEZZNS1_27merge_sort_block_merge_implIS3_N6thrust23THRUST_200600_302600_NS6detail15normal_iteratorINS8_10device_ptrIiEEEESD_jNS1_19radix_merge_compareILb0ELb0EiNS0_19identity_decomposerEEEEE10hipError_tT0_T1_T2_jT3_P12ihipStream_tbPNSt15iterator_traitsISI_E10value_typeEPNSO_ISJ_E10value_typeEPSK_NS1_7vsmem_tEENKUlT_SI_SJ_SK_E_clISD_PiSD_S10_EESH_SX_SI_SJ_SK_EUlSX_E_NS1_11comp_targetILNS1_3genE3ELNS1_11target_archE908ELNS1_3gpuE7ELNS1_3repE0EEENS1_48merge_mergepath_partition_config_static_selectorELNS0_4arch9wavefront6targetE0EEEvSJ_.uses_vcc, 0
	.set _ZN7rocprim17ROCPRIM_400000_NS6detail17trampoline_kernelINS0_14default_configENS1_38merge_sort_block_merge_config_selectorIiiEEZZNS1_27merge_sort_block_merge_implIS3_N6thrust23THRUST_200600_302600_NS6detail15normal_iteratorINS8_10device_ptrIiEEEESD_jNS1_19radix_merge_compareILb0ELb0EiNS0_19identity_decomposerEEEEE10hipError_tT0_T1_T2_jT3_P12ihipStream_tbPNSt15iterator_traitsISI_E10value_typeEPNSO_ISJ_E10value_typeEPSK_NS1_7vsmem_tEENKUlT_SI_SJ_SK_E_clISD_PiSD_S10_EESH_SX_SI_SJ_SK_EUlSX_E_NS1_11comp_targetILNS1_3genE3ELNS1_11target_archE908ELNS1_3gpuE7ELNS1_3repE0EEENS1_48merge_mergepath_partition_config_static_selectorELNS0_4arch9wavefront6targetE0EEEvSJ_.uses_flat_scratch, 0
	.set _ZN7rocprim17ROCPRIM_400000_NS6detail17trampoline_kernelINS0_14default_configENS1_38merge_sort_block_merge_config_selectorIiiEEZZNS1_27merge_sort_block_merge_implIS3_N6thrust23THRUST_200600_302600_NS6detail15normal_iteratorINS8_10device_ptrIiEEEESD_jNS1_19radix_merge_compareILb0ELb0EiNS0_19identity_decomposerEEEEE10hipError_tT0_T1_T2_jT3_P12ihipStream_tbPNSt15iterator_traitsISI_E10value_typeEPNSO_ISJ_E10value_typeEPSK_NS1_7vsmem_tEENKUlT_SI_SJ_SK_E_clISD_PiSD_S10_EESH_SX_SI_SJ_SK_EUlSX_E_NS1_11comp_targetILNS1_3genE3ELNS1_11target_archE908ELNS1_3gpuE7ELNS1_3repE0EEENS1_48merge_mergepath_partition_config_static_selectorELNS0_4arch9wavefront6targetE0EEEvSJ_.has_dyn_sized_stack, 0
	.set _ZN7rocprim17ROCPRIM_400000_NS6detail17trampoline_kernelINS0_14default_configENS1_38merge_sort_block_merge_config_selectorIiiEEZZNS1_27merge_sort_block_merge_implIS3_N6thrust23THRUST_200600_302600_NS6detail15normal_iteratorINS8_10device_ptrIiEEEESD_jNS1_19radix_merge_compareILb0ELb0EiNS0_19identity_decomposerEEEEE10hipError_tT0_T1_T2_jT3_P12ihipStream_tbPNSt15iterator_traitsISI_E10value_typeEPNSO_ISJ_E10value_typeEPSK_NS1_7vsmem_tEENKUlT_SI_SJ_SK_E_clISD_PiSD_S10_EESH_SX_SI_SJ_SK_EUlSX_E_NS1_11comp_targetILNS1_3genE3ELNS1_11target_archE908ELNS1_3gpuE7ELNS1_3repE0EEENS1_48merge_mergepath_partition_config_static_selectorELNS0_4arch9wavefront6targetE0EEEvSJ_.has_recursion, 0
	.set _ZN7rocprim17ROCPRIM_400000_NS6detail17trampoline_kernelINS0_14default_configENS1_38merge_sort_block_merge_config_selectorIiiEEZZNS1_27merge_sort_block_merge_implIS3_N6thrust23THRUST_200600_302600_NS6detail15normal_iteratorINS8_10device_ptrIiEEEESD_jNS1_19radix_merge_compareILb0ELb0EiNS0_19identity_decomposerEEEEE10hipError_tT0_T1_T2_jT3_P12ihipStream_tbPNSt15iterator_traitsISI_E10value_typeEPNSO_ISJ_E10value_typeEPSK_NS1_7vsmem_tEENKUlT_SI_SJ_SK_E_clISD_PiSD_S10_EESH_SX_SI_SJ_SK_EUlSX_E_NS1_11comp_targetILNS1_3genE3ELNS1_11target_archE908ELNS1_3gpuE7ELNS1_3repE0EEENS1_48merge_mergepath_partition_config_static_selectorELNS0_4arch9wavefront6targetE0EEEvSJ_.has_indirect_call, 0
	.section	.AMDGPU.csdata,"",@progbits
; Kernel info:
; codeLenInByte = 0
; TotalNumSgprs: 0
; NumVgprs: 0
; ScratchSize: 0
; MemoryBound: 0
; FloatMode: 240
; IeeeMode: 1
; LDSByteSize: 0 bytes/workgroup (compile time only)
; SGPRBlocks: 0
; VGPRBlocks: 0
; NumSGPRsForWavesPerEU: 1
; NumVGPRsForWavesPerEU: 1
; Occupancy: 16
; WaveLimiterHint : 0
; COMPUTE_PGM_RSRC2:SCRATCH_EN: 0
; COMPUTE_PGM_RSRC2:USER_SGPR: 6
; COMPUTE_PGM_RSRC2:TRAP_HANDLER: 0
; COMPUTE_PGM_RSRC2:TGID_X_EN: 1
; COMPUTE_PGM_RSRC2:TGID_Y_EN: 0
; COMPUTE_PGM_RSRC2:TGID_Z_EN: 0
; COMPUTE_PGM_RSRC2:TIDIG_COMP_CNT: 0
	.section	.text._ZN7rocprim17ROCPRIM_400000_NS6detail17trampoline_kernelINS0_14default_configENS1_38merge_sort_block_merge_config_selectorIiiEEZZNS1_27merge_sort_block_merge_implIS3_N6thrust23THRUST_200600_302600_NS6detail15normal_iteratorINS8_10device_ptrIiEEEESD_jNS1_19radix_merge_compareILb0ELb0EiNS0_19identity_decomposerEEEEE10hipError_tT0_T1_T2_jT3_P12ihipStream_tbPNSt15iterator_traitsISI_E10value_typeEPNSO_ISJ_E10value_typeEPSK_NS1_7vsmem_tEENKUlT_SI_SJ_SK_E_clISD_PiSD_S10_EESH_SX_SI_SJ_SK_EUlSX_E_NS1_11comp_targetILNS1_3genE2ELNS1_11target_archE906ELNS1_3gpuE6ELNS1_3repE0EEENS1_48merge_mergepath_partition_config_static_selectorELNS0_4arch9wavefront6targetE0EEEvSJ_,"axG",@progbits,_ZN7rocprim17ROCPRIM_400000_NS6detail17trampoline_kernelINS0_14default_configENS1_38merge_sort_block_merge_config_selectorIiiEEZZNS1_27merge_sort_block_merge_implIS3_N6thrust23THRUST_200600_302600_NS6detail15normal_iteratorINS8_10device_ptrIiEEEESD_jNS1_19radix_merge_compareILb0ELb0EiNS0_19identity_decomposerEEEEE10hipError_tT0_T1_T2_jT3_P12ihipStream_tbPNSt15iterator_traitsISI_E10value_typeEPNSO_ISJ_E10value_typeEPSK_NS1_7vsmem_tEENKUlT_SI_SJ_SK_E_clISD_PiSD_S10_EESH_SX_SI_SJ_SK_EUlSX_E_NS1_11comp_targetILNS1_3genE2ELNS1_11target_archE906ELNS1_3gpuE6ELNS1_3repE0EEENS1_48merge_mergepath_partition_config_static_selectorELNS0_4arch9wavefront6targetE0EEEvSJ_,comdat
	.protected	_ZN7rocprim17ROCPRIM_400000_NS6detail17trampoline_kernelINS0_14default_configENS1_38merge_sort_block_merge_config_selectorIiiEEZZNS1_27merge_sort_block_merge_implIS3_N6thrust23THRUST_200600_302600_NS6detail15normal_iteratorINS8_10device_ptrIiEEEESD_jNS1_19radix_merge_compareILb0ELb0EiNS0_19identity_decomposerEEEEE10hipError_tT0_T1_T2_jT3_P12ihipStream_tbPNSt15iterator_traitsISI_E10value_typeEPNSO_ISJ_E10value_typeEPSK_NS1_7vsmem_tEENKUlT_SI_SJ_SK_E_clISD_PiSD_S10_EESH_SX_SI_SJ_SK_EUlSX_E_NS1_11comp_targetILNS1_3genE2ELNS1_11target_archE906ELNS1_3gpuE6ELNS1_3repE0EEENS1_48merge_mergepath_partition_config_static_selectorELNS0_4arch9wavefront6targetE0EEEvSJ_ ; -- Begin function _ZN7rocprim17ROCPRIM_400000_NS6detail17trampoline_kernelINS0_14default_configENS1_38merge_sort_block_merge_config_selectorIiiEEZZNS1_27merge_sort_block_merge_implIS3_N6thrust23THRUST_200600_302600_NS6detail15normal_iteratorINS8_10device_ptrIiEEEESD_jNS1_19radix_merge_compareILb0ELb0EiNS0_19identity_decomposerEEEEE10hipError_tT0_T1_T2_jT3_P12ihipStream_tbPNSt15iterator_traitsISI_E10value_typeEPNSO_ISJ_E10value_typeEPSK_NS1_7vsmem_tEENKUlT_SI_SJ_SK_E_clISD_PiSD_S10_EESH_SX_SI_SJ_SK_EUlSX_E_NS1_11comp_targetILNS1_3genE2ELNS1_11target_archE906ELNS1_3gpuE6ELNS1_3repE0EEENS1_48merge_mergepath_partition_config_static_selectorELNS0_4arch9wavefront6targetE0EEEvSJ_
	.globl	_ZN7rocprim17ROCPRIM_400000_NS6detail17trampoline_kernelINS0_14default_configENS1_38merge_sort_block_merge_config_selectorIiiEEZZNS1_27merge_sort_block_merge_implIS3_N6thrust23THRUST_200600_302600_NS6detail15normal_iteratorINS8_10device_ptrIiEEEESD_jNS1_19radix_merge_compareILb0ELb0EiNS0_19identity_decomposerEEEEE10hipError_tT0_T1_T2_jT3_P12ihipStream_tbPNSt15iterator_traitsISI_E10value_typeEPNSO_ISJ_E10value_typeEPSK_NS1_7vsmem_tEENKUlT_SI_SJ_SK_E_clISD_PiSD_S10_EESH_SX_SI_SJ_SK_EUlSX_E_NS1_11comp_targetILNS1_3genE2ELNS1_11target_archE906ELNS1_3gpuE6ELNS1_3repE0EEENS1_48merge_mergepath_partition_config_static_selectorELNS0_4arch9wavefront6targetE0EEEvSJ_
	.p2align	8
	.type	_ZN7rocprim17ROCPRIM_400000_NS6detail17trampoline_kernelINS0_14default_configENS1_38merge_sort_block_merge_config_selectorIiiEEZZNS1_27merge_sort_block_merge_implIS3_N6thrust23THRUST_200600_302600_NS6detail15normal_iteratorINS8_10device_ptrIiEEEESD_jNS1_19radix_merge_compareILb0ELb0EiNS0_19identity_decomposerEEEEE10hipError_tT0_T1_T2_jT3_P12ihipStream_tbPNSt15iterator_traitsISI_E10value_typeEPNSO_ISJ_E10value_typeEPSK_NS1_7vsmem_tEENKUlT_SI_SJ_SK_E_clISD_PiSD_S10_EESH_SX_SI_SJ_SK_EUlSX_E_NS1_11comp_targetILNS1_3genE2ELNS1_11target_archE906ELNS1_3gpuE6ELNS1_3repE0EEENS1_48merge_mergepath_partition_config_static_selectorELNS0_4arch9wavefront6targetE0EEEvSJ_,@function
_ZN7rocprim17ROCPRIM_400000_NS6detail17trampoline_kernelINS0_14default_configENS1_38merge_sort_block_merge_config_selectorIiiEEZZNS1_27merge_sort_block_merge_implIS3_N6thrust23THRUST_200600_302600_NS6detail15normal_iteratorINS8_10device_ptrIiEEEESD_jNS1_19radix_merge_compareILb0ELb0EiNS0_19identity_decomposerEEEEE10hipError_tT0_T1_T2_jT3_P12ihipStream_tbPNSt15iterator_traitsISI_E10value_typeEPNSO_ISJ_E10value_typeEPSK_NS1_7vsmem_tEENKUlT_SI_SJ_SK_E_clISD_PiSD_S10_EESH_SX_SI_SJ_SK_EUlSX_E_NS1_11comp_targetILNS1_3genE2ELNS1_11target_archE906ELNS1_3gpuE6ELNS1_3repE0EEENS1_48merge_mergepath_partition_config_static_selectorELNS0_4arch9wavefront6targetE0EEEvSJ_: ; @_ZN7rocprim17ROCPRIM_400000_NS6detail17trampoline_kernelINS0_14default_configENS1_38merge_sort_block_merge_config_selectorIiiEEZZNS1_27merge_sort_block_merge_implIS3_N6thrust23THRUST_200600_302600_NS6detail15normal_iteratorINS8_10device_ptrIiEEEESD_jNS1_19radix_merge_compareILb0ELb0EiNS0_19identity_decomposerEEEEE10hipError_tT0_T1_T2_jT3_P12ihipStream_tbPNSt15iterator_traitsISI_E10value_typeEPNSO_ISJ_E10value_typeEPSK_NS1_7vsmem_tEENKUlT_SI_SJ_SK_E_clISD_PiSD_S10_EESH_SX_SI_SJ_SK_EUlSX_E_NS1_11comp_targetILNS1_3genE2ELNS1_11target_archE906ELNS1_3gpuE6ELNS1_3repE0EEENS1_48merge_mergepath_partition_config_static_selectorELNS0_4arch9wavefront6targetE0EEEvSJ_
; %bb.0:
	.section	.rodata,"a",@progbits
	.p2align	6, 0x0
	.amdhsa_kernel _ZN7rocprim17ROCPRIM_400000_NS6detail17trampoline_kernelINS0_14default_configENS1_38merge_sort_block_merge_config_selectorIiiEEZZNS1_27merge_sort_block_merge_implIS3_N6thrust23THRUST_200600_302600_NS6detail15normal_iteratorINS8_10device_ptrIiEEEESD_jNS1_19radix_merge_compareILb0ELb0EiNS0_19identity_decomposerEEEEE10hipError_tT0_T1_T2_jT3_P12ihipStream_tbPNSt15iterator_traitsISI_E10value_typeEPNSO_ISJ_E10value_typeEPSK_NS1_7vsmem_tEENKUlT_SI_SJ_SK_E_clISD_PiSD_S10_EESH_SX_SI_SJ_SK_EUlSX_E_NS1_11comp_targetILNS1_3genE2ELNS1_11target_archE906ELNS1_3gpuE6ELNS1_3repE0EEENS1_48merge_mergepath_partition_config_static_selectorELNS0_4arch9wavefront6targetE0EEEvSJ_
		.amdhsa_group_segment_fixed_size 0
		.amdhsa_private_segment_fixed_size 0
		.amdhsa_kernarg_size 40
		.amdhsa_user_sgpr_count 6
		.amdhsa_user_sgpr_private_segment_buffer 1
		.amdhsa_user_sgpr_dispatch_ptr 0
		.amdhsa_user_sgpr_queue_ptr 0
		.amdhsa_user_sgpr_kernarg_segment_ptr 1
		.amdhsa_user_sgpr_dispatch_id 0
		.amdhsa_user_sgpr_flat_scratch_init 0
		.amdhsa_user_sgpr_private_segment_size 0
		.amdhsa_wavefront_size32 1
		.amdhsa_uses_dynamic_stack 0
		.amdhsa_system_sgpr_private_segment_wavefront_offset 0
		.amdhsa_system_sgpr_workgroup_id_x 1
		.amdhsa_system_sgpr_workgroup_id_y 0
		.amdhsa_system_sgpr_workgroup_id_z 0
		.amdhsa_system_sgpr_workgroup_info 0
		.amdhsa_system_vgpr_workitem_id 0
		.amdhsa_next_free_vgpr 1
		.amdhsa_next_free_sgpr 1
		.amdhsa_reserve_vcc 0
		.amdhsa_reserve_flat_scratch 0
		.amdhsa_float_round_mode_32 0
		.amdhsa_float_round_mode_16_64 0
		.amdhsa_float_denorm_mode_32 3
		.amdhsa_float_denorm_mode_16_64 3
		.amdhsa_dx10_clamp 1
		.amdhsa_ieee_mode 1
		.amdhsa_fp16_overflow 0
		.amdhsa_workgroup_processor_mode 1
		.amdhsa_memory_ordered 1
		.amdhsa_forward_progress 1
		.amdhsa_shared_vgpr_count 0
		.amdhsa_exception_fp_ieee_invalid_op 0
		.amdhsa_exception_fp_denorm_src 0
		.amdhsa_exception_fp_ieee_div_zero 0
		.amdhsa_exception_fp_ieee_overflow 0
		.amdhsa_exception_fp_ieee_underflow 0
		.amdhsa_exception_fp_ieee_inexact 0
		.amdhsa_exception_int_div_zero 0
	.end_amdhsa_kernel
	.section	.text._ZN7rocprim17ROCPRIM_400000_NS6detail17trampoline_kernelINS0_14default_configENS1_38merge_sort_block_merge_config_selectorIiiEEZZNS1_27merge_sort_block_merge_implIS3_N6thrust23THRUST_200600_302600_NS6detail15normal_iteratorINS8_10device_ptrIiEEEESD_jNS1_19radix_merge_compareILb0ELb0EiNS0_19identity_decomposerEEEEE10hipError_tT0_T1_T2_jT3_P12ihipStream_tbPNSt15iterator_traitsISI_E10value_typeEPNSO_ISJ_E10value_typeEPSK_NS1_7vsmem_tEENKUlT_SI_SJ_SK_E_clISD_PiSD_S10_EESH_SX_SI_SJ_SK_EUlSX_E_NS1_11comp_targetILNS1_3genE2ELNS1_11target_archE906ELNS1_3gpuE6ELNS1_3repE0EEENS1_48merge_mergepath_partition_config_static_selectorELNS0_4arch9wavefront6targetE0EEEvSJ_,"axG",@progbits,_ZN7rocprim17ROCPRIM_400000_NS6detail17trampoline_kernelINS0_14default_configENS1_38merge_sort_block_merge_config_selectorIiiEEZZNS1_27merge_sort_block_merge_implIS3_N6thrust23THRUST_200600_302600_NS6detail15normal_iteratorINS8_10device_ptrIiEEEESD_jNS1_19radix_merge_compareILb0ELb0EiNS0_19identity_decomposerEEEEE10hipError_tT0_T1_T2_jT3_P12ihipStream_tbPNSt15iterator_traitsISI_E10value_typeEPNSO_ISJ_E10value_typeEPSK_NS1_7vsmem_tEENKUlT_SI_SJ_SK_E_clISD_PiSD_S10_EESH_SX_SI_SJ_SK_EUlSX_E_NS1_11comp_targetILNS1_3genE2ELNS1_11target_archE906ELNS1_3gpuE6ELNS1_3repE0EEENS1_48merge_mergepath_partition_config_static_selectorELNS0_4arch9wavefront6targetE0EEEvSJ_,comdat
.Lfunc_end737:
	.size	_ZN7rocprim17ROCPRIM_400000_NS6detail17trampoline_kernelINS0_14default_configENS1_38merge_sort_block_merge_config_selectorIiiEEZZNS1_27merge_sort_block_merge_implIS3_N6thrust23THRUST_200600_302600_NS6detail15normal_iteratorINS8_10device_ptrIiEEEESD_jNS1_19radix_merge_compareILb0ELb0EiNS0_19identity_decomposerEEEEE10hipError_tT0_T1_T2_jT3_P12ihipStream_tbPNSt15iterator_traitsISI_E10value_typeEPNSO_ISJ_E10value_typeEPSK_NS1_7vsmem_tEENKUlT_SI_SJ_SK_E_clISD_PiSD_S10_EESH_SX_SI_SJ_SK_EUlSX_E_NS1_11comp_targetILNS1_3genE2ELNS1_11target_archE906ELNS1_3gpuE6ELNS1_3repE0EEENS1_48merge_mergepath_partition_config_static_selectorELNS0_4arch9wavefront6targetE0EEEvSJ_, .Lfunc_end737-_ZN7rocprim17ROCPRIM_400000_NS6detail17trampoline_kernelINS0_14default_configENS1_38merge_sort_block_merge_config_selectorIiiEEZZNS1_27merge_sort_block_merge_implIS3_N6thrust23THRUST_200600_302600_NS6detail15normal_iteratorINS8_10device_ptrIiEEEESD_jNS1_19radix_merge_compareILb0ELb0EiNS0_19identity_decomposerEEEEE10hipError_tT0_T1_T2_jT3_P12ihipStream_tbPNSt15iterator_traitsISI_E10value_typeEPNSO_ISJ_E10value_typeEPSK_NS1_7vsmem_tEENKUlT_SI_SJ_SK_E_clISD_PiSD_S10_EESH_SX_SI_SJ_SK_EUlSX_E_NS1_11comp_targetILNS1_3genE2ELNS1_11target_archE906ELNS1_3gpuE6ELNS1_3repE0EEENS1_48merge_mergepath_partition_config_static_selectorELNS0_4arch9wavefront6targetE0EEEvSJ_
                                        ; -- End function
	.set _ZN7rocprim17ROCPRIM_400000_NS6detail17trampoline_kernelINS0_14default_configENS1_38merge_sort_block_merge_config_selectorIiiEEZZNS1_27merge_sort_block_merge_implIS3_N6thrust23THRUST_200600_302600_NS6detail15normal_iteratorINS8_10device_ptrIiEEEESD_jNS1_19radix_merge_compareILb0ELb0EiNS0_19identity_decomposerEEEEE10hipError_tT0_T1_T2_jT3_P12ihipStream_tbPNSt15iterator_traitsISI_E10value_typeEPNSO_ISJ_E10value_typeEPSK_NS1_7vsmem_tEENKUlT_SI_SJ_SK_E_clISD_PiSD_S10_EESH_SX_SI_SJ_SK_EUlSX_E_NS1_11comp_targetILNS1_3genE2ELNS1_11target_archE906ELNS1_3gpuE6ELNS1_3repE0EEENS1_48merge_mergepath_partition_config_static_selectorELNS0_4arch9wavefront6targetE0EEEvSJ_.num_vgpr, 0
	.set _ZN7rocprim17ROCPRIM_400000_NS6detail17trampoline_kernelINS0_14default_configENS1_38merge_sort_block_merge_config_selectorIiiEEZZNS1_27merge_sort_block_merge_implIS3_N6thrust23THRUST_200600_302600_NS6detail15normal_iteratorINS8_10device_ptrIiEEEESD_jNS1_19radix_merge_compareILb0ELb0EiNS0_19identity_decomposerEEEEE10hipError_tT0_T1_T2_jT3_P12ihipStream_tbPNSt15iterator_traitsISI_E10value_typeEPNSO_ISJ_E10value_typeEPSK_NS1_7vsmem_tEENKUlT_SI_SJ_SK_E_clISD_PiSD_S10_EESH_SX_SI_SJ_SK_EUlSX_E_NS1_11comp_targetILNS1_3genE2ELNS1_11target_archE906ELNS1_3gpuE6ELNS1_3repE0EEENS1_48merge_mergepath_partition_config_static_selectorELNS0_4arch9wavefront6targetE0EEEvSJ_.num_agpr, 0
	.set _ZN7rocprim17ROCPRIM_400000_NS6detail17trampoline_kernelINS0_14default_configENS1_38merge_sort_block_merge_config_selectorIiiEEZZNS1_27merge_sort_block_merge_implIS3_N6thrust23THRUST_200600_302600_NS6detail15normal_iteratorINS8_10device_ptrIiEEEESD_jNS1_19radix_merge_compareILb0ELb0EiNS0_19identity_decomposerEEEEE10hipError_tT0_T1_T2_jT3_P12ihipStream_tbPNSt15iterator_traitsISI_E10value_typeEPNSO_ISJ_E10value_typeEPSK_NS1_7vsmem_tEENKUlT_SI_SJ_SK_E_clISD_PiSD_S10_EESH_SX_SI_SJ_SK_EUlSX_E_NS1_11comp_targetILNS1_3genE2ELNS1_11target_archE906ELNS1_3gpuE6ELNS1_3repE0EEENS1_48merge_mergepath_partition_config_static_selectorELNS0_4arch9wavefront6targetE0EEEvSJ_.numbered_sgpr, 0
	.set _ZN7rocprim17ROCPRIM_400000_NS6detail17trampoline_kernelINS0_14default_configENS1_38merge_sort_block_merge_config_selectorIiiEEZZNS1_27merge_sort_block_merge_implIS3_N6thrust23THRUST_200600_302600_NS6detail15normal_iteratorINS8_10device_ptrIiEEEESD_jNS1_19radix_merge_compareILb0ELb0EiNS0_19identity_decomposerEEEEE10hipError_tT0_T1_T2_jT3_P12ihipStream_tbPNSt15iterator_traitsISI_E10value_typeEPNSO_ISJ_E10value_typeEPSK_NS1_7vsmem_tEENKUlT_SI_SJ_SK_E_clISD_PiSD_S10_EESH_SX_SI_SJ_SK_EUlSX_E_NS1_11comp_targetILNS1_3genE2ELNS1_11target_archE906ELNS1_3gpuE6ELNS1_3repE0EEENS1_48merge_mergepath_partition_config_static_selectorELNS0_4arch9wavefront6targetE0EEEvSJ_.num_named_barrier, 0
	.set _ZN7rocprim17ROCPRIM_400000_NS6detail17trampoline_kernelINS0_14default_configENS1_38merge_sort_block_merge_config_selectorIiiEEZZNS1_27merge_sort_block_merge_implIS3_N6thrust23THRUST_200600_302600_NS6detail15normal_iteratorINS8_10device_ptrIiEEEESD_jNS1_19radix_merge_compareILb0ELb0EiNS0_19identity_decomposerEEEEE10hipError_tT0_T1_T2_jT3_P12ihipStream_tbPNSt15iterator_traitsISI_E10value_typeEPNSO_ISJ_E10value_typeEPSK_NS1_7vsmem_tEENKUlT_SI_SJ_SK_E_clISD_PiSD_S10_EESH_SX_SI_SJ_SK_EUlSX_E_NS1_11comp_targetILNS1_3genE2ELNS1_11target_archE906ELNS1_3gpuE6ELNS1_3repE0EEENS1_48merge_mergepath_partition_config_static_selectorELNS0_4arch9wavefront6targetE0EEEvSJ_.private_seg_size, 0
	.set _ZN7rocprim17ROCPRIM_400000_NS6detail17trampoline_kernelINS0_14default_configENS1_38merge_sort_block_merge_config_selectorIiiEEZZNS1_27merge_sort_block_merge_implIS3_N6thrust23THRUST_200600_302600_NS6detail15normal_iteratorINS8_10device_ptrIiEEEESD_jNS1_19radix_merge_compareILb0ELb0EiNS0_19identity_decomposerEEEEE10hipError_tT0_T1_T2_jT3_P12ihipStream_tbPNSt15iterator_traitsISI_E10value_typeEPNSO_ISJ_E10value_typeEPSK_NS1_7vsmem_tEENKUlT_SI_SJ_SK_E_clISD_PiSD_S10_EESH_SX_SI_SJ_SK_EUlSX_E_NS1_11comp_targetILNS1_3genE2ELNS1_11target_archE906ELNS1_3gpuE6ELNS1_3repE0EEENS1_48merge_mergepath_partition_config_static_selectorELNS0_4arch9wavefront6targetE0EEEvSJ_.uses_vcc, 0
	.set _ZN7rocprim17ROCPRIM_400000_NS6detail17trampoline_kernelINS0_14default_configENS1_38merge_sort_block_merge_config_selectorIiiEEZZNS1_27merge_sort_block_merge_implIS3_N6thrust23THRUST_200600_302600_NS6detail15normal_iteratorINS8_10device_ptrIiEEEESD_jNS1_19radix_merge_compareILb0ELb0EiNS0_19identity_decomposerEEEEE10hipError_tT0_T1_T2_jT3_P12ihipStream_tbPNSt15iterator_traitsISI_E10value_typeEPNSO_ISJ_E10value_typeEPSK_NS1_7vsmem_tEENKUlT_SI_SJ_SK_E_clISD_PiSD_S10_EESH_SX_SI_SJ_SK_EUlSX_E_NS1_11comp_targetILNS1_3genE2ELNS1_11target_archE906ELNS1_3gpuE6ELNS1_3repE0EEENS1_48merge_mergepath_partition_config_static_selectorELNS0_4arch9wavefront6targetE0EEEvSJ_.uses_flat_scratch, 0
	.set _ZN7rocprim17ROCPRIM_400000_NS6detail17trampoline_kernelINS0_14default_configENS1_38merge_sort_block_merge_config_selectorIiiEEZZNS1_27merge_sort_block_merge_implIS3_N6thrust23THRUST_200600_302600_NS6detail15normal_iteratorINS8_10device_ptrIiEEEESD_jNS1_19radix_merge_compareILb0ELb0EiNS0_19identity_decomposerEEEEE10hipError_tT0_T1_T2_jT3_P12ihipStream_tbPNSt15iterator_traitsISI_E10value_typeEPNSO_ISJ_E10value_typeEPSK_NS1_7vsmem_tEENKUlT_SI_SJ_SK_E_clISD_PiSD_S10_EESH_SX_SI_SJ_SK_EUlSX_E_NS1_11comp_targetILNS1_3genE2ELNS1_11target_archE906ELNS1_3gpuE6ELNS1_3repE0EEENS1_48merge_mergepath_partition_config_static_selectorELNS0_4arch9wavefront6targetE0EEEvSJ_.has_dyn_sized_stack, 0
	.set _ZN7rocprim17ROCPRIM_400000_NS6detail17trampoline_kernelINS0_14default_configENS1_38merge_sort_block_merge_config_selectorIiiEEZZNS1_27merge_sort_block_merge_implIS3_N6thrust23THRUST_200600_302600_NS6detail15normal_iteratorINS8_10device_ptrIiEEEESD_jNS1_19radix_merge_compareILb0ELb0EiNS0_19identity_decomposerEEEEE10hipError_tT0_T1_T2_jT3_P12ihipStream_tbPNSt15iterator_traitsISI_E10value_typeEPNSO_ISJ_E10value_typeEPSK_NS1_7vsmem_tEENKUlT_SI_SJ_SK_E_clISD_PiSD_S10_EESH_SX_SI_SJ_SK_EUlSX_E_NS1_11comp_targetILNS1_3genE2ELNS1_11target_archE906ELNS1_3gpuE6ELNS1_3repE0EEENS1_48merge_mergepath_partition_config_static_selectorELNS0_4arch9wavefront6targetE0EEEvSJ_.has_recursion, 0
	.set _ZN7rocprim17ROCPRIM_400000_NS6detail17trampoline_kernelINS0_14default_configENS1_38merge_sort_block_merge_config_selectorIiiEEZZNS1_27merge_sort_block_merge_implIS3_N6thrust23THRUST_200600_302600_NS6detail15normal_iteratorINS8_10device_ptrIiEEEESD_jNS1_19radix_merge_compareILb0ELb0EiNS0_19identity_decomposerEEEEE10hipError_tT0_T1_T2_jT3_P12ihipStream_tbPNSt15iterator_traitsISI_E10value_typeEPNSO_ISJ_E10value_typeEPSK_NS1_7vsmem_tEENKUlT_SI_SJ_SK_E_clISD_PiSD_S10_EESH_SX_SI_SJ_SK_EUlSX_E_NS1_11comp_targetILNS1_3genE2ELNS1_11target_archE906ELNS1_3gpuE6ELNS1_3repE0EEENS1_48merge_mergepath_partition_config_static_selectorELNS0_4arch9wavefront6targetE0EEEvSJ_.has_indirect_call, 0
	.section	.AMDGPU.csdata,"",@progbits
; Kernel info:
; codeLenInByte = 0
; TotalNumSgprs: 0
; NumVgprs: 0
; ScratchSize: 0
; MemoryBound: 0
; FloatMode: 240
; IeeeMode: 1
; LDSByteSize: 0 bytes/workgroup (compile time only)
; SGPRBlocks: 0
; VGPRBlocks: 0
; NumSGPRsForWavesPerEU: 1
; NumVGPRsForWavesPerEU: 1
; Occupancy: 16
; WaveLimiterHint : 0
; COMPUTE_PGM_RSRC2:SCRATCH_EN: 0
; COMPUTE_PGM_RSRC2:USER_SGPR: 6
; COMPUTE_PGM_RSRC2:TRAP_HANDLER: 0
; COMPUTE_PGM_RSRC2:TGID_X_EN: 1
; COMPUTE_PGM_RSRC2:TGID_Y_EN: 0
; COMPUTE_PGM_RSRC2:TGID_Z_EN: 0
; COMPUTE_PGM_RSRC2:TIDIG_COMP_CNT: 0
	.section	.text._ZN7rocprim17ROCPRIM_400000_NS6detail17trampoline_kernelINS0_14default_configENS1_38merge_sort_block_merge_config_selectorIiiEEZZNS1_27merge_sort_block_merge_implIS3_N6thrust23THRUST_200600_302600_NS6detail15normal_iteratorINS8_10device_ptrIiEEEESD_jNS1_19radix_merge_compareILb0ELb0EiNS0_19identity_decomposerEEEEE10hipError_tT0_T1_T2_jT3_P12ihipStream_tbPNSt15iterator_traitsISI_E10value_typeEPNSO_ISJ_E10value_typeEPSK_NS1_7vsmem_tEENKUlT_SI_SJ_SK_E_clISD_PiSD_S10_EESH_SX_SI_SJ_SK_EUlSX_E_NS1_11comp_targetILNS1_3genE9ELNS1_11target_archE1100ELNS1_3gpuE3ELNS1_3repE0EEENS1_48merge_mergepath_partition_config_static_selectorELNS0_4arch9wavefront6targetE0EEEvSJ_,"axG",@progbits,_ZN7rocprim17ROCPRIM_400000_NS6detail17trampoline_kernelINS0_14default_configENS1_38merge_sort_block_merge_config_selectorIiiEEZZNS1_27merge_sort_block_merge_implIS3_N6thrust23THRUST_200600_302600_NS6detail15normal_iteratorINS8_10device_ptrIiEEEESD_jNS1_19radix_merge_compareILb0ELb0EiNS0_19identity_decomposerEEEEE10hipError_tT0_T1_T2_jT3_P12ihipStream_tbPNSt15iterator_traitsISI_E10value_typeEPNSO_ISJ_E10value_typeEPSK_NS1_7vsmem_tEENKUlT_SI_SJ_SK_E_clISD_PiSD_S10_EESH_SX_SI_SJ_SK_EUlSX_E_NS1_11comp_targetILNS1_3genE9ELNS1_11target_archE1100ELNS1_3gpuE3ELNS1_3repE0EEENS1_48merge_mergepath_partition_config_static_selectorELNS0_4arch9wavefront6targetE0EEEvSJ_,comdat
	.protected	_ZN7rocprim17ROCPRIM_400000_NS6detail17trampoline_kernelINS0_14default_configENS1_38merge_sort_block_merge_config_selectorIiiEEZZNS1_27merge_sort_block_merge_implIS3_N6thrust23THRUST_200600_302600_NS6detail15normal_iteratorINS8_10device_ptrIiEEEESD_jNS1_19radix_merge_compareILb0ELb0EiNS0_19identity_decomposerEEEEE10hipError_tT0_T1_T2_jT3_P12ihipStream_tbPNSt15iterator_traitsISI_E10value_typeEPNSO_ISJ_E10value_typeEPSK_NS1_7vsmem_tEENKUlT_SI_SJ_SK_E_clISD_PiSD_S10_EESH_SX_SI_SJ_SK_EUlSX_E_NS1_11comp_targetILNS1_3genE9ELNS1_11target_archE1100ELNS1_3gpuE3ELNS1_3repE0EEENS1_48merge_mergepath_partition_config_static_selectorELNS0_4arch9wavefront6targetE0EEEvSJ_ ; -- Begin function _ZN7rocprim17ROCPRIM_400000_NS6detail17trampoline_kernelINS0_14default_configENS1_38merge_sort_block_merge_config_selectorIiiEEZZNS1_27merge_sort_block_merge_implIS3_N6thrust23THRUST_200600_302600_NS6detail15normal_iteratorINS8_10device_ptrIiEEEESD_jNS1_19radix_merge_compareILb0ELb0EiNS0_19identity_decomposerEEEEE10hipError_tT0_T1_T2_jT3_P12ihipStream_tbPNSt15iterator_traitsISI_E10value_typeEPNSO_ISJ_E10value_typeEPSK_NS1_7vsmem_tEENKUlT_SI_SJ_SK_E_clISD_PiSD_S10_EESH_SX_SI_SJ_SK_EUlSX_E_NS1_11comp_targetILNS1_3genE9ELNS1_11target_archE1100ELNS1_3gpuE3ELNS1_3repE0EEENS1_48merge_mergepath_partition_config_static_selectorELNS0_4arch9wavefront6targetE0EEEvSJ_
	.globl	_ZN7rocprim17ROCPRIM_400000_NS6detail17trampoline_kernelINS0_14default_configENS1_38merge_sort_block_merge_config_selectorIiiEEZZNS1_27merge_sort_block_merge_implIS3_N6thrust23THRUST_200600_302600_NS6detail15normal_iteratorINS8_10device_ptrIiEEEESD_jNS1_19radix_merge_compareILb0ELb0EiNS0_19identity_decomposerEEEEE10hipError_tT0_T1_T2_jT3_P12ihipStream_tbPNSt15iterator_traitsISI_E10value_typeEPNSO_ISJ_E10value_typeEPSK_NS1_7vsmem_tEENKUlT_SI_SJ_SK_E_clISD_PiSD_S10_EESH_SX_SI_SJ_SK_EUlSX_E_NS1_11comp_targetILNS1_3genE9ELNS1_11target_archE1100ELNS1_3gpuE3ELNS1_3repE0EEENS1_48merge_mergepath_partition_config_static_selectorELNS0_4arch9wavefront6targetE0EEEvSJ_
	.p2align	8
	.type	_ZN7rocprim17ROCPRIM_400000_NS6detail17trampoline_kernelINS0_14default_configENS1_38merge_sort_block_merge_config_selectorIiiEEZZNS1_27merge_sort_block_merge_implIS3_N6thrust23THRUST_200600_302600_NS6detail15normal_iteratorINS8_10device_ptrIiEEEESD_jNS1_19radix_merge_compareILb0ELb0EiNS0_19identity_decomposerEEEEE10hipError_tT0_T1_T2_jT3_P12ihipStream_tbPNSt15iterator_traitsISI_E10value_typeEPNSO_ISJ_E10value_typeEPSK_NS1_7vsmem_tEENKUlT_SI_SJ_SK_E_clISD_PiSD_S10_EESH_SX_SI_SJ_SK_EUlSX_E_NS1_11comp_targetILNS1_3genE9ELNS1_11target_archE1100ELNS1_3gpuE3ELNS1_3repE0EEENS1_48merge_mergepath_partition_config_static_selectorELNS0_4arch9wavefront6targetE0EEEvSJ_,@function
_ZN7rocprim17ROCPRIM_400000_NS6detail17trampoline_kernelINS0_14default_configENS1_38merge_sort_block_merge_config_selectorIiiEEZZNS1_27merge_sort_block_merge_implIS3_N6thrust23THRUST_200600_302600_NS6detail15normal_iteratorINS8_10device_ptrIiEEEESD_jNS1_19radix_merge_compareILb0ELb0EiNS0_19identity_decomposerEEEEE10hipError_tT0_T1_T2_jT3_P12ihipStream_tbPNSt15iterator_traitsISI_E10value_typeEPNSO_ISJ_E10value_typeEPSK_NS1_7vsmem_tEENKUlT_SI_SJ_SK_E_clISD_PiSD_S10_EESH_SX_SI_SJ_SK_EUlSX_E_NS1_11comp_targetILNS1_3genE9ELNS1_11target_archE1100ELNS1_3gpuE3ELNS1_3repE0EEENS1_48merge_mergepath_partition_config_static_selectorELNS0_4arch9wavefront6targetE0EEEvSJ_: ; @_ZN7rocprim17ROCPRIM_400000_NS6detail17trampoline_kernelINS0_14default_configENS1_38merge_sort_block_merge_config_selectorIiiEEZZNS1_27merge_sort_block_merge_implIS3_N6thrust23THRUST_200600_302600_NS6detail15normal_iteratorINS8_10device_ptrIiEEEESD_jNS1_19radix_merge_compareILb0ELb0EiNS0_19identity_decomposerEEEEE10hipError_tT0_T1_T2_jT3_P12ihipStream_tbPNSt15iterator_traitsISI_E10value_typeEPNSO_ISJ_E10value_typeEPSK_NS1_7vsmem_tEENKUlT_SI_SJ_SK_E_clISD_PiSD_S10_EESH_SX_SI_SJ_SK_EUlSX_E_NS1_11comp_targetILNS1_3genE9ELNS1_11target_archE1100ELNS1_3gpuE3ELNS1_3repE0EEENS1_48merge_mergepath_partition_config_static_selectorELNS0_4arch9wavefront6targetE0EEEvSJ_
; %bb.0:
	.section	.rodata,"a",@progbits
	.p2align	6, 0x0
	.amdhsa_kernel _ZN7rocprim17ROCPRIM_400000_NS6detail17trampoline_kernelINS0_14default_configENS1_38merge_sort_block_merge_config_selectorIiiEEZZNS1_27merge_sort_block_merge_implIS3_N6thrust23THRUST_200600_302600_NS6detail15normal_iteratorINS8_10device_ptrIiEEEESD_jNS1_19radix_merge_compareILb0ELb0EiNS0_19identity_decomposerEEEEE10hipError_tT0_T1_T2_jT3_P12ihipStream_tbPNSt15iterator_traitsISI_E10value_typeEPNSO_ISJ_E10value_typeEPSK_NS1_7vsmem_tEENKUlT_SI_SJ_SK_E_clISD_PiSD_S10_EESH_SX_SI_SJ_SK_EUlSX_E_NS1_11comp_targetILNS1_3genE9ELNS1_11target_archE1100ELNS1_3gpuE3ELNS1_3repE0EEENS1_48merge_mergepath_partition_config_static_selectorELNS0_4arch9wavefront6targetE0EEEvSJ_
		.amdhsa_group_segment_fixed_size 0
		.amdhsa_private_segment_fixed_size 0
		.amdhsa_kernarg_size 40
		.amdhsa_user_sgpr_count 6
		.amdhsa_user_sgpr_private_segment_buffer 1
		.amdhsa_user_sgpr_dispatch_ptr 0
		.amdhsa_user_sgpr_queue_ptr 0
		.amdhsa_user_sgpr_kernarg_segment_ptr 1
		.amdhsa_user_sgpr_dispatch_id 0
		.amdhsa_user_sgpr_flat_scratch_init 0
		.amdhsa_user_sgpr_private_segment_size 0
		.amdhsa_wavefront_size32 1
		.amdhsa_uses_dynamic_stack 0
		.amdhsa_system_sgpr_private_segment_wavefront_offset 0
		.amdhsa_system_sgpr_workgroup_id_x 1
		.amdhsa_system_sgpr_workgroup_id_y 0
		.amdhsa_system_sgpr_workgroup_id_z 0
		.amdhsa_system_sgpr_workgroup_info 0
		.amdhsa_system_vgpr_workitem_id 0
		.amdhsa_next_free_vgpr 1
		.amdhsa_next_free_sgpr 1
		.amdhsa_reserve_vcc 0
		.amdhsa_reserve_flat_scratch 0
		.amdhsa_float_round_mode_32 0
		.amdhsa_float_round_mode_16_64 0
		.amdhsa_float_denorm_mode_32 3
		.amdhsa_float_denorm_mode_16_64 3
		.amdhsa_dx10_clamp 1
		.amdhsa_ieee_mode 1
		.amdhsa_fp16_overflow 0
		.amdhsa_workgroup_processor_mode 1
		.amdhsa_memory_ordered 1
		.amdhsa_forward_progress 1
		.amdhsa_shared_vgpr_count 0
		.amdhsa_exception_fp_ieee_invalid_op 0
		.amdhsa_exception_fp_denorm_src 0
		.amdhsa_exception_fp_ieee_div_zero 0
		.amdhsa_exception_fp_ieee_overflow 0
		.amdhsa_exception_fp_ieee_underflow 0
		.amdhsa_exception_fp_ieee_inexact 0
		.amdhsa_exception_int_div_zero 0
	.end_amdhsa_kernel
	.section	.text._ZN7rocprim17ROCPRIM_400000_NS6detail17trampoline_kernelINS0_14default_configENS1_38merge_sort_block_merge_config_selectorIiiEEZZNS1_27merge_sort_block_merge_implIS3_N6thrust23THRUST_200600_302600_NS6detail15normal_iteratorINS8_10device_ptrIiEEEESD_jNS1_19radix_merge_compareILb0ELb0EiNS0_19identity_decomposerEEEEE10hipError_tT0_T1_T2_jT3_P12ihipStream_tbPNSt15iterator_traitsISI_E10value_typeEPNSO_ISJ_E10value_typeEPSK_NS1_7vsmem_tEENKUlT_SI_SJ_SK_E_clISD_PiSD_S10_EESH_SX_SI_SJ_SK_EUlSX_E_NS1_11comp_targetILNS1_3genE9ELNS1_11target_archE1100ELNS1_3gpuE3ELNS1_3repE0EEENS1_48merge_mergepath_partition_config_static_selectorELNS0_4arch9wavefront6targetE0EEEvSJ_,"axG",@progbits,_ZN7rocprim17ROCPRIM_400000_NS6detail17trampoline_kernelINS0_14default_configENS1_38merge_sort_block_merge_config_selectorIiiEEZZNS1_27merge_sort_block_merge_implIS3_N6thrust23THRUST_200600_302600_NS6detail15normal_iteratorINS8_10device_ptrIiEEEESD_jNS1_19radix_merge_compareILb0ELb0EiNS0_19identity_decomposerEEEEE10hipError_tT0_T1_T2_jT3_P12ihipStream_tbPNSt15iterator_traitsISI_E10value_typeEPNSO_ISJ_E10value_typeEPSK_NS1_7vsmem_tEENKUlT_SI_SJ_SK_E_clISD_PiSD_S10_EESH_SX_SI_SJ_SK_EUlSX_E_NS1_11comp_targetILNS1_3genE9ELNS1_11target_archE1100ELNS1_3gpuE3ELNS1_3repE0EEENS1_48merge_mergepath_partition_config_static_selectorELNS0_4arch9wavefront6targetE0EEEvSJ_,comdat
.Lfunc_end738:
	.size	_ZN7rocprim17ROCPRIM_400000_NS6detail17trampoline_kernelINS0_14default_configENS1_38merge_sort_block_merge_config_selectorIiiEEZZNS1_27merge_sort_block_merge_implIS3_N6thrust23THRUST_200600_302600_NS6detail15normal_iteratorINS8_10device_ptrIiEEEESD_jNS1_19radix_merge_compareILb0ELb0EiNS0_19identity_decomposerEEEEE10hipError_tT0_T1_T2_jT3_P12ihipStream_tbPNSt15iterator_traitsISI_E10value_typeEPNSO_ISJ_E10value_typeEPSK_NS1_7vsmem_tEENKUlT_SI_SJ_SK_E_clISD_PiSD_S10_EESH_SX_SI_SJ_SK_EUlSX_E_NS1_11comp_targetILNS1_3genE9ELNS1_11target_archE1100ELNS1_3gpuE3ELNS1_3repE0EEENS1_48merge_mergepath_partition_config_static_selectorELNS0_4arch9wavefront6targetE0EEEvSJ_, .Lfunc_end738-_ZN7rocprim17ROCPRIM_400000_NS6detail17trampoline_kernelINS0_14default_configENS1_38merge_sort_block_merge_config_selectorIiiEEZZNS1_27merge_sort_block_merge_implIS3_N6thrust23THRUST_200600_302600_NS6detail15normal_iteratorINS8_10device_ptrIiEEEESD_jNS1_19radix_merge_compareILb0ELb0EiNS0_19identity_decomposerEEEEE10hipError_tT0_T1_T2_jT3_P12ihipStream_tbPNSt15iterator_traitsISI_E10value_typeEPNSO_ISJ_E10value_typeEPSK_NS1_7vsmem_tEENKUlT_SI_SJ_SK_E_clISD_PiSD_S10_EESH_SX_SI_SJ_SK_EUlSX_E_NS1_11comp_targetILNS1_3genE9ELNS1_11target_archE1100ELNS1_3gpuE3ELNS1_3repE0EEENS1_48merge_mergepath_partition_config_static_selectorELNS0_4arch9wavefront6targetE0EEEvSJ_
                                        ; -- End function
	.set _ZN7rocprim17ROCPRIM_400000_NS6detail17trampoline_kernelINS0_14default_configENS1_38merge_sort_block_merge_config_selectorIiiEEZZNS1_27merge_sort_block_merge_implIS3_N6thrust23THRUST_200600_302600_NS6detail15normal_iteratorINS8_10device_ptrIiEEEESD_jNS1_19radix_merge_compareILb0ELb0EiNS0_19identity_decomposerEEEEE10hipError_tT0_T1_T2_jT3_P12ihipStream_tbPNSt15iterator_traitsISI_E10value_typeEPNSO_ISJ_E10value_typeEPSK_NS1_7vsmem_tEENKUlT_SI_SJ_SK_E_clISD_PiSD_S10_EESH_SX_SI_SJ_SK_EUlSX_E_NS1_11comp_targetILNS1_3genE9ELNS1_11target_archE1100ELNS1_3gpuE3ELNS1_3repE0EEENS1_48merge_mergepath_partition_config_static_selectorELNS0_4arch9wavefront6targetE0EEEvSJ_.num_vgpr, 0
	.set _ZN7rocprim17ROCPRIM_400000_NS6detail17trampoline_kernelINS0_14default_configENS1_38merge_sort_block_merge_config_selectorIiiEEZZNS1_27merge_sort_block_merge_implIS3_N6thrust23THRUST_200600_302600_NS6detail15normal_iteratorINS8_10device_ptrIiEEEESD_jNS1_19radix_merge_compareILb0ELb0EiNS0_19identity_decomposerEEEEE10hipError_tT0_T1_T2_jT3_P12ihipStream_tbPNSt15iterator_traitsISI_E10value_typeEPNSO_ISJ_E10value_typeEPSK_NS1_7vsmem_tEENKUlT_SI_SJ_SK_E_clISD_PiSD_S10_EESH_SX_SI_SJ_SK_EUlSX_E_NS1_11comp_targetILNS1_3genE9ELNS1_11target_archE1100ELNS1_3gpuE3ELNS1_3repE0EEENS1_48merge_mergepath_partition_config_static_selectorELNS0_4arch9wavefront6targetE0EEEvSJ_.num_agpr, 0
	.set _ZN7rocprim17ROCPRIM_400000_NS6detail17trampoline_kernelINS0_14default_configENS1_38merge_sort_block_merge_config_selectorIiiEEZZNS1_27merge_sort_block_merge_implIS3_N6thrust23THRUST_200600_302600_NS6detail15normal_iteratorINS8_10device_ptrIiEEEESD_jNS1_19radix_merge_compareILb0ELb0EiNS0_19identity_decomposerEEEEE10hipError_tT0_T1_T2_jT3_P12ihipStream_tbPNSt15iterator_traitsISI_E10value_typeEPNSO_ISJ_E10value_typeEPSK_NS1_7vsmem_tEENKUlT_SI_SJ_SK_E_clISD_PiSD_S10_EESH_SX_SI_SJ_SK_EUlSX_E_NS1_11comp_targetILNS1_3genE9ELNS1_11target_archE1100ELNS1_3gpuE3ELNS1_3repE0EEENS1_48merge_mergepath_partition_config_static_selectorELNS0_4arch9wavefront6targetE0EEEvSJ_.numbered_sgpr, 0
	.set _ZN7rocprim17ROCPRIM_400000_NS6detail17trampoline_kernelINS0_14default_configENS1_38merge_sort_block_merge_config_selectorIiiEEZZNS1_27merge_sort_block_merge_implIS3_N6thrust23THRUST_200600_302600_NS6detail15normal_iteratorINS8_10device_ptrIiEEEESD_jNS1_19radix_merge_compareILb0ELb0EiNS0_19identity_decomposerEEEEE10hipError_tT0_T1_T2_jT3_P12ihipStream_tbPNSt15iterator_traitsISI_E10value_typeEPNSO_ISJ_E10value_typeEPSK_NS1_7vsmem_tEENKUlT_SI_SJ_SK_E_clISD_PiSD_S10_EESH_SX_SI_SJ_SK_EUlSX_E_NS1_11comp_targetILNS1_3genE9ELNS1_11target_archE1100ELNS1_3gpuE3ELNS1_3repE0EEENS1_48merge_mergepath_partition_config_static_selectorELNS0_4arch9wavefront6targetE0EEEvSJ_.num_named_barrier, 0
	.set _ZN7rocprim17ROCPRIM_400000_NS6detail17trampoline_kernelINS0_14default_configENS1_38merge_sort_block_merge_config_selectorIiiEEZZNS1_27merge_sort_block_merge_implIS3_N6thrust23THRUST_200600_302600_NS6detail15normal_iteratorINS8_10device_ptrIiEEEESD_jNS1_19radix_merge_compareILb0ELb0EiNS0_19identity_decomposerEEEEE10hipError_tT0_T1_T2_jT3_P12ihipStream_tbPNSt15iterator_traitsISI_E10value_typeEPNSO_ISJ_E10value_typeEPSK_NS1_7vsmem_tEENKUlT_SI_SJ_SK_E_clISD_PiSD_S10_EESH_SX_SI_SJ_SK_EUlSX_E_NS1_11comp_targetILNS1_3genE9ELNS1_11target_archE1100ELNS1_3gpuE3ELNS1_3repE0EEENS1_48merge_mergepath_partition_config_static_selectorELNS0_4arch9wavefront6targetE0EEEvSJ_.private_seg_size, 0
	.set _ZN7rocprim17ROCPRIM_400000_NS6detail17trampoline_kernelINS0_14default_configENS1_38merge_sort_block_merge_config_selectorIiiEEZZNS1_27merge_sort_block_merge_implIS3_N6thrust23THRUST_200600_302600_NS6detail15normal_iteratorINS8_10device_ptrIiEEEESD_jNS1_19radix_merge_compareILb0ELb0EiNS0_19identity_decomposerEEEEE10hipError_tT0_T1_T2_jT3_P12ihipStream_tbPNSt15iterator_traitsISI_E10value_typeEPNSO_ISJ_E10value_typeEPSK_NS1_7vsmem_tEENKUlT_SI_SJ_SK_E_clISD_PiSD_S10_EESH_SX_SI_SJ_SK_EUlSX_E_NS1_11comp_targetILNS1_3genE9ELNS1_11target_archE1100ELNS1_3gpuE3ELNS1_3repE0EEENS1_48merge_mergepath_partition_config_static_selectorELNS0_4arch9wavefront6targetE0EEEvSJ_.uses_vcc, 0
	.set _ZN7rocprim17ROCPRIM_400000_NS6detail17trampoline_kernelINS0_14default_configENS1_38merge_sort_block_merge_config_selectorIiiEEZZNS1_27merge_sort_block_merge_implIS3_N6thrust23THRUST_200600_302600_NS6detail15normal_iteratorINS8_10device_ptrIiEEEESD_jNS1_19radix_merge_compareILb0ELb0EiNS0_19identity_decomposerEEEEE10hipError_tT0_T1_T2_jT3_P12ihipStream_tbPNSt15iterator_traitsISI_E10value_typeEPNSO_ISJ_E10value_typeEPSK_NS1_7vsmem_tEENKUlT_SI_SJ_SK_E_clISD_PiSD_S10_EESH_SX_SI_SJ_SK_EUlSX_E_NS1_11comp_targetILNS1_3genE9ELNS1_11target_archE1100ELNS1_3gpuE3ELNS1_3repE0EEENS1_48merge_mergepath_partition_config_static_selectorELNS0_4arch9wavefront6targetE0EEEvSJ_.uses_flat_scratch, 0
	.set _ZN7rocprim17ROCPRIM_400000_NS6detail17trampoline_kernelINS0_14default_configENS1_38merge_sort_block_merge_config_selectorIiiEEZZNS1_27merge_sort_block_merge_implIS3_N6thrust23THRUST_200600_302600_NS6detail15normal_iteratorINS8_10device_ptrIiEEEESD_jNS1_19radix_merge_compareILb0ELb0EiNS0_19identity_decomposerEEEEE10hipError_tT0_T1_T2_jT3_P12ihipStream_tbPNSt15iterator_traitsISI_E10value_typeEPNSO_ISJ_E10value_typeEPSK_NS1_7vsmem_tEENKUlT_SI_SJ_SK_E_clISD_PiSD_S10_EESH_SX_SI_SJ_SK_EUlSX_E_NS1_11comp_targetILNS1_3genE9ELNS1_11target_archE1100ELNS1_3gpuE3ELNS1_3repE0EEENS1_48merge_mergepath_partition_config_static_selectorELNS0_4arch9wavefront6targetE0EEEvSJ_.has_dyn_sized_stack, 0
	.set _ZN7rocprim17ROCPRIM_400000_NS6detail17trampoline_kernelINS0_14default_configENS1_38merge_sort_block_merge_config_selectorIiiEEZZNS1_27merge_sort_block_merge_implIS3_N6thrust23THRUST_200600_302600_NS6detail15normal_iteratorINS8_10device_ptrIiEEEESD_jNS1_19radix_merge_compareILb0ELb0EiNS0_19identity_decomposerEEEEE10hipError_tT0_T1_T2_jT3_P12ihipStream_tbPNSt15iterator_traitsISI_E10value_typeEPNSO_ISJ_E10value_typeEPSK_NS1_7vsmem_tEENKUlT_SI_SJ_SK_E_clISD_PiSD_S10_EESH_SX_SI_SJ_SK_EUlSX_E_NS1_11comp_targetILNS1_3genE9ELNS1_11target_archE1100ELNS1_3gpuE3ELNS1_3repE0EEENS1_48merge_mergepath_partition_config_static_selectorELNS0_4arch9wavefront6targetE0EEEvSJ_.has_recursion, 0
	.set _ZN7rocprim17ROCPRIM_400000_NS6detail17trampoline_kernelINS0_14default_configENS1_38merge_sort_block_merge_config_selectorIiiEEZZNS1_27merge_sort_block_merge_implIS3_N6thrust23THRUST_200600_302600_NS6detail15normal_iteratorINS8_10device_ptrIiEEEESD_jNS1_19radix_merge_compareILb0ELb0EiNS0_19identity_decomposerEEEEE10hipError_tT0_T1_T2_jT3_P12ihipStream_tbPNSt15iterator_traitsISI_E10value_typeEPNSO_ISJ_E10value_typeEPSK_NS1_7vsmem_tEENKUlT_SI_SJ_SK_E_clISD_PiSD_S10_EESH_SX_SI_SJ_SK_EUlSX_E_NS1_11comp_targetILNS1_3genE9ELNS1_11target_archE1100ELNS1_3gpuE3ELNS1_3repE0EEENS1_48merge_mergepath_partition_config_static_selectorELNS0_4arch9wavefront6targetE0EEEvSJ_.has_indirect_call, 0
	.section	.AMDGPU.csdata,"",@progbits
; Kernel info:
; codeLenInByte = 0
; TotalNumSgprs: 0
; NumVgprs: 0
; ScratchSize: 0
; MemoryBound: 0
; FloatMode: 240
; IeeeMode: 1
; LDSByteSize: 0 bytes/workgroup (compile time only)
; SGPRBlocks: 0
; VGPRBlocks: 0
; NumSGPRsForWavesPerEU: 1
; NumVGPRsForWavesPerEU: 1
; Occupancy: 16
; WaveLimiterHint : 0
; COMPUTE_PGM_RSRC2:SCRATCH_EN: 0
; COMPUTE_PGM_RSRC2:USER_SGPR: 6
; COMPUTE_PGM_RSRC2:TRAP_HANDLER: 0
; COMPUTE_PGM_RSRC2:TGID_X_EN: 1
; COMPUTE_PGM_RSRC2:TGID_Y_EN: 0
; COMPUTE_PGM_RSRC2:TGID_Z_EN: 0
; COMPUTE_PGM_RSRC2:TIDIG_COMP_CNT: 0
	.section	.text._ZN7rocprim17ROCPRIM_400000_NS6detail17trampoline_kernelINS0_14default_configENS1_38merge_sort_block_merge_config_selectorIiiEEZZNS1_27merge_sort_block_merge_implIS3_N6thrust23THRUST_200600_302600_NS6detail15normal_iteratorINS8_10device_ptrIiEEEESD_jNS1_19radix_merge_compareILb0ELb0EiNS0_19identity_decomposerEEEEE10hipError_tT0_T1_T2_jT3_P12ihipStream_tbPNSt15iterator_traitsISI_E10value_typeEPNSO_ISJ_E10value_typeEPSK_NS1_7vsmem_tEENKUlT_SI_SJ_SK_E_clISD_PiSD_S10_EESH_SX_SI_SJ_SK_EUlSX_E_NS1_11comp_targetILNS1_3genE8ELNS1_11target_archE1030ELNS1_3gpuE2ELNS1_3repE0EEENS1_48merge_mergepath_partition_config_static_selectorELNS0_4arch9wavefront6targetE0EEEvSJ_,"axG",@progbits,_ZN7rocprim17ROCPRIM_400000_NS6detail17trampoline_kernelINS0_14default_configENS1_38merge_sort_block_merge_config_selectorIiiEEZZNS1_27merge_sort_block_merge_implIS3_N6thrust23THRUST_200600_302600_NS6detail15normal_iteratorINS8_10device_ptrIiEEEESD_jNS1_19radix_merge_compareILb0ELb0EiNS0_19identity_decomposerEEEEE10hipError_tT0_T1_T2_jT3_P12ihipStream_tbPNSt15iterator_traitsISI_E10value_typeEPNSO_ISJ_E10value_typeEPSK_NS1_7vsmem_tEENKUlT_SI_SJ_SK_E_clISD_PiSD_S10_EESH_SX_SI_SJ_SK_EUlSX_E_NS1_11comp_targetILNS1_3genE8ELNS1_11target_archE1030ELNS1_3gpuE2ELNS1_3repE0EEENS1_48merge_mergepath_partition_config_static_selectorELNS0_4arch9wavefront6targetE0EEEvSJ_,comdat
	.protected	_ZN7rocprim17ROCPRIM_400000_NS6detail17trampoline_kernelINS0_14default_configENS1_38merge_sort_block_merge_config_selectorIiiEEZZNS1_27merge_sort_block_merge_implIS3_N6thrust23THRUST_200600_302600_NS6detail15normal_iteratorINS8_10device_ptrIiEEEESD_jNS1_19radix_merge_compareILb0ELb0EiNS0_19identity_decomposerEEEEE10hipError_tT0_T1_T2_jT3_P12ihipStream_tbPNSt15iterator_traitsISI_E10value_typeEPNSO_ISJ_E10value_typeEPSK_NS1_7vsmem_tEENKUlT_SI_SJ_SK_E_clISD_PiSD_S10_EESH_SX_SI_SJ_SK_EUlSX_E_NS1_11comp_targetILNS1_3genE8ELNS1_11target_archE1030ELNS1_3gpuE2ELNS1_3repE0EEENS1_48merge_mergepath_partition_config_static_selectorELNS0_4arch9wavefront6targetE0EEEvSJ_ ; -- Begin function _ZN7rocprim17ROCPRIM_400000_NS6detail17trampoline_kernelINS0_14default_configENS1_38merge_sort_block_merge_config_selectorIiiEEZZNS1_27merge_sort_block_merge_implIS3_N6thrust23THRUST_200600_302600_NS6detail15normal_iteratorINS8_10device_ptrIiEEEESD_jNS1_19radix_merge_compareILb0ELb0EiNS0_19identity_decomposerEEEEE10hipError_tT0_T1_T2_jT3_P12ihipStream_tbPNSt15iterator_traitsISI_E10value_typeEPNSO_ISJ_E10value_typeEPSK_NS1_7vsmem_tEENKUlT_SI_SJ_SK_E_clISD_PiSD_S10_EESH_SX_SI_SJ_SK_EUlSX_E_NS1_11comp_targetILNS1_3genE8ELNS1_11target_archE1030ELNS1_3gpuE2ELNS1_3repE0EEENS1_48merge_mergepath_partition_config_static_selectorELNS0_4arch9wavefront6targetE0EEEvSJ_
	.globl	_ZN7rocprim17ROCPRIM_400000_NS6detail17trampoline_kernelINS0_14default_configENS1_38merge_sort_block_merge_config_selectorIiiEEZZNS1_27merge_sort_block_merge_implIS3_N6thrust23THRUST_200600_302600_NS6detail15normal_iteratorINS8_10device_ptrIiEEEESD_jNS1_19radix_merge_compareILb0ELb0EiNS0_19identity_decomposerEEEEE10hipError_tT0_T1_T2_jT3_P12ihipStream_tbPNSt15iterator_traitsISI_E10value_typeEPNSO_ISJ_E10value_typeEPSK_NS1_7vsmem_tEENKUlT_SI_SJ_SK_E_clISD_PiSD_S10_EESH_SX_SI_SJ_SK_EUlSX_E_NS1_11comp_targetILNS1_3genE8ELNS1_11target_archE1030ELNS1_3gpuE2ELNS1_3repE0EEENS1_48merge_mergepath_partition_config_static_selectorELNS0_4arch9wavefront6targetE0EEEvSJ_
	.p2align	8
	.type	_ZN7rocprim17ROCPRIM_400000_NS6detail17trampoline_kernelINS0_14default_configENS1_38merge_sort_block_merge_config_selectorIiiEEZZNS1_27merge_sort_block_merge_implIS3_N6thrust23THRUST_200600_302600_NS6detail15normal_iteratorINS8_10device_ptrIiEEEESD_jNS1_19radix_merge_compareILb0ELb0EiNS0_19identity_decomposerEEEEE10hipError_tT0_T1_T2_jT3_P12ihipStream_tbPNSt15iterator_traitsISI_E10value_typeEPNSO_ISJ_E10value_typeEPSK_NS1_7vsmem_tEENKUlT_SI_SJ_SK_E_clISD_PiSD_S10_EESH_SX_SI_SJ_SK_EUlSX_E_NS1_11comp_targetILNS1_3genE8ELNS1_11target_archE1030ELNS1_3gpuE2ELNS1_3repE0EEENS1_48merge_mergepath_partition_config_static_selectorELNS0_4arch9wavefront6targetE0EEEvSJ_,@function
_ZN7rocprim17ROCPRIM_400000_NS6detail17trampoline_kernelINS0_14default_configENS1_38merge_sort_block_merge_config_selectorIiiEEZZNS1_27merge_sort_block_merge_implIS3_N6thrust23THRUST_200600_302600_NS6detail15normal_iteratorINS8_10device_ptrIiEEEESD_jNS1_19radix_merge_compareILb0ELb0EiNS0_19identity_decomposerEEEEE10hipError_tT0_T1_T2_jT3_P12ihipStream_tbPNSt15iterator_traitsISI_E10value_typeEPNSO_ISJ_E10value_typeEPSK_NS1_7vsmem_tEENKUlT_SI_SJ_SK_E_clISD_PiSD_S10_EESH_SX_SI_SJ_SK_EUlSX_E_NS1_11comp_targetILNS1_3genE8ELNS1_11target_archE1030ELNS1_3gpuE2ELNS1_3repE0EEENS1_48merge_mergepath_partition_config_static_selectorELNS0_4arch9wavefront6targetE0EEEvSJ_: ; @_ZN7rocprim17ROCPRIM_400000_NS6detail17trampoline_kernelINS0_14default_configENS1_38merge_sort_block_merge_config_selectorIiiEEZZNS1_27merge_sort_block_merge_implIS3_N6thrust23THRUST_200600_302600_NS6detail15normal_iteratorINS8_10device_ptrIiEEEESD_jNS1_19radix_merge_compareILb0ELb0EiNS0_19identity_decomposerEEEEE10hipError_tT0_T1_T2_jT3_P12ihipStream_tbPNSt15iterator_traitsISI_E10value_typeEPNSO_ISJ_E10value_typeEPSK_NS1_7vsmem_tEENKUlT_SI_SJ_SK_E_clISD_PiSD_S10_EESH_SX_SI_SJ_SK_EUlSX_E_NS1_11comp_targetILNS1_3genE8ELNS1_11target_archE1030ELNS1_3gpuE2ELNS1_3repE0EEENS1_48merge_mergepath_partition_config_static_selectorELNS0_4arch9wavefront6targetE0EEEvSJ_
; %bb.0:
	s_load_dword s0, s[4:5], 0x0
	v_lshl_or_b32 v0, s6, 7, v0
	s_waitcnt lgkmcnt(0)
	v_cmp_gt_u32_e32 vcc_lo, s0, v0
	s_and_saveexec_b32 s0, vcc_lo
	s_cbranch_execz .LBB739_6
; %bb.1:
	s_load_dwordx2 s[0:1], s[4:5], 0x4
	s_waitcnt lgkmcnt(0)
	s_lshr_b32 s2, s0, 9
	s_and_b32 s2, s2, 0x7ffffe
	s_sub_i32 s3, 0, s2
	s_add_i32 s2, s2, -1
	v_and_b32_e32 v1, s3, v0
	v_and_b32_e32 v5, s2, v0
	s_mov_b32 s3, 0
	s_mov_b32 s2, exec_lo
	v_lshlrev_b32_e32 v1, 10, v1
	v_add_nc_u32_e32 v2, s0, v1
	v_min_u32_e32 v4, s1, v2
	v_min_u32_e32 v2, s1, v1
	v_add_nc_u32_e32 v3, s0, v4
	v_min_u32_e32 v1, s1, v3
	s_load_dwordx2 s[0:1], s[4:5], 0x20
	v_lshlrev_b32_e32 v3, 10, v5
	v_sub_nc_u32_e32 v5, v1, v2
	v_sub_nc_u32_e32 v6, v1, v4
	v_min_u32_e32 v1, v5, v3
	v_sub_nc_u32_e32 v3, v4, v2
	v_sub_nc_u32_e64 v6, v1, v6 clamp
	v_min_u32_e32 v7, v1, v3
	v_cmpx_lt_u32_e64 v6, v7
	s_cbranch_execz .LBB739_5
; %bb.2:
	s_load_dwordx2 s[4:5], s[4:5], 0x10
	v_mov_b32_e32 v5, 0
	v_mov_b32_e32 v3, v5
	v_lshlrev_b64 v[10:11], 2, v[4:5]
	v_lshlrev_b64 v[8:9], 2, v[2:3]
	s_waitcnt lgkmcnt(0)
	v_add_co_u32 v3, vcc_lo, s4, v8
	v_add_co_ci_u32_e64 v8, null, s5, v9, vcc_lo
	v_add_co_u32 v9, vcc_lo, s4, v10
	v_add_co_ci_u32_e64 v10, null, s5, v11, vcc_lo
	.p2align	6
.LBB739_3:                              ; =>This Inner Loop Header: Depth=1
	v_add_nc_u32_e32 v4, v7, v6
	v_mov_b32_e32 v12, v5
	v_lshrrev_b32_e32 v4, 1, v4
	v_xad_u32 v11, v4, -1, v1
	v_lshlrev_b64 v[13:14], 2, v[4:5]
	v_lshlrev_b64 v[11:12], 2, v[11:12]
	v_add_co_u32 v13, vcc_lo, v3, v13
	v_add_co_ci_u32_e64 v14, null, v8, v14, vcc_lo
	v_add_co_u32 v11, vcc_lo, v9, v11
	v_add_co_ci_u32_e64 v12, null, v10, v12, vcc_lo
	s_clause 0x1
	flat_load_dword v13, v[13:14]
	flat_load_dword v11, v[11:12]
	v_add_nc_u32_e32 v12, 1, v4
	s_waitcnt vmcnt(0) lgkmcnt(0)
	v_cmp_gt_i32_e32 vcc_lo, v13, v11
	v_cndmask_b32_e32 v7, v7, v4, vcc_lo
	v_cndmask_b32_e32 v6, v12, v6, vcc_lo
	v_cmp_ge_u32_e32 vcc_lo, v6, v7
	s_or_b32 s3, vcc_lo, s3
	s_andn2_b32 exec_lo, exec_lo, s3
	s_cbranch_execnz .LBB739_3
; %bb.4:
	s_or_b32 exec_lo, exec_lo, s3
.LBB739_5:
	s_or_b32 exec_lo, exec_lo, s2
	v_mov_b32_e32 v1, 0
	v_add_nc_u32_e32 v2, v6, v2
	v_lshlrev_b64 v[0:1], 2, v[0:1]
	s_waitcnt lgkmcnt(0)
	v_add_co_u32 v0, vcc_lo, s0, v0
	v_add_co_ci_u32_e64 v1, null, s1, v1, vcc_lo
	global_store_dword v[0:1], v2, off
.LBB739_6:
	s_endpgm
	.section	.rodata,"a",@progbits
	.p2align	6, 0x0
	.amdhsa_kernel _ZN7rocprim17ROCPRIM_400000_NS6detail17trampoline_kernelINS0_14default_configENS1_38merge_sort_block_merge_config_selectorIiiEEZZNS1_27merge_sort_block_merge_implIS3_N6thrust23THRUST_200600_302600_NS6detail15normal_iteratorINS8_10device_ptrIiEEEESD_jNS1_19radix_merge_compareILb0ELb0EiNS0_19identity_decomposerEEEEE10hipError_tT0_T1_T2_jT3_P12ihipStream_tbPNSt15iterator_traitsISI_E10value_typeEPNSO_ISJ_E10value_typeEPSK_NS1_7vsmem_tEENKUlT_SI_SJ_SK_E_clISD_PiSD_S10_EESH_SX_SI_SJ_SK_EUlSX_E_NS1_11comp_targetILNS1_3genE8ELNS1_11target_archE1030ELNS1_3gpuE2ELNS1_3repE0EEENS1_48merge_mergepath_partition_config_static_selectorELNS0_4arch9wavefront6targetE0EEEvSJ_
		.amdhsa_group_segment_fixed_size 0
		.amdhsa_private_segment_fixed_size 0
		.amdhsa_kernarg_size 40
		.amdhsa_user_sgpr_count 6
		.amdhsa_user_sgpr_private_segment_buffer 1
		.amdhsa_user_sgpr_dispatch_ptr 0
		.amdhsa_user_sgpr_queue_ptr 0
		.amdhsa_user_sgpr_kernarg_segment_ptr 1
		.amdhsa_user_sgpr_dispatch_id 0
		.amdhsa_user_sgpr_flat_scratch_init 0
		.amdhsa_user_sgpr_private_segment_size 0
		.amdhsa_wavefront_size32 1
		.amdhsa_uses_dynamic_stack 0
		.amdhsa_system_sgpr_private_segment_wavefront_offset 0
		.amdhsa_system_sgpr_workgroup_id_x 1
		.amdhsa_system_sgpr_workgroup_id_y 0
		.amdhsa_system_sgpr_workgroup_id_z 0
		.amdhsa_system_sgpr_workgroup_info 0
		.amdhsa_system_vgpr_workitem_id 0
		.amdhsa_next_free_vgpr 15
		.amdhsa_next_free_sgpr 7
		.amdhsa_reserve_vcc 1
		.amdhsa_reserve_flat_scratch 1
		.amdhsa_float_round_mode_32 0
		.amdhsa_float_round_mode_16_64 0
		.amdhsa_float_denorm_mode_32 3
		.amdhsa_float_denorm_mode_16_64 3
		.amdhsa_dx10_clamp 1
		.amdhsa_ieee_mode 1
		.amdhsa_fp16_overflow 0
		.amdhsa_workgroup_processor_mode 1
		.amdhsa_memory_ordered 1
		.amdhsa_forward_progress 1
		.amdhsa_shared_vgpr_count 0
		.amdhsa_exception_fp_ieee_invalid_op 0
		.amdhsa_exception_fp_denorm_src 0
		.amdhsa_exception_fp_ieee_div_zero 0
		.amdhsa_exception_fp_ieee_overflow 0
		.amdhsa_exception_fp_ieee_underflow 0
		.amdhsa_exception_fp_ieee_inexact 0
		.amdhsa_exception_int_div_zero 0
	.end_amdhsa_kernel
	.section	.text._ZN7rocprim17ROCPRIM_400000_NS6detail17trampoline_kernelINS0_14default_configENS1_38merge_sort_block_merge_config_selectorIiiEEZZNS1_27merge_sort_block_merge_implIS3_N6thrust23THRUST_200600_302600_NS6detail15normal_iteratorINS8_10device_ptrIiEEEESD_jNS1_19radix_merge_compareILb0ELb0EiNS0_19identity_decomposerEEEEE10hipError_tT0_T1_T2_jT3_P12ihipStream_tbPNSt15iterator_traitsISI_E10value_typeEPNSO_ISJ_E10value_typeEPSK_NS1_7vsmem_tEENKUlT_SI_SJ_SK_E_clISD_PiSD_S10_EESH_SX_SI_SJ_SK_EUlSX_E_NS1_11comp_targetILNS1_3genE8ELNS1_11target_archE1030ELNS1_3gpuE2ELNS1_3repE0EEENS1_48merge_mergepath_partition_config_static_selectorELNS0_4arch9wavefront6targetE0EEEvSJ_,"axG",@progbits,_ZN7rocprim17ROCPRIM_400000_NS6detail17trampoline_kernelINS0_14default_configENS1_38merge_sort_block_merge_config_selectorIiiEEZZNS1_27merge_sort_block_merge_implIS3_N6thrust23THRUST_200600_302600_NS6detail15normal_iteratorINS8_10device_ptrIiEEEESD_jNS1_19radix_merge_compareILb0ELb0EiNS0_19identity_decomposerEEEEE10hipError_tT0_T1_T2_jT3_P12ihipStream_tbPNSt15iterator_traitsISI_E10value_typeEPNSO_ISJ_E10value_typeEPSK_NS1_7vsmem_tEENKUlT_SI_SJ_SK_E_clISD_PiSD_S10_EESH_SX_SI_SJ_SK_EUlSX_E_NS1_11comp_targetILNS1_3genE8ELNS1_11target_archE1030ELNS1_3gpuE2ELNS1_3repE0EEENS1_48merge_mergepath_partition_config_static_selectorELNS0_4arch9wavefront6targetE0EEEvSJ_,comdat
.Lfunc_end739:
	.size	_ZN7rocprim17ROCPRIM_400000_NS6detail17trampoline_kernelINS0_14default_configENS1_38merge_sort_block_merge_config_selectorIiiEEZZNS1_27merge_sort_block_merge_implIS3_N6thrust23THRUST_200600_302600_NS6detail15normal_iteratorINS8_10device_ptrIiEEEESD_jNS1_19radix_merge_compareILb0ELb0EiNS0_19identity_decomposerEEEEE10hipError_tT0_T1_T2_jT3_P12ihipStream_tbPNSt15iterator_traitsISI_E10value_typeEPNSO_ISJ_E10value_typeEPSK_NS1_7vsmem_tEENKUlT_SI_SJ_SK_E_clISD_PiSD_S10_EESH_SX_SI_SJ_SK_EUlSX_E_NS1_11comp_targetILNS1_3genE8ELNS1_11target_archE1030ELNS1_3gpuE2ELNS1_3repE0EEENS1_48merge_mergepath_partition_config_static_selectorELNS0_4arch9wavefront6targetE0EEEvSJ_, .Lfunc_end739-_ZN7rocprim17ROCPRIM_400000_NS6detail17trampoline_kernelINS0_14default_configENS1_38merge_sort_block_merge_config_selectorIiiEEZZNS1_27merge_sort_block_merge_implIS3_N6thrust23THRUST_200600_302600_NS6detail15normal_iteratorINS8_10device_ptrIiEEEESD_jNS1_19radix_merge_compareILb0ELb0EiNS0_19identity_decomposerEEEEE10hipError_tT0_T1_T2_jT3_P12ihipStream_tbPNSt15iterator_traitsISI_E10value_typeEPNSO_ISJ_E10value_typeEPSK_NS1_7vsmem_tEENKUlT_SI_SJ_SK_E_clISD_PiSD_S10_EESH_SX_SI_SJ_SK_EUlSX_E_NS1_11comp_targetILNS1_3genE8ELNS1_11target_archE1030ELNS1_3gpuE2ELNS1_3repE0EEENS1_48merge_mergepath_partition_config_static_selectorELNS0_4arch9wavefront6targetE0EEEvSJ_
                                        ; -- End function
	.set _ZN7rocprim17ROCPRIM_400000_NS6detail17trampoline_kernelINS0_14default_configENS1_38merge_sort_block_merge_config_selectorIiiEEZZNS1_27merge_sort_block_merge_implIS3_N6thrust23THRUST_200600_302600_NS6detail15normal_iteratorINS8_10device_ptrIiEEEESD_jNS1_19radix_merge_compareILb0ELb0EiNS0_19identity_decomposerEEEEE10hipError_tT0_T1_T2_jT3_P12ihipStream_tbPNSt15iterator_traitsISI_E10value_typeEPNSO_ISJ_E10value_typeEPSK_NS1_7vsmem_tEENKUlT_SI_SJ_SK_E_clISD_PiSD_S10_EESH_SX_SI_SJ_SK_EUlSX_E_NS1_11comp_targetILNS1_3genE8ELNS1_11target_archE1030ELNS1_3gpuE2ELNS1_3repE0EEENS1_48merge_mergepath_partition_config_static_selectorELNS0_4arch9wavefront6targetE0EEEvSJ_.num_vgpr, 15
	.set _ZN7rocprim17ROCPRIM_400000_NS6detail17trampoline_kernelINS0_14default_configENS1_38merge_sort_block_merge_config_selectorIiiEEZZNS1_27merge_sort_block_merge_implIS3_N6thrust23THRUST_200600_302600_NS6detail15normal_iteratorINS8_10device_ptrIiEEEESD_jNS1_19radix_merge_compareILb0ELb0EiNS0_19identity_decomposerEEEEE10hipError_tT0_T1_T2_jT3_P12ihipStream_tbPNSt15iterator_traitsISI_E10value_typeEPNSO_ISJ_E10value_typeEPSK_NS1_7vsmem_tEENKUlT_SI_SJ_SK_E_clISD_PiSD_S10_EESH_SX_SI_SJ_SK_EUlSX_E_NS1_11comp_targetILNS1_3genE8ELNS1_11target_archE1030ELNS1_3gpuE2ELNS1_3repE0EEENS1_48merge_mergepath_partition_config_static_selectorELNS0_4arch9wavefront6targetE0EEEvSJ_.num_agpr, 0
	.set _ZN7rocprim17ROCPRIM_400000_NS6detail17trampoline_kernelINS0_14default_configENS1_38merge_sort_block_merge_config_selectorIiiEEZZNS1_27merge_sort_block_merge_implIS3_N6thrust23THRUST_200600_302600_NS6detail15normal_iteratorINS8_10device_ptrIiEEEESD_jNS1_19radix_merge_compareILb0ELb0EiNS0_19identity_decomposerEEEEE10hipError_tT0_T1_T2_jT3_P12ihipStream_tbPNSt15iterator_traitsISI_E10value_typeEPNSO_ISJ_E10value_typeEPSK_NS1_7vsmem_tEENKUlT_SI_SJ_SK_E_clISD_PiSD_S10_EESH_SX_SI_SJ_SK_EUlSX_E_NS1_11comp_targetILNS1_3genE8ELNS1_11target_archE1030ELNS1_3gpuE2ELNS1_3repE0EEENS1_48merge_mergepath_partition_config_static_selectorELNS0_4arch9wavefront6targetE0EEEvSJ_.numbered_sgpr, 7
	.set _ZN7rocprim17ROCPRIM_400000_NS6detail17trampoline_kernelINS0_14default_configENS1_38merge_sort_block_merge_config_selectorIiiEEZZNS1_27merge_sort_block_merge_implIS3_N6thrust23THRUST_200600_302600_NS6detail15normal_iteratorINS8_10device_ptrIiEEEESD_jNS1_19radix_merge_compareILb0ELb0EiNS0_19identity_decomposerEEEEE10hipError_tT0_T1_T2_jT3_P12ihipStream_tbPNSt15iterator_traitsISI_E10value_typeEPNSO_ISJ_E10value_typeEPSK_NS1_7vsmem_tEENKUlT_SI_SJ_SK_E_clISD_PiSD_S10_EESH_SX_SI_SJ_SK_EUlSX_E_NS1_11comp_targetILNS1_3genE8ELNS1_11target_archE1030ELNS1_3gpuE2ELNS1_3repE0EEENS1_48merge_mergepath_partition_config_static_selectorELNS0_4arch9wavefront6targetE0EEEvSJ_.num_named_barrier, 0
	.set _ZN7rocprim17ROCPRIM_400000_NS6detail17trampoline_kernelINS0_14default_configENS1_38merge_sort_block_merge_config_selectorIiiEEZZNS1_27merge_sort_block_merge_implIS3_N6thrust23THRUST_200600_302600_NS6detail15normal_iteratorINS8_10device_ptrIiEEEESD_jNS1_19radix_merge_compareILb0ELb0EiNS0_19identity_decomposerEEEEE10hipError_tT0_T1_T2_jT3_P12ihipStream_tbPNSt15iterator_traitsISI_E10value_typeEPNSO_ISJ_E10value_typeEPSK_NS1_7vsmem_tEENKUlT_SI_SJ_SK_E_clISD_PiSD_S10_EESH_SX_SI_SJ_SK_EUlSX_E_NS1_11comp_targetILNS1_3genE8ELNS1_11target_archE1030ELNS1_3gpuE2ELNS1_3repE0EEENS1_48merge_mergepath_partition_config_static_selectorELNS0_4arch9wavefront6targetE0EEEvSJ_.private_seg_size, 0
	.set _ZN7rocprim17ROCPRIM_400000_NS6detail17trampoline_kernelINS0_14default_configENS1_38merge_sort_block_merge_config_selectorIiiEEZZNS1_27merge_sort_block_merge_implIS3_N6thrust23THRUST_200600_302600_NS6detail15normal_iteratorINS8_10device_ptrIiEEEESD_jNS1_19radix_merge_compareILb0ELb0EiNS0_19identity_decomposerEEEEE10hipError_tT0_T1_T2_jT3_P12ihipStream_tbPNSt15iterator_traitsISI_E10value_typeEPNSO_ISJ_E10value_typeEPSK_NS1_7vsmem_tEENKUlT_SI_SJ_SK_E_clISD_PiSD_S10_EESH_SX_SI_SJ_SK_EUlSX_E_NS1_11comp_targetILNS1_3genE8ELNS1_11target_archE1030ELNS1_3gpuE2ELNS1_3repE0EEENS1_48merge_mergepath_partition_config_static_selectorELNS0_4arch9wavefront6targetE0EEEvSJ_.uses_vcc, 1
	.set _ZN7rocprim17ROCPRIM_400000_NS6detail17trampoline_kernelINS0_14default_configENS1_38merge_sort_block_merge_config_selectorIiiEEZZNS1_27merge_sort_block_merge_implIS3_N6thrust23THRUST_200600_302600_NS6detail15normal_iteratorINS8_10device_ptrIiEEEESD_jNS1_19radix_merge_compareILb0ELb0EiNS0_19identity_decomposerEEEEE10hipError_tT0_T1_T2_jT3_P12ihipStream_tbPNSt15iterator_traitsISI_E10value_typeEPNSO_ISJ_E10value_typeEPSK_NS1_7vsmem_tEENKUlT_SI_SJ_SK_E_clISD_PiSD_S10_EESH_SX_SI_SJ_SK_EUlSX_E_NS1_11comp_targetILNS1_3genE8ELNS1_11target_archE1030ELNS1_3gpuE2ELNS1_3repE0EEENS1_48merge_mergepath_partition_config_static_selectorELNS0_4arch9wavefront6targetE0EEEvSJ_.uses_flat_scratch, 1
	.set _ZN7rocprim17ROCPRIM_400000_NS6detail17trampoline_kernelINS0_14default_configENS1_38merge_sort_block_merge_config_selectorIiiEEZZNS1_27merge_sort_block_merge_implIS3_N6thrust23THRUST_200600_302600_NS6detail15normal_iteratorINS8_10device_ptrIiEEEESD_jNS1_19radix_merge_compareILb0ELb0EiNS0_19identity_decomposerEEEEE10hipError_tT0_T1_T2_jT3_P12ihipStream_tbPNSt15iterator_traitsISI_E10value_typeEPNSO_ISJ_E10value_typeEPSK_NS1_7vsmem_tEENKUlT_SI_SJ_SK_E_clISD_PiSD_S10_EESH_SX_SI_SJ_SK_EUlSX_E_NS1_11comp_targetILNS1_3genE8ELNS1_11target_archE1030ELNS1_3gpuE2ELNS1_3repE0EEENS1_48merge_mergepath_partition_config_static_selectorELNS0_4arch9wavefront6targetE0EEEvSJ_.has_dyn_sized_stack, 0
	.set _ZN7rocprim17ROCPRIM_400000_NS6detail17trampoline_kernelINS0_14default_configENS1_38merge_sort_block_merge_config_selectorIiiEEZZNS1_27merge_sort_block_merge_implIS3_N6thrust23THRUST_200600_302600_NS6detail15normal_iteratorINS8_10device_ptrIiEEEESD_jNS1_19radix_merge_compareILb0ELb0EiNS0_19identity_decomposerEEEEE10hipError_tT0_T1_T2_jT3_P12ihipStream_tbPNSt15iterator_traitsISI_E10value_typeEPNSO_ISJ_E10value_typeEPSK_NS1_7vsmem_tEENKUlT_SI_SJ_SK_E_clISD_PiSD_S10_EESH_SX_SI_SJ_SK_EUlSX_E_NS1_11comp_targetILNS1_3genE8ELNS1_11target_archE1030ELNS1_3gpuE2ELNS1_3repE0EEENS1_48merge_mergepath_partition_config_static_selectorELNS0_4arch9wavefront6targetE0EEEvSJ_.has_recursion, 0
	.set _ZN7rocprim17ROCPRIM_400000_NS6detail17trampoline_kernelINS0_14default_configENS1_38merge_sort_block_merge_config_selectorIiiEEZZNS1_27merge_sort_block_merge_implIS3_N6thrust23THRUST_200600_302600_NS6detail15normal_iteratorINS8_10device_ptrIiEEEESD_jNS1_19radix_merge_compareILb0ELb0EiNS0_19identity_decomposerEEEEE10hipError_tT0_T1_T2_jT3_P12ihipStream_tbPNSt15iterator_traitsISI_E10value_typeEPNSO_ISJ_E10value_typeEPSK_NS1_7vsmem_tEENKUlT_SI_SJ_SK_E_clISD_PiSD_S10_EESH_SX_SI_SJ_SK_EUlSX_E_NS1_11comp_targetILNS1_3genE8ELNS1_11target_archE1030ELNS1_3gpuE2ELNS1_3repE0EEENS1_48merge_mergepath_partition_config_static_selectorELNS0_4arch9wavefront6targetE0EEEvSJ_.has_indirect_call, 0
	.section	.AMDGPU.csdata,"",@progbits
; Kernel info:
; codeLenInByte = 436
; TotalNumSgprs: 9
; NumVgprs: 15
; ScratchSize: 0
; MemoryBound: 0
; FloatMode: 240
; IeeeMode: 1
; LDSByteSize: 0 bytes/workgroup (compile time only)
; SGPRBlocks: 0
; VGPRBlocks: 1
; NumSGPRsForWavesPerEU: 9
; NumVGPRsForWavesPerEU: 15
; Occupancy: 16
; WaveLimiterHint : 0
; COMPUTE_PGM_RSRC2:SCRATCH_EN: 0
; COMPUTE_PGM_RSRC2:USER_SGPR: 6
; COMPUTE_PGM_RSRC2:TRAP_HANDLER: 0
; COMPUTE_PGM_RSRC2:TGID_X_EN: 1
; COMPUTE_PGM_RSRC2:TGID_Y_EN: 0
; COMPUTE_PGM_RSRC2:TGID_Z_EN: 0
; COMPUTE_PGM_RSRC2:TIDIG_COMP_CNT: 0
	.section	.text._ZN7rocprim17ROCPRIM_400000_NS6detail17trampoline_kernelINS0_14default_configENS1_38merge_sort_block_merge_config_selectorIiiEEZZNS1_27merge_sort_block_merge_implIS3_N6thrust23THRUST_200600_302600_NS6detail15normal_iteratorINS8_10device_ptrIiEEEESD_jNS1_19radix_merge_compareILb0ELb0EiNS0_19identity_decomposerEEEEE10hipError_tT0_T1_T2_jT3_P12ihipStream_tbPNSt15iterator_traitsISI_E10value_typeEPNSO_ISJ_E10value_typeEPSK_NS1_7vsmem_tEENKUlT_SI_SJ_SK_E_clISD_PiSD_S10_EESH_SX_SI_SJ_SK_EUlSX_E0_NS1_11comp_targetILNS1_3genE0ELNS1_11target_archE4294967295ELNS1_3gpuE0ELNS1_3repE0EEENS1_38merge_mergepath_config_static_selectorELNS0_4arch9wavefront6targetE0EEEvSJ_,"axG",@progbits,_ZN7rocprim17ROCPRIM_400000_NS6detail17trampoline_kernelINS0_14default_configENS1_38merge_sort_block_merge_config_selectorIiiEEZZNS1_27merge_sort_block_merge_implIS3_N6thrust23THRUST_200600_302600_NS6detail15normal_iteratorINS8_10device_ptrIiEEEESD_jNS1_19radix_merge_compareILb0ELb0EiNS0_19identity_decomposerEEEEE10hipError_tT0_T1_T2_jT3_P12ihipStream_tbPNSt15iterator_traitsISI_E10value_typeEPNSO_ISJ_E10value_typeEPSK_NS1_7vsmem_tEENKUlT_SI_SJ_SK_E_clISD_PiSD_S10_EESH_SX_SI_SJ_SK_EUlSX_E0_NS1_11comp_targetILNS1_3genE0ELNS1_11target_archE4294967295ELNS1_3gpuE0ELNS1_3repE0EEENS1_38merge_mergepath_config_static_selectorELNS0_4arch9wavefront6targetE0EEEvSJ_,comdat
	.protected	_ZN7rocprim17ROCPRIM_400000_NS6detail17trampoline_kernelINS0_14default_configENS1_38merge_sort_block_merge_config_selectorIiiEEZZNS1_27merge_sort_block_merge_implIS3_N6thrust23THRUST_200600_302600_NS6detail15normal_iteratorINS8_10device_ptrIiEEEESD_jNS1_19radix_merge_compareILb0ELb0EiNS0_19identity_decomposerEEEEE10hipError_tT0_T1_T2_jT3_P12ihipStream_tbPNSt15iterator_traitsISI_E10value_typeEPNSO_ISJ_E10value_typeEPSK_NS1_7vsmem_tEENKUlT_SI_SJ_SK_E_clISD_PiSD_S10_EESH_SX_SI_SJ_SK_EUlSX_E0_NS1_11comp_targetILNS1_3genE0ELNS1_11target_archE4294967295ELNS1_3gpuE0ELNS1_3repE0EEENS1_38merge_mergepath_config_static_selectorELNS0_4arch9wavefront6targetE0EEEvSJ_ ; -- Begin function _ZN7rocprim17ROCPRIM_400000_NS6detail17trampoline_kernelINS0_14default_configENS1_38merge_sort_block_merge_config_selectorIiiEEZZNS1_27merge_sort_block_merge_implIS3_N6thrust23THRUST_200600_302600_NS6detail15normal_iteratorINS8_10device_ptrIiEEEESD_jNS1_19radix_merge_compareILb0ELb0EiNS0_19identity_decomposerEEEEE10hipError_tT0_T1_T2_jT3_P12ihipStream_tbPNSt15iterator_traitsISI_E10value_typeEPNSO_ISJ_E10value_typeEPSK_NS1_7vsmem_tEENKUlT_SI_SJ_SK_E_clISD_PiSD_S10_EESH_SX_SI_SJ_SK_EUlSX_E0_NS1_11comp_targetILNS1_3genE0ELNS1_11target_archE4294967295ELNS1_3gpuE0ELNS1_3repE0EEENS1_38merge_mergepath_config_static_selectorELNS0_4arch9wavefront6targetE0EEEvSJ_
	.globl	_ZN7rocprim17ROCPRIM_400000_NS6detail17trampoline_kernelINS0_14default_configENS1_38merge_sort_block_merge_config_selectorIiiEEZZNS1_27merge_sort_block_merge_implIS3_N6thrust23THRUST_200600_302600_NS6detail15normal_iteratorINS8_10device_ptrIiEEEESD_jNS1_19radix_merge_compareILb0ELb0EiNS0_19identity_decomposerEEEEE10hipError_tT0_T1_T2_jT3_P12ihipStream_tbPNSt15iterator_traitsISI_E10value_typeEPNSO_ISJ_E10value_typeEPSK_NS1_7vsmem_tEENKUlT_SI_SJ_SK_E_clISD_PiSD_S10_EESH_SX_SI_SJ_SK_EUlSX_E0_NS1_11comp_targetILNS1_3genE0ELNS1_11target_archE4294967295ELNS1_3gpuE0ELNS1_3repE0EEENS1_38merge_mergepath_config_static_selectorELNS0_4arch9wavefront6targetE0EEEvSJ_
	.p2align	8
	.type	_ZN7rocprim17ROCPRIM_400000_NS6detail17trampoline_kernelINS0_14default_configENS1_38merge_sort_block_merge_config_selectorIiiEEZZNS1_27merge_sort_block_merge_implIS3_N6thrust23THRUST_200600_302600_NS6detail15normal_iteratorINS8_10device_ptrIiEEEESD_jNS1_19radix_merge_compareILb0ELb0EiNS0_19identity_decomposerEEEEE10hipError_tT0_T1_T2_jT3_P12ihipStream_tbPNSt15iterator_traitsISI_E10value_typeEPNSO_ISJ_E10value_typeEPSK_NS1_7vsmem_tEENKUlT_SI_SJ_SK_E_clISD_PiSD_S10_EESH_SX_SI_SJ_SK_EUlSX_E0_NS1_11comp_targetILNS1_3genE0ELNS1_11target_archE4294967295ELNS1_3gpuE0ELNS1_3repE0EEENS1_38merge_mergepath_config_static_selectorELNS0_4arch9wavefront6targetE0EEEvSJ_,@function
_ZN7rocprim17ROCPRIM_400000_NS6detail17trampoline_kernelINS0_14default_configENS1_38merge_sort_block_merge_config_selectorIiiEEZZNS1_27merge_sort_block_merge_implIS3_N6thrust23THRUST_200600_302600_NS6detail15normal_iteratorINS8_10device_ptrIiEEEESD_jNS1_19radix_merge_compareILb0ELb0EiNS0_19identity_decomposerEEEEE10hipError_tT0_T1_T2_jT3_P12ihipStream_tbPNSt15iterator_traitsISI_E10value_typeEPNSO_ISJ_E10value_typeEPSK_NS1_7vsmem_tEENKUlT_SI_SJ_SK_E_clISD_PiSD_S10_EESH_SX_SI_SJ_SK_EUlSX_E0_NS1_11comp_targetILNS1_3genE0ELNS1_11target_archE4294967295ELNS1_3gpuE0ELNS1_3repE0EEENS1_38merge_mergepath_config_static_selectorELNS0_4arch9wavefront6targetE0EEEvSJ_: ; @_ZN7rocprim17ROCPRIM_400000_NS6detail17trampoline_kernelINS0_14default_configENS1_38merge_sort_block_merge_config_selectorIiiEEZZNS1_27merge_sort_block_merge_implIS3_N6thrust23THRUST_200600_302600_NS6detail15normal_iteratorINS8_10device_ptrIiEEEESD_jNS1_19radix_merge_compareILb0ELb0EiNS0_19identity_decomposerEEEEE10hipError_tT0_T1_T2_jT3_P12ihipStream_tbPNSt15iterator_traitsISI_E10value_typeEPNSO_ISJ_E10value_typeEPSK_NS1_7vsmem_tEENKUlT_SI_SJ_SK_E_clISD_PiSD_S10_EESH_SX_SI_SJ_SK_EUlSX_E0_NS1_11comp_targetILNS1_3genE0ELNS1_11target_archE4294967295ELNS1_3gpuE0ELNS1_3repE0EEENS1_38merge_mergepath_config_static_selectorELNS0_4arch9wavefront6targetE0EEEvSJ_
; %bb.0:
	.section	.rodata,"a",@progbits
	.p2align	6, 0x0
	.amdhsa_kernel _ZN7rocprim17ROCPRIM_400000_NS6detail17trampoline_kernelINS0_14default_configENS1_38merge_sort_block_merge_config_selectorIiiEEZZNS1_27merge_sort_block_merge_implIS3_N6thrust23THRUST_200600_302600_NS6detail15normal_iteratorINS8_10device_ptrIiEEEESD_jNS1_19radix_merge_compareILb0ELb0EiNS0_19identity_decomposerEEEEE10hipError_tT0_T1_T2_jT3_P12ihipStream_tbPNSt15iterator_traitsISI_E10value_typeEPNSO_ISJ_E10value_typeEPSK_NS1_7vsmem_tEENKUlT_SI_SJ_SK_E_clISD_PiSD_S10_EESH_SX_SI_SJ_SK_EUlSX_E0_NS1_11comp_targetILNS1_3genE0ELNS1_11target_archE4294967295ELNS1_3gpuE0ELNS1_3repE0EEENS1_38merge_mergepath_config_static_selectorELNS0_4arch9wavefront6targetE0EEEvSJ_
		.amdhsa_group_segment_fixed_size 0
		.amdhsa_private_segment_fixed_size 0
		.amdhsa_kernarg_size 64
		.amdhsa_user_sgpr_count 6
		.amdhsa_user_sgpr_private_segment_buffer 1
		.amdhsa_user_sgpr_dispatch_ptr 0
		.amdhsa_user_sgpr_queue_ptr 0
		.amdhsa_user_sgpr_kernarg_segment_ptr 1
		.amdhsa_user_sgpr_dispatch_id 0
		.amdhsa_user_sgpr_flat_scratch_init 0
		.amdhsa_user_sgpr_private_segment_size 0
		.amdhsa_wavefront_size32 1
		.amdhsa_uses_dynamic_stack 0
		.amdhsa_system_sgpr_private_segment_wavefront_offset 0
		.amdhsa_system_sgpr_workgroup_id_x 1
		.amdhsa_system_sgpr_workgroup_id_y 0
		.amdhsa_system_sgpr_workgroup_id_z 0
		.amdhsa_system_sgpr_workgroup_info 0
		.amdhsa_system_vgpr_workitem_id 0
		.amdhsa_next_free_vgpr 1
		.amdhsa_next_free_sgpr 1
		.amdhsa_reserve_vcc 0
		.amdhsa_reserve_flat_scratch 0
		.amdhsa_float_round_mode_32 0
		.amdhsa_float_round_mode_16_64 0
		.amdhsa_float_denorm_mode_32 3
		.amdhsa_float_denorm_mode_16_64 3
		.amdhsa_dx10_clamp 1
		.amdhsa_ieee_mode 1
		.amdhsa_fp16_overflow 0
		.amdhsa_workgroup_processor_mode 1
		.amdhsa_memory_ordered 1
		.amdhsa_forward_progress 1
		.amdhsa_shared_vgpr_count 0
		.amdhsa_exception_fp_ieee_invalid_op 0
		.amdhsa_exception_fp_denorm_src 0
		.amdhsa_exception_fp_ieee_div_zero 0
		.amdhsa_exception_fp_ieee_overflow 0
		.amdhsa_exception_fp_ieee_underflow 0
		.amdhsa_exception_fp_ieee_inexact 0
		.amdhsa_exception_int_div_zero 0
	.end_amdhsa_kernel
	.section	.text._ZN7rocprim17ROCPRIM_400000_NS6detail17trampoline_kernelINS0_14default_configENS1_38merge_sort_block_merge_config_selectorIiiEEZZNS1_27merge_sort_block_merge_implIS3_N6thrust23THRUST_200600_302600_NS6detail15normal_iteratorINS8_10device_ptrIiEEEESD_jNS1_19radix_merge_compareILb0ELb0EiNS0_19identity_decomposerEEEEE10hipError_tT0_T1_T2_jT3_P12ihipStream_tbPNSt15iterator_traitsISI_E10value_typeEPNSO_ISJ_E10value_typeEPSK_NS1_7vsmem_tEENKUlT_SI_SJ_SK_E_clISD_PiSD_S10_EESH_SX_SI_SJ_SK_EUlSX_E0_NS1_11comp_targetILNS1_3genE0ELNS1_11target_archE4294967295ELNS1_3gpuE0ELNS1_3repE0EEENS1_38merge_mergepath_config_static_selectorELNS0_4arch9wavefront6targetE0EEEvSJ_,"axG",@progbits,_ZN7rocprim17ROCPRIM_400000_NS6detail17trampoline_kernelINS0_14default_configENS1_38merge_sort_block_merge_config_selectorIiiEEZZNS1_27merge_sort_block_merge_implIS3_N6thrust23THRUST_200600_302600_NS6detail15normal_iteratorINS8_10device_ptrIiEEEESD_jNS1_19radix_merge_compareILb0ELb0EiNS0_19identity_decomposerEEEEE10hipError_tT0_T1_T2_jT3_P12ihipStream_tbPNSt15iterator_traitsISI_E10value_typeEPNSO_ISJ_E10value_typeEPSK_NS1_7vsmem_tEENKUlT_SI_SJ_SK_E_clISD_PiSD_S10_EESH_SX_SI_SJ_SK_EUlSX_E0_NS1_11comp_targetILNS1_3genE0ELNS1_11target_archE4294967295ELNS1_3gpuE0ELNS1_3repE0EEENS1_38merge_mergepath_config_static_selectorELNS0_4arch9wavefront6targetE0EEEvSJ_,comdat
.Lfunc_end740:
	.size	_ZN7rocprim17ROCPRIM_400000_NS6detail17trampoline_kernelINS0_14default_configENS1_38merge_sort_block_merge_config_selectorIiiEEZZNS1_27merge_sort_block_merge_implIS3_N6thrust23THRUST_200600_302600_NS6detail15normal_iteratorINS8_10device_ptrIiEEEESD_jNS1_19radix_merge_compareILb0ELb0EiNS0_19identity_decomposerEEEEE10hipError_tT0_T1_T2_jT3_P12ihipStream_tbPNSt15iterator_traitsISI_E10value_typeEPNSO_ISJ_E10value_typeEPSK_NS1_7vsmem_tEENKUlT_SI_SJ_SK_E_clISD_PiSD_S10_EESH_SX_SI_SJ_SK_EUlSX_E0_NS1_11comp_targetILNS1_3genE0ELNS1_11target_archE4294967295ELNS1_3gpuE0ELNS1_3repE0EEENS1_38merge_mergepath_config_static_selectorELNS0_4arch9wavefront6targetE0EEEvSJ_, .Lfunc_end740-_ZN7rocprim17ROCPRIM_400000_NS6detail17trampoline_kernelINS0_14default_configENS1_38merge_sort_block_merge_config_selectorIiiEEZZNS1_27merge_sort_block_merge_implIS3_N6thrust23THRUST_200600_302600_NS6detail15normal_iteratorINS8_10device_ptrIiEEEESD_jNS1_19radix_merge_compareILb0ELb0EiNS0_19identity_decomposerEEEEE10hipError_tT0_T1_T2_jT3_P12ihipStream_tbPNSt15iterator_traitsISI_E10value_typeEPNSO_ISJ_E10value_typeEPSK_NS1_7vsmem_tEENKUlT_SI_SJ_SK_E_clISD_PiSD_S10_EESH_SX_SI_SJ_SK_EUlSX_E0_NS1_11comp_targetILNS1_3genE0ELNS1_11target_archE4294967295ELNS1_3gpuE0ELNS1_3repE0EEENS1_38merge_mergepath_config_static_selectorELNS0_4arch9wavefront6targetE0EEEvSJ_
                                        ; -- End function
	.set _ZN7rocprim17ROCPRIM_400000_NS6detail17trampoline_kernelINS0_14default_configENS1_38merge_sort_block_merge_config_selectorIiiEEZZNS1_27merge_sort_block_merge_implIS3_N6thrust23THRUST_200600_302600_NS6detail15normal_iteratorINS8_10device_ptrIiEEEESD_jNS1_19radix_merge_compareILb0ELb0EiNS0_19identity_decomposerEEEEE10hipError_tT0_T1_T2_jT3_P12ihipStream_tbPNSt15iterator_traitsISI_E10value_typeEPNSO_ISJ_E10value_typeEPSK_NS1_7vsmem_tEENKUlT_SI_SJ_SK_E_clISD_PiSD_S10_EESH_SX_SI_SJ_SK_EUlSX_E0_NS1_11comp_targetILNS1_3genE0ELNS1_11target_archE4294967295ELNS1_3gpuE0ELNS1_3repE0EEENS1_38merge_mergepath_config_static_selectorELNS0_4arch9wavefront6targetE0EEEvSJ_.num_vgpr, 0
	.set _ZN7rocprim17ROCPRIM_400000_NS6detail17trampoline_kernelINS0_14default_configENS1_38merge_sort_block_merge_config_selectorIiiEEZZNS1_27merge_sort_block_merge_implIS3_N6thrust23THRUST_200600_302600_NS6detail15normal_iteratorINS8_10device_ptrIiEEEESD_jNS1_19radix_merge_compareILb0ELb0EiNS0_19identity_decomposerEEEEE10hipError_tT0_T1_T2_jT3_P12ihipStream_tbPNSt15iterator_traitsISI_E10value_typeEPNSO_ISJ_E10value_typeEPSK_NS1_7vsmem_tEENKUlT_SI_SJ_SK_E_clISD_PiSD_S10_EESH_SX_SI_SJ_SK_EUlSX_E0_NS1_11comp_targetILNS1_3genE0ELNS1_11target_archE4294967295ELNS1_3gpuE0ELNS1_3repE0EEENS1_38merge_mergepath_config_static_selectorELNS0_4arch9wavefront6targetE0EEEvSJ_.num_agpr, 0
	.set _ZN7rocprim17ROCPRIM_400000_NS6detail17trampoline_kernelINS0_14default_configENS1_38merge_sort_block_merge_config_selectorIiiEEZZNS1_27merge_sort_block_merge_implIS3_N6thrust23THRUST_200600_302600_NS6detail15normal_iteratorINS8_10device_ptrIiEEEESD_jNS1_19radix_merge_compareILb0ELb0EiNS0_19identity_decomposerEEEEE10hipError_tT0_T1_T2_jT3_P12ihipStream_tbPNSt15iterator_traitsISI_E10value_typeEPNSO_ISJ_E10value_typeEPSK_NS1_7vsmem_tEENKUlT_SI_SJ_SK_E_clISD_PiSD_S10_EESH_SX_SI_SJ_SK_EUlSX_E0_NS1_11comp_targetILNS1_3genE0ELNS1_11target_archE4294967295ELNS1_3gpuE0ELNS1_3repE0EEENS1_38merge_mergepath_config_static_selectorELNS0_4arch9wavefront6targetE0EEEvSJ_.numbered_sgpr, 0
	.set _ZN7rocprim17ROCPRIM_400000_NS6detail17trampoline_kernelINS0_14default_configENS1_38merge_sort_block_merge_config_selectorIiiEEZZNS1_27merge_sort_block_merge_implIS3_N6thrust23THRUST_200600_302600_NS6detail15normal_iteratorINS8_10device_ptrIiEEEESD_jNS1_19radix_merge_compareILb0ELb0EiNS0_19identity_decomposerEEEEE10hipError_tT0_T1_T2_jT3_P12ihipStream_tbPNSt15iterator_traitsISI_E10value_typeEPNSO_ISJ_E10value_typeEPSK_NS1_7vsmem_tEENKUlT_SI_SJ_SK_E_clISD_PiSD_S10_EESH_SX_SI_SJ_SK_EUlSX_E0_NS1_11comp_targetILNS1_3genE0ELNS1_11target_archE4294967295ELNS1_3gpuE0ELNS1_3repE0EEENS1_38merge_mergepath_config_static_selectorELNS0_4arch9wavefront6targetE0EEEvSJ_.num_named_barrier, 0
	.set _ZN7rocprim17ROCPRIM_400000_NS6detail17trampoline_kernelINS0_14default_configENS1_38merge_sort_block_merge_config_selectorIiiEEZZNS1_27merge_sort_block_merge_implIS3_N6thrust23THRUST_200600_302600_NS6detail15normal_iteratorINS8_10device_ptrIiEEEESD_jNS1_19radix_merge_compareILb0ELb0EiNS0_19identity_decomposerEEEEE10hipError_tT0_T1_T2_jT3_P12ihipStream_tbPNSt15iterator_traitsISI_E10value_typeEPNSO_ISJ_E10value_typeEPSK_NS1_7vsmem_tEENKUlT_SI_SJ_SK_E_clISD_PiSD_S10_EESH_SX_SI_SJ_SK_EUlSX_E0_NS1_11comp_targetILNS1_3genE0ELNS1_11target_archE4294967295ELNS1_3gpuE0ELNS1_3repE0EEENS1_38merge_mergepath_config_static_selectorELNS0_4arch9wavefront6targetE0EEEvSJ_.private_seg_size, 0
	.set _ZN7rocprim17ROCPRIM_400000_NS6detail17trampoline_kernelINS0_14default_configENS1_38merge_sort_block_merge_config_selectorIiiEEZZNS1_27merge_sort_block_merge_implIS3_N6thrust23THRUST_200600_302600_NS6detail15normal_iteratorINS8_10device_ptrIiEEEESD_jNS1_19radix_merge_compareILb0ELb0EiNS0_19identity_decomposerEEEEE10hipError_tT0_T1_T2_jT3_P12ihipStream_tbPNSt15iterator_traitsISI_E10value_typeEPNSO_ISJ_E10value_typeEPSK_NS1_7vsmem_tEENKUlT_SI_SJ_SK_E_clISD_PiSD_S10_EESH_SX_SI_SJ_SK_EUlSX_E0_NS1_11comp_targetILNS1_3genE0ELNS1_11target_archE4294967295ELNS1_3gpuE0ELNS1_3repE0EEENS1_38merge_mergepath_config_static_selectorELNS0_4arch9wavefront6targetE0EEEvSJ_.uses_vcc, 0
	.set _ZN7rocprim17ROCPRIM_400000_NS6detail17trampoline_kernelINS0_14default_configENS1_38merge_sort_block_merge_config_selectorIiiEEZZNS1_27merge_sort_block_merge_implIS3_N6thrust23THRUST_200600_302600_NS6detail15normal_iteratorINS8_10device_ptrIiEEEESD_jNS1_19radix_merge_compareILb0ELb0EiNS0_19identity_decomposerEEEEE10hipError_tT0_T1_T2_jT3_P12ihipStream_tbPNSt15iterator_traitsISI_E10value_typeEPNSO_ISJ_E10value_typeEPSK_NS1_7vsmem_tEENKUlT_SI_SJ_SK_E_clISD_PiSD_S10_EESH_SX_SI_SJ_SK_EUlSX_E0_NS1_11comp_targetILNS1_3genE0ELNS1_11target_archE4294967295ELNS1_3gpuE0ELNS1_3repE0EEENS1_38merge_mergepath_config_static_selectorELNS0_4arch9wavefront6targetE0EEEvSJ_.uses_flat_scratch, 0
	.set _ZN7rocprim17ROCPRIM_400000_NS6detail17trampoline_kernelINS0_14default_configENS1_38merge_sort_block_merge_config_selectorIiiEEZZNS1_27merge_sort_block_merge_implIS3_N6thrust23THRUST_200600_302600_NS6detail15normal_iteratorINS8_10device_ptrIiEEEESD_jNS1_19radix_merge_compareILb0ELb0EiNS0_19identity_decomposerEEEEE10hipError_tT0_T1_T2_jT3_P12ihipStream_tbPNSt15iterator_traitsISI_E10value_typeEPNSO_ISJ_E10value_typeEPSK_NS1_7vsmem_tEENKUlT_SI_SJ_SK_E_clISD_PiSD_S10_EESH_SX_SI_SJ_SK_EUlSX_E0_NS1_11comp_targetILNS1_3genE0ELNS1_11target_archE4294967295ELNS1_3gpuE0ELNS1_3repE0EEENS1_38merge_mergepath_config_static_selectorELNS0_4arch9wavefront6targetE0EEEvSJ_.has_dyn_sized_stack, 0
	.set _ZN7rocprim17ROCPRIM_400000_NS6detail17trampoline_kernelINS0_14default_configENS1_38merge_sort_block_merge_config_selectorIiiEEZZNS1_27merge_sort_block_merge_implIS3_N6thrust23THRUST_200600_302600_NS6detail15normal_iteratorINS8_10device_ptrIiEEEESD_jNS1_19radix_merge_compareILb0ELb0EiNS0_19identity_decomposerEEEEE10hipError_tT0_T1_T2_jT3_P12ihipStream_tbPNSt15iterator_traitsISI_E10value_typeEPNSO_ISJ_E10value_typeEPSK_NS1_7vsmem_tEENKUlT_SI_SJ_SK_E_clISD_PiSD_S10_EESH_SX_SI_SJ_SK_EUlSX_E0_NS1_11comp_targetILNS1_3genE0ELNS1_11target_archE4294967295ELNS1_3gpuE0ELNS1_3repE0EEENS1_38merge_mergepath_config_static_selectorELNS0_4arch9wavefront6targetE0EEEvSJ_.has_recursion, 0
	.set _ZN7rocprim17ROCPRIM_400000_NS6detail17trampoline_kernelINS0_14default_configENS1_38merge_sort_block_merge_config_selectorIiiEEZZNS1_27merge_sort_block_merge_implIS3_N6thrust23THRUST_200600_302600_NS6detail15normal_iteratorINS8_10device_ptrIiEEEESD_jNS1_19radix_merge_compareILb0ELb0EiNS0_19identity_decomposerEEEEE10hipError_tT0_T1_T2_jT3_P12ihipStream_tbPNSt15iterator_traitsISI_E10value_typeEPNSO_ISJ_E10value_typeEPSK_NS1_7vsmem_tEENKUlT_SI_SJ_SK_E_clISD_PiSD_S10_EESH_SX_SI_SJ_SK_EUlSX_E0_NS1_11comp_targetILNS1_3genE0ELNS1_11target_archE4294967295ELNS1_3gpuE0ELNS1_3repE0EEENS1_38merge_mergepath_config_static_selectorELNS0_4arch9wavefront6targetE0EEEvSJ_.has_indirect_call, 0
	.section	.AMDGPU.csdata,"",@progbits
; Kernel info:
; codeLenInByte = 0
; TotalNumSgprs: 0
; NumVgprs: 0
; ScratchSize: 0
; MemoryBound: 0
; FloatMode: 240
; IeeeMode: 1
; LDSByteSize: 0 bytes/workgroup (compile time only)
; SGPRBlocks: 0
; VGPRBlocks: 0
; NumSGPRsForWavesPerEU: 1
; NumVGPRsForWavesPerEU: 1
; Occupancy: 16
; WaveLimiterHint : 0
; COMPUTE_PGM_RSRC2:SCRATCH_EN: 0
; COMPUTE_PGM_RSRC2:USER_SGPR: 6
; COMPUTE_PGM_RSRC2:TRAP_HANDLER: 0
; COMPUTE_PGM_RSRC2:TGID_X_EN: 1
; COMPUTE_PGM_RSRC2:TGID_Y_EN: 0
; COMPUTE_PGM_RSRC2:TGID_Z_EN: 0
; COMPUTE_PGM_RSRC2:TIDIG_COMP_CNT: 0
	.section	.text._ZN7rocprim17ROCPRIM_400000_NS6detail17trampoline_kernelINS0_14default_configENS1_38merge_sort_block_merge_config_selectorIiiEEZZNS1_27merge_sort_block_merge_implIS3_N6thrust23THRUST_200600_302600_NS6detail15normal_iteratorINS8_10device_ptrIiEEEESD_jNS1_19radix_merge_compareILb0ELb0EiNS0_19identity_decomposerEEEEE10hipError_tT0_T1_T2_jT3_P12ihipStream_tbPNSt15iterator_traitsISI_E10value_typeEPNSO_ISJ_E10value_typeEPSK_NS1_7vsmem_tEENKUlT_SI_SJ_SK_E_clISD_PiSD_S10_EESH_SX_SI_SJ_SK_EUlSX_E0_NS1_11comp_targetILNS1_3genE10ELNS1_11target_archE1201ELNS1_3gpuE5ELNS1_3repE0EEENS1_38merge_mergepath_config_static_selectorELNS0_4arch9wavefront6targetE0EEEvSJ_,"axG",@progbits,_ZN7rocprim17ROCPRIM_400000_NS6detail17trampoline_kernelINS0_14default_configENS1_38merge_sort_block_merge_config_selectorIiiEEZZNS1_27merge_sort_block_merge_implIS3_N6thrust23THRUST_200600_302600_NS6detail15normal_iteratorINS8_10device_ptrIiEEEESD_jNS1_19radix_merge_compareILb0ELb0EiNS0_19identity_decomposerEEEEE10hipError_tT0_T1_T2_jT3_P12ihipStream_tbPNSt15iterator_traitsISI_E10value_typeEPNSO_ISJ_E10value_typeEPSK_NS1_7vsmem_tEENKUlT_SI_SJ_SK_E_clISD_PiSD_S10_EESH_SX_SI_SJ_SK_EUlSX_E0_NS1_11comp_targetILNS1_3genE10ELNS1_11target_archE1201ELNS1_3gpuE5ELNS1_3repE0EEENS1_38merge_mergepath_config_static_selectorELNS0_4arch9wavefront6targetE0EEEvSJ_,comdat
	.protected	_ZN7rocprim17ROCPRIM_400000_NS6detail17trampoline_kernelINS0_14default_configENS1_38merge_sort_block_merge_config_selectorIiiEEZZNS1_27merge_sort_block_merge_implIS3_N6thrust23THRUST_200600_302600_NS6detail15normal_iteratorINS8_10device_ptrIiEEEESD_jNS1_19radix_merge_compareILb0ELb0EiNS0_19identity_decomposerEEEEE10hipError_tT0_T1_T2_jT3_P12ihipStream_tbPNSt15iterator_traitsISI_E10value_typeEPNSO_ISJ_E10value_typeEPSK_NS1_7vsmem_tEENKUlT_SI_SJ_SK_E_clISD_PiSD_S10_EESH_SX_SI_SJ_SK_EUlSX_E0_NS1_11comp_targetILNS1_3genE10ELNS1_11target_archE1201ELNS1_3gpuE5ELNS1_3repE0EEENS1_38merge_mergepath_config_static_selectorELNS0_4arch9wavefront6targetE0EEEvSJ_ ; -- Begin function _ZN7rocprim17ROCPRIM_400000_NS6detail17trampoline_kernelINS0_14default_configENS1_38merge_sort_block_merge_config_selectorIiiEEZZNS1_27merge_sort_block_merge_implIS3_N6thrust23THRUST_200600_302600_NS6detail15normal_iteratorINS8_10device_ptrIiEEEESD_jNS1_19radix_merge_compareILb0ELb0EiNS0_19identity_decomposerEEEEE10hipError_tT0_T1_T2_jT3_P12ihipStream_tbPNSt15iterator_traitsISI_E10value_typeEPNSO_ISJ_E10value_typeEPSK_NS1_7vsmem_tEENKUlT_SI_SJ_SK_E_clISD_PiSD_S10_EESH_SX_SI_SJ_SK_EUlSX_E0_NS1_11comp_targetILNS1_3genE10ELNS1_11target_archE1201ELNS1_3gpuE5ELNS1_3repE0EEENS1_38merge_mergepath_config_static_selectorELNS0_4arch9wavefront6targetE0EEEvSJ_
	.globl	_ZN7rocprim17ROCPRIM_400000_NS6detail17trampoline_kernelINS0_14default_configENS1_38merge_sort_block_merge_config_selectorIiiEEZZNS1_27merge_sort_block_merge_implIS3_N6thrust23THRUST_200600_302600_NS6detail15normal_iteratorINS8_10device_ptrIiEEEESD_jNS1_19radix_merge_compareILb0ELb0EiNS0_19identity_decomposerEEEEE10hipError_tT0_T1_T2_jT3_P12ihipStream_tbPNSt15iterator_traitsISI_E10value_typeEPNSO_ISJ_E10value_typeEPSK_NS1_7vsmem_tEENKUlT_SI_SJ_SK_E_clISD_PiSD_S10_EESH_SX_SI_SJ_SK_EUlSX_E0_NS1_11comp_targetILNS1_3genE10ELNS1_11target_archE1201ELNS1_3gpuE5ELNS1_3repE0EEENS1_38merge_mergepath_config_static_selectorELNS0_4arch9wavefront6targetE0EEEvSJ_
	.p2align	8
	.type	_ZN7rocprim17ROCPRIM_400000_NS6detail17trampoline_kernelINS0_14default_configENS1_38merge_sort_block_merge_config_selectorIiiEEZZNS1_27merge_sort_block_merge_implIS3_N6thrust23THRUST_200600_302600_NS6detail15normal_iteratorINS8_10device_ptrIiEEEESD_jNS1_19radix_merge_compareILb0ELb0EiNS0_19identity_decomposerEEEEE10hipError_tT0_T1_T2_jT3_P12ihipStream_tbPNSt15iterator_traitsISI_E10value_typeEPNSO_ISJ_E10value_typeEPSK_NS1_7vsmem_tEENKUlT_SI_SJ_SK_E_clISD_PiSD_S10_EESH_SX_SI_SJ_SK_EUlSX_E0_NS1_11comp_targetILNS1_3genE10ELNS1_11target_archE1201ELNS1_3gpuE5ELNS1_3repE0EEENS1_38merge_mergepath_config_static_selectorELNS0_4arch9wavefront6targetE0EEEvSJ_,@function
_ZN7rocprim17ROCPRIM_400000_NS6detail17trampoline_kernelINS0_14default_configENS1_38merge_sort_block_merge_config_selectorIiiEEZZNS1_27merge_sort_block_merge_implIS3_N6thrust23THRUST_200600_302600_NS6detail15normal_iteratorINS8_10device_ptrIiEEEESD_jNS1_19radix_merge_compareILb0ELb0EiNS0_19identity_decomposerEEEEE10hipError_tT0_T1_T2_jT3_P12ihipStream_tbPNSt15iterator_traitsISI_E10value_typeEPNSO_ISJ_E10value_typeEPSK_NS1_7vsmem_tEENKUlT_SI_SJ_SK_E_clISD_PiSD_S10_EESH_SX_SI_SJ_SK_EUlSX_E0_NS1_11comp_targetILNS1_3genE10ELNS1_11target_archE1201ELNS1_3gpuE5ELNS1_3repE0EEENS1_38merge_mergepath_config_static_selectorELNS0_4arch9wavefront6targetE0EEEvSJ_: ; @_ZN7rocprim17ROCPRIM_400000_NS6detail17trampoline_kernelINS0_14default_configENS1_38merge_sort_block_merge_config_selectorIiiEEZZNS1_27merge_sort_block_merge_implIS3_N6thrust23THRUST_200600_302600_NS6detail15normal_iteratorINS8_10device_ptrIiEEEESD_jNS1_19radix_merge_compareILb0ELb0EiNS0_19identity_decomposerEEEEE10hipError_tT0_T1_T2_jT3_P12ihipStream_tbPNSt15iterator_traitsISI_E10value_typeEPNSO_ISJ_E10value_typeEPSK_NS1_7vsmem_tEENKUlT_SI_SJ_SK_E_clISD_PiSD_S10_EESH_SX_SI_SJ_SK_EUlSX_E0_NS1_11comp_targetILNS1_3genE10ELNS1_11target_archE1201ELNS1_3gpuE5ELNS1_3repE0EEENS1_38merge_mergepath_config_static_selectorELNS0_4arch9wavefront6targetE0EEEvSJ_
; %bb.0:
	.section	.rodata,"a",@progbits
	.p2align	6, 0x0
	.amdhsa_kernel _ZN7rocprim17ROCPRIM_400000_NS6detail17trampoline_kernelINS0_14default_configENS1_38merge_sort_block_merge_config_selectorIiiEEZZNS1_27merge_sort_block_merge_implIS3_N6thrust23THRUST_200600_302600_NS6detail15normal_iteratorINS8_10device_ptrIiEEEESD_jNS1_19radix_merge_compareILb0ELb0EiNS0_19identity_decomposerEEEEE10hipError_tT0_T1_T2_jT3_P12ihipStream_tbPNSt15iterator_traitsISI_E10value_typeEPNSO_ISJ_E10value_typeEPSK_NS1_7vsmem_tEENKUlT_SI_SJ_SK_E_clISD_PiSD_S10_EESH_SX_SI_SJ_SK_EUlSX_E0_NS1_11comp_targetILNS1_3genE10ELNS1_11target_archE1201ELNS1_3gpuE5ELNS1_3repE0EEENS1_38merge_mergepath_config_static_selectorELNS0_4arch9wavefront6targetE0EEEvSJ_
		.amdhsa_group_segment_fixed_size 0
		.amdhsa_private_segment_fixed_size 0
		.amdhsa_kernarg_size 64
		.amdhsa_user_sgpr_count 6
		.amdhsa_user_sgpr_private_segment_buffer 1
		.amdhsa_user_sgpr_dispatch_ptr 0
		.amdhsa_user_sgpr_queue_ptr 0
		.amdhsa_user_sgpr_kernarg_segment_ptr 1
		.amdhsa_user_sgpr_dispatch_id 0
		.amdhsa_user_sgpr_flat_scratch_init 0
		.amdhsa_user_sgpr_private_segment_size 0
		.amdhsa_wavefront_size32 1
		.amdhsa_uses_dynamic_stack 0
		.amdhsa_system_sgpr_private_segment_wavefront_offset 0
		.amdhsa_system_sgpr_workgroup_id_x 1
		.amdhsa_system_sgpr_workgroup_id_y 0
		.amdhsa_system_sgpr_workgroup_id_z 0
		.amdhsa_system_sgpr_workgroup_info 0
		.amdhsa_system_vgpr_workitem_id 0
		.amdhsa_next_free_vgpr 1
		.amdhsa_next_free_sgpr 1
		.amdhsa_reserve_vcc 0
		.amdhsa_reserve_flat_scratch 0
		.amdhsa_float_round_mode_32 0
		.amdhsa_float_round_mode_16_64 0
		.amdhsa_float_denorm_mode_32 3
		.amdhsa_float_denorm_mode_16_64 3
		.amdhsa_dx10_clamp 1
		.amdhsa_ieee_mode 1
		.amdhsa_fp16_overflow 0
		.amdhsa_workgroup_processor_mode 1
		.amdhsa_memory_ordered 1
		.amdhsa_forward_progress 1
		.amdhsa_shared_vgpr_count 0
		.amdhsa_exception_fp_ieee_invalid_op 0
		.amdhsa_exception_fp_denorm_src 0
		.amdhsa_exception_fp_ieee_div_zero 0
		.amdhsa_exception_fp_ieee_overflow 0
		.amdhsa_exception_fp_ieee_underflow 0
		.amdhsa_exception_fp_ieee_inexact 0
		.amdhsa_exception_int_div_zero 0
	.end_amdhsa_kernel
	.section	.text._ZN7rocprim17ROCPRIM_400000_NS6detail17trampoline_kernelINS0_14default_configENS1_38merge_sort_block_merge_config_selectorIiiEEZZNS1_27merge_sort_block_merge_implIS3_N6thrust23THRUST_200600_302600_NS6detail15normal_iteratorINS8_10device_ptrIiEEEESD_jNS1_19radix_merge_compareILb0ELb0EiNS0_19identity_decomposerEEEEE10hipError_tT0_T1_T2_jT3_P12ihipStream_tbPNSt15iterator_traitsISI_E10value_typeEPNSO_ISJ_E10value_typeEPSK_NS1_7vsmem_tEENKUlT_SI_SJ_SK_E_clISD_PiSD_S10_EESH_SX_SI_SJ_SK_EUlSX_E0_NS1_11comp_targetILNS1_3genE10ELNS1_11target_archE1201ELNS1_3gpuE5ELNS1_3repE0EEENS1_38merge_mergepath_config_static_selectorELNS0_4arch9wavefront6targetE0EEEvSJ_,"axG",@progbits,_ZN7rocprim17ROCPRIM_400000_NS6detail17trampoline_kernelINS0_14default_configENS1_38merge_sort_block_merge_config_selectorIiiEEZZNS1_27merge_sort_block_merge_implIS3_N6thrust23THRUST_200600_302600_NS6detail15normal_iteratorINS8_10device_ptrIiEEEESD_jNS1_19radix_merge_compareILb0ELb0EiNS0_19identity_decomposerEEEEE10hipError_tT0_T1_T2_jT3_P12ihipStream_tbPNSt15iterator_traitsISI_E10value_typeEPNSO_ISJ_E10value_typeEPSK_NS1_7vsmem_tEENKUlT_SI_SJ_SK_E_clISD_PiSD_S10_EESH_SX_SI_SJ_SK_EUlSX_E0_NS1_11comp_targetILNS1_3genE10ELNS1_11target_archE1201ELNS1_3gpuE5ELNS1_3repE0EEENS1_38merge_mergepath_config_static_selectorELNS0_4arch9wavefront6targetE0EEEvSJ_,comdat
.Lfunc_end741:
	.size	_ZN7rocprim17ROCPRIM_400000_NS6detail17trampoline_kernelINS0_14default_configENS1_38merge_sort_block_merge_config_selectorIiiEEZZNS1_27merge_sort_block_merge_implIS3_N6thrust23THRUST_200600_302600_NS6detail15normal_iteratorINS8_10device_ptrIiEEEESD_jNS1_19radix_merge_compareILb0ELb0EiNS0_19identity_decomposerEEEEE10hipError_tT0_T1_T2_jT3_P12ihipStream_tbPNSt15iterator_traitsISI_E10value_typeEPNSO_ISJ_E10value_typeEPSK_NS1_7vsmem_tEENKUlT_SI_SJ_SK_E_clISD_PiSD_S10_EESH_SX_SI_SJ_SK_EUlSX_E0_NS1_11comp_targetILNS1_3genE10ELNS1_11target_archE1201ELNS1_3gpuE5ELNS1_3repE0EEENS1_38merge_mergepath_config_static_selectorELNS0_4arch9wavefront6targetE0EEEvSJ_, .Lfunc_end741-_ZN7rocprim17ROCPRIM_400000_NS6detail17trampoline_kernelINS0_14default_configENS1_38merge_sort_block_merge_config_selectorIiiEEZZNS1_27merge_sort_block_merge_implIS3_N6thrust23THRUST_200600_302600_NS6detail15normal_iteratorINS8_10device_ptrIiEEEESD_jNS1_19radix_merge_compareILb0ELb0EiNS0_19identity_decomposerEEEEE10hipError_tT0_T1_T2_jT3_P12ihipStream_tbPNSt15iterator_traitsISI_E10value_typeEPNSO_ISJ_E10value_typeEPSK_NS1_7vsmem_tEENKUlT_SI_SJ_SK_E_clISD_PiSD_S10_EESH_SX_SI_SJ_SK_EUlSX_E0_NS1_11comp_targetILNS1_3genE10ELNS1_11target_archE1201ELNS1_3gpuE5ELNS1_3repE0EEENS1_38merge_mergepath_config_static_selectorELNS0_4arch9wavefront6targetE0EEEvSJ_
                                        ; -- End function
	.set _ZN7rocprim17ROCPRIM_400000_NS6detail17trampoline_kernelINS0_14default_configENS1_38merge_sort_block_merge_config_selectorIiiEEZZNS1_27merge_sort_block_merge_implIS3_N6thrust23THRUST_200600_302600_NS6detail15normal_iteratorINS8_10device_ptrIiEEEESD_jNS1_19radix_merge_compareILb0ELb0EiNS0_19identity_decomposerEEEEE10hipError_tT0_T1_T2_jT3_P12ihipStream_tbPNSt15iterator_traitsISI_E10value_typeEPNSO_ISJ_E10value_typeEPSK_NS1_7vsmem_tEENKUlT_SI_SJ_SK_E_clISD_PiSD_S10_EESH_SX_SI_SJ_SK_EUlSX_E0_NS1_11comp_targetILNS1_3genE10ELNS1_11target_archE1201ELNS1_3gpuE5ELNS1_3repE0EEENS1_38merge_mergepath_config_static_selectorELNS0_4arch9wavefront6targetE0EEEvSJ_.num_vgpr, 0
	.set _ZN7rocprim17ROCPRIM_400000_NS6detail17trampoline_kernelINS0_14default_configENS1_38merge_sort_block_merge_config_selectorIiiEEZZNS1_27merge_sort_block_merge_implIS3_N6thrust23THRUST_200600_302600_NS6detail15normal_iteratorINS8_10device_ptrIiEEEESD_jNS1_19radix_merge_compareILb0ELb0EiNS0_19identity_decomposerEEEEE10hipError_tT0_T1_T2_jT3_P12ihipStream_tbPNSt15iterator_traitsISI_E10value_typeEPNSO_ISJ_E10value_typeEPSK_NS1_7vsmem_tEENKUlT_SI_SJ_SK_E_clISD_PiSD_S10_EESH_SX_SI_SJ_SK_EUlSX_E0_NS1_11comp_targetILNS1_3genE10ELNS1_11target_archE1201ELNS1_3gpuE5ELNS1_3repE0EEENS1_38merge_mergepath_config_static_selectorELNS0_4arch9wavefront6targetE0EEEvSJ_.num_agpr, 0
	.set _ZN7rocprim17ROCPRIM_400000_NS6detail17trampoline_kernelINS0_14default_configENS1_38merge_sort_block_merge_config_selectorIiiEEZZNS1_27merge_sort_block_merge_implIS3_N6thrust23THRUST_200600_302600_NS6detail15normal_iteratorINS8_10device_ptrIiEEEESD_jNS1_19radix_merge_compareILb0ELb0EiNS0_19identity_decomposerEEEEE10hipError_tT0_T1_T2_jT3_P12ihipStream_tbPNSt15iterator_traitsISI_E10value_typeEPNSO_ISJ_E10value_typeEPSK_NS1_7vsmem_tEENKUlT_SI_SJ_SK_E_clISD_PiSD_S10_EESH_SX_SI_SJ_SK_EUlSX_E0_NS1_11comp_targetILNS1_3genE10ELNS1_11target_archE1201ELNS1_3gpuE5ELNS1_3repE0EEENS1_38merge_mergepath_config_static_selectorELNS0_4arch9wavefront6targetE0EEEvSJ_.numbered_sgpr, 0
	.set _ZN7rocprim17ROCPRIM_400000_NS6detail17trampoline_kernelINS0_14default_configENS1_38merge_sort_block_merge_config_selectorIiiEEZZNS1_27merge_sort_block_merge_implIS3_N6thrust23THRUST_200600_302600_NS6detail15normal_iteratorINS8_10device_ptrIiEEEESD_jNS1_19radix_merge_compareILb0ELb0EiNS0_19identity_decomposerEEEEE10hipError_tT0_T1_T2_jT3_P12ihipStream_tbPNSt15iterator_traitsISI_E10value_typeEPNSO_ISJ_E10value_typeEPSK_NS1_7vsmem_tEENKUlT_SI_SJ_SK_E_clISD_PiSD_S10_EESH_SX_SI_SJ_SK_EUlSX_E0_NS1_11comp_targetILNS1_3genE10ELNS1_11target_archE1201ELNS1_3gpuE5ELNS1_3repE0EEENS1_38merge_mergepath_config_static_selectorELNS0_4arch9wavefront6targetE0EEEvSJ_.num_named_barrier, 0
	.set _ZN7rocprim17ROCPRIM_400000_NS6detail17trampoline_kernelINS0_14default_configENS1_38merge_sort_block_merge_config_selectorIiiEEZZNS1_27merge_sort_block_merge_implIS3_N6thrust23THRUST_200600_302600_NS6detail15normal_iteratorINS8_10device_ptrIiEEEESD_jNS1_19radix_merge_compareILb0ELb0EiNS0_19identity_decomposerEEEEE10hipError_tT0_T1_T2_jT3_P12ihipStream_tbPNSt15iterator_traitsISI_E10value_typeEPNSO_ISJ_E10value_typeEPSK_NS1_7vsmem_tEENKUlT_SI_SJ_SK_E_clISD_PiSD_S10_EESH_SX_SI_SJ_SK_EUlSX_E0_NS1_11comp_targetILNS1_3genE10ELNS1_11target_archE1201ELNS1_3gpuE5ELNS1_3repE0EEENS1_38merge_mergepath_config_static_selectorELNS0_4arch9wavefront6targetE0EEEvSJ_.private_seg_size, 0
	.set _ZN7rocprim17ROCPRIM_400000_NS6detail17trampoline_kernelINS0_14default_configENS1_38merge_sort_block_merge_config_selectorIiiEEZZNS1_27merge_sort_block_merge_implIS3_N6thrust23THRUST_200600_302600_NS6detail15normal_iteratorINS8_10device_ptrIiEEEESD_jNS1_19radix_merge_compareILb0ELb0EiNS0_19identity_decomposerEEEEE10hipError_tT0_T1_T2_jT3_P12ihipStream_tbPNSt15iterator_traitsISI_E10value_typeEPNSO_ISJ_E10value_typeEPSK_NS1_7vsmem_tEENKUlT_SI_SJ_SK_E_clISD_PiSD_S10_EESH_SX_SI_SJ_SK_EUlSX_E0_NS1_11comp_targetILNS1_3genE10ELNS1_11target_archE1201ELNS1_3gpuE5ELNS1_3repE0EEENS1_38merge_mergepath_config_static_selectorELNS0_4arch9wavefront6targetE0EEEvSJ_.uses_vcc, 0
	.set _ZN7rocprim17ROCPRIM_400000_NS6detail17trampoline_kernelINS0_14default_configENS1_38merge_sort_block_merge_config_selectorIiiEEZZNS1_27merge_sort_block_merge_implIS3_N6thrust23THRUST_200600_302600_NS6detail15normal_iteratorINS8_10device_ptrIiEEEESD_jNS1_19radix_merge_compareILb0ELb0EiNS0_19identity_decomposerEEEEE10hipError_tT0_T1_T2_jT3_P12ihipStream_tbPNSt15iterator_traitsISI_E10value_typeEPNSO_ISJ_E10value_typeEPSK_NS1_7vsmem_tEENKUlT_SI_SJ_SK_E_clISD_PiSD_S10_EESH_SX_SI_SJ_SK_EUlSX_E0_NS1_11comp_targetILNS1_3genE10ELNS1_11target_archE1201ELNS1_3gpuE5ELNS1_3repE0EEENS1_38merge_mergepath_config_static_selectorELNS0_4arch9wavefront6targetE0EEEvSJ_.uses_flat_scratch, 0
	.set _ZN7rocprim17ROCPRIM_400000_NS6detail17trampoline_kernelINS0_14default_configENS1_38merge_sort_block_merge_config_selectorIiiEEZZNS1_27merge_sort_block_merge_implIS3_N6thrust23THRUST_200600_302600_NS6detail15normal_iteratorINS8_10device_ptrIiEEEESD_jNS1_19radix_merge_compareILb0ELb0EiNS0_19identity_decomposerEEEEE10hipError_tT0_T1_T2_jT3_P12ihipStream_tbPNSt15iterator_traitsISI_E10value_typeEPNSO_ISJ_E10value_typeEPSK_NS1_7vsmem_tEENKUlT_SI_SJ_SK_E_clISD_PiSD_S10_EESH_SX_SI_SJ_SK_EUlSX_E0_NS1_11comp_targetILNS1_3genE10ELNS1_11target_archE1201ELNS1_3gpuE5ELNS1_3repE0EEENS1_38merge_mergepath_config_static_selectorELNS0_4arch9wavefront6targetE0EEEvSJ_.has_dyn_sized_stack, 0
	.set _ZN7rocprim17ROCPRIM_400000_NS6detail17trampoline_kernelINS0_14default_configENS1_38merge_sort_block_merge_config_selectorIiiEEZZNS1_27merge_sort_block_merge_implIS3_N6thrust23THRUST_200600_302600_NS6detail15normal_iteratorINS8_10device_ptrIiEEEESD_jNS1_19radix_merge_compareILb0ELb0EiNS0_19identity_decomposerEEEEE10hipError_tT0_T1_T2_jT3_P12ihipStream_tbPNSt15iterator_traitsISI_E10value_typeEPNSO_ISJ_E10value_typeEPSK_NS1_7vsmem_tEENKUlT_SI_SJ_SK_E_clISD_PiSD_S10_EESH_SX_SI_SJ_SK_EUlSX_E0_NS1_11comp_targetILNS1_3genE10ELNS1_11target_archE1201ELNS1_3gpuE5ELNS1_3repE0EEENS1_38merge_mergepath_config_static_selectorELNS0_4arch9wavefront6targetE0EEEvSJ_.has_recursion, 0
	.set _ZN7rocprim17ROCPRIM_400000_NS6detail17trampoline_kernelINS0_14default_configENS1_38merge_sort_block_merge_config_selectorIiiEEZZNS1_27merge_sort_block_merge_implIS3_N6thrust23THRUST_200600_302600_NS6detail15normal_iteratorINS8_10device_ptrIiEEEESD_jNS1_19radix_merge_compareILb0ELb0EiNS0_19identity_decomposerEEEEE10hipError_tT0_T1_T2_jT3_P12ihipStream_tbPNSt15iterator_traitsISI_E10value_typeEPNSO_ISJ_E10value_typeEPSK_NS1_7vsmem_tEENKUlT_SI_SJ_SK_E_clISD_PiSD_S10_EESH_SX_SI_SJ_SK_EUlSX_E0_NS1_11comp_targetILNS1_3genE10ELNS1_11target_archE1201ELNS1_3gpuE5ELNS1_3repE0EEENS1_38merge_mergepath_config_static_selectorELNS0_4arch9wavefront6targetE0EEEvSJ_.has_indirect_call, 0
	.section	.AMDGPU.csdata,"",@progbits
; Kernel info:
; codeLenInByte = 0
; TotalNumSgprs: 0
; NumVgprs: 0
; ScratchSize: 0
; MemoryBound: 0
; FloatMode: 240
; IeeeMode: 1
; LDSByteSize: 0 bytes/workgroup (compile time only)
; SGPRBlocks: 0
; VGPRBlocks: 0
; NumSGPRsForWavesPerEU: 1
; NumVGPRsForWavesPerEU: 1
; Occupancy: 16
; WaveLimiterHint : 0
; COMPUTE_PGM_RSRC2:SCRATCH_EN: 0
; COMPUTE_PGM_RSRC2:USER_SGPR: 6
; COMPUTE_PGM_RSRC2:TRAP_HANDLER: 0
; COMPUTE_PGM_RSRC2:TGID_X_EN: 1
; COMPUTE_PGM_RSRC2:TGID_Y_EN: 0
; COMPUTE_PGM_RSRC2:TGID_Z_EN: 0
; COMPUTE_PGM_RSRC2:TIDIG_COMP_CNT: 0
	.section	.text._ZN7rocprim17ROCPRIM_400000_NS6detail17trampoline_kernelINS0_14default_configENS1_38merge_sort_block_merge_config_selectorIiiEEZZNS1_27merge_sort_block_merge_implIS3_N6thrust23THRUST_200600_302600_NS6detail15normal_iteratorINS8_10device_ptrIiEEEESD_jNS1_19radix_merge_compareILb0ELb0EiNS0_19identity_decomposerEEEEE10hipError_tT0_T1_T2_jT3_P12ihipStream_tbPNSt15iterator_traitsISI_E10value_typeEPNSO_ISJ_E10value_typeEPSK_NS1_7vsmem_tEENKUlT_SI_SJ_SK_E_clISD_PiSD_S10_EESH_SX_SI_SJ_SK_EUlSX_E0_NS1_11comp_targetILNS1_3genE5ELNS1_11target_archE942ELNS1_3gpuE9ELNS1_3repE0EEENS1_38merge_mergepath_config_static_selectorELNS0_4arch9wavefront6targetE0EEEvSJ_,"axG",@progbits,_ZN7rocprim17ROCPRIM_400000_NS6detail17trampoline_kernelINS0_14default_configENS1_38merge_sort_block_merge_config_selectorIiiEEZZNS1_27merge_sort_block_merge_implIS3_N6thrust23THRUST_200600_302600_NS6detail15normal_iteratorINS8_10device_ptrIiEEEESD_jNS1_19radix_merge_compareILb0ELb0EiNS0_19identity_decomposerEEEEE10hipError_tT0_T1_T2_jT3_P12ihipStream_tbPNSt15iterator_traitsISI_E10value_typeEPNSO_ISJ_E10value_typeEPSK_NS1_7vsmem_tEENKUlT_SI_SJ_SK_E_clISD_PiSD_S10_EESH_SX_SI_SJ_SK_EUlSX_E0_NS1_11comp_targetILNS1_3genE5ELNS1_11target_archE942ELNS1_3gpuE9ELNS1_3repE0EEENS1_38merge_mergepath_config_static_selectorELNS0_4arch9wavefront6targetE0EEEvSJ_,comdat
	.protected	_ZN7rocprim17ROCPRIM_400000_NS6detail17trampoline_kernelINS0_14default_configENS1_38merge_sort_block_merge_config_selectorIiiEEZZNS1_27merge_sort_block_merge_implIS3_N6thrust23THRUST_200600_302600_NS6detail15normal_iteratorINS8_10device_ptrIiEEEESD_jNS1_19radix_merge_compareILb0ELb0EiNS0_19identity_decomposerEEEEE10hipError_tT0_T1_T2_jT3_P12ihipStream_tbPNSt15iterator_traitsISI_E10value_typeEPNSO_ISJ_E10value_typeEPSK_NS1_7vsmem_tEENKUlT_SI_SJ_SK_E_clISD_PiSD_S10_EESH_SX_SI_SJ_SK_EUlSX_E0_NS1_11comp_targetILNS1_3genE5ELNS1_11target_archE942ELNS1_3gpuE9ELNS1_3repE0EEENS1_38merge_mergepath_config_static_selectorELNS0_4arch9wavefront6targetE0EEEvSJ_ ; -- Begin function _ZN7rocprim17ROCPRIM_400000_NS6detail17trampoline_kernelINS0_14default_configENS1_38merge_sort_block_merge_config_selectorIiiEEZZNS1_27merge_sort_block_merge_implIS3_N6thrust23THRUST_200600_302600_NS6detail15normal_iteratorINS8_10device_ptrIiEEEESD_jNS1_19radix_merge_compareILb0ELb0EiNS0_19identity_decomposerEEEEE10hipError_tT0_T1_T2_jT3_P12ihipStream_tbPNSt15iterator_traitsISI_E10value_typeEPNSO_ISJ_E10value_typeEPSK_NS1_7vsmem_tEENKUlT_SI_SJ_SK_E_clISD_PiSD_S10_EESH_SX_SI_SJ_SK_EUlSX_E0_NS1_11comp_targetILNS1_3genE5ELNS1_11target_archE942ELNS1_3gpuE9ELNS1_3repE0EEENS1_38merge_mergepath_config_static_selectorELNS0_4arch9wavefront6targetE0EEEvSJ_
	.globl	_ZN7rocprim17ROCPRIM_400000_NS6detail17trampoline_kernelINS0_14default_configENS1_38merge_sort_block_merge_config_selectorIiiEEZZNS1_27merge_sort_block_merge_implIS3_N6thrust23THRUST_200600_302600_NS6detail15normal_iteratorINS8_10device_ptrIiEEEESD_jNS1_19radix_merge_compareILb0ELb0EiNS0_19identity_decomposerEEEEE10hipError_tT0_T1_T2_jT3_P12ihipStream_tbPNSt15iterator_traitsISI_E10value_typeEPNSO_ISJ_E10value_typeEPSK_NS1_7vsmem_tEENKUlT_SI_SJ_SK_E_clISD_PiSD_S10_EESH_SX_SI_SJ_SK_EUlSX_E0_NS1_11comp_targetILNS1_3genE5ELNS1_11target_archE942ELNS1_3gpuE9ELNS1_3repE0EEENS1_38merge_mergepath_config_static_selectorELNS0_4arch9wavefront6targetE0EEEvSJ_
	.p2align	8
	.type	_ZN7rocprim17ROCPRIM_400000_NS6detail17trampoline_kernelINS0_14default_configENS1_38merge_sort_block_merge_config_selectorIiiEEZZNS1_27merge_sort_block_merge_implIS3_N6thrust23THRUST_200600_302600_NS6detail15normal_iteratorINS8_10device_ptrIiEEEESD_jNS1_19radix_merge_compareILb0ELb0EiNS0_19identity_decomposerEEEEE10hipError_tT0_T1_T2_jT3_P12ihipStream_tbPNSt15iterator_traitsISI_E10value_typeEPNSO_ISJ_E10value_typeEPSK_NS1_7vsmem_tEENKUlT_SI_SJ_SK_E_clISD_PiSD_S10_EESH_SX_SI_SJ_SK_EUlSX_E0_NS1_11comp_targetILNS1_3genE5ELNS1_11target_archE942ELNS1_3gpuE9ELNS1_3repE0EEENS1_38merge_mergepath_config_static_selectorELNS0_4arch9wavefront6targetE0EEEvSJ_,@function
_ZN7rocprim17ROCPRIM_400000_NS6detail17trampoline_kernelINS0_14default_configENS1_38merge_sort_block_merge_config_selectorIiiEEZZNS1_27merge_sort_block_merge_implIS3_N6thrust23THRUST_200600_302600_NS6detail15normal_iteratorINS8_10device_ptrIiEEEESD_jNS1_19radix_merge_compareILb0ELb0EiNS0_19identity_decomposerEEEEE10hipError_tT0_T1_T2_jT3_P12ihipStream_tbPNSt15iterator_traitsISI_E10value_typeEPNSO_ISJ_E10value_typeEPSK_NS1_7vsmem_tEENKUlT_SI_SJ_SK_E_clISD_PiSD_S10_EESH_SX_SI_SJ_SK_EUlSX_E0_NS1_11comp_targetILNS1_3genE5ELNS1_11target_archE942ELNS1_3gpuE9ELNS1_3repE0EEENS1_38merge_mergepath_config_static_selectorELNS0_4arch9wavefront6targetE0EEEvSJ_: ; @_ZN7rocprim17ROCPRIM_400000_NS6detail17trampoline_kernelINS0_14default_configENS1_38merge_sort_block_merge_config_selectorIiiEEZZNS1_27merge_sort_block_merge_implIS3_N6thrust23THRUST_200600_302600_NS6detail15normal_iteratorINS8_10device_ptrIiEEEESD_jNS1_19radix_merge_compareILb0ELb0EiNS0_19identity_decomposerEEEEE10hipError_tT0_T1_T2_jT3_P12ihipStream_tbPNSt15iterator_traitsISI_E10value_typeEPNSO_ISJ_E10value_typeEPSK_NS1_7vsmem_tEENKUlT_SI_SJ_SK_E_clISD_PiSD_S10_EESH_SX_SI_SJ_SK_EUlSX_E0_NS1_11comp_targetILNS1_3genE5ELNS1_11target_archE942ELNS1_3gpuE9ELNS1_3repE0EEENS1_38merge_mergepath_config_static_selectorELNS0_4arch9wavefront6targetE0EEEvSJ_
; %bb.0:
	.section	.rodata,"a",@progbits
	.p2align	6, 0x0
	.amdhsa_kernel _ZN7rocprim17ROCPRIM_400000_NS6detail17trampoline_kernelINS0_14default_configENS1_38merge_sort_block_merge_config_selectorIiiEEZZNS1_27merge_sort_block_merge_implIS3_N6thrust23THRUST_200600_302600_NS6detail15normal_iteratorINS8_10device_ptrIiEEEESD_jNS1_19radix_merge_compareILb0ELb0EiNS0_19identity_decomposerEEEEE10hipError_tT0_T1_T2_jT3_P12ihipStream_tbPNSt15iterator_traitsISI_E10value_typeEPNSO_ISJ_E10value_typeEPSK_NS1_7vsmem_tEENKUlT_SI_SJ_SK_E_clISD_PiSD_S10_EESH_SX_SI_SJ_SK_EUlSX_E0_NS1_11comp_targetILNS1_3genE5ELNS1_11target_archE942ELNS1_3gpuE9ELNS1_3repE0EEENS1_38merge_mergepath_config_static_selectorELNS0_4arch9wavefront6targetE0EEEvSJ_
		.amdhsa_group_segment_fixed_size 0
		.amdhsa_private_segment_fixed_size 0
		.amdhsa_kernarg_size 64
		.amdhsa_user_sgpr_count 6
		.amdhsa_user_sgpr_private_segment_buffer 1
		.amdhsa_user_sgpr_dispatch_ptr 0
		.amdhsa_user_sgpr_queue_ptr 0
		.amdhsa_user_sgpr_kernarg_segment_ptr 1
		.amdhsa_user_sgpr_dispatch_id 0
		.amdhsa_user_sgpr_flat_scratch_init 0
		.amdhsa_user_sgpr_private_segment_size 0
		.amdhsa_wavefront_size32 1
		.amdhsa_uses_dynamic_stack 0
		.amdhsa_system_sgpr_private_segment_wavefront_offset 0
		.amdhsa_system_sgpr_workgroup_id_x 1
		.amdhsa_system_sgpr_workgroup_id_y 0
		.amdhsa_system_sgpr_workgroup_id_z 0
		.amdhsa_system_sgpr_workgroup_info 0
		.amdhsa_system_vgpr_workitem_id 0
		.amdhsa_next_free_vgpr 1
		.amdhsa_next_free_sgpr 1
		.amdhsa_reserve_vcc 0
		.amdhsa_reserve_flat_scratch 0
		.amdhsa_float_round_mode_32 0
		.amdhsa_float_round_mode_16_64 0
		.amdhsa_float_denorm_mode_32 3
		.amdhsa_float_denorm_mode_16_64 3
		.amdhsa_dx10_clamp 1
		.amdhsa_ieee_mode 1
		.amdhsa_fp16_overflow 0
		.amdhsa_workgroup_processor_mode 1
		.amdhsa_memory_ordered 1
		.amdhsa_forward_progress 1
		.amdhsa_shared_vgpr_count 0
		.amdhsa_exception_fp_ieee_invalid_op 0
		.amdhsa_exception_fp_denorm_src 0
		.amdhsa_exception_fp_ieee_div_zero 0
		.amdhsa_exception_fp_ieee_overflow 0
		.amdhsa_exception_fp_ieee_underflow 0
		.amdhsa_exception_fp_ieee_inexact 0
		.amdhsa_exception_int_div_zero 0
	.end_amdhsa_kernel
	.section	.text._ZN7rocprim17ROCPRIM_400000_NS6detail17trampoline_kernelINS0_14default_configENS1_38merge_sort_block_merge_config_selectorIiiEEZZNS1_27merge_sort_block_merge_implIS3_N6thrust23THRUST_200600_302600_NS6detail15normal_iteratorINS8_10device_ptrIiEEEESD_jNS1_19radix_merge_compareILb0ELb0EiNS0_19identity_decomposerEEEEE10hipError_tT0_T1_T2_jT3_P12ihipStream_tbPNSt15iterator_traitsISI_E10value_typeEPNSO_ISJ_E10value_typeEPSK_NS1_7vsmem_tEENKUlT_SI_SJ_SK_E_clISD_PiSD_S10_EESH_SX_SI_SJ_SK_EUlSX_E0_NS1_11comp_targetILNS1_3genE5ELNS1_11target_archE942ELNS1_3gpuE9ELNS1_3repE0EEENS1_38merge_mergepath_config_static_selectorELNS0_4arch9wavefront6targetE0EEEvSJ_,"axG",@progbits,_ZN7rocprim17ROCPRIM_400000_NS6detail17trampoline_kernelINS0_14default_configENS1_38merge_sort_block_merge_config_selectorIiiEEZZNS1_27merge_sort_block_merge_implIS3_N6thrust23THRUST_200600_302600_NS6detail15normal_iteratorINS8_10device_ptrIiEEEESD_jNS1_19radix_merge_compareILb0ELb0EiNS0_19identity_decomposerEEEEE10hipError_tT0_T1_T2_jT3_P12ihipStream_tbPNSt15iterator_traitsISI_E10value_typeEPNSO_ISJ_E10value_typeEPSK_NS1_7vsmem_tEENKUlT_SI_SJ_SK_E_clISD_PiSD_S10_EESH_SX_SI_SJ_SK_EUlSX_E0_NS1_11comp_targetILNS1_3genE5ELNS1_11target_archE942ELNS1_3gpuE9ELNS1_3repE0EEENS1_38merge_mergepath_config_static_selectorELNS0_4arch9wavefront6targetE0EEEvSJ_,comdat
.Lfunc_end742:
	.size	_ZN7rocprim17ROCPRIM_400000_NS6detail17trampoline_kernelINS0_14default_configENS1_38merge_sort_block_merge_config_selectorIiiEEZZNS1_27merge_sort_block_merge_implIS3_N6thrust23THRUST_200600_302600_NS6detail15normal_iteratorINS8_10device_ptrIiEEEESD_jNS1_19radix_merge_compareILb0ELb0EiNS0_19identity_decomposerEEEEE10hipError_tT0_T1_T2_jT3_P12ihipStream_tbPNSt15iterator_traitsISI_E10value_typeEPNSO_ISJ_E10value_typeEPSK_NS1_7vsmem_tEENKUlT_SI_SJ_SK_E_clISD_PiSD_S10_EESH_SX_SI_SJ_SK_EUlSX_E0_NS1_11comp_targetILNS1_3genE5ELNS1_11target_archE942ELNS1_3gpuE9ELNS1_3repE0EEENS1_38merge_mergepath_config_static_selectorELNS0_4arch9wavefront6targetE0EEEvSJ_, .Lfunc_end742-_ZN7rocprim17ROCPRIM_400000_NS6detail17trampoline_kernelINS0_14default_configENS1_38merge_sort_block_merge_config_selectorIiiEEZZNS1_27merge_sort_block_merge_implIS3_N6thrust23THRUST_200600_302600_NS6detail15normal_iteratorINS8_10device_ptrIiEEEESD_jNS1_19radix_merge_compareILb0ELb0EiNS0_19identity_decomposerEEEEE10hipError_tT0_T1_T2_jT3_P12ihipStream_tbPNSt15iterator_traitsISI_E10value_typeEPNSO_ISJ_E10value_typeEPSK_NS1_7vsmem_tEENKUlT_SI_SJ_SK_E_clISD_PiSD_S10_EESH_SX_SI_SJ_SK_EUlSX_E0_NS1_11comp_targetILNS1_3genE5ELNS1_11target_archE942ELNS1_3gpuE9ELNS1_3repE0EEENS1_38merge_mergepath_config_static_selectorELNS0_4arch9wavefront6targetE0EEEvSJ_
                                        ; -- End function
	.set _ZN7rocprim17ROCPRIM_400000_NS6detail17trampoline_kernelINS0_14default_configENS1_38merge_sort_block_merge_config_selectorIiiEEZZNS1_27merge_sort_block_merge_implIS3_N6thrust23THRUST_200600_302600_NS6detail15normal_iteratorINS8_10device_ptrIiEEEESD_jNS1_19radix_merge_compareILb0ELb0EiNS0_19identity_decomposerEEEEE10hipError_tT0_T1_T2_jT3_P12ihipStream_tbPNSt15iterator_traitsISI_E10value_typeEPNSO_ISJ_E10value_typeEPSK_NS1_7vsmem_tEENKUlT_SI_SJ_SK_E_clISD_PiSD_S10_EESH_SX_SI_SJ_SK_EUlSX_E0_NS1_11comp_targetILNS1_3genE5ELNS1_11target_archE942ELNS1_3gpuE9ELNS1_3repE0EEENS1_38merge_mergepath_config_static_selectorELNS0_4arch9wavefront6targetE0EEEvSJ_.num_vgpr, 0
	.set _ZN7rocprim17ROCPRIM_400000_NS6detail17trampoline_kernelINS0_14default_configENS1_38merge_sort_block_merge_config_selectorIiiEEZZNS1_27merge_sort_block_merge_implIS3_N6thrust23THRUST_200600_302600_NS6detail15normal_iteratorINS8_10device_ptrIiEEEESD_jNS1_19radix_merge_compareILb0ELb0EiNS0_19identity_decomposerEEEEE10hipError_tT0_T1_T2_jT3_P12ihipStream_tbPNSt15iterator_traitsISI_E10value_typeEPNSO_ISJ_E10value_typeEPSK_NS1_7vsmem_tEENKUlT_SI_SJ_SK_E_clISD_PiSD_S10_EESH_SX_SI_SJ_SK_EUlSX_E0_NS1_11comp_targetILNS1_3genE5ELNS1_11target_archE942ELNS1_3gpuE9ELNS1_3repE0EEENS1_38merge_mergepath_config_static_selectorELNS0_4arch9wavefront6targetE0EEEvSJ_.num_agpr, 0
	.set _ZN7rocprim17ROCPRIM_400000_NS6detail17trampoline_kernelINS0_14default_configENS1_38merge_sort_block_merge_config_selectorIiiEEZZNS1_27merge_sort_block_merge_implIS3_N6thrust23THRUST_200600_302600_NS6detail15normal_iteratorINS8_10device_ptrIiEEEESD_jNS1_19radix_merge_compareILb0ELb0EiNS0_19identity_decomposerEEEEE10hipError_tT0_T1_T2_jT3_P12ihipStream_tbPNSt15iterator_traitsISI_E10value_typeEPNSO_ISJ_E10value_typeEPSK_NS1_7vsmem_tEENKUlT_SI_SJ_SK_E_clISD_PiSD_S10_EESH_SX_SI_SJ_SK_EUlSX_E0_NS1_11comp_targetILNS1_3genE5ELNS1_11target_archE942ELNS1_3gpuE9ELNS1_3repE0EEENS1_38merge_mergepath_config_static_selectorELNS0_4arch9wavefront6targetE0EEEvSJ_.numbered_sgpr, 0
	.set _ZN7rocprim17ROCPRIM_400000_NS6detail17trampoline_kernelINS0_14default_configENS1_38merge_sort_block_merge_config_selectorIiiEEZZNS1_27merge_sort_block_merge_implIS3_N6thrust23THRUST_200600_302600_NS6detail15normal_iteratorINS8_10device_ptrIiEEEESD_jNS1_19radix_merge_compareILb0ELb0EiNS0_19identity_decomposerEEEEE10hipError_tT0_T1_T2_jT3_P12ihipStream_tbPNSt15iterator_traitsISI_E10value_typeEPNSO_ISJ_E10value_typeEPSK_NS1_7vsmem_tEENKUlT_SI_SJ_SK_E_clISD_PiSD_S10_EESH_SX_SI_SJ_SK_EUlSX_E0_NS1_11comp_targetILNS1_3genE5ELNS1_11target_archE942ELNS1_3gpuE9ELNS1_3repE0EEENS1_38merge_mergepath_config_static_selectorELNS0_4arch9wavefront6targetE0EEEvSJ_.num_named_barrier, 0
	.set _ZN7rocprim17ROCPRIM_400000_NS6detail17trampoline_kernelINS0_14default_configENS1_38merge_sort_block_merge_config_selectorIiiEEZZNS1_27merge_sort_block_merge_implIS3_N6thrust23THRUST_200600_302600_NS6detail15normal_iteratorINS8_10device_ptrIiEEEESD_jNS1_19radix_merge_compareILb0ELb0EiNS0_19identity_decomposerEEEEE10hipError_tT0_T1_T2_jT3_P12ihipStream_tbPNSt15iterator_traitsISI_E10value_typeEPNSO_ISJ_E10value_typeEPSK_NS1_7vsmem_tEENKUlT_SI_SJ_SK_E_clISD_PiSD_S10_EESH_SX_SI_SJ_SK_EUlSX_E0_NS1_11comp_targetILNS1_3genE5ELNS1_11target_archE942ELNS1_3gpuE9ELNS1_3repE0EEENS1_38merge_mergepath_config_static_selectorELNS0_4arch9wavefront6targetE0EEEvSJ_.private_seg_size, 0
	.set _ZN7rocprim17ROCPRIM_400000_NS6detail17trampoline_kernelINS0_14default_configENS1_38merge_sort_block_merge_config_selectorIiiEEZZNS1_27merge_sort_block_merge_implIS3_N6thrust23THRUST_200600_302600_NS6detail15normal_iteratorINS8_10device_ptrIiEEEESD_jNS1_19radix_merge_compareILb0ELb0EiNS0_19identity_decomposerEEEEE10hipError_tT0_T1_T2_jT3_P12ihipStream_tbPNSt15iterator_traitsISI_E10value_typeEPNSO_ISJ_E10value_typeEPSK_NS1_7vsmem_tEENKUlT_SI_SJ_SK_E_clISD_PiSD_S10_EESH_SX_SI_SJ_SK_EUlSX_E0_NS1_11comp_targetILNS1_3genE5ELNS1_11target_archE942ELNS1_3gpuE9ELNS1_3repE0EEENS1_38merge_mergepath_config_static_selectorELNS0_4arch9wavefront6targetE0EEEvSJ_.uses_vcc, 0
	.set _ZN7rocprim17ROCPRIM_400000_NS6detail17trampoline_kernelINS0_14default_configENS1_38merge_sort_block_merge_config_selectorIiiEEZZNS1_27merge_sort_block_merge_implIS3_N6thrust23THRUST_200600_302600_NS6detail15normal_iteratorINS8_10device_ptrIiEEEESD_jNS1_19radix_merge_compareILb0ELb0EiNS0_19identity_decomposerEEEEE10hipError_tT0_T1_T2_jT3_P12ihipStream_tbPNSt15iterator_traitsISI_E10value_typeEPNSO_ISJ_E10value_typeEPSK_NS1_7vsmem_tEENKUlT_SI_SJ_SK_E_clISD_PiSD_S10_EESH_SX_SI_SJ_SK_EUlSX_E0_NS1_11comp_targetILNS1_3genE5ELNS1_11target_archE942ELNS1_3gpuE9ELNS1_3repE0EEENS1_38merge_mergepath_config_static_selectorELNS0_4arch9wavefront6targetE0EEEvSJ_.uses_flat_scratch, 0
	.set _ZN7rocprim17ROCPRIM_400000_NS6detail17trampoline_kernelINS0_14default_configENS1_38merge_sort_block_merge_config_selectorIiiEEZZNS1_27merge_sort_block_merge_implIS3_N6thrust23THRUST_200600_302600_NS6detail15normal_iteratorINS8_10device_ptrIiEEEESD_jNS1_19radix_merge_compareILb0ELb0EiNS0_19identity_decomposerEEEEE10hipError_tT0_T1_T2_jT3_P12ihipStream_tbPNSt15iterator_traitsISI_E10value_typeEPNSO_ISJ_E10value_typeEPSK_NS1_7vsmem_tEENKUlT_SI_SJ_SK_E_clISD_PiSD_S10_EESH_SX_SI_SJ_SK_EUlSX_E0_NS1_11comp_targetILNS1_3genE5ELNS1_11target_archE942ELNS1_3gpuE9ELNS1_3repE0EEENS1_38merge_mergepath_config_static_selectorELNS0_4arch9wavefront6targetE0EEEvSJ_.has_dyn_sized_stack, 0
	.set _ZN7rocprim17ROCPRIM_400000_NS6detail17trampoline_kernelINS0_14default_configENS1_38merge_sort_block_merge_config_selectorIiiEEZZNS1_27merge_sort_block_merge_implIS3_N6thrust23THRUST_200600_302600_NS6detail15normal_iteratorINS8_10device_ptrIiEEEESD_jNS1_19radix_merge_compareILb0ELb0EiNS0_19identity_decomposerEEEEE10hipError_tT0_T1_T2_jT3_P12ihipStream_tbPNSt15iterator_traitsISI_E10value_typeEPNSO_ISJ_E10value_typeEPSK_NS1_7vsmem_tEENKUlT_SI_SJ_SK_E_clISD_PiSD_S10_EESH_SX_SI_SJ_SK_EUlSX_E0_NS1_11comp_targetILNS1_3genE5ELNS1_11target_archE942ELNS1_3gpuE9ELNS1_3repE0EEENS1_38merge_mergepath_config_static_selectorELNS0_4arch9wavefront6targetE0EEEvSJ_.has_recursion, 0
	.set _ZN7rocprim17ROCPRIM_400000_NS6detail17trampoline_kernelINS0_14default_configENS1_38merge_sort_block_merge_config_selectorIiiEEZZNS1_27merge_sort_block_merge_implIS3_N6thrust23THRUST_200600_302600_NS6detail15normal_iteratorINS8_10device_ptrIiEEEESD_jNS1_19radix_merge_compareILb0ELb0EiNS0_19identity_decomposerEEEEE10hipError_tT0_T1_T2_jT3_P12ihipStream_tbPNSt15iterator_traitsISI_E10value_typeEPNSO_ISJ_E10value_typeEPSK_NS1_7vsmem_tEENKUlT_SI_SJ_SK_E_clISD_PiSD_S10_EESH_SX_SI_SJ_SK_EUlSX_E0_NS1_11comp_targetILNS1_3genE5ELNS1_11target_archE942ELNS1_3gpuE9ELNS1_3repE0EEENS1_38merge_mergepath_config_static_selectorELNS0_4arch9wavefront6targetE0EEEvSJ_.has_indirect_call, 0
	.section	.AMDGPU.csdata,"",@progbits
; Kernel info:
; codeLenInByte = 0
; TotalNumSgprs: 0
; NumVgprs: 0
; ScratchSize: 0
; MemoryBound: 0
; FloatMode: 240
; IeeeMode: 1
; LDSByteSize: 0 bytes/workgroup (compile time only)
; SGPRBlocks: 0
; VGPRBlocks: 0
; NumSGPRsForWavesPerEU: 1
; NumVGPRsForWavesPerEU: 1
; Occupancy: 16
; WaveLimiterHint : 0
; COMPUTE_PGM_RSRC2:SCRATCH_EN: 0
; COMPUTE_PGM_RSRC2:USER_SGPR: 6
; COMPUTE_PGM_RSRC2:TRAP_HANDLER: 0
; COMPUTE_PGM_RSRC2:TGID_X_EN: 1
; COMPUTE_PGM_RSRC2:TGID_Y_EN: 0
; COMPUTE_PGM_RSRC2:TGID_Z_EN: 0
; COMPUTE_PGM_RSRC2:TIDIG_COMP_CNT: 0
	.section	.text._ZN7rocprim17ROCPRIM_400000_NS6detail17trampoline_kernelINS0_14default_configENS1_38merge_sort_block_merge_config_selectorIiiEEZZNS1_27merge_sort_block_merge_implIS3_N6thrust23THRUST_200600_302600_NS6detail15normal_iteratorINS8_10device_ptrIiEEEESD_jNS1_19radix_merge_compareILb0ELb0EiNS0_19identity_decomposerEEEEE10hipError_tT0_T1_T2_jT3_P12ihipStream_tbPNSt15iterator_traitsISI_E10value_typeEPNSO_ISJ_E10value_typeEPSK_NS1_7vsmem_tEENKUlT_SI_SJ_SK_E_clISD_PiSD_S10_EESH_SX_SI_SJ_SK_EUlSX_E0_NS1_11comp_targetILNS1_3genE4ELNS1_11target_archE910ELNS1_3gpuE8ELNS1_3repE0EEENS1_38merge_mergepath_config_static_selectorELNS0_4arch9wavefront6targetE0EEEvSJ_,"axG",@progbits,_ZN7rocprim17ROCPRIM_400000_NS6detail17trampoline_kernelINS0_14default_configENS1_38merge_sort_block_merge_config_selectorIiiEEZZNS1_27merge_sort_block_merge_implIS3_N6thrust23THRUST_200600_302600_NS6detail15normal_iteratorINS8_10device_ptrIiEEEESD_jNS1_19radix_merge_compareILb0ELb0EiNS0_19identity_decomposerEEEEE10hipError_tT0_T1_T2_jT3_P12ihipStream_tbPNSt15iterator_traitsISI_E10value_typeEPNSO_ISJ_E10value_typeEPSK_NS1_7vsmem_tEENKUlT_SI_SJ_SK_E_clISD_PiSD_S10_EESH_SX_SI_SJ_SK_EUlSX_E0_NS1_11comp_targetILNS1_3genE4ELNS1_11target_archE910ELNS1_3gpuE8ELNS1_3repE0EEENS1_38merge_mergepath_config_static_selectorELNS0_4arch9wavefront6targetE0EEEvSJ_,comdat
	.protected	_ZN7rocprim17ROCPRIM_400000_NS6detail17trampoline_kernelINS0_14default_configENS1_38merge_sort_block_merge_config_selectorIiiEEZZNS1_27merge_sort_block_merge_implIS3_N6thrust23THRUST_200600_302600_NS6detail15normal_iteratorINS8_10device_ptrIiEEEESD_jNS1_19radix_merge_compareILb0ELb0EiNS0_19identity_decomposerEEEEE10hipError_tT0_T1_T2_jT3_P12ihipStream_tbPNSt15iterator_traitsISI_E10value_typeEPNSO_ISJ_E10value_typeEPSK_NS1_7vsmem_tEENKUlT_SI_SJ_SK_E_clISD_PiSD_S10_EESH_SX_SI_SJ_SK_EUlSX_E0_NS1_11comp_targetILNS1_3genE4ELNS1_11target_archE910ELNS1_3gpuE8ELNS1_3repE0EEENS1_38merge_mergepath_config_static_selectorELNS0_4arch9wavefront6targetE0EEEvSJ_ ; -- Begin function _ZN7rocprim17ROCPRIM_400000_NS6detail17trampoline_kernelINS0_14default_configENS1_38merge_sort_block_merge_config_selectorIiiEEZZNS1_27merge_sort_block_merge_implIS3_N6thrust23THRUST_200600_302600_NS6detail15normal_iteratorINS8_10device_ptrIiEEEESD_jNS1_19radix_merge_compareILb0ELb0EiNS0_19identity_decomposerEEEEE10hipError_tT0_T1_T2_jT3_P12ihipStream_tbPNSt15iterator_traitsISI_E10value_typeEPNSO_ISJ_E10value_typeEPSK_NS1_7vsmem_tEENKUlT_SI_SJ_SK_E_clISD_PiSD_S10_EESH_SX_SI_SJ_SK_EUlSX_E0_NS1_11comp_targetILNS1_3genE4ELNS1_11target_archE910ELNS1_3gpuE8ELNS1_3repE0EEENS1_38merge_mergepath_config_static_selectorELNS0_4arch9wavefront6targetE0EEEvSJ_
	.globl	_ZN7rocprim17ROCPRIM_400000_NS6detail17trampoline_kernelINS0_14default_configENS1_38merge_sort_block_merge_config_selectorIiiEEZZNS1_27merge_sort_block_merge_implIS3_N6thrust23THRUST_200600_302600_NS6detail15normal_iteratorINS8_10device_ptrIiEEEESD_jNS1_19radix_merge_compareILb0ELb0EiNS0_19identity_decomposerEEEEE10hipError_tT0_T1_T2_jT3_P12ihipStream_tbPNSt15iterator_traitsISI_E10value_typeEPNSO_ISJ_E10value_typeEPSK_NS1_7vsmem_tEENKUlT_SI_SJ_SK_E_clISD_PiSD_S10_EESH_SX_SI_SJ_SK_EUlSX_E0_NS1_11comp_targetILNS1_3genE4ELNS1_11target_archE910ELNS1_3gpuE8ELNS1_3repE0EEENS1_38merge_mergepath_config_static_selectorELNS0_4arch9wavefront6targetE0EEEvSJ_
	.p2align	8
	.type	_ZN7rocprim17ROCPRIM_400000_NS6detail17trampoline_kernelINS0_14default_configENS1_38merge_sort_block_merge_config_selectorIiiEEZZNS1_27merge_sort_block_merge_implIS3_N6thrust23THRUST_200600_302600_NS6detail15normal_iteratorINS8_10device_ptrIiEEEESD_jNS1_19radix_merge_compareILb0ELb0EiNS0_19identity_decomposerEEEEE10hipError_tT0_T1_T2_jT3_P12ihipStream_tbPNSt15iterator_traitsISI_E10value_typeEPNSO_ISJ_E10value_typeEPSK_NS1_7vsmem_tEENKUlT_SI_SJ_SK_E_clISD_PiSD_S10_EESH_SX_SI_SJ_SK_EUlSX_E0_NS1_11comp_targetILNS1_3genE4ELNS1_11target_archE910ELNS1_3gpuE8ELNS1_3repE0EEENS1_38merge_mergepath_config_static_selectorELNS0_4arch9wavefront6targetE0EEEvSJ_,@function
_ZN7rocprim17ROCPRIM_400000_NS6detail17trampoline_kernelINS0_14default_configENS1_38merge_sort_block_merge_config_selectorIiiEEZZNS1_27merge_sort_block_merge_implIS3_N6thrust23THRUST_200600_302600_NS6detail15normal_iteratorINS8_10device_ptrIiEEEESD_jNS1_19radix_merge_compareILb0ELb0EiNS0_19identity_decomposerEEEEE10hipError_tT0_T1_T2_jT3_P12ihipStream_tbPNSt15iterator_traitsISI_E10value_typeEPNSO_ISJ_E10value_typeEPSK_NS1_7vsmem_tEENKUlT_SI_SJ_SK_E_clISD_PiSD_S10_EESH_SX_SI_SJ_SK_EUlSX_E0_NS1_11comp_targetILNS1_3genE4ELNS1_11target_archE910ELNS1_3gpuE8ELNS1_3repE0EEENS1_38merge_mergepath_config_static_selectorELNS0_4arch9wavefront6targetE0EEEvSJ_: ; @_ZN7rocprim17ROCPRIM_400000_NS6detail17trampoline_kernelINS0_14default_configENS1_38merge_sort_block_merge_config_selectorIiiEEZZNS1_27merge_sort_block_merge_implIS3_N6thrust23THRUST_200600_302600_NS6detail15normal_iteratorINS8_10device_ptrIiEEEESD_jNS1_19radix_merge_compareILb0ELb0EiNS0_19identity_decomposerEEEEE10hipError_tT0_T1_T2_jT3_P12ihipStream_tbPNSt15iterator_traitsISI_E10value_typeEPNSO_ISJ_E10value_typeEPSK_NS1_7vsmem_tEENKUlT_SI_SJ_SK_E_clISD_PiSD_S10_EESH_SX_SI_SJ_SK_EUlSX_E0_NS1_11comp_targetILNS1_3genE4ELNS1_11target_archE910ELNS1_3gpuE8ELNS1_3repE0EEENS1_38merge_mergepath_config_static_selectorELNS0_4arch9wavefront6targetE0EEEvSJ_
; %bb.0:
	.section	.rodata,"a",@progbits
	.p2align	6, 0x0
	.amdhsa_kernel _ZN7rocprim17ROCPRIM_400000_NS6detail17trampoline_kernelINS0_14default_configENS1_38merge_sort_block_merge_config_selectorIiiEEZZNS1_27merge_sort_block_merge_implIS3_N6thrust23THRUST_200600_302600_NS6detail15normal_iteratorINS8_10device_ptrIiEEEESD_jNS1_19radix_merge_compareILb0ELb0EiNS0_19identity_decomposerEEEEE10hipError_tT0_T1_T2_jT3_P12ihipStream_tbPNSt15iterator_traitsISI_E10value_typeEPNSO_ISJ_E10value_typeEPSK_NS1_7vsmem_tEENKUlT_SI_SJ_SK_E_clISD_PiSD_S10_EESH_SX_SI_SJ_SK_EUlSX_E0_NS1_11comp_targetILNS1_3genE4ELNS1_11target_archE910ELNS1_3gpuE8ELNS1_3repE0EEENS1_38merge_mergepath_config_static_selectorELNS0_4arch9wavefront6targetE0EEEvSJ_
		.amdhsa_group_segment_fixed_size 0
		.amdhsa_private_segment_fixed_size 0
		.amdhsa_kernarg_size 64
		.amdhsa_user_sgpr_count 6
		.amdhsa_user_sgpr_private_segment_buffer 1
		.amdhsa_user_sgpr_dispatch_ptr 0
		.amdhsa_user_sgpr_queue_ptr 0
		.amdhsa_user_sgpr_kernarg_segment_ptr 1
		.amdhsa_user_sgpr_dispatch_id 0
		.amdhsa_user_sgpr_flat_scratch_init 0
		.amdhsa_user_sgpr_private_segment_size 0
		.amdhsa_wavefront_size32 1
		.amdhsa_uses_dynamic_stack 0
		.amdhsa_system_sgpr_private_segment_wavefront_offset 0
		.amdhsa_system_sgpr_workgroup_id_x 1
		.amdhsa_system_sgpr_workgroup_id_y 0
		.amdhsa_system_sgpr_workgroup_id_z 0
		.amdhsa_system_sgpr_workgroup_info 0
		.amdhsa_system_vgpr_workitem_id 0
		.amdhsa_next_free_vgpr 1
		.amdhsa_next_free_sgpr 1
		.amdhsa_reserve_vcc 0
		.amdhsa_reserve_flat_scratch 0
		.amdhsa_float_round_mode_32 0
		.amdhsa_float_round_mode_16_64 0
		.amdhsa_float_denorm_mode_32 3
		.amdhsa_float_denorm_mode_16_64 3
		.amdhsa_dx10_clamp 1
		.amdhsa_ieee_mode 1
		.amdhsa_fp16_overflow 0
		.amdhsa_workgroup_processor_mode 1
		.amdhsa_memory_ordered 1
		.amdhsa_forward_progress 1
		.amdhsa_shared_vgpr_count 0
		.amdhsa_exception_fp_ieee_invalid_op 0
		.amdhsa_exception_fp_denorm_src 0
		.amdhsa_exception_fp_ieee_div_zero 0
		.amdhsa_exception_fp_ieee_overflow 0
		.amdhsa_exception_fp_ieee_underflow 0
		.amdhsa_exception_fp_ieee_inexact 0
		.amdhsa_exception_int_div_zero 0
	.end_amdhsa_kernel
	.section	.text._ZN7rocprim17ROCPRIM_400000_NS6detail17trampoline_kernelINS0_14default_configENS1_38merge_sort_block_merge_config_selectorIiiEEZZNS1_27merge_sort_block_merge_implIS3_N6thrust23THRUST_200600_302600_NS6detail15normal_iteratorINS8_10device_ptrIiEEEESD_jNS1_19radix_merge_compareILb0ELb0EiNS0_19identity_decomposerEEEEE10hipError_tT0_T1_T2_jT3_P12ihipStream_tbPNSt15iterator_traitsISI_E10value_typeEPNSO_ISJ_E10value_typeEPSK_NS1_7vsmem_tEENKUlT_SI_SJ_SK_E_clISD_PiSD_S10_EESH_SX_SI_SJ_SK_EUlSX_E0_NS1_11comp_targetILNS1_3genE4ELNS1_11target_archE910ELNS1_3gpuE8ELNS1_3repE0EEENS1_38merge_mergepath_config_static_selectorELNS0_4arch9wavefront6targetE0EEEvSJ_,"axG",@progbits,_ZN7rocprim17ROCPRIM_400000_NS6detail17trampoline_kernelINS0_14default_configENS1_38merge_sort_block_merge_config_selectorIiiEEZZNS1_27merge_sort_block_merge_implIS3_N6thrust23THRUST_200600_302600_NS6detail15normal_iteratorINS8_10device_ptrIiEEEESD_jNS1_19radix_merge_compareILb0ELb0EiNS0_19identity_decomposerEEEEE10hipError_tT0_T1_T2_jT3_P12ihipStream_tbPNSt15iterator_traitsISI_E10value_typeEPNSO_ISJ_E10value_typeEPSK_NS1_7vsmem_tEENKUlT_SI_SJ_SK_E_clISD_PiSD_S10_EESH_SX_SI_SJ_SK_EUlSX_E0_NS1_11comp_targetILNS1_3genE4ELNS1_11target_archE910ELNS1_3gpuE8ELNS1_3repE0EEENS1_38merge_mergepath_config_static_selectorELNS0_4arch9wavefront6targetE0EEEvSJ_,comdat
.Lfunc_end743:
	.size	_ZN7rocprim17ROCPRIM_400000_NS6detail17trampoline_kernelINS0_14default_configENS1_38merge_sort_block_merge_config_selectorIiiEEZZNS1_27merge_sort_block_merge_implIS3_N6thrust23THRUST_200600_302600_NS6detail15normal_iteratorINS8_10device_ptrIiEEEESD_jNS1_19radix_merge_compareILb0ELb0EiNS0_19identity_decomposerEEEEE10hipError_tT0_T1_T2_jT3_P12ihipStream_tbPNSt15iterator_traitsISI_E10value_typeEPNSO_ISJ_E10value_typeEPSK_NS1_7vsmem_tEENKUlT_SI_SJ_SK_E_clISD_PiSD_S10_EESH_SX_SI_SJ_SK_EUlSX_E0_NS1_11comp_targetILNS1_3genE4ELNS1_11target_archE910ELNS1_3gpuE8ELNS1_3repE0EEENS1_38merge_mergepath_config_static_selectorELNS0_4arch9wavefront6targetE0EEEvSJ_, .Lfunc_end743-_ZN7rocprim17ROCPRIM_400000_NS6detail17trampoline_kernelINS0_14default_configENS1_38merge_sort_block_merge_config_selectorIiiEEZZNS1_27merge_sort_block_merge_implIS3_N6thrust23THRUST_200600_302600_NS6detail15normal_iteratorINS8_10device_ptrIiEEEESD_jNS1_19radix_merge_compareILb0ELb0EiNS0_19identity_decomposerEEEEE10hipError_tT0_T1_T2_jT3_P12ihipStream_tbPNSt15iterator_traitsISI_E10value_typeEPNSO_ISJ_E10value_typeEPSK_NS1_7vsmem_tEENKUlT_SI_SJ_SK_E_clISD_PiSD_S10_EESH_SX_SI_SJ_SK_EUlSX_E0_NS1_11comp_targetILNS1_3genE4ELNS1_11target_archE910ELNS1_3gpuE8ELNS1_3repE0EEENS1_38merge_mergepath_config_static_selectorELNS0_4arch9wavefront6targetE0EEEvSJ_
                                        ; -- End function
	.set _ZN7rocprim17ROCPRIM_400000_NS6detail17trampoline_kernelINS0_14default_configENS1_38merge_sort_block_merge_config_selectorIiiEEZZNS1_27merge_sort_block_merge_implIS3_N6thrust23THRUST_200600_302600_NS6detail15normal_iteratorINS8_10device_ptrIiEEEESD_jNS1_19radix_merge_compareILb0ELb0EiNS0_19identity_decomposerEEEEE10hipError_tT0_T1_T2_jT3_P12ihipStream_tbPNSt15iterator_traitsISI_E10value_typeEPNSO_ISJ_E10value_typeEPSK_NS1_7vsmem_tEENKUlT_SI_SJ_SK_E_clISD_PiSD_S10_EESH_SX_SI_SJ_SK_EUlSX_E0_NS1_11comp_targetILNS1_3genE4ELNS1_11target_archE910ELNS1_3gpuE8ELNS1_3repE0EEENS1_38merge_mergepath_config_static_selectorELNS0_4arch9wavefront6targetE0EEEvSJ_.num_vgpr, 0
	.set _ZN7rocprim17ROCPRIM_400000_NS6detail17trampoline_kernelINS0_14default_configENS1_38merge_sort_block_merge_config_selectorIiiEEZZNS1_27merge_sort_block_merge_implIS3_N6thrust23THRUST_200600_302600_NS6detail15normal_iteratorINS8_10device_ptrIiEEEESD_jNS1_19radix_merge_compareILb0ELb0EiNS0_19identity_decomposerEEEEE10hipError_tT0_T1_T2_jT3_P12ihipStream_tbPNSt15iterator_traitsISI_E10value_typeEPNSO_ISJ_E10value_typeEPSK_NS1_7vsmem_tEENKUlT_SI_SJ_SK_E_clISD_PiSD_S10_EESH_SX_SI_SJ_SK_EUlSX_E0_NS1_11comp_targetILNS1_3genE4ELNS1_11target_archE910ELNS1_3gpuE8ELNS1_3repE0EEENS1_38merge_mergepath_config_static_selectorELNS0_4arch9wavefront6targetE0EEEvSJ_.num_agpr, 0
	.set _ZN7rocprim17ROCPRIM_400000_NS6detail17trampoline_kernelINS0_14default_configENS1_38merge_sort_block_merge_config_selectorIiiEEZZNS1_27merge_sort_block_merge_implIS3_N6thrust23THRUST_200600_302600_NS6detail15normal_iteratorINS8_10device_ptrIiEEEESD_jNS1_19radix_merge_compareILb0ELb0EiNS0_19identity_decomposerEEEEE10hipError_tT0_T1_T2_jT3_P12ihipStream_tbPNSt15iterator_traitsISI_E10value_typeEPNSO_ISJ_E10value_typeEPSK_NS1_7vsmem_tEENKUlT_SI_SJ_SK_E_clISD_PiSD_S10_EESH_SX_SI_SJ_SK_EUlSX_E0_NS1_11comp_targetILNS1_3genE4ELNS1_11target_archE910ELNS1_3gpuE8ELNS1_3repE0EEENS1_38merge_mergepath_config_static_selectorELNS0_4arch9wavefront6targetE0EEEvSJ_.numbered_sgpr, 0
	.set _ZN7rocprim17ROCPRIM_400000_NS6detail17trampoline_kernelINS0_14default_configENS1_38merge_sort_block_merge_config_selectorIiiEEZZNS1_27merge_sort_block_merge_implIS3_N6thrust23THRUST_200600_302600_NS6detail15normal_iteratorINS8_10device_ptrIiEEEESD_jNS1_19radix_merge_compareILb0ELb0EiNS0_19identity_decomposerEEEEE10hipError_tT0_T1_T2_jT3_P12ihipStream_tbPNSt15iterator_traitsISI_E10value_typeEPNSO_ISJ_E10value_typeEPSK_NS1_7vsmem_tEENKUlT_SI_SJ_SK_E_clISD_PiSD_S10_EESH_SX_SI_SJ_SK_EUlSX_E0_NS1_11comp_targetILNS1_3genE4ELNS1_11target_archE910ELNS1_3gpuE8ELNS1_3repE0EEENS1_38merge_mergepath_config_static_selectorELNS0_4arch9wavefront6targetE0EEEvSJ_.num_named_barrier, 0
	.set _ZN7rocprim17ROCPRIM_400000_NS6detail17trampoline_kernelINS0_14default_configENS1_38merge_sort_block_merge_config_selectorIiiEEZZNS1_27merge_sort_block_merge_implIS3_N6thrust23THRUST_200600_302600_NS6detail15normal_iteratorINS8_10device_ptrIiEEEESD_jNS1_19radix_merge_compareILb0ELb0EiNS0_19identity_decomposerEEEEE10hipError_tT0_T1_T2_jT3_P12ihipStream_tbPNSt15iterator_traitsISI_E10value_typeEPNSO_ISJ_E10value_typeEPSK_NS1_7vsmem_tEENKUlT_SI_SJ_SK_E_clISD_PiSD_S10_EESH_SX_SI_SJ_SK_EUlSX_E0_NS1_11comp_targetILNS1_3genE4ELNS1_11target_archE910ELNS1_3gpuE8ELNS1_3repE0EEENS1_38merge_mergepath_config_static_selectorELNS0_4arch9wavefront6targetE0EEEvSJ_.private_seg_size, 0
	.set _ZN7rocprim17ROCPRIM_400000_NS6detail17trampoline_kernelINS0_14default_configENS1_38merge_sort_block_merge_config_selectorIiiEEZZNS1_27merge_sort_block_merge_implIS3_N6thrust23THRUST_200600_302600_NS6detail15normal_iteratorINS8_10device_ptrIiEEEESD_jNS1_19radix_merge_compareILb0ELb0EiNS0_19identity_decomposerEEEEE10hipError_tT0_T1_T2_jT3_P12ihipStream_tbPNSt15iterator_traitsISI_E10value_typeEPNSO_ISJ_E10value_typeEPSK_NS1_7vsmem_tEENKUlT_SI_SJ_SK_E_clISD_PiSD_S10_EESH_SX_SI_SJ_SK_EUlSX_E0_NS1_11comp_targetILNS1_3genE4ELNS1_11target_archE910ELNS1_3gpuE8ELNS1_3repE0EEENS1_38merge_mergepath_config_static_selectorELNS0_4arch9wavefront6targetE0EEEvSJ_.uses_vcc, 0
	.set _ZN7rocprim17ROCPRIM_400000_NS6detail17trampoline_kernelINS0_14default_configENS1_38merge_sort_block_merge_config_selectorIiiEEZZNS1_27merge_sort_block_merge_implIS3_N6thrust23THRUST_200600_302600_NS6detail15normal_iteratorINS8_10device_ptrIiEEEESD_jNS1_19radix_merge_compareILb0ELb0EiNS0_19identity_decomposerEEEEE10hipError_tT0_T1_T2_jT3_P12ihipStream_tbPNSt15iterator_traitsISI_E10value_typeEPNSO_ISJ_E10value_typeEPSK_NS1_7vsmem_tEENKUlT_SI_SJ_SK_E_clISD_PiSD_S10_EESH_SX_SI_SJ_SK_EUlSX_E0_NS1_11comp_targetILNS1_3genE4ELNS1_11target_archE910ELNS1_3gpuE8ELNS1_3repE0EEENS1_38merge_mergepath_config_static_selectorELNS0_4arch9wavefront6targetE0EEEvSJ_.uses_flat_scratch, 0
	.set _ZN7rocprim17ROCPRIM_400000_NS6detail17trampoline_kernelINS0_14default_configENS1_38merge_sort_block_merge_config_selectorIiiEEZZNS1_27merge_sort_block_merge_implIS3_N6thrust23THRUST_200600_302600_NS6detail15normal_iteratorINS8_10device_ptrIiEEEESD_jNS1_19radix_merge_compareILb0ELb0EiNS0_19identity_decomposerEEEEE10hipError_tT0_T1_T2_jT3_P12ihipStream_tbPNSt15iterator_traitsISI_E10value_typeEPNSO_ISJ_E10value_typeEPSK_NS1_7vsmem_tEENKUlT_SI_SJ_SK_E_clISD_PiSD_S10_EESH_SX_SI_SJ_SK_EUlSX_E0_NS1_11comp_targetILNS1_3genE4ELNS1_11target_archE910ELNS1_3gpuE8ELNS1_3repE0EEENS1_38merge_mergepath_config_static_selectorELNS0_4arch9wavefront6targetE0EEEvSJ_.has_dyn_sized_stack, 0
	.set _ZN7rocprim17ROCPRIM_400000_NS6detail17trampoline_kernelINS0_14default_configENS1_38merge_sort_block_merge_config_selectorIiiEEZZNS1_27merge_sort_block_merge_implIS3_N6thrust23THRUST_200600_302600_NS6detail15normal_iteratorINS8_10device_ptrIiEEEESD_jNS1_19radix_merge_compareILb0ELb0EiNS0_19identity_decomposerEEEEE10hipError_tT0_T1_T2_jT3_P12ihipStream_tbPNSt15iterator_traitsISI_E10value_typeEPNSO_ISJ_E10value_typeEPSK_NS1_7vsmem_tEENKUlT_SI_SJ_SK_E_clISD_PiSD_S10_EESH_SX_SI_SJ_SK_EUlSX_E0_NS1_11comp_targetILNS1_3genE4ELNS1_11target_archE910ELNS1_3gpuE8ELNS1_3repE0EEENS1_38merge_mergepath_config_static_selectorELNS0_4arch9wavefront6targetE0EEEvSJ_.has_recursion, 0
	.set _ZN7rocprim17ROCPRIM_400000_NS6detail17trampoline_kernelINS0_14default_configENS1_38merge_sort_block_merge_config_selectorIiiEEZZNS1_27merge_sort_block_merge_implIS3_N6thrust23THRUST_200600_302600_NS6detail15normal_iteratorINS8_10device_ptrIiEEEESD_jNS1_19radix_merge_compareILb0ELb0EiNS0_19identity_decomposerEEEEE10hipError_tT0_T1_T2_jT3_P12ihipStream_tbPNSt15iterator_traitsISI_E10value_typeEPNSO_ISJ_E10value_typeEPSK_NS1_7vsmem_tEENKUlT_SI_SJ_SK_E_clISD_PiSD_S10_EESH_SX_SI_SJ_SK_EUlSX_E0_NS1_11comp_targetILNS1_3genE4ELNS1_11target_archE910ELNS1_3gpuE8ELNS1_3repE0EEENS1_38merge_mergepath_config_static_selectorELNS0_4arch9wavefront6targetE0EEEvSJ_.has_indirect_call, 0
	.section	.AMDGPU.csdata,"",@progbits
; Kernel info:
; codeLenInByte = 0
; TotalNumSgprs: 0
; NumVgprs: 0
; ScratchSize: 0
; MemoryBound: 0
; FloatMode: 240
; IeeeMode: 1
; LDSByteSize: 0 bytes/workgroup (compile time only)
; SGPRBlocks: 0
; VGPRBlocks: 0
; NumSGPRsForWavesPerEU: 1
; NumVGPRsForWavesPerEU: 1
; Occupancy: 16
; WaveLimiterHint : 0
; COMPUTE_PGM_RSRC2:SCRATCH_EN: 0
; COMPUTE_PGM_RSRC2:USER_SGPR: 6
; COMPUTE_PGM_RSRC2:TRAP_HANDLER: 0
; COMPUTE_PGM_RSRC2:TGID_X_EN: 1
; COMPUTE_PGM_RSRC2:TGID_Y_EN: 0
; COMPUTE_PGM_RSRC2:TGID_Z_EN: 0
; COMPUTE_PGM_RSRC2:TIDIG_COMP_CNT: 0
	.section	.text._ZN7rocprim17ROCPRIM_400000_NS6detail17trampoline_kernelINS0_14default_configENS1_38merge_sort_block_merge_config_selectorIiiEEZZNS1_27merge_sort_block_merge_implIS3_N6thrust23THRUST_200600_302600_NS6detail15normal_iteratorINS8_10device_ptrIiEEEESD_jNS1_19radix_merge_compareILb0ELb0EiNS0_19identity_decomposerEEEEE10hipError_tT0_T1_T2_jT3_P12ihipStream_tbPNSt15iterator_traitsISI_E10value_typeEPNSO_ISJ_E10value_typeEPSK_NS1_7vsmem_tEENKUlT_SI_SJ_SK_E_clISD_PiSD_S10_EESH_SX_SI_SJ_SK_EUlSX_E0_NS1_11comp_targetILNS1_3genE3ELNS1_11target_archE908ELNS1_3gpuE7ELNS1_3repE0EEENS1_38merge_mergepath_config_static_selectorELNS0_4arch9wavefront6targetE0EEEvSJ_,"axG",@progbits,_ZN7rocprim17ROCPRIM_400000_NS6detail17trampoline_kernelINS0_14default_configENS1_38merge_sort_block_merge_config_selectorIiiEEZZNS1_27merge_sort_block_merge_implIS3_N6thrust23THRUST_200600_302600_NS6detail15normal_iteratorINS8_10device_ptrIiEEEESD_jNS1_19radix_merge_compareILb0ELb0EiNS0_19identity_decomposerEEEEE10hipError_tT0_T1_T2_jT3_P12ihipStream_tbPNSt15iterator_traitsISI_E10value_typeEPNSO_ISJ_E10value_typeEPSK_NS1_7vsmem_tEENKUlT_SI_SJ_SK_E_clISD_PiSD_S10_EESH_SX_SI_SJ_SK_EUlSX_E0_NS1_11comp_targetILNS1_3genE3ELNS1_11target_archE908ELNS1_3gpuE7ELNS1_3repE0EEENS1_38merge_mergepath_config_static_selectorELNS0_4arch9wavefront6targetE0EEEvSJ_,comdat
	.protected	_ZN7rocprim17ROCPRIM_400000_NS6detail17trampoline_kernelINS0_14default_configENS1_38merge_sort_block_merge_config_selectorIiiEEZZNS1_27merge_sort_block_merge_implIS3_N6thrust23THRUST_200600_302600_NS6detail15normal_iteratorINS8_10device_ptrIiEEEESD_jNS1_19radix_merge_compareILb0ELb0EiNS0_19identity_decomposerEEEEE10hipError_tT0_T1_T2_jT3_P12ihipStream_tbPNSt15iterator_traitsISI_E10value_typeEPNSO_ISJ_E10value_typeEPSK_NS1_7vsmem_tEENKUlT_SI_SJ_SK_E_clISD_PiSD_S10_EESH_SX_SI_SJ_SK_EUlSX_E0_NS1_11comp_targetILNS1_3genE3ELNS1_11target_archE908ELNS1_3gpuE7ELNS1_3repE0EEENS1_38merge_mergepath_config_static_selectorELNS0_4arch9wavefront6targetE0EEEvSJ_ ; -- Begin function _ZN7rocprim17ROCPRIM_400000_NS6detail17trampoline_kernelINS0_14default_configENS1_38merge_sort_block_merge_config_selectorIiiEEZZNS1_27merge_sort_block_merge_implIS3_N6thrust23THRUST_200600_302600_NS6detail15normal_iteratorINS8_10device_ptrIiEEEESD_jNS1_19radix_merge_compareILb0ELb0EiNS0_19identity_decomposerEEEEE10hipError_tT0_T1_T2_jT3_P12ihipStream_tbPNSt15iterator_traitsISI_E10value_typeEPNSO_ISJ_E10value_typeEPSK_NS1_7vsmem_tEENKUlT_SI_SJ_SK_E_clISD_PiSD_S10_EESH_SX_SI_SJ_SK_EUlSX_E0_NS1_11comp_targetILNS1_3genE3ELNS1_11target_archE908ELNS1_3gpuE7ELNS1_3repE0EEENS1_38merge_mergepath_config_static_selectorELNS0_4arch9wavefront6targetE0EEEvSJ_
	.globl	_ZN7rocprim17ROCPRIM_400000_NS6detail17trampoline_kernelINS0_14default_configENS1_38merge_sort_block_merge_config_selectorIiiEEZZNS1_27merge_sort_block_merge_implIS3_N6thrust23THRUST_200600_302600_NS6detail15normal_iteratorINS8_10device_ptrIiEEEESD_jNS1_19radix_merge_compareILb0ELb0EiNS0_19identity_decomposerEEEEE10hipError_tT0_T1_T2_jT3_P12ihipStream_tbPNSt15iterator_traitsISI_E10value_typeEPNSO_ISJ_E10value_typeEPSK_NS1_7vsmem_tEENKUlT_SI_SJ_SK_E_clISD_PiSD_S10_EESH_SX_SI_SJ_SK_EUlSX_E0_NS1_11comp_targetILNS1_3genE3ELNS1_11target_archE908ELNS1_3gpuE7ELNS1_3repE0EEENS1_38merge_mergepath_config_static_selectorELNS0_4arch9wavefront6targetE0EEEvSJ_
	.p2align	8
	.type	_ZN7rocprim17ROCPRIM_400000_NS6detail17trampoline_kernelINS0_14default_configENS1_38merge_sort_block_merge_config_selectorIiiEEZZNS1_27merge_sort_block_merge_implIS3_N6thrust23THRUST_200600_302600_NS6detail15normal_iteratorINS8_10device_ptrIiEEEESD_jNS1_19radix_merge_compareILb0ELb0EiNS0_19identity_decomposerEEEEE10hipError_tT0_T1_T2_jT3_P12ihipStream_tbPNSt15iterator_traitsISI_E10value_typeEPNSO_ISJ_E10value_typeEPSK_NS1_7vsmem_tEENKUlT_SI_SJ_SK_E_clISD_PiSD_S10_EESH_SX_SI_SJ_SK_EUlSX_E0_NS1_11comp_targetILNS1_3genE3ELNS1_11target_archE908ELNS1_3gpuE7ELNS1_3repE0EEENS1_38merge_mergepath_config_static_selectorELNS0_4arch9wavefront6targetE0EEEvSJ_,@function
_ZN7rocprim17ROCPRIM_400000_NS6detail17trampoline_kernelINS0_14default_configENS1_38merge_sort_block_merge_config_selectorIiiEEZZNS1_27merge_sort_block_merge_implIS3_N6thrust23THRUST_200600_302600_NS6detail15normal_iteratorINS8_10device_ptrIiEEEESD_jNS1_19radix_merge_compareILb0ELb0EiNS0_19identity_decomposerEEEEE10hipError_tT0_T1_T2_jT3_P12ihipStream_tbPNSt15iterator_traitsISI_E10value_typeEPNSO_ISJ_E10value_typeEPSK_NS1_7vsmem_tEENKUlT_SI_SJ_SK_E_clISD_PiSD_S10_EESH_SX_SI_SJ_SK_EUlSX_E0_NS1_11comp_targetILNS1_3genE3ELNS1_11target_archE908ELNS1_3gpuE7ELNS1_3repE0EEENS1_38merge_mergepath_config_static_selectorELNS0_4arch9wavefront6targetE0EEEvSJ_: ; @_ZN7rocprim17ROCPRIM_400000_NS6detail17trampoline_kernelINS0_14default_configENS1_38merge_sort_block_merge_config_selectorIiiEEZZNS1_27merge_sort_block_merge_implIS3_N6thrust23THRUST_200600_302600_NS6detail15normal_iteratorINS8_10device_ptrIiEEEESD_jNS1_19radix_merge_compareILb0ELb0EiNS0_19identity_decomposerEEEEE10hipError_tT0_T1_T2_jT3_P12ihipStream_tbPNSt15iterator_traitsISI_E10value_typeEPNSO_ISJ_E10value_typeEPSK_NS1_7vsmem_tEENKUlT_SI_SJ_SK_E_clISD_PiSD_S10_EESH_SX_SI_SJ_SK_EUlSX_E0_NS1_11comp_targetILNS1_3genE3ELNS1_11target_archE908ELNS1_3gpuE7ELNS1_3repE0EEENS1_38merge_mergepath_config_static_selectorELNS0_4arch9wavefront6targetE0EEEvSJ_
; %bb.0:
	.section	.rodata,"a",@progbits
	.p2align	6, 0x0
	.amdhsa_kernel _ZN7rocprim17ROCPRIM_400000_NS6detail17trampoline_kernelINS0_14default_configENS1_38merge_sort_block_merge_config_selectorIiiEEZZNS1_27merge_sort_block_merge_implIS3_N6thrust23THRUST_200600_302600_NS6detail15normal_iteratorINS8_10device_ptrIiEEEESD_jNS1_19radix_merge_compareILb0ELb0EiNS0_19identity_decomposerEEEEE10hipError_tT0_T1_T2_jT3_P12ihipStream_tbPNSt15iterator_traitsISI_E10value_typeEPNSO_ISJ_E10value_typeEPSK_NS1_7vsmem_tEENKUlT_SI_SJ_SK_E_clISD_PiSD_S10_EESH_SX_SI_SJ_SK_EUlSX_E0_NS1_11comp_targetILNS1_3genE3ELNS1_11target_archE908ELNS1_3gpuE7ELNS1_3repE0EEENS1_38merge_mergepath_config_static_selectorELNS0_4arch9wavefront6targetE0EEEvSJ_
		.amdhsa_group_segment_fixed_size 0
		.amdhsa_private_segment_fixed_size 0
		.amdhsa_kernarg_size 64
		.amdhsa_user_sgpr_count 6
		.amdhsa_user_sgpr_private_segment_buffer 1
		.amdhsa_user_sgpr_dispatch_ptr 0
		.amdhsa_user_sgpr_queue_ptr 0
		.amdhsa_user_sgpr_kernarg_segment_ptr 1
		.amdhsa_user_sgpr_dispatch_id 0
		.amdhsa_user_sgpr_flat_scratch_init 0
		.amdhsa_user_sgpr_private_segment_size 0
		.amdhsa_wavefront_size32 1
		.amdhsa_uses_dynamic_stack 0
		.amdhsa_system_sgpr_private_segment_wavefront_offset 0
		.amdhsa_system_sgpr_workgroup_id_x 1
		.amdhsa_system_sgpr_workgroup_id_y 0
		.amdhsa_system_sgpr_workgroup_id_z 0
		.amdhsa_system_sgpr_workgroup_info 0
		.amdhsa_system_vgpr_workitem_id 0
		.amdhsa_next_free_vgpr 1
		.amdhsa_next_free_sgpr 1
		.amdhsa_reserve_vcc 0
		.amdhsa_reserve_flat_scratch 0
		.amdhsa_float_round_mode_32 0
		.amdhsa_float_round_mode_16_64 0
		.amdhsa_float_denorm_mode_32 3
		.amdhsa_float_denorm_mode_16_64 3
		.amdhsa_dx10_clamp 1
		.amdhsa_ieee_mode 1
		.amdhsa_fp16_overflow 0
		.amdhsa_workgroup_processor_mode 1
		.amdhsa_memory_ordered 1
		.amdhsa_forward_progress 1
		.amdhsa_shared_vgpr_count 0
		.amdhsa_exception_fp_ieee_invalid_op 0
		.amdhsa_exception_fp_denorm_src 0
		.amdhsa_exception_fp_ieee_div_zero 0
		.amdhsa_exception_fp_ieee_overflow 0
		.amdhsa_exception_fp_ieee_underflow 0
		.amdhsa_exception_fp_ieee_inexact 0
		.amdhsa_exception_int_div_zero 0
	.end_amdhsa_kernel
	.section	.text._ZN7rocprim17ROCPRIM_400000_NS6detail17trampoline_kernelINS0_14default_configENS1_38merge_sort_block_merge_config_selectorIiiEEZZNS1_27merge_sort_block_merge_implIS3_N6thrust23THRUST_200600_302600_NS6detail15normal_iteratorINS8_10device_ptrIiEEEESD_jNS1_19radix_merge_compareILb0ELb0EiNS0_19identity_decomposerEEEEE10hipError_tT0_T1_T2_jT3_P12ihipStream_tbPNSt15iterator_traitsISI_E10value_typeEPNSO_ISJ_E10value_typeEPSK_NS1_7vsmem_tEENKUlT_SI_SJ_SK_E_clISD_PiSD_S10_EESH_SX_SI_SJ_SK_EUlSX_E0_NS1_11comp_targetILNS1_3genE3ELNS1_11target_archE908ELNS1_3gpuE7ELNS1_3repE0EEENS1_38merge_mergepath_config_static_selectorELNS0_4arch9wavefront6targetE0EEEvSJ_,"axG",@progbits,_ZN7rocprim17ROCPRIM_400000_NS6detail17trampoline_kernelINS0_14default_configENS1_38merge_sort_block_merge_config_selectorIiiEEZZNS1_27merge_sort_block_merge_implIS3_N6thrust23THRUST_200600_302600_NS6detail15normal_iteratorINS8_10device_ptrIiEEEESD_jNS1_19radix_merge_compareILb0ELb0EiNS0_19identity_decomposerEEEEE10hipError_tT0_T1_T2_jT3_P12ihipStream_tbPNSt15iterator_traitsISI_E10value_typeEPNSO_ISJ_E10value_typeEPSK_NS1_7vsmem_tEENKUlT_SI_SJ_SK_E_clISD_PiSD_S10_EESH_SX_SI_SJ_SK_EUlSX_E0_NS1_11comp_targetILNS1_3genE3ELNS1_11target_archE908ELNS1_3gpuE7ELNS1_3repE0EEENS1_38merge_mergepath_config_static_selectorELNS0_4arch9wavefront6targetE0EEEvSJ_,comdat
.Lfunc_end744:
	.size	_ZN7rocprim17ROCPRIM_400000_NS6detail17trampoline_kernelINS0_14default_configENS1_38merge_sort_block_merge_config_selectorIiiEEZZNS1_27merge_sort_block_merge_implIS3_N6thrust23THRUST_200600_302600_NS6detail15normal_iteratorINS8_10device_ptrIiEEEESD_jNS1_19radix_merge_compareILb0ELb0EiNS0_19identity_decomposerEEEEE10hipError_tT0_T1_T2_jT3_P12ihipStream_tbPNSt15iterator_traitsISI_E10value_typeEPNSO_ISJ_E10value_typeEPSK_NS1_7vsmem_tEENKUlT_SI_SJ_SK_E_clISD_PiSD_S10_EESH_SX_SI_SJ_SK_EUlSX_E0_NS1_11comp_targetILNS1_3genE3ELNS1_11target_archE908ELNS1_3gpuE7ELNS1_3repE0EEENS1_38merge_mergepath_config_static_selectorELNS0_4arch9wavefront6targetE0EEEvSJ_, .Lfunc_end744-_ZN7rocprim17ROCPRIM_400000_NS6detail17trampoline_kernelINS0_14default_configENS1_38merge_sort_block_merge_config_selectorIiiEEZZNS1_27merge_sort_block_merge_implIS3_N6thrust23THRUST_200600_302600_NS6detail15normal_iteratorINS8_10device_ptrIiEEEESD_jNS1_19radix_merge_compareILb0ELb0EiNS0_19identity_decomposerEEEEE10hipError_tT0_T1_T2_jT3_P12ihipStream_tbPNSt15iterator_traitsISI_E10value_typeEPNSO_ISJ_E10value_typeEPSK_NS1_7vsmem_tEENKUlT_SI_SJ_SK_E_clISD_PiSD_S10_EESH_SX_SI_SJ_SK_EUlSX_E0_NS1_11comp_targetILNS1_3genE3ELNS1_11target_archE908ELNS1_3gpuE7ELNS1_3repE0EEENS1_38merge_mergepath_config_static_selectorELNS0_4arch9wavefront6targetE0EEEvSJ_
                                        ; -- End function
	.set _ZN7rocprim17ROCPRIM_400000_NS6detail17trampoline_kernelINS0_14default_configENS1_38merge_sort_block_merge_config_selectorIiiEEZZNS1_27merge_sort_block_merge_implIS3_N6thrust23THRUST_200600_302600_NS6detail15normal_iteratorINS8_10device_ptrIiEEEESD_jNS1_19radix_merge_compareILb0ELb0EiNS0_19identity_decomposerEEEEE10hipError_tT0_T1_T2_jT3_P12ihipStream_tbPNSt15iterator_traitsISI_E10value_typeEPNSO_ISJ_E10value_typeEPSK_NS1_7vsmem_tEENKUlT_SI_SJ_SK_E_clISD_PiSD_S10_EESH_SX_SI_SJ_SK_EUlSX_E0_NS1_11comp_targetILNS1_3genE3ELNS1_11target_archE908ELNS1_3gpuE7ELNS1_3repE0EEENS1_38merge_mergepath_config_static_selectorELNS0_4arch9wavefront6targetE0EEEvSJ_.num_vgpr, 0
	.set _ZN7rocprim17ROCPRIM_400000_NS6detail17trampoline_kernelINS0_14default_configENS1_38merge_sort_block_merge_config_selectorIiiEEZZNS1_27merge_sort_block_merge_implIS3_N6thrust23THRUST_200600_302600_NS6detail15normal_iteratorINS8_10device_ptrIiEEEESD_jNS1_19radix_merge_compareILb0ELb0EiNS0_19identity_decomposerEEEEE10hipError_tT0_T1_T2_jT3_P12ihipStream_tbPNSt15iterator_traitsISI_E10value_typeEPNSO_ISJ_E10value_typeEPSK_NS1_7vsmem_tEENKUlT_SI_SJ_SK_E_clISD_PiSD_S10_EESH_SX_SI_SJ_SK_EUlSX_E0_NS1_11comp_targetILNS1_3genE3ELNS1_11target_archE908ELNS1_3gpuE7ELNS1_3repE0EEENS1_38merge_mergepath_config_static_selectorELNS0_4arch9wavefront6targetE0EEEvSJ_.num_agpr, 0
	.set _ZN7rocprim17ROCPRIM_400000_NS6detail17trampoline_kernelINS0_14default_configENS1_38merge_sort_block_merge_config_selectorIiiEEZZNS1_27merge_sort_block_merge_implIS3_N6thrust23THRUST_200600_302600_NS6detail15normal_iteratorINS8_10device_ptrIiEEEESD_jNS1_19radix_merge_compareILb0ELb0EiNS0_19identity_decomposerEEEEE10hipError_tT0_T1_T2_jT3_P12ihipStream_tbPNSt15iterator_traitsISI_E10value_typeEPNSO_ISJ_E10value_typeEPSK_NS1_7vsmem_tEENKUlT_SI_SJ_SK_E_clISD_PiSD_S10_EESH_SX_SI_SJ_SK_EUlSX_E0_NS1_11comp_targetILNS1_3genE3ELNS1_11target_archE908ELNS1_3gpuE7ELNS1_3repE0EEENS1_38merge_mergepath_config_static_selectorELNS0_4arch9wavefront6targetE0EEEvSJ_.numbered_sgpr, 0
	.set _ZN7rocprim17ROCPRIM_400000_NS6detail17trampoline_kernelINS0_14default_configENS1_38merge_sort_block_merge_config_selectorIiiEEZZNS1_27merge_sort_block_merge_implIS3_N6thrust23THRUST_200600_302600_NS6detail15normal_iteratorINS8_10device_ptrIiEEEESD_jNS1_19radix_merge_compareILb0ELb0EiNS0_19identity_decomposerEEEEE10hipError_tT0_T1_T2_jT3_P12ihipStream_tbPNSt15iterator_traitsISI_E10value_typeEPNSO_ISJ_E10value_typeEPSK_NS1_7vsmem_tEENKUlT_SI_SJ_SK_E_clISD_PiSD_S10_EESH_SX_SI_SJ_SK_EUlSX_E0_NS1_11comp_targetILNS1_3genE3ELNS1_11target_archE908ELNS1_3gpuE7ELNS1_3repE0EEENS1_38merge_mergepath_config_static_selectorELNS0_4arch9wavefront6targetE0EEEvSJ_.num_named_barrier, 0
	.set _ZN7rocprim17ROCPRIM_400000_NS6detail17trampoline_kernelINS0_14default_configENS1_38merge_sort_block_merge_config_selectorIiiEEZZNS1_27merge_sort_block_merge_implIS3_N6thrust23THRUST_200600_302600_NS6detail15normal_iteratorINS8_10device_ptrIiEEEESD_jNS1_19radix_merge_compareILb0ELb0EiNS0_19identity_decomposerEEEEE10hipError_tT0_T1_T2_jT3_P12ihipStream_tbPNSt15iterator_traitsISI_E10value_typeEPNSO_ISJ_E10value_typeEPSK_NS1_7vsmem_tEENKUlT_SI_SJ_SK_E_clISD_PiSD_S10_EESH_SX_SI_SJ_SK_EUlSX_E0_NS1_11comp_targetILNS1_3genE3ELNS1_11target_archE908ELNS1_3gpuE7ELNS1_3repE0EEENS1_38merge_mergepath_config_static_selectorELNS0_4arch9wavefront6targetE0EEEvSJ_.private_seg_size, 0
	.set _ZN7rocprim17ROCPRIM_400000_NS6detail17trampoline_kernelINS0_14default_configENS1_38merge_sort_block_merge_config_selectorIiiEEZZNS1_27merge_sort_block_merge_implIS3_N6thrust23THRUST_200600_302600_NS6detail15normal_iteratorINS8_10device_ptrIiEEEESD_jNS1_19radix_merge_compareILb0ELb0EiNS0_19identity_decomposerEEEEE10hipError_tT0_T1_T2_jT3_P12ihipStream_tbPNSt15iterator_traitsISI_E10value_typeEPNSO_ISJ_E10value_typeEPSK_NS1_7vsmem_tEENKUlT_SI_SJ_SK_E_clISD_PiSD_S10_EESH_SX_SI_SJ_SK_EUlSX_E0_NS1_11comp_targetILNS1_3genE3ELNS1_11target_archE908ELNS1_3gpuE7ELNS1_3repE0EEENS1_38merge_mergepath_config_static_selectorELNS0_4arch9wavefront6targetE0EEEvSJ_.uses_vcc, 0
	.set _ZN7rocprim17ROCPRIM_400000_NS6detail17trampoline_kernelINS0_14default_configENS1_38merge_sort_block_merge_config_selectorIiiEEZZNS1_27merge_sort_block_merge_implIS3_N6thrust23THRUST_200600_302600_NS6detail15normal_iteratorINS8_10device_ptrIiEEEESD_jNS1_19radix_merge_compareILb0ELb0EiNS0_19identity_decomposerEEEEE10hipError_tT0_T1_T2_jT3_P12ihipStream_tbPNSt15iterator_traitsISI_E10value_typeEPNSO_ISJ_E10value_typeEPSK_NS1_7vsmem_tEENKUlT_SI_SJ_SK_E_clISD_PiSD_S10_EESH_SX_SI_SJ_SK_EUlSX_E0_NS1_11comp_targetILNS1_3genE3ELNS1_11target_archE908ELNS1_3gpuE7ELNS1_3repE0EEENS1_38merge_mergepath_config_static_selectorELNS0_4arch9wavefront6targetE0EEEvSJ_.uses_flat_scratch, 0
	.set _ZN7rocprim17ROCPRIM_400000_NS6detail17trampoline_kernelINS0_14default_configENS1_38merge_sort_block_merge_config_selectorIiiEEZZNS1_27merge_sort_block_merge_implIS3_N6thrust23THRUST_200600_302600_NS6detail15normal_iteratorINS8_10device_ptrIiEEEESD_jNS1_19radix_merge_compareILb0ELb0EiNS0_19identity_decomposerEEEEE10hipError_tT0_T1_T2_jT3_P12ihipStream_tbPNSt15iterator_traitsISI_E10value_typeEPNSO_ISJ_E10value_typeEPSK_NS1_7vsmem_tEENKUlT_SI_SJ_SK_E_clISD_PiSD_S10_EESH_SX_SI_SJ_SK_EUlSX_E0_NS1_11comp_targetILNS1_3genE3ELNS1_11target_archE908ELNS1_3gpuE7ELNS1_3repE0EEENS1_38merge_mergepath_config_static_selectorELNS0_4arch9wavefront6targetE0EEEvSJ_.has_dyn_sized_stack, 0
	.set _ZN7rocprim17ROCPRIM_400000_NS6detail17trampoline_kernelINS0_14default_configENS1_38merge_sort_block_merge_config_selectorIiiEEZZNS1_27merge_sort_block_merge_implIS3_N6thrust23THRUST_200600_302600_NS6detail15normal_iteratorINS8_10device_ptrIiEEEESD_jNS1_19radix_merge_compareILb0ELb0EiNS0_19identity_decomposerEEEEE10hipError_tT0_T1_T2_jT3_P12ihipStream_tbPNSt15iterator_traitsISI_E10value_typeEPNSO_ISJ_E10value_typeEPSK_NS1_7vsmem_tEENKUlT_SI_SJ_SK_E_clISD_PiSD_S10_EESH_SX_SI_SJ_SK_EUlSX_E0_NS1_11comp_targetILNS1_3genE3ELNS1_11target_archE908ELNS1_3gpuE7ELNS1_3repE0EEENS1_38merge_mergepath_config_static_selectorELNS0_4arch9wavefront6targetE0EEEvSJ_.has_recursion, 0
	.set _ZN7rocprim17ROCPRIM_400000_NS6detail17trampoline_kernelINS0_14default_configENS1_38merge_sort_block_merge_config_selectorIiiEEZZNS1_27merge_sort_block_merge_implIS3_N6thrust23THRUST_200600_302600_NS6detail15normal_iteratorINS8_10device_ptrIiEEEESD_jNS1_19radix_merge_compareILb0ELb0EiNS0_19identity_decomposerEEEEE10hipError_tT0_T1_T2_jT3_P12ihipStream_tbPNSt15iterator_traitsISI_E10value_typeEPNSO_ISJ_E10value_typeEPSK_NS1_7vsmem_tEENKUlT_SI_SJ_SK_E_clISD_PiSD_S10_EESH_SX_SI_SJ_SK_EUlSX_E0_NS1_11comp_targetILNS1_3genE3ELNS1_11target_archE908ELNS1_3gpuE7ELNS1_3repE0EEENS1_38merge_mergepath_config_static_selectorELNS0_4arch9wavefront6targetE0EEEvSJ_.has_indirect_call, 0
	.section	.AMDGPU.csdata,"",@progbits
; Kernel info:
; codeLenInByte = 0
; TotalNumSgprs: 0
; NumVgprs: 0
; ScratchSize: 0
; MemoryBound: 0
; FloatMode: 240
; IeeeMode: 1
; LDSByteSize: 0 bytes/workgroup (compile time only)
; SGPRBlocks: 0
; VGPRBlocks: 0
; NumSGPRsForWavesPerEU: 1
; NumVGPRsForWavesPerEU: 1
; Occupancy: 16
; WaveLimiterHint : 0
; COMPUTE_PGM_RSRC2:SCRATCH_EN: 0
; COMPUTE_PGM_RSRC2:USER_SGPR: 6
; COMPUTE_PGM_RSRC2:TRAP_HANDLER: 0
; COMPUTE_PGM_RSRC2:TGID_X_EN: 1
; COMPUTE_PGM_RSRC2:TGID_Y_EN: 0
; COMPUTE_PGM_RSRC2:TGID_Z_EN: 0
; COMPUTE_PGM_RSRC2:TIDIG_COMP_CNT: 0
	.section	.text._ZN7rocprim17ROCPRIM_400000_NS6detail17trampoline_kernelINS0_14default_configENS1_38merge_sort_block_merge_config_selectorIiiEEZZNS1_27merge_sort_block_merge_implIS3_N6thrust23THRUST_200600_302600_NS6detail15normal_iteratorINS8_10device_ptrIiEEEESD_jNS1_19radix_merge_compareILb0ELb0EiNS0_19identity_decomposerEEEEE10hipError_tT0_T1_T2_jT3_P12ihipStream_tbPNSt15iterator_traitsISI_E10value_typeEPNSO_ISJ_E10value_typeEPSK_NS1_7vsmem_tEENKUlT_SI_SJ_SK_E_clISD_PiSD_S10_EESH_SX_SI_SJ_SK_EUlSX_E0_NS1_11comp_targetILNS1_3genE2ELNS1_11target_archE906ELNS1_3gpuE6ELNS1_3repE0EEENS1_38merge_mergepath_config_static_selectorELNS0_4arch9wavefront6targetE0EEEvSJ_,"axG",@progbits,_ZN7rocprim17ROCPRIM_400000_NS6detail17trampoline_kernelINS0_14default_configENS1_38merge_sort_block_merge_config_selectorIiiEEZZNS1_27merge_sort_block_merge_implIS3_N6thrust23THRUST_200600_302600_NS6detail15normal_iteratorINS8_10device_ptrIiEEEESD_jNS1_19radix_merge_compareILb0ELb0EiNS0_19identity_decomposerEEEEE10hipError_tT0_T1_T2_jT3_P12ihipStream_tbPNSt15iterator_traitsISI_E10value_typeEPNSO_ISJ_E10value_typeEPSK_NS1_7vsmem_tEENKUlT_SI_SJ_SK_E_clISD_PiSD_S10_EESH_SX_SI_SJ_SK_EUlSX_E0_NS1_11comp_targetILNS1_3genE2ELNS1_11target_archE906ELNS1_3gpuE6ELNS1_3repE0EEENS1_38merge_mergepath_config_static_selectorELNS0_4arch9wavefront6targetE0EEEvSJ_,comdat
	.protected	_ZN7rocprim17ROCPRIM_400000_NS6detail17trampoline_kernelINS0_14default_configENS1_38merge_sort_block_merge_config_selectorIiiEEZZNS1_27merge_sort_block_merge_implIS3_N6thrust23THRUST_200600_302600_NS6detail15normal_iteratorINS8_10device_ptrIiEEEESD_jNS1_19radix_merge_compareILb0ELb0EiNS0_19identity_decomposerEEEEE10hipError_tT0_T1_T2_jT3_P12ihipStream_tbPNSt15iterator_traitsISI_E10value_typeEPNSO_ISJ_E10value_typeEPSK_NS1_7vsmem_tEENKUlT_SI_SJ_SK_E_clISD_PiSD_S10_EESH_SX_SI_SJ_SK_EUlSX_E0_NS1_11comp_targetILNS1_3genE2ELNS1_11target_archE906ELNS1_3gpuE6ELNS1_3repE0EEENS1_38merge_mergepath_config_static_selectorELNS0_4arch9wavefront6targetE0EEEvSJ_ ; -- Begin function _ZN7rocprim17ROCPRIM_400000_NS6detail17trampoline_kernelINS0_14default_configENS1_38merge_sort_block_merge_config_selectorIiiEEZZNS1_27merge_sort_block_merge_implIS3_N6thrust23THRUST_200600_302600_NS6detail15normal_iteratorINS8_10device_ptrIiEEEESD_jNS1_19radix_merge_compareILb0ELb0EiNS0_19identity_decomposerEEEEE10hipError_tT0_T1_T2_jT3_P12ihipStream_tbPNSt15iterator_traitsISI_E10value_typeEPNSO_ISJ_E10value_typeEPSK_NS1_7vsmem_tEENKUlT_SI_SJ_SK_E_clISD_PiSD_S10_EESH_SX_SI_SJ_SK_EUlSX_E0_NS1_11comp_targetILNS1_3genE2ELNS1_11target_archE906ELNS1_3gpuE6ELNS1_3repE0EEENS1_38merge_mergepath_config_static_selectorELNS0_4arch9wavefront6targetE0EEEvSJ_
	.globl	_ZN7rocprim17ROCPRIM_400000_NS6detail17trampoline_kernelINS0_14default_configENS1_38merge_sort_block_merge_config_selectorIiiEEZZNS1_27merge_sort_block_merge_implIS3_N6thrust23THRUST_200600_302600_NS6detail15normal_iteratorINS8_10device_ptrIiEEEESD_jNS1_19radix_merge_compareILb0ELb0EiNS0_19identity_decomposerEEEEE10hipError_tT0_T1_T2_jT3_P12ihipStream_tbPNSt15iterator_traitsISI_E10value_typeEPNSO_ISJ_E10value_typeEPSK_NS1_7vsmem_tEENKUlT_SI_SJ_SK_E_clISD_PiSD_S10_EESH_SX_SI_SJ_SK_EUlSX_E0_NS1_11comp_targetILNS1_3genE2ELNS1_11target_archE906ELNS1_3gpuE6ELNS1_3repE0EEENS1_38merge_mergepath_config_static_selectorELNS0_4arch9wavefront6targetE0EEEvSJ_
	.p2align	8
	.type	_ZN7rocprim17ROCPRIM_400000_NS6detail17trampoline_kernelINS0_14default_configENS1_38merge_sort_block_merge_config_selectorIiiEEZZNS1_27merge_sort_block_merge_implIS3_N6thrust23THRUST_200600_302600_NS6detail15normal_iteratorINS8_10device_ptrIiEEEESD_jNS1_19radix_merge_compareILb0ELb0EiNS0_19identity_decomposerEEEEE10hipError_tT0_T1_T2_jT3_P12ihipStream_tbPNSt15iterator_traitsISI_E10value_typeEPNSO_ISJ_E10value_typeEPSK_NS1_7vsmem_tEENKUlT_SI_SJ_SK_E_clISD_PiSD_S10_EESH_SX_SI_SJ_SK_EUlSX_E0_NS1_11comp_targetILNS1_3genE2ELNS1_11target_archE906ELNS1_3gpuE6ELNS1_3repE0EEENS1_38merge_mergepath_config_static_selectorELNS0_4arch9wavefront6targetE0EEEvSJ_,@function
_ZN7rocprim17ROCPRIM_400000_NS6detail17trampoline_kernelINS0_14default_configENS1_38merge_sort_block_merge_config_selectorIiiEEZZNS1_27merge_sort_block_merge_implIS3_N6thrust23THRUST_200600_302600_NS6detail15normal_iteratorINS8_10device_ptrIiEEEESD_jNS1_19radix_merge_compareILb0ELb0EiNS0_19identity_decomposerEEEEE10hipError_tT0_T1_T2_jT3_P12ihipStream_tbPNSt15iterator_traitsISI_E10value_typeEPNSO_ISJ_E10value_typeEPSK_NS1_7vsmem_tEENKUlT_SI_SJ_SK_E_clISD_PiSD_S10_EESH_SX_SI_SJ_SK_EUlSX_E0_NS1_11comp_targetILNS1_3genE2ELNS1_11target_archE906ELNS1_3gpuE6ELNS1_3repE0EEENS1_38merge_mergepath_config_static_selectorELNS0_4arch9wavefront6targetE0EEEvSJ_: ; @_ZN7rocprim17ROCPRIM_400000_NS6detail17trampoline_kernelINS0_14default_configENS1_38merge_sort_block_merge_config_selectorIiiEEZZNS1_27merge_sort_block_merge_implIS3_N6thrust23THRUST_200600_302600_NS6detail15normal_iteratorINS8_10device_ptrIiEEEESD_jNS1_19radix_merge_compareILb0ELb0EiNS0_19identity_decomposerEEEEE10hipError_tT0_T1_T2_jT3_P12ihipStream_tbPNSt15iterator_traitsISI_E10value_typeEPNSO_ISJ_E10value_typeEPSK_NS1_7vsmem_tEENKUlT_SI_SJ_SK_E_clISD_PiSD_S10_EESH_SX_SI_SJ_SK_EUlSX_E0_NS1_11comp_targetILNS1_3genE2ELNS1_11target_archE906ELNS1_3gpuE6ELNS1_3repE0EEENS1_38merge_mergepath_config_static_selectorELNS0_4arch9wavefront6targetE0EEEvSJ_
; %bb.0:
	.section	.rodata,"a",@progbits
	.p2align	6, 0x0
	.amdhsa_kernel _ZN7rocprim17ROCPRIM_400000_NS6detail17trampoline_kernelINS0_14default_configENS1_38merge_sort_block_merge_config_selectorIiiEEZZNS1_27merge_sort_block_merge_implIS3_N6thrust23THRUST_200600_302600_NS6detail15normal_iteratorINS8_10device_ptrIiEEEESD_jNS1_19radix_merge_compareILb0ELb0EiNS0_19identity_decomposerEEEEE10hipError_tT0_T1_T2_jT3_P12ihipStream_tbPNSt15iterator_traitsISI_E10value_typeEPNSO_ISJ_E10value_typeEPSK_NS1_7vsmem_tEENKUlT_SI_SJ_SK_E_clISD_PiSD_S10_EESH_SX_SI_SJ_SK_EUlSX_E0_NS1_11comp_targetILNS1_3genE2ELNS1_11target_archE906ELNS1_3gpuE6ELNS1_3repE0EEENS1_38merge_mergepath_config_static_selectorELNS0_4arch9wavefront6targetE0EEEvSJ_
		.amdhsa_group_segment_fixed_size 0
		.amdhsa_private_segment_fixed_size 0
		.amdhsa_kernarg_size 64
		.amdhsa_user_sgpr_count 6
		.amdhsa_user_sgpr_private_segment_buffer 1
		.amdhsa_user_sgpr_dispatch_ptr 0
		.amdhsa_user_sgpr_queue_ptr 0
		.amdhsa_user_sgpr_kernarg_segment_ptr 1
		.amdhsa_user_sgpr_dispatch_id 0
		.amdhsa_user_sgpr_flat_scratch_init 0
		.amdhsa_user_sgpr_private_segment_size 0
		.amdhsa_wavefront_size32 1
		.amdhsa_uses_dynamic_stack 0
		.amdhsa_system_sgpr_private_segment_wavefront_offset 0
		.amdhsa_system_sgpr_workgroup_id_x 1
		.amdhsa_system_sgpr_workgroup_id_y 0
		.amdhsa_system_sgpr_workgroup_id_z 0
		.amdhsa_system_sgpr_workgroup_info 0
		.amdhsa_system_vgpr_workitem_id 0
		.amdhsa_next_free_vgpr 1
		.amdhsa_next_free_sgpr 1
		.amdhsa_reserve_vcc 0
		.amdhsa_reserve_flat_scratch 0
		.amdhsa_float_round_mode_32 0
		.amdhsa_float_round_mode_16_64 0
		.amdhsa_float_denorm_mode_32 3
		.amdhsa_float_denorm_mode_16_64 3
		.amdhsa_dx10_clamp 1
		.amdhsa_ieee_mode 1
		.amdhsa_fp16_overflow 0
		.amdhsa_workgroup_processor_mode 1
		.amdhsa_memory_ordered 1
		.amdhsa_forward_progress 1
		.amdhsa_shared_vgpr_count 0
		.amdhsa_exception_fp_ieee_invalid_op 0
		.amdhsa_exception_fp_denorm_src 0
		.amdhsa_exception_fp_ieee_div_zero 0
		.amdhsa_exception_fp_ieee_overflow 0
		.amdhsa_exception_fp_ieee_underflow 0
		.amdhsa_exception_fp_ieee_inexact 0
		.amdhsa_exception_int_div_zero 0
	.end_amdhsa_kernel
	.section	.text._ZN7rocprim17ROCPRIM_400000_NS6detail17trampoline_kernelINS0_14default_configENS1_38merge_sort_block_merge_config_selectorIiiEEZZNS1_27merge_sort_block_merge_implIS3_N6thrust23THRUST_200600_302600_NS6detail15normal_iteratorINS8_10device_ptrIiEEEESD_jNS1_19radix_merge_compareILb0ELb0EiNS0_19identity_decomposerEEEEE10hipError_tT0_T1_T2_jT3_P12ihipStream_tbPNSt15iterator_traitsISI_E10value_typeEPNSO_ISJ_E10value_typeEPSK_NS1_7vsmem_tEENKUlT_SI_SJ_SK_E_clISD_PiSD_S10_EESH_SX_SI_SJ_SK_EUlSX_E0_NS1_11comp_targetILNS1_3genE2ELNS1_11target_archE906ELNS1_3gpuE6ELNS1_3repE0EEENS1_38merge_mergepath_config_static_selectorELNS0_4arch9wavefront6targetE0EEEvSJ_,"axG",@progbits,_ZN7rocprim17ROCPRIM_400000_NS6detail17trampoline_kernelINS0_14default_configENS1_38merge_sort_block_merge_config_selectorIiiEEZZNS1_27merge_sort_block_merge_implIS3_N6thrust23THRUST_200600_302600_NS6detail15normal_iteratorINS8_10device_ptrIiEEEESD_jNS1_19radix_merge_compareILb0ELb0EiNS0_19identity_decomposerEEEEE10hipError_tT0_T1_T2_jT3_P12ihipStream_tbPNSt15iterator_traitsISI_E10value_typeEPNSO_ISJ_E10value_typeEPSK_NS1_7vsmem_tEENKUlT_SI_SJ_SK_E_clISD_PiSD_S10_EESH_SX_SI_SJ_SK_EUlSX_E0_NS1_11comp_targetILNS1_3genE2ELNS1_11target_archE906ELNS1_3gpuE6ELNS1_3repE0EEENS1_38merge_mergepath_config_static_selectorELNS0_4arch9wavefront6targetE0EEEvSJ_,comdat
.Lfunc_end745:
	.size	_ZN7rocprim17ROCPRIM_400000_NS6detail17trampoline_kernelINS0_14default_configENS1_38merge_sort_block_merge_config_selectorIiiEEZZNS1_27merge_sort_block_merge_implIS3_N6thrust23THRUST_200600_302600_NS6detail15normal_iteratorINS8_10device_ptrIiEEEESD_jNS1_19radix_merge_compareILb0ELb0EiNS0_19identity_decomposerEEEEE10hipError_tT0_T1_T2_jT3_P12ihipStream_tbPNSt15iterator_traitsISI_E10value_typeEPNSO_ISJ_E10value_typeEPSK_NS1_7vsmem_tEENKUlT_SI_SJ_SK_E_clISD_PiSD_S10_EESH_SX_SI_SJ_SK_EUlSX_E0_NS1_11comp_targetILNS1_3genE2ELNS1_11target_archE906ELNS1_3gpuE6ELNS1_3repE0EEENS1_38merge_mergepath_config_static_selectorELNS0_4arch9wavefront6targetE0EEEvSJ_, .Lfunc_end745-_ZN7rocprim17ROCPRIM_400000_NS6detail17trampoline_kernelINS0_14default_configENS1_38merge_sort_block_merge_config_selectorIiiEEZZNS1_27merge_sort_block_merge_implIS3_N6thrust23THRUST_200600_302600_NS6detail15normal_iteratorINS8_10device_ptrIiEEEESD_jNS1_19radix_merge_compareILb0ELb0EiNS0_19identity_decomposerEEEEE10hipError_tT0_T1_T2_jT3_P12ihipStream_tbPNSt15iterator_traitsISI_E10value_typeEPNSO_ISJ_E10value_typeEPSK_NS1_7vsmem_tEENKUlT_SI_SJ_SK_E_clISD_PiSD_S10_EESH_SX_SI_SJ_SK_EUlSX_E0_NS1_11comp_targetILNS1_3genE2ELNS1_11target_archE906ELNS1_3gpuE6ELNS1_3repE0EEENS1_38merge_mergepath_config_static_selectorELNS0_4arch9wavefront6targetE0EEEvSJ_
                                        ; -- End function
	.set _ZN7rocprim17ROCPRIM_400000_NS6detail17trampoline_kernelINS0_14default_configENS1_38merge_sort_block_merge_config_selectorIiiEEZZNS1_27merge_sort_block_merge_implIS3_N6thrust23THRUST_200600_302600_NS6detail15normal_iteratorINS8_10device_ptrIiEEEESD_jNS1_19radix_merge_compareILb0ELb0EiNS0_19identity_decomposerEEEEE10hipError_tT0_T1_T2_jT3_P12ihipStream_tbPNSt15iterator_traitsISI_E10value_typeEPNSO_ISJ_E10value_typeEPSK_NS1_7vsmem_tEENKUlT_SI_SJ_SK_E_clISD_PiSD_S10_EESH_SX_SI_SJ_SK_EUlSX_E0_NS1_11comp_targetILNS1_3genE2ELNS1_11target_archE906ELNS1_3gpuE6ELNS1_3repE0EEENS1_38merge_mergepath_config_static_selectorELNS0_4arch9wavefront6targetE0EEEvSJ_.num_vgpr, 0
	.set _ZN7rocprim17ROCPRIM_400000_NS6detail17trampoline_kernelINS0_14default_configENS1_38merge_sort_block_merge_config_selectorIiiEEZZNS1_27merge_sort_block_merge_implIS3_N6thrust23THRUST_200600_302600_NS6detail15normal_iteratorINS8_10device_ptrIiEEEESD_jNS1_19radix_merge_compareILb0ELb0EiNS0_19identity_decomposerEEEEE10hipError_tT0_T1_T2_jT3_P12ihipStream_tbPNSt15iterator_traitsISI_E10value_typeEPNSO_ISJ_E10value_typeEPSK_NS1_7vsmem_tEENKUlT_SI_SJ_SK_E_clISD_PiSD_S10_EESH_SX_SI_SJ_SK_EUlSX_E0_NS1_11comp_targetILNS1_3genE2ELNS1_11target_archE906ELNS1_3gpuE6ELNS1_3repE0EEENS1_38merge_mergepath_config_static_selectorELNS0_4arch9wavefront6targetE0EEEvSJ_.num_agpr, 0
	.set _ZN7rocprim17ROCPRIM_400000_NS6detail17trampoline_kernelINS0_14default_configENS1_38merge_sort_block_merge_config_selectorIiiEEZZNS1_27merge_sort_block_merge_implIS3_N6thrust23THRUST_200600_302600_NS6detail15normal_iteratorINS8_10device_ptrIiEEEESD_jNS1_19radix_merge_compareILb0ELb0EiNS0_19identity_decomposerEEEEE10hipError_tT0_T1_T2_jT3_P12ihipStream_tbPNSt15iterator_traitsISI_E10value_typeEPNSO_ISJ_E10value_typeEPSK_NS1_7vsmem_tEENKUlT_SI_SJ_SK_E_clISD_PiSD_S10_EESH_SX_SI_SJ_SK_EUlSX_E0_NS1_11comp_targetILNS1_3genE2ELNS1_11target_archE906ELNS1_3gpuE6ELNS1_3repE0EEENS1_38merge_mergepath_config_static_selectorELNS0_4arch9wavefront6targetE0EEEvSJ_.numbered_sgpr, 0
	.set _ZN7rocprim17ROCPRIM_400000_NS6detail17trampoline_kernelINS0_14default_configENS1_38merge_sort_block_merge_config_selectorIiiEEZZNS1_27merge_sort_block_merge_implIS3_N6thrust23THRUST_200600_302600_NS6detail15normal_iteratorINS8_10device_ptrIiEEEESD_jNS1_19radix_merge_compareILb0ELb0EiNS0_19identity_decomposerEEEEE10hipError_tT0_T1_T2_jT3_P12ihipStream_tbPNSt15iterator_traitsISI_E10value_typeEPNSO_ISJ_E10value_typeEPSK_NS1_7vsmem_tEENKUlT_SI_SJ_SK_E_clISD_PiSD_S10_EESH_SX_SI_SJ_SK_EUlSX_E0_NS1_11comp_targetILNS1_3genE2ELNS1_11target_archE906ELNS1_3gpuE6ELNS1_3repE0EEENS1_38merge_mergepath_config_static_selectorELNS0_4arch9wavefront6targetE0EEEvSJ_.num_named_barrier, 0
	.set _ZN7rocprim17ROCPRIM_400000_NS6detail17trampoline_kernelINS0_14default_configENS1_38merge_sort_block_merge_config_selectorIiiEEZZNS1_27merge_sort_block_merge_implIS3_N6thrust23THRUST_200600_302600_NS6detail15normal_iteratorINS8_10device_ptrIiEEEESD_jNS1_19radix_merge_compareILb0ELb0EiNS0_19identity_decomposerEEEEE10hipError_tT0_T1_T2_jT3_P12ihipStream_tbPNSt15iterator_traitsISI_E10value_typeEPNSO_ISJ_E10value_typeEPSK_NS1_7vsmem_tEENKUlT_SI_SJ_SK_E_clISD_PiSD_S10_EESH_SX_SI_SJ_SK_EUlSX_E0_NS1_11comp_targetILNS1_3genE2ELNS1_11target_archE906ELNS1_3gpuE6ELNS1_3repE0EEENS1_38merge_mergepath_config_static_selectorELNS0_4arch9wavefront6targetE0EEEvSJ_.private_seg_size, 0
	.set _ZN7rocprim17ROCPRIM_400000_NS6detail17trampoline_kernelINS0_14default_configENS1_38merge_sort_block_merge_config_selectorIiiEEZZNS1_27merge_sort_block_merge_implIS3_N6thrust23THRUST_200600_302600_NS6detail15normal_iteratorINS8_10device_ptrIiEEEESD_jNS1_19radix_merge_compareILb0ELb0EiNS0_19identity_decomposerEEEEE10hipError_tT0_T1_T2_jT3_P12ihipStream_tbPNSt15iterator_traitsISI_E10value_typeEPNSO_ISJ_E10value_typeEPSK_NS1_7vsmem_tEENKUlT_SI_SJ_SK_E_clISD_PiSD_S10_EESH_SX_SI_SJ_SK_EUlSX_E0_NS1_11comp_targetILNS1_3genE2ELNS1_11target_archE906ELNS1_3gpuE6ELNS1_3repE0EEENS1_38merge_mergepath_config_static_selectorELNS0_4arch9wavefront6targetE0EEEvSJ_.uses_vcc, 0
	.set _ZN7rocprim17ROCPRIM_400000_NS6detail17trampoline_kernelINS0_14default_configENS1_38merge_sort_block_merge_config_selectorIiiEEZZNS1_27merge_sort_block_merge_implIS3_N6thrust23THRUST_200600_302600_NS6detail15normal_iteratorINS8_10device_ptrIiEEEESD_jNS1_19radix_merge_compareILb0ELb0EiNS0_19identity_decomposerEEEEE10hipError_tT0_T1_T2_jT3_P12ihipStream_tbPNSt15iterator_traitsISI_E10value_typeEPNSO_ISJ_E10value_typeEPSK_NS1_7vsmem_tEENKUlT_SI_SJ_SK_E_clISD_PiSD_S10_EESH_SX_SI_SJ_SK_EUlSX_E0_NS1_11comp_targetILNS1_3genE2ELNS1_11target_archE906ELNS1_3gpuE6ELNS1_3repE0EEENS1_38merge_mergepath_config_static_selectorELNS0_4arch9wavefront6targetE0EEEvSJ_.uses_flat_scratch, 0
	.set _ZN7rocprim17ROCPRIM_400000_NS6detail17trampoline_kernelINS0_14default_configENS1_38merge_sort_block_merge_config_selectorIiiEEZZNS1_27merge_sort_block_merge_implIS3_N6thrust23THRUST_200600_302600_NS6detail15normal_iteratorINS8_10device_ptrIiEEEESD_jNS1_19radix_merge_compareILb0ELb0EiNS0_19identity_decomposerEEEEE10hipError_tT0_T1_T2_jT3_P12ihipStream_tbPNSt15iterator_traitsISI_E10value_typeEPNSO_ISJ_E10value_typeEPSK_NS1_7vsmem_tEENKUlT_SI_SJ_SK_E_clISD_PiSD_S10_EESH_SX_SI_SJ_SK_EUlSX_E0_NS1_11comp_targetILNS1_3genE2ELNS1_11target_archE906ELNS1_3gpuE6ELNS1_3repE0EEENS1_38merge_mergepath_config_static_selectorELNS0_4arch9wavefront6targetE0EEEvSJ_.has_dyn_sized_stack, 0
	.set _ZN7rocprim17ROCPRIM_400000_NS6detail17trampoline_kernelINS0_14default_configENS1_38merge_sort_block_merge_config_selectorIiiEEZZNS1_27merge_sort_block_merge_implIS3_N6thrust23THRUST_200600_302600_NS6detail15normal_iteratorINS8_10device_ptrIiEEEESD_jNS1_19radix_merge_compareILb0ELb0EiNS0_19identity_decomposerEEEEE10hipError_tT0_T1_T2_jT3_P12ihipStream_tbPNSt15iterator_traitsISI_E10value_typeEPNSO_ISJ_E10value_typeEPSK_NS1_7vsmem_tEENKUlT_SI_SJ_SK_E_clISD_PiSD_S10_EESH_SX_SI_SJ_SK_EUlSX_E0_NS1_11comp_targetILNS1_3genE2ELNS1_11target_archE906ELNS1_3gpuE6ELNS1_3repE0EEENS1_38merge_mergepath_config_static_selectorELNS0_4arch9wavefront6targetE0EEEvSJ_.has_recursion, 0
	.set _ZN7rocprim17ROCPRIM_400000_NS6detail17trampoline_kernelINS0_14default_configENS1_38merge_sort_block_merge_config_selectorIiiEEZZNS1_27merge_sort_block_merge_implIS3_N6thrust23THRUST_200600_302600_NS6detail15normal_iteratorINS8_10device_ptrIiEEEESD_jNS1_19radix_merge_compareILb0ELb0EiNS0_19identity_decomposerEEEEE10hipError_tT0_T1_T2_jT3_P12ihipStream_tbPNSt15iterator_traitsISI_E10value_typeEPNSO_ISJ_E10value_typeEPSK_NS1_7vsmem_tEENKUlT_SI_SJ_SK_E_clISD_PiSD_S10_EESH_SX_SI_SJ_SK_EUlSX_E0_NS1_11comp_targetILNS1_3genE2ELNS1_11target_archE906ELNS1_3gpuE6ELNS1_3repE0EEENS1_38merge_mergepath_config_static_selectorELNS0_4arch9wavefront6targetE0EEEvSJ_.has_indirect_call, 0
	.section	.AMDGPU.csdata,"",@progbits
; Kernel info:
; codeLenInByte = 0
; TotalNumSgprs: 0
; NumVgprs: 0
; ScratchSize: 0
; MemoryBound: 0
; FloatMode: 240
; IeeeMode: 1
; LDSByteSize: 0 bytes/workgroup (compile time only)
; SGPRBlocks: 0
; VGPRBlocks: 0
; NumSGPRsForWavesPerEU: 1
; NumVGPRsForWavesPerEU: 1
; Occupancy: 16
; WaveLimiterHint : 0
; COMPUTE_PGM_RSRC2:SCRATCH_EN: 0
; COMPUTE_PGM_RSRC2:USER_SGPR: 6
; COMPUTE_PGM_RSRC2:TRAP_HANDLER: 0
; COMPUTE_PGM_RSRC2:TGID_X_EN: 1
; COMPUTE_PGM_RSRC2:TGID_Y_EN: 0
; COMPUTE_PGM_RSRC2:TGID_Z_EN: 0
; COMPUTE_PGM_RSRC2:TIDIG_COMP_CNT: 0
	.section	.text._ZN7rocprim17ROCPRIM_400000_NS6detail17trampoline_kernelINS0_14default_configENS1_38merge_sort_block_merge_config_selectorIiiEEZZNS1_27merge_sort_block_merge_implIS3_N6thrust23THRUST_200600_302600_NS6detail15normal_iteratorINS8_10device_ptrIiEEEESD_jNS1_19radix_merge_compareILb0ELb0EiNS0_19identity_decomposerEEEEE10hipError_tT0_T1_T2_jT3_P12ihipStream_tbPNSt15iterator_traitsISI_E10value_typeEPNSO_ISJ_E10value_typeEPSK_NS1_7vsmem_tEENKUlT_SI_SJ_SK_E_clISD_PiSD_S10_EESH_SX_SI_SJ_SK_EUlSX_E0_NS1_11comp_targetILNS1_3genE9ELNS1_11target_archE1100ELNS1_3gpuE3ELNS1_3repE0EEENS1_38merge_mergepath_config_static_selectorELNS0_4arch9wavefront6targetE0EEEvSJ_,"axG",@progbits,_ZN7rocprim17ROCPRIM_400000_NS6detail17trampoline_kernelINS0_14default_configENS1_38merge_sort_block_merge_config_selectorIiiEEZZNS1_27merge_sort_block_merge_implIS3_N6thrust23THRUST_200600_302600_NS6detail15normal_iteratorINS8_10device_ptrIiEEEESD_jNS1_19radix_merge_compareILb0ELb0EiNS0_19identity_decomposerEEEEE10hipError_tT0_T1_T2_jT3_P12ihipStream_tbPNSt15iterator_traitsISI_E10value_typeEPNSO_ISJ_E10value_typeEPSK_NS1_7vsmem_tEENKUlT_SI_SJ_SK_E_clISD_PiSD_S10_EESH_SX_SI_SJ_SK_EUlSX_E0_NS1_11comp_targetILNS1_3genE9ELNS1_11target_archE1100ELNS1_3gpuE3ELNS1_3repE0EEENS1_38merge_mergepath_config_static_selectorELNS0_4arch9wavefront6targetE0EEEvSJ_,comdat
	.protected	_ZN7rocprim17ROCPRIM_400000_NS6detail17trampoline_kernelINS0_14default_configENS1_38merge_sort_block_merge_config_selectorIiiEEZZNS1_27merge_sort_block_merge_implIS3_N6thrust23THRUST_200600_302600_NS6detail15normal_iteratorINS8_10device_ptrIiEEEESD_jNS1_19radix_merge_compareILb0ELb0EiNS0_19identity_decomposerEEEEE10hipError_tT0_T1_T2_jT3_P12ihipStream_tbPNSt15iterator_traitsISI_E10value_typeEPNSO_ISJ_E10value_typeEPSK_NS1_7vsmem_tEENKUlT_SI_SJ_SK_E_clISD_PiSD_S10_EESH_SX_SI_SJ_SK_EUlSX_E0_NS1_11comp_targetILNS1_3genE9ELNS1_11target_archE1100ELNS1_3gpuE3ELNS1_3repE0EEENS1_38merge_mergepath_config_static_selectorELNS0_4arch9wavefront6targetE0EEEvSJ_ ; -- Begin function _ZN7rocprim17ROCPRIM_400000_NS6detail17trampoline_kernelINS0_14default_configENS1_38merge_sort_block_merge_config_selectorIiiEEZZNS1_27merge_sort_block_merge_implIS3_N6thrust23THRUST_200600_302600_NS6detail15normal_iteratorINS8_10device_ptrIiEEEESD_jNS1_19radix_merge_compareILb0ELb0EiNS0_19identity_decomposerEEEEE10hipError_tT0_T1_T2_jT3_P12ihipStream_tbPNSt15iterator_traitsISI_E10value_typeEPNSO_ISJ_E10value_typeEPSK_NS1_7vsmem_tEENKUlT_SI_SJ_SK_E_clISD_PiSD_S10_EESH_SX_SI_SJ_SK_EUlSX_E0_NS1_11comp_targetILNS1_3genE9ELNS1_11target_archE1100ELNS1_3gpuE3ELNS1_3repE0EEENS1_38merge_mergepath_config_static_selectorELNS0_4arch9wavefront6targetE0EEEvSJ_
	.globl	_ZN7rocprim17ROCPRIM_400000_NS6detail17trampoline_kernelINS0_14default_configENS1_38merge_sort_block_merge_config_selectorIiiEEZZNS1_27merge_sort_block_merge_implIS3_N6thrust23THRUST_200600_302600_NS6detail15normal_iteratorINS8_10device_ptrIiEEEESD_jNS1_19radix_merge_compareILb0ELb0EiNS0_19identity_decomposerEEEEE10hipError_tT0_T1_T2_jT3_P12ihipStream_tbPNSt15iterator_traitsISI_E10value_typeEPNSO_ISJ_E10value_typeEPSK_NS1_7vsmem_tEENKUlT_SI_SJ_SK_E_clISD_PiSD_S10_EESH_SX_SI_SJ_SK_EUlSX_E0_NS1_11comp_targetILNS1_3genE9ELNS1_11target_archE1100ELNS1_3gpuE3ELNS1_3repE0EEENS1_38merge_mergepath_config_static_selectorELNS0_4arch9wavefront6targetE0EEEvSJ_
	.p2align	8
	.type	_ZN7rocprim17ROCPRIM_400000_NS6detail17trampoline_kernelINS0_14default_configENS1_38merge_sort_block_merge_config_selectorIiiEEZZNS1_27merge_sort_block_merge_implIS3_N6thrust23THRUST_200600_302600_NS6detail15normal_iteratorINS8_10device_ptrIiEEEESD_jNS1_19radix_merge_compareILb0ELb0EiNS0_19identity_decomposerEEEEE10hipError_tT0_T1_T2_jT3_P12ihipStream_tbPNSt15iterator_traitsISI_E10value_typeEPNSO_ISJ_E10value_typeEPSK_NS1_7vsmem_tEENKUlT_SI_SJ_SK_E_clISD_PiSD_S10_EESH_SX_SI_SJ_SK_EUlSX_E0_NS1_11comp_targetILNS1_3genE9ELNS1_11target_archE1100ELNS1_3gpuE3ELNS1_3repE0EEENS1_38merge_mergepath_config_static_selectorELNS0_4arch9wavefront6targetE0EEEvSJ_,@function
_ZN7rocprim17ROCPRIM_400000_NS6detail17trampoline_kernelINS0_14default_configENS1_38merge_sort_block_merge_config_selectorIiiEEZZNS1_27merge_sort_block_merge_implIS3_N6thrust23THRUST_200600_302600_NS6detail15normal_iteratorINS8_10device_ptrIiEEEESD_jNS1_19radix_merge_compareILb0ELb0EiNS0_19identity_decomposerEEEEE10hipError_tT0_T1_T2_jT3_P12ihipStream_tbPNSt15iterator_traitsISI_E10value_typeEPNSO_ISJ_E10value_typeEPSK_NS1_7vsmem_tEENKUlT_SI_SJ_SK_E_clISD_PiSD_S10_EESH_SX_SI_SJ_SK_EUlSX_E0_NS1_11comp_targetILNS1_3genE9ELNS1_11target_archE1100ELNS1_3gpuE3ELNS1_3repE0EEENS1_38merge_mergepath_config_static_selectorELNS0_4arch9wavefront6targetE0EEEvSJ_: ; @_ZN7rocprim17ROCPRIM_400000_NS6detail17trampoline_kernelINS0_14default_configENS1_38merge_sort_block_merge_config_selectorIiiEEZZNS1_27merge_sort_block_merge_implIS3_N6thrust23THRUST_200600_302600_NS6detail15normal_iteratorINS8_10device_ptrIiEEEESD_jNS1_19radix_merge_compareILb0ELb0EiNS0_19identity_decomposerEEEEE10hipError_tT0_T1_T2_jT3_P12ihipStream_tbPNSt15iterator_traitsISI_E10value_typeEPNSO_ISJ_E10value_typeEPSK_NS1_7vsmem_tEENKUlT_SI_SJ_SK_E_clISD_PiSD_S10_EESH_SX_SI_SJ_SK_EUlSX_E0_NS1_11comp_targetILNS1_3genE9ELNS1_11target_archE1100ELNS1_3gpuE3ELNS1_3repE0EEENS1_38merge_mergepath_config_static_selectorELNS0_4arch9wavefront6targetE0EEEvSJ_
; %bb.0:
	.section	.rodata,"a",@progbits
	.p2align	6, 0x0
	.amdhsa_kernel _ZN7rocprim17ROCPRIM_400000_NS6detail17trampoline_kernelINS0_14default_configENS1_38merge_sort_block_merge_config_selectorIiiEEZZNS1_27merge_sort_block_merge_implIS3_N6thrust23THRUST_200600_302600_NS6detail15normal_iteratorINS8_10device_ptrIiEEEESD_jNS1_19radix_merge_compareILb0ELb0EiNS0_19identity_decomposerEEEEE10hipError_tT0_T1_T2_jT3_P12ihipStream_tbPNSt15iterator_traitsISI_E10value_typeEPNSO_ISJ_E10value_typeEPSK_NS1_7vsmem_tEENKUlT_SI_SJ_SK_E_clISD_PiSD_S10_EESH_SX_SI_SJ_SK_EUlSX_E0_NS1_11comp_targetILNS1_3genE9ELNS1_11target_archE1100ELNS1_3gpuE3ELNS1_3repE0EEENS1_38merge_mergepath_config_static_selectorELNS0_4arch9wavefront6targetE0EEEvSJ_
		.amdhsa_group_segment_fixed_size 0
		.amdhsa_private_segment_fixed_size 0
		.amdhsa_kernarg_size 64
		.amdhsa_user_sgpr_count 6
		.amdhsa_user_sgpr_private_segment_buffer 1
		.amdhsa_user_sgpr_dispatch_ptr 0
		.amdhsa_user_sgpr_queue_ptr 0
		.amdhsa_user_sgpr_kernarg_segment_ptr 1
		.amdhsa_user_sgpr_dispatch_id 0
		.amdhsa_user_sgpr_flat_scratch_init 0
		.amdhsa_user_sgpr_private_segment_size 0
		.amdhsa_wavefront_size32 1
		.amdhsa_uses_dynamic_stack 0
		.amdhsa_system_sgpr_private_segment_wavefront_offset 0
		.amdhsa_system_sgpr_workgroup_id_x 1
		.amdhsa_system_sgpr_workgroup_id_y 0
		.amdhsa_system_sgpr_workgroup_id_z 0
		.amdhsa_system_sgpr_workgroup_info 0
		.amdhsa_system_vgpr_workitem_id 0
		.amdhsa_next_free_vgpr 1
		.amdhsa_next_free_sgpr 1
		.amdhsa_reserve_vcc 0
		.amdhsa_reserve_flat_scratch 0
		.amdhsa_float_round_mode_32 0
		.amdhsa_float_round_mode_16_64 0
		.amdhsa_float_denorm_mode_32 3
		.amdhsa_float_denorm_mode_16_64 3
		.amdhsa_dx10_clamp 1
		.amdhsa_ieee_mode 1
		.amdhsa_fp16_overflow 0
		.amdhsa_workgroup_processor_mode 1
		.amdhsa_memory_ordered 1
		.amdhsa_forward_progress 1
		.amdhsa_shared_vgpr_count 0
		.amdhsa_exception_fp_ieee_invalid_op 0
		.amdhsa_exception_fp_denorm_src 0
		.amdhsa_exception_fp_ieee_div_zero 0
		.amdhsa_exception_fp_ieee_overflow 0
		.amdhsa_exception_fp_ieee_underflow 0
		.amdhsa_exception_fp_ieee_inexact 0
		.amdhsa_exception_int_div_zero 0
	.end_amdhsa_kernel
	.section	.text._ZN7rocprim17ROCPRIM_400000_NS6detail17trampoline_kernelINS0_14default_configENS1_38merge_sort_block_merge_config_selectorIiiEEZZNS1_27merge_sort_block_merge_implIS3_N6thrust23THRUST_200600_302600_NS6detail15normal_iteratorINS8_10device_ptrIiEEEESD_jNS1_19radix_merge_compareILb0ELb0EiNS0_19identity_decomposerEEEEE10hipError_tT0_T1_T2_jT3_P12ihipStream_tbPNSt15iterator_traitsISI_E10value_typeEPNSO_ISJ_E10value_typeEPSK_NS1_7vsmem_tEENKUlT_SI_SJ_SK_E_clISD_PiSD_S10_EESH_SX_SI_SJ_SK_EUlSX_E0_NS1_11comp_targetILNS1_3genE9ELNS1_11target_archE1100ELNS1_3gpuE3ELNS1_3repE0EEENS1_38merge_mergepath_config_static_selectorELNS0_4arch9wavefront6targetE0EEEvSJ_,"axG",@progbits,_ZN7rocprim17ROCPRIM_400000_NS6detail17trampoline_kernelINS0_14default_configENS1_38merge_sort_block_merge_config_selectorIiiEEZZNS1_27merge_sort_block_merge_implIS3_N6thrust23THRUST_200600_302600_NS6detail15normal_iteratorINS8_10device_ptrIiEEEESD_jNS1_19radix_merge_compareILb0ELb0EiNS0_19identity_decomposerEEEEE10hipError_tT0_T1_T2_jT3_P12ihipStream_tbPNSt15iterator_traitsISI_E10value_typeEPNSO_ISJ_E10value_typeEPSK_NS1_7vsmem_tEENKUlT_SI_SJ_SK_E_clISD_PiSD_S10_EESH_SX_SI_SJ_SK_EUlSX_E0_NS1_11comp_targetILNS1_3genE9ELNS1_11target_archE1100ELNS1_3gpuE3ELNS1_3repE0EEENS1_38merge_mergepath_config_static_selectorELNS0_4arch9wavefront6targetE0EEEvSJ_,comdat
.Lfunc_end746:
	.size	_ZN7rocprim17ROCPRIM_400000_NS6detail17trampoline_kernelINS0_14default_configENS1_38merge_sort_block_merge_config_selectorIiiEEZZNS1_27merge_sort_block_merge_implIS3_N6thrust23THRUST_200600_302600_NS6detail15normal_iteratorINS8_10device_ptrIiEEEESD_jNS1_19radix_merge_compareILb0ELb0EiNS0_19identity_decomposerEEEEE10hipError_tT0_T1_T2_jT3_P12ihipStream_tbPNSt15iterator_traitsISI_E10value_typeEPNSO_ISJ_E10value_typeEPSK_NS1_7vsmem_tEENKUlT_SI_SJ_SK_E_clISD_PiSD_S10_EESH_SX_SI_SJ_SK_EUlSX_E0_NS1_11comp_targetILNS1_3genE9ELNS1_11target_archE1100ELNS1_3gpuE3ELNS1_3repE0EEENS1_38merge_mergepath_config_static_selectorELNS0_4arch9wavefront6targetE0EEEvSJ_, .Lfunc_end746-_ZN7rocprim17ROCPRIM_400000_NS6detail17trampoline_kernelINS0_14default_configENS1_38merge_sort_block_merge_config_selectorIiiEEZZNS1_27merge_sort_block_merge_implIS3_N6thrust23THRUST_200600_302600_NS6detail15normal_iteratorINS8_10device_ptrIiEEEESD_jNS1_19radix_merge_compareILb0ELb0EiNS0_19identity_decomposerEEEEE10hipError_tT0_T1_T2_jT3_P12ihipStream_tbPNSt15iterator_traitsISI_E10value_typeEPNSO_ISJ_E10value_typeEPSK_NS1_7vsmem_tEENKUlT_SI_SJ_SK_E_clISD_PiSD_S10_EESH_SX_SI_SJ_SK_EUlSX_E0_NS1_11comp_targetILNS1_3genE9ELNS1_11target_archE1100ELNS1_3gpuE3ELNS1_3repE0EEENS1_38merge_mergepath_config_static_selectorELNS0_4arch9wavefront6targetE0EEEvSJ_
                                        ; -- End function
	.set _ZN7rocprim17ROCPRIM_400000_NS6detail17trampoline_kernelINS0_14default_configENS1_38merge_sort_block_merge_config_selectorIiiEEZZNS1_27merge_sort_block_merge_implIS3_N6thrust23THRUST_200600_302600_NS6detail15normal_iteratorINS8_10device_ptrIiEEEESD_jNS1_19radix_merge_compareILb0ELb0EiNS0_19identity_decomposerEEEEE10hipError_tT0_T1_T2_jT3_P12ihipStream_tbPNSt15iterator_traitsISI_E10value_typeEPNSO_ISJ_E10value_typeEPSK_NS1_7vsmem_tEENKUlT_SI_SJ_SK_E_clISD_PiSD_S10_EESH_SX_SI_SJ_SK_EUlSX_E0_NS1_11comp_targetILNS1_3genE9ELNS1_11target_archE1100ELNS1_3gpuE3ELNS1_3repE0EEENS1_38merge_mergepath_config_static_selectorELNS0_4arch9wavefront6targetE0EEEvSJ_.num_vgpr, 0
	.set _ZN7rocprim17ROCPRIM_400000_NS6detail17trampoline_kernelINS0_14default_configENS1_38merge_sort_block_merge_config_selectorIiiEEZZNS1_27merge_sort_block_merge_implIS3_N6thrust23THRUST_200600_302600_NS6detail15normal_iteratorINS8_10device_ptrIiEEEESD_jNS1_19radix_merge_compareILb0ELb0EiNS0_19identity_decomposerEEEEE10hipError_tT0_T1_T2_jT3_P12ihipStream_tbPNSt15iterator_traitsISI_E10value_typeEPNSO_ISJ_E10value_typeEPSK_NS1_7vsmem_tEENKUlT_SI_SJ_SK_E_clISD_PiSD_S10_EESH_SX_SI_SJ_SK_EUlSX_E0_NS1_11comp_targetILNS1_3genE9ELNS1_11target_archE1100ELNS1_3gpuE3ELNS1_3repE0EEENS1_38merge_mergepath_config_static_selectorELNS0_4arch9wavefront6targetE0EEEvSJ_.num_agpr, 0
	.set _ZN7rocprim17ROCPRIM_400000_NS6detail17trampoline_kernelINS0_14default_configENS1_38merge_sort_block_merge_config_selectorIiiEEZZNS1_27merge_sort_block_merge_implIS3_N6thrust23THRUST_200600_302600_NS6detail15normal_iteratorINS8_10device_ptrIiEEEESD_jNS1_19radix_merge_compareILb0ELb0EiNS0_19identity_decomposerEEEEE10hipError_tT0_T1_T2_jT3_P12ihipStream_tbPNSt15iterator_traitsISI_E10value_typeEPNSO_ISJ_E10value_typeEPSK_NS1_7vsmem_tEENKUlT_SI_SJ_SK_E_clISD_PiSD_S10_EESH_SX_SI_SJ_SK_EUlSX_E0_NS1_11comp_targetILNS1_3genE9ELNS1_11target_archE1100ELNS1_3gpuE3ELNS1_3repE0EEENS1_38merge_mergepath_config_static_selectorELNS0_4arch9wavefront6targetE0EEEvSJ_.numbered_sgpr, 0
	.set _ZN7rocprim17ROCPRIM_400000_NS6detail17trampoline_kernelINS0_14default_configENS1_38merge_sort_block_merge_config_selectorIiiEEZZNS1_27merge_sort_block_merge_implIS3_N6thrust23THRUST_200600_302600_NS6detail15normal_iteratorINS8_10device_ptrIiEEEESD_jNS1_19radix_merge_compareILb0ELb0EiNS0_19identity_decomposerEEEEE10hipError_tT0_T1_T2_jT3_P12ihipStream_tbPNSt15iterator_traitsISI_E10value_typeEPNSO_ISJ_E10value_typeEPSK_NS1_7vsmem_tEENKUlT_SI_SJ_SK_E_clISD_PiSD_S10_EESH_SX_SI_SJ_SK_EUlSX_E0_NS1_11comp_targetILNS1_3genE9ELNS1_11target_archE1100ELNS1_3gpuE3ELNS1_3repE0EEENS1_38merge_mergepath_config_static_selectorELNS0_4arch9wavefront6targetE0EEEvSJ_.num_named_barrier, 0
	.set _ZN7rocprim17ROCPRIM_400000_NS6detail17trampoline_kernelINS0_14default_configENS1_38merge_sort_block_merge_config_selectorIiiEEZZNS1_27merge_sort_block_merge_implIS3_N6thrust23THRUST_200600_302600_NS6detail15normal_iteratorINS8_10device_ptrIiEEEESD_jNS1_19radix_merge_compareILb0ELb0EiNS0_19identity_decomposerEEEEE10hipError_tT0_T1_T2_jT3_P12ihipStream_tbPNSt15iterator_traitsISI_E10value_typeEPNSO_ISJ_E10value_typeEPSK_NS1_7vsmem_tEENKUlT_SI_SJ_SK_E_clISD_PiSD_S10_EESH_SX_SI_SJ_SK_EUlSX_E0_NS1_11comp_targetILNS1_3genE9ELNS1_11target_archE1100ELNS1_3gpuE3ELNS1_3repE0EEENS1_38merge_mergepath_config_static_selectorELNS0_4arch9wavefront6targetE0EEEvSJ_.private_seg_size, 0
	.set _ZN7rocprim17ROCPRIM_400000_NS6detail17trampoline_kernelINS0_14default_configENS1_38merge_sort_block_merge_config_selectorIiiEEZZNS1_27merge_sort_block_merge_implIS3_N6thrust23THRUST_200600_302600_NS6detail15normal_iteratorINS8_10device_ptrIiEEEESD_jNS1_19radix_merge_compareILb0ELb0EiNS0_19identity_decomposerEEEEE10hipError_tT0_T1_T2_jT3_P12ihipStream_tbPNSt15iterator_traitsISI_E10value_typeEPNSO_ISJ_E10value_typeEPSK_NS1_7vsmem_tEENKUlT_SI_SJ_SK_E_clISD_PiSD_S10_EESH_SX_SI_SJ_SK_EUlSX_E0_NS1_11comp_targetILNS1_3genE9ELNS1_11target_archE1100ELNS1_3gpuE3ELNS1_3repE0EEENS1_38merge_mergepath_config_static_selectorELNS0_4arch9wavefront6targetE0EEEvSJ_.uses_vcc, 0
	.set _ZN7rocprim17ROCPRIM_400000_NS6detail17trampoline_kernelINS0_14default_configENS1_38merge_sort_block_merge_config_selectorIiiEEZZNS1_27merge_sort_block_merge_implIS3_N6thrust23THRUST_200600_302600_NS6detail15normal_iteratorINS8_10device_ptrIiEEEESD_jNS1_19radix_merge_compareILb0ELb0EiNS0_19identity_decomposerEEEEE10hipError_tT0_T1_T2_jT3_P12ihipStream_tbPNSt15iterator_traitsISI_E10value_typeEPNSO_ISJ_E10value_typeEPSK_NS1_7vsmem_tEENKUlT_SI_SJ_SK_E_clISD_PiSD_S10_EESH_SX_SI_SJ_SK_EUlSX_E0_NS1_11comp_targetILNS1_3genE9ELNS1_11target_archE1100ELNS1_3gpuE3ELNS1_3repE0EEENS1_38merge_mergepath_config_static_selectorELNS0_4arch9wavefront6targetE0EEEvSJ_.uses_flat_scratch, 0
	.set _ZN7rocprim17ROCPRIM_400000_NS6detail17trampoline_kernelINS0_14default_configENS1_38merge_sort_block_merge_config_selectorIiiEEZZNS1_27merge_sort_block_merge_implIS3_N6thrust23THRUST_200600_302600_NS6detail15normal_iteratorINS8_10device_ptrIiEEEESD_jNS1_19radix_merge_compareILb0ELb0EiNS0_19identity_decomposerEEEEE10hipError_tT0_T1_T2_jT3_P12ihipStream_tbPNSt15iterator_traitsISI_E10value_typeEPNSO_ISJ_E10value_typeEPSK_NS1_7vsmem_tEENKUlT_SI_SJ_SK_E_clISD_PiSD_S10_EESH_SX_SI_SJ_SK_EUlSX_E0_NS1_11comp_targetILNS1_3genE9ELNS1_11target_archE1100ELNS1_3gpuE3ELNS1_3repE0EEENS1_38merge_mergepath_config_static_selectorELNS0_4arch9wavefront6targetE0EEEvSJ_.has_dyn_sized_stack, 0
	.set _ZN7rocprim17ROCPRIM_400000_NS6detail17trampoline_kernelINS0_14default_configENS1_38merge_sort_block_merge_config_selectorIiiEEZZNS1_27merge_sort_block_merge_implIS3_N6thrust23THRUST_200600_302600_NS6detail15normal_iteratorINS8_10device_ptrIiEEEESD_jNS1_19radix_merge_compareILb0ELb0EiNS0_19identity_decomposerEEEEE10hipError_tT0_T1_T2_jT3_P12ihipStream_tbPNSt15iterator_traitsISI_E10value_typeEPNSO_ISJ_E10value_typeEPSK_NS1_7vsmem_tEENKUlT_SI_SJ_SK_E_clISD_PiSD_S10_EESH_SX_SI_SJ_SK_EUlSX_E0_NS1_11comp_targetILNS1_3genE9ELNS1_11target_archE1100ELNS1_3gpuE3ELNS1_3repE0EEENS1_38merge_mergepath_config_static_selectorELNS0_4arch9wavefront6targetE0EEEvSJ_.has_recursion, 0
	.set _ZN7rocprim17ROCPRIM_400000_NS6detail17trampoline_kernelINS0_14default_configENS1_38merge_sort_block_merge_config_selectorIiiEEZZNS1_27merge_sort_block_merge_implIS3_N6thrust23THRUST_200600_302600_NS6detail15normal_iteratorINS8_10device_ptrIiEEEESD_jNS1_19radix_merge_compareILb0ELb0EiNS0_19identity_decomposerEEEEE10hipError_tT0_T1_T2_jT3_P12ihipStream_tbPNSt15iterator_traitsISI_E10value_typeEPNSO_ISJ_E10value_typeEPSK_NS1_7vsmem_tEENKUlT_SI_SJ_SK_E_clISD_PiSD_S10_EESH_SX_SI_SJ_SK_EUlSX_E0_NS1_11comp_targetILNS1_3genE9ELNS1_11target_archE1100ELNS1_3gpuE3ELNS1_3repE0EEENS1_38merge_mergepath_config_static_selectorELNS0_4arch9wavefront6targetE0EEEvSJ_.has_indirect_call, 0
	.section	.AMDGPU.csdata,"",@progbits
; Kernel info:
; codeLenInByte = 0
; TotalNumSgprs: 0
; NumVgprs: 0
; ScratchSize: 0
; MemoryBound: 0
; FloatMode: 240
; IeeeMode: 1
; LDSByteSize: 0 bytes/workgroup (compile time only)
; SGPRBlocks: 0
; VGPRBlocks: 0
; NumSGPRsForWavesPerEU: 1
; NumVGPRsForWavesPerEU: 1
; Occupancy: 16
; WaveLimiterHint : 0
; COMPUTE_PGM_RSRC2:SCRATCH_EN: 0
; COMPUTE_PGM_RSRC2:USER_SGPR: 6
; COMPUTE_PGM_RSRC2:TRAP_HANDLER: 0
; COMPUTE_PGM_RSRC2:TGID_X_EN: 1
; COMPUTE_PGM_RSRC2:TGID_Y_EN: 0
; COMPUTE_PGM_RSRC2:TGID_Z_EN: 0
; COMPUTE_PGM_RSRC2:TIDIG_COMP_CNT: 0
	.section	.text._ZN7rocprim17ROCPRIM_400000_NS6detail17trampoline_kernelINS0_14default_configENS1_38merge_sort_block_merge_config_selectorIiiEEZZNS1_27merge_sort_block_merge_implIS3_N6thrust23THRUST_200600_302600_NS6detail15normal_iteratorINS8_10device_ptrIiEEEESD_jNS1_19radix_merge_compareILb0ELb0EiNS0_19identity_decomposerEEEEE10hipError_tT0_T1_T2_jT3_P12ihipStream_tbPNSt15iterator_traitsISI_E10value_typeEPNSO_ISJ_E10value_typeEPSK_NS1_7vsmem_tEENKUlT_SI_SJ_SK_E_clISD_PiSD_S10_EESH_SX_SI_SJ_SK_EUlSX_E0_NS1_11comp_targetILNS1_3genE8ELNS1_11target_archE1030ELNS1_3gpuE2ELNS1_3repE0EEENS1_38merge_mergepath_config_static_selectorELNS0_4arch9wavefront6targetE0EEEvSJ_,"axG",@progbits,_ZN7rocprim17ROCPRIM_400000_NS6detail17trampoline_kernelINS0_14default_configENS1_38merge_sort_block_merge_config_selectorIiiEEZZNS1_27merge_sort_block_merge_implIS3_N6thrust23THRUST_200600_302600_NS6detail15normal_iteratorINS8_10device_ptrIiEEEESD_jNS1_19radix_merge_compareILb0ELb0EiNS0_19identity_decomposerEEEEE10hipError_tT0_T1_T2_jT3_P12ihipStream_tbPNSt15iterator_traitsISI_E10value_typeEPNSO_ISJ_E10value_typeEPSK_NS1_7vsmem_tEENKUlT_SI_SJ_SK_E_clISD_PiSD_S10_EESH_SX_SI_SJ_SK_EUlSX_E0_NS1_11comp_targetILNS1_3genE8ELNS1_11target_archE1030ELNS1_3gpuE2ELNS1_3repE0EEENS1_38merge_mergepath_config_static_selectorELNS0_4arch9wavefront6targetE0EEEvSJ_,comdat
	.protected	_ZN7rocprim17ROCPRIM_400000_NS6detail17trampoline_kernelINS0_14default_configENS1_38merge_sort_block_merge_config_selectorIiiEEZZNS1_27merge_sort_block_merge_implIS3_N6thrust23THRUST_200600_302600_NS6detail15normal_iteratorINS8_10device_ptrIiEEEESD_jNS1_19radix_merge_compareILb0ELb0EiNS0_19identity_decomposerEEEEE10hipError_tT0_T1_T2_jT3_P12ihipStream_tbPNSt15iterator_traitsISI_E10value_typeEPNSO_ISJ_E10value_typeEPSK_NS1_7vsmem_tEENKUlT_SI_SJ_SK_E_clISD_PiSD_S10_EESH_SX_SI_SJ_SK_EUlSX_E0_NS1_11comp_targetILNS1_3genE8ELNS1_11target_archE1030ELNS1_3gpuE2ELNS1_3repE0EEENS1_38merge_mergepath_config_static_selectorELNS0_4arch9wavefront6targetE0EEEvSJ_ ; -- Begin function _ZN7rocprim17ROCPRIM_400000_NS6detail17trampoline_kernelINS0_14default_configENS1_38merge_sort_block_merge_config_selectorIiiEEZZNS1_27merge_sort_block_merge_implIS3_N6thrust23THRUST_200600_302600_NS6detail15normal_iteratorINS8_10device_ptrIiEEEESD_jNS1_19radix_merge_compareILb0ELb0EiNS0_19identity_decomposerEEEEE10hipError_tT0_T1_T2_jT3_P12ihipStream_tbPNSt15iterator_traitsISI_E10value_typeEPNSO_ISJ_E10value_typeEPSK_NS1_7vsmem_tEENKUlT_SI_SJ_SK_E_clISD_PiSD_S10_EESH_SX_SI_SJ_SK_EUlSX_E0_NS1_11comp_targetILNS1_3genE8ELNS1_11target_archE1030ELNS1_3gpuE2ELNS1_3repE0EEENS1_38merge_mergepath_config_static_selectorELNS0_4arch9wavefront6targetE0EEEvSJ_
	.globl	_ZN7rocprim17ROCPRIM_400000_NS6detail17trampoline_kernelINS0_14default_configENS1_38merge_sort_block_merge_config_selectorIiiEEZZNS1_27merge_sort_block_merge_implIS3_N6thrust23THRUST_200600_302600_NS6detail15normal_iteratorINS8_10device_ptrIiEEEESD_jNS1_19radix_merge_compareILb0ELb0EiNS0_19identity_decomposerEEEEE10hipError_tT0_T1_T2_jT3_P12ihipStream_tbPNSt15iterator_traitsISI_E10value_typeEPNSO_ISJ_E10value_typeEPSK_NS1_7vsmem_tEENKUlT_SI_SJ_SK_E_clISD_PiSD_S10_EESH_SX_SI_SJ_SK_EUlSX_E0_NS1_11comp_targetILNS1_3genE8ELNS1_11target_archE1030ELNS1_3gpuE2ELNS1_3repE0EEENS1_38merge_mergepath_config_static_selectorELNS0_4arch9wavefront6targetE0EEEvSJ_
	.p2align	8
	.type	_ZN7rocprim17ROCPRIM_400000_NS6detail17trampoline_kernelINS0_14default_configENS1_38merge_sort_block_merge_config_selectorIiiEEZZNS1_27merge_sort_block_merge_implIS3_N6thrust23THRUST_200600_302600_NS6detail15normal_iteratorINS8_10device_ptrIiEEEESD_jNS1_19radix_merge_compareILb0ELb0EiNS0_19identity_decomposerEEEEE10hipError_tT0_T1_T2_jT3_P12ihipStream_tbPNSt15iterator_traitsISI_E10value_typeEPNSO_ISJ_E10value_typeEPSK_NS1_7vsmem_tEENKUlT_SI_SJ_SK_E_clISD_PiSD_S10_EESH_SX_SI_SJ_SK_EUlSX_E0_NS1_11comp_targetILNS1_3genE8ELNS1_11target_archE1030ELNS1_3gpuE2ELNS1_3repE0EEENS1_38merge_mergepath_config_static_selectorELNS0_4arch9wavefront6targetE0EEEvSJ_,@function
_ZN7rocprim17ROCPRIM_400000_NS6detail17trampoline_kernelINS0_14default_configENS1_38merge_sort_block_merge_config_selectorIiiEEZZNS1_27merge_sort_block_merge_implIS3_N6thrust23THRUST_200600_302600_NS6detail15normal_iteratorINS8_10device_ptrIiEEEESD_jNS1_19radix_merge_compareILb0ELb0EiNS0_19identity_decomposerEEEEE10hipError_tT0_T1_T2_jT3_P12ihipStream_tbPNSt15iterator_traitsISI_E10value_typeEPNSO_ISJ_E10value_typeEPSK_NS1_7vsmem_tEENKUlT_SI_SJ_SK_E_clISD_PiSD_S10_EESH_SX_SI_SJ_SK_EUlSX_E0_NS1_11comp_targetILNS1_3genE8ELNS1_11target_archE1030ELNS1_3gpuE2ELNS1_3repE0EEENS1_38merge_mergepath_config_static_selectorELNS0_4arch9wavefront6targetE0EEEvSJ_: ; @_ZN7rocprim17ROCPRIM_400000_NS6detail17trampoline_kernelINS0_14default_configENS1_38merge_sort_block_merge_config_selectorIiiEEZZNS1_27merge_sort_block_merge_implIS3_N6thrust23THRUST_200600_302600_NS6detail15normal_iteratorINS8_10device_ptrIiEEEESD_jNS1_19radix_merge_compareILb0ELb0EiNS0_19identity_decomposerEEEEE10hipError_tT0_T1_T2_jT3_P12ihipStream_tbPNSt15iterator_traitsISI_E10value_typeEPNSO_ISJ_E10value_typeEPSK_NS1_7vsmem_tEENKUlT_SI_SJ_SK_E_clISD_PiSD_S10_EESH_SX_SI_SJ_SK_EUlSX_E0_NS1_11comp_targetILNS1_3genE8ELNS1_11target_archE1030ELNS1_3gpuE2ELNS1_3repE0EEENS1_38merge_mergepath_config_static_selectorELNS0_4arch9wavefront6targetE0EEEvSJ_
; %bb.0:
	s_clause 0x1
	s_load_dwordx2 s[0:1], s[4:5], 0x40
	s_load_dword s2, s[4:5], 0x30
	s_waitcnt lgkmcnt(0)
	s_mul_i32 s1, s1, s8
	s_add_i32 s1, s1, s7
	s_mul_i32 s0, s1, s0
	s_add_i32 s0, s0, s6
	s_cmp_ge_u32 s0, s2
	s_cbranch_scc1 .LBB747_34
; %bb.1:
	s_clause 0x1
	s_load_dwordx8 s[8:15], s[4:5], 0x10
	s_load_dwordx2 s[2:3], s[4:5], 0x38
	s_mov_b32 s1, 0
	s_load_dwordx2 s[22:23], s[4:5], 0x8
	s_mov_b32 s17, s1
	v_lshlrev_b32_e32 v3, 2, v0
                                        ; implicit-def: $vgpr1_vgpr2
	s_waitcnt lgkmcnt(0)
	s_lshr_b32 s24, s14, 10
	s_cmp_lg_u32 s0, s24
	s_cselect_b32 s18, -1, 0
	s_lshl_b64 s[6:7], s[0:1], 2
	s_add_u32 s2, s2, s6
	s_addc_u32 s3, s3, s7
	s_load_dwordx2 s[6:7], s[2:3], 0x0
	s_lshr_b32 s2, s15, 9
	s_and_b32 s2, s2, 0x7ffffe
	s_sub_i32 s3, 0, s2
	s_lshl_b32 s2, s0, 10
	s_and_b32 s4, s0, s3
	s_or_b32 s3, s0, s3
	s_lshl_b32 s5, s4, 11
	s_lshl_b32 s4, s4, 10
	s_add_i32 s5, s5, s15
	s_sub_i32 s16, s2, s4
	s_sub_i32 s4, s5, s4
	s_add_i32 s5, s5, s16
	s_min_u32 s19, s14, s4
	s_add_i32 s4, s4, s15
	s_waitcnt lgkmcnt(0)
	s_sub_i32 s15, s5, s6
	s_sub_i32 s5, s5, s7
	s_min_u32 s16, s14, s15
	s_addk_i32 s5, 0x400
	s_cmp_eq_u32 s3, -1
	s_cselect_b32 s19, s19, s7
	s_mov_b32 s7, s1
	s_cselect_b32 s3, s4, s5
	s_lshl_b64 s[4:5], s[6:7], 2
	s_min_u32 s15, s3, s14
	s_sub_i32 s3, s19, s6
	s_add_u32 s20, s22, s4
	s_addc_u32 s21, s23, s5
	s_lshl_b64 s[6:7], s[16:17], 2
	s_add_u32 s17, s22, s6
	s_addc_u32 s19, s23, s7
	s_cmp_eq_u32 s0, s24
	s_mov_b32 s0, -1
	s_cbranch_scc0 .LBB747_7
; %bb.2:
	s_andn2_b32 vcc_lo, exec_lo, s0
	s_sub_i32 s15, s15, s16
	s_cbranch_vccz .LBB747_8
.LBB747_3:
                                        ; implicit-def: $vgpr4
	s_and_saveexec_b32 s0, s1
	s_cbranch_execz .LBB747_5
.LBB747_4:
	global_load_dword v4, v[1:2], off
.LBB747_5:
	s_or_b32 exec_lo, exec_lo, s0
	v_mov_b32_e32 v2, 0
	s_add_u32 s16, s10, s4
	s_addc_u32 s17, s11, s5
	s_add_u32 s5, s10, s6
	s_addc_u32 s6, s11, s7
	s_andn2_b32 vcc_lo, exec_lo, s18
	s_waitcnt vmcnt(0)
	ds_write_b32 v3, v4
	s_cbranch_vccnz .LBB747_11
; %bb.6:
	v_sub_co_u32 v1, vcc_lo, v0, s3
	v_add_co_u32 v5, s0, s16, v3
	v_add_co_ci_u32_e64 v6, null, s17, 0, s0
	v_lshlrev_b64 v[1:2], 2, v[1:2]
	s_add_i32 s1, s15, s3
	s_mov_b32 s4, -1
	v_add_co_u32 v1, s0, s5, v1
	v_add_co_ci_u32_e64 v2, null, s6, v2, s0
	v_cndmask_b32_e32 v1, v1, v5, vcc_lo
	v_cndmask_b32_e32 v2, v2, v6, vcc_lo
	s_cbranch_execz .LBB747_12
	s_branch .LBB747_15
.LBB747_7:
	v_sub_co_u32 v1, vcc_lo, v0, s3
	v_mov_b32_e32 v2, 0
	v_add_co_u32 v4, s0, s20, v3
	v_add_co_ci_u32_e64 v5, null, s21, 0, s0
	v_lshlrev_b64 v[1:2], 2, v[1:2]
	s_mov_b32 s1, -1
	v_add_co_u32 v1, s0, s17, v1
	v_add_co_ci_u32_e64 v2, null, s19, v2, s0
	v_cndmask_b32_e32 v1, v1, v4, vcc_lo
	v_cndmask_b32_e32 v2, v2, v5, vcc_lo
	s_sub_i32 s15, s15, s16
	s_cbranch_execnz .LBB747_3
.LBB747_8:
	s_add_i32 s0, s15, s3
	s_mov_b32 s16, exec_lo
                                        ; implicit-def: $vgpr1_vgpr2
	v_cmpx_gt_u32_e64 s0, v0
	s_cbranch_execz .LBB747_10
; %bb.9:
	v_sub_co_u32 v1, vcc_lo, v0, s3
	v_mov_b32_e32 v2, 0
	v_add_co_u32 v4, s0, s20, v3
	v_add_co_ci_u32_e64 v5, null, s21, 0, s0
	v_lshlrev_b64 v[1:2], 2, v[1:2]
	s_or_b32 s1, s1, exec_lo
	v_add_co_u32 v1, s0, s17, v1
	v_add_co_ci_u32_e64 v2, null, s19, v2, s0
	v_cndmask_b32_e32 v1, v1, v4, vcc_lo
	v_cndmask_b32_e32 v2, v2, v5, vcc_lo
.LBB747_10:
	s_or_b32 exec_lo, exec_lo, s16
                                        ; implicit-def: $vgpr4
	s_and_saveexec_b32 s0, s1
	s_cbranch_execnz .LBB747_4
	s_branch .LBB747_5
.LBB747_11:
	s_mov_b32 s4, 0
                                        ; implicit-def: $vgpr1_vgpr2
                                        ; implicit-def: $sgpr1
.LBB747_12:
	s_add_i32 s1, s15, s3
	s_mov_b32 s7, exec_lo
                                        ; implicit-def: $vgpr1_vgpr2
	v_cmpx_gt_u32_e64 s1, v0
	s_cbranch_execz .LBB747_14
; %bb.13:
	v_sub_co_u32 v1, vcc_lo, v0, s3
	v_mov_b32_e32 v2, 0
	v_add_co_u32 v5, s0, s16, v3
	v_add_co_ci_u32_e64 v6, null, s17, 0, s0
	v_lshlrev_b64 v[1:2], 2, v[1:2]
	s_or_b32 s4, s4, exec_lo
	v_add_co_u32 v1, s0, s5, v1
	v_add_co_ci_u32_e64 v2, null, s6, v2, s0
	v_cndmask_b32_e32 v1, v1, v5, vcc_lo
	v_cndmask_b32_e32 v2, v2, v6, vcc_lo
.LBB747_14:
	s_or_b32 exec_lo, exec_lo, s7
.LBB747_15:
	v_mov_b32_e32 v6, s1
                                        ; implicit-def: $vgpr5
	s_and_saveexec_b32 s0, s4
	s_cbranch_execz .LBB747_17
; %bb.16:
	global_load_dword v5, v[1:2], off
	v_mov_b32_e32 v6, s1
.LBB747_17:
	s_or_b32 exec_lo, exec_lo, s0
	v_min_u32_e32 v2, v6, v0
	s_mov_b32 s0, exec_lo
	s_waitcnt vmcnt(0) lgkmcnt(0)
	s_barrier
	buffer_gl0_inv
	v_sub_nc_u32_e64 v1, v2, s15 clamp
	v_min_u32_e32 v7, s3, v2
	v_cmpx_lt_u32_e64 v1, v7
	s_cbranch_execz .LBB747_21
; %bb.18:
	v_lshlrev_b32_e32 v8, 2, v2
	s_mov_b32 s1, 0
	v_lshl_add_u32 v8, s3, 2, v8
	.p2align	6
.LBB747_19:                             ; =>This Inner Loop Header: Depth=1
	v_add_nc_u32_e32 v9, v7, v1
	v_lshrrev_b32_e32 v9, 1, v9
	v_not_b32_e32 v10, v9
	v_lshlrev_b32_e32 v11, 2, v9
	v_add_nc_u32_e32 v12, 1, v9
	v_lshl_add_u32 v10, v10, 2, v8
	ds_read_b32 v11, v11
	ds_read_b32 v10, v10
	s_waitcnt lgkmcnt(0)
	v_cmp_gt_i32_e32 vcc_lo, v11, v10
	v_cndmask_b32_e32 v7, v7, v9, vcc_lo
	v_cndmask_b32_e32 v1, v12, v1, vcc_lo
	v_cmp_ge_u32_e32 vcc_lo, v1, v7
	s_or_b32 s1, vcc_lo, s1
	s_andn2_b32 exec_lo, exec_lo, s1
	s_cbranch_execnz .LBB747_19
; %bb.20:
	s_or_b32 exec_lo, exec_lo, s1
.LBB747_21:
	s_or_b32 exec_lo, exec_lo, s0
	v_sub_nc_u32_e32 v2, v2, v1
	v_cmp_ge_u32_e32 vcc_lo, s3, v1
	v_mov_b32_e32 v7, 0
	v_add_nc_u32_e32 v2, s3, v2
	v_cmp_le_u32_e64 s0, v2, v6
	s_or_b32 s0, vcc_lo, s0
	s_and_saveexec_b32 s4, s0
	s_cbranch_execz .LBB747_27
; %bb.22:
	v_cmp_gt_u32_e32 vcc_lo, s3, v1
                                        ; implicit-def: $vgpr4
	s_and_saveexec_b32 s0, vcc_lo
; %bb.23:
	v_lshlrev_b32_e32 v4, 2, v1
	ds_read_b32 v4, v4
; %bb.24:
	s_or_b32 exec_lo, exec_lo, s0
	v_cmp_ge_u32_e64 s0, v2, v6
	v_cmp_lt_u32_e64 s1, v2, v6
                                        ; implicit-def: $vgpr6
	s_and_saveexec_b32 s3, s1
; %bb.25:
	v_lshlrev_b32_e32 v6, 2, v2
	ds_read_b32 v6, v6
; %bb.26:
	s_or_b32 exec_lo, exec_lo, s3
	s_waitcnt lgkmcnt(0)
	v_cmp_le_i32_e64 s1, v4, v6
	s_and_b32 s1, vcc_lo, s1
	s_or_b32 vcc_lo, s0, s1
	v_cndmask_b32_e32 v7, v2, v1, vcc_lo
	v_cndmask_b32_e32 v4, v6, v4, vcc_lo
.LBB747_27:
	s_or_b32 exec_lo, exec_lo, s4
	v_lshlrev_b32_e32 v1, 2, v7
	s_barrier
	buffer_gl0_inv
	ds_write_b32 v3, v5
	s_waitcnt lgkmcnt(0)
	s_barrier
	buffer_gl0_inv
	ds_read_b32 v1, v1
	s_mov_b32 s3, 0
	s_and_b32 vcc_lo, exec_lo, s18
	s_mov_b32 s0, -1
	s_waitcnt lgkmcnt(0)
	s_barrier
	buffer_gl0_inv
	s_barrier
	buffer_gl0_inv
	ds_write_b32 v3, v4
	s_waitcnt lgkmcnt(0)
	s_cbranch_vccz .LBB747_29
; %bb.28:
	s_barrier
	buffer_gl0_inv
	ds_read_b32 v2, v3
	s_lshl_b64 s[0:1], s[2:3], 2
	s_add_u32 s4, s8, s0
	s_addc_u32 s5, s9, s1
	s_waitcnt lgkmcnt(0)
	global_store_dword v3, v2, s[4:5]
	s_waitcnt_vscnt null, 0x0
	s_barrier
	buffer_gl0_inv
	ds_write_b32 v3, v1
	s_waitcnt lgkmcnt(0)
	s_barrier
	buffer_gl0_inv
	ds_read_b32 v2, v3
	s_add_u32 s4, s12, s0
	s_addc_u32 s5, s13, s1
	s_mov_b32 s0, s3
	s_waitcnt lgkmcnt(0)
	global_store_dword v3, v2, s[4:5]
.LBB747_29:
	s_andn2_b32 vcc_lo, exec_lo, s0
	s_cbranch_vccnz .LBB747_34
; %bb.30:
	s_sub_i32 s0, s14, s2
	s_barrier
	v_cmp_gt_u32_e32 vcc_lo, s0, v0
	s_waitcnt_vscnt null, 0x0
	buffer_gl0_inv
	s_and_saveexec_b32 s0, vcc_lo
	s_cbranch_execz .LBB747_32
; %bb.31:
	ds_read_b32 v0, v3
	s_lshl_b64 s[4:5], s[2:3], 2
	s_add_u32 s4, s8, s4
	s_addc_u32 s5, s9, s5
	s_waitcnt lgkmcnt(0)
	global_store_dword v3, v0, s[4:5]
.LBB747_32:
	s_or_b32 exec_lo, exec_lo, s0
	s_waitcnt_vscnt null, 0x0
	s_barrier
	buffer_gl0_inv
	ds_write_b32 v3, v1
	s_waitcnt lgkmcnt(0)
	s_barrier
	buffer_gl0_inv
	s_and_saveexec_b32 s0, vcc_lo
	s_cbranch_execz .LBB747_34
; %bb.33:
	ds_read_b32 v0, v3
	s_lshl_b64 s[0:1], s[2:3], 2
	s_add_u32 s0, s12, s0
	s_addc_u32 s1, s13, s1
	s_waitcnt lgkmcnt(0)
	global_store_dword v3, v0, s[0:1]
.LBB747_34:
	s_endpgm
	.section	.rodata,"a",@progbits
	.p2align	6, 0x0
	.amdhsa_kernel _ZN7rocprim17ROCPRIM_400000_NS6detail17trampoline_kernelINS0_14default_configENS1_38merge_sort_block_merge_config_selectorIiiEEZZNS1_27merge_sort_block_merge_implIS3_N6thrust23THRUST_200600_302600_NS6detail15normal_iteratorINS8_10device_ptrIiEEEESD_jNS1_19radix_merge_compareILb0ELb0EiNS0_19identity_decomposerEEEEE10hipError_tT0_T1_T2_jT3_P12ihipStream_tbPNSt15iterator_traitsISI_E10value_typeEPNSO_ISJ_E10value_typeEPSK_NS1_7vsmem_tEENKUlT_SI_SJ_SK_E_clISD_PiSD_S10_EESH_SX_SI_SJ_SK_EUlSX_E0_NS1_11comp_targetILNS1_3genE8ELNS1_11target_archE1030ELNS1_3gpuE2ELNS1_3repE0EEENS1_38merge_mergepath_config_static_selectorELNS0_4arch9wavefront6targetE0EEEvSJ_
		.amdhsa_group_segment_fixed_size 4112
		.amdhsa_private_segment_fixed_size 0
		.amdhsa_kernarg_size 320
		.amdhsa_user_sgpr_count 6
		.amdhsa_user_sgpr_private_segment_buffer 1
		.amdhsa_user_sgpr_dispatch_ptr 0
		.amdhsa_user_sgpr_queue_ptr 0
		.amdhsa_user_sgpr_kernarg_segment_ptr 1
		.amdhsa_user_sgpr_dispatch_id 0
		.amdhsa_user_sgpr_flat_scratch_init 0
		.amdhsa_user_sgpr_private_segment_size 0
		.amdhsa_wavefront_size32 1
		.amdhsa_uses_dynamic_stack 0
		.amdhsa_system_sgpr_private_segment_wavefront_offset 0
		.amdhsa_system_sgpr_workgroup_id_x 1
		.amdhsa_system_sgpr_workgroup_id_y 1
		.amdhsa_system_sgpr_workgroup_id_z 1
		.amdhsa_system_sgpr_workgroup_info 0
		.amdhsa_system_vgpr_workitem_id 0
		.amdhsa_next_free_vgpr 13
		.amdhsa_next_free_sgpr 25
		.amdhsa_reserve_vcc 1
		.amdhsa_reserve_flat_scratch 0
		.amdhsa_float_round_mode_32 0
		.amdhsa_float_round_mode_16_64 0
		.amdhsa_float_denorm_mode_32 3
		.amdhsa_float_denorm_mode_16_64 3
		.amdhsa_dx10_clamp 1
		.amdhsa_ieee_mode 1
		.amdhsa_fp16_overflow 0
		.amdhsa_workgroup_processor_mode 1
		.amdhsa_memory_ordered 1
		.amdhsa_forward_progress 1
		.amdhsa_shared_vgpr_count 0
		.amdhsa_exception_fp_ieee_invalid_op 0
		.amdhsa_exception_fp_denorm_src 0
		.amdhsa_exception_fp_ieee_div_zero 0
		.amdhsa_exception_fp_ieee_overflow 0
		.amdhsa_exception_fp_ieee_underflow 0
		.amdhsa_exception_fp_ieee_inexact 0
		.amdhsa_exception_int_div_zero 0
	.end_amdhsa_kernel
	.section	.text._ZN7rocprim17ROCPRIM_400000_NS6detail17trampoline_kernelINS0_14default_configENS1_38merge_sort_block_merge_config_selectorIiiEEZZNS1_27merge_sort_block_merge_implIS3_N6thrust23THRUST_200600_302600_NS6detail15normal_iteratorINS8_10device_ptrIiEEEESD_jNS1_19radix_merge_compareILb0ELb0EiNS0_19identity_decomposerEEEEE10hipError_tT0_T1_T2_jT3_P12ihipStream_tbPNSt15iterator_traitsISI_E10value_typeEPNSO_ISJ_E10value_typeEPSK_NS1_7vsmem_tEENKUlT_SI_SJ_SK_E_clISD_PiSD_S10_EESH_SX_SI_SJ_SK_EUlSX_E0_NS1_11comp_targetILNS1_3genE8ELNS1_11target_archE1030ELNS1_3gpuE2ELNS1_3repE0EEENS1_38merge_mergepath_config_static_selectorELNS0_4arch9wavefront6targetE0EEEvSJ_,"axG",@progbits,_ZN7rocprim17ROCPRIM_400000_NS6detail17trampoline_kernelINS0_14default_configENS1_38merge_sort_block_merge_config_selectorIiiEEZZNS1_27merge_sort_block_merge_implIS3_N6thrust23THRUST_200600_302600_NS6detail15normal_iteratorINS8_10device_ptrIiEEEESD_jNS1_19radix_merge_compareILb0ELb0EiNS0_19identity_decomposerEEEEE10hipError_tT0_T1_T2_jT3_P12ihipStream_tbPNSt15iterator_traitsISI_E10value_typeEPNSO_ISJ_E10value_typeEPSK_NS1_7vsmem_tEENKUlT_SI_SJ_SK_E_clISD_PiSD_S10_EESH_SX_SI_SJ_SK_EUlSX_E0_NS1_11comp_targetILNS1_3genE8ELNS1_11target_archE1030ELNS1_3gpuE2ELNS1_3repE0EEENS1_38merge_mergepath_config_static_selectorELNS0_4arch9wavefront6targetE0EEEvSJ_,comdat
.Lfunc_end747:
	.size	_ZN7rocprim17ROCPRIM_400000_NS6detail17trampoline_kernelINS0_14default_configENS1_38merge_sort_block_merge_config_selectorIiiEEZZNS1_27merge_sort_block_merge_implIS3_N6thrust23THRUST_200600_302600_NS6detail15normal_iteratorINS8_10device_ptrIiEEEESD_jNS1_19radix_merge_compareILb0ELb0EiNS0_19identity_decomposerEEEEE10hipError_tT0_T1_T2_jT3_P12ihipStream_tbPNSt15iterator_traitsISI_E10value_typeEPNSO_ISJ_E10value_typeEPSK_NS1_7vsmem_tEENKUlT_SI_SJ_SK_E_clISD_PiSD_S10_EESH_SX_SI_SJ_SK_EUlSX_E0_NS1_11comp_targetILNS1_3genE8ELNS1_11target_archE1030ELNS1_3gpuE2ELNS1_3repE0EEENS1_38merge_mergepath_config_static_selectorELNS0_4arch9wavefront6targetE0EEEvSJ_, .Lfunc_end747-_ZN7rocprim17ROCPRIM_400000_NS6detail17trampoline_kernelINS0_14default_configENS1_38merge_sort_block_merge_config_selectorIiiEEZZNS1_27merge_sort_block_merge_implIS3_N6thrust23THRUST_200600_302600_NS6detail15normal_iteratorINS8_10device_ptrIiEEEESD_jNS1_19radix_merge_compareILb0ELb0EiNS0_19identity_decomposerEEEEE10hipError_tT0_T1_T2_jT3_P12ihipStream_tbPNSt15iterator_traitsISI_E10value_typeEPNSO_ISJ_E10value_typeEPSK_NS1_7vsmem_tEENKUlT_SI_SJ_SK_E_clISD_PiSD_S10_EESH_SX_SI_SJ_SK_EUlSX_E0_NS1_11comp_targetILNS1_3genE8ELNS1_11target_archE1030ELNS1_3gpuE2ELNS1_3repE0EEENS1_38merge_mergepath_config_static_selectorELNS0_4arch9wavefront6targetE0EEEvSJ_
                                        ; -- End function
	.set _ZN7rocprim17ROCPRIM_400000_NS6detail17trampoline_kernelINS0_14default_configENS1_38merge_sort_block_merge_config_selectorIiiEEZZNS1_27merge_sort_block_merge_implIS3_N6thrust23THRUST_200600_302600_NS6detail15normal_iteratorINS8_10device_ptrIiEEEESD_jNS1_19radix_merge_compareILb0ELb0EiNS0_19identity_decomposerEEEEE10hipError_tT0_T1_T2_jT3_P12ihipStream_tbPNSt15iterator_traitsISI_E10value_typeEPNSO_ISJ_E10value_typeEPSK_NS1_7vsmem_tEENKUlT_SI_SJ_SK_E_clISD_PiSD_S10_EESH_SX_SI_SJ_SK_EUlSX_E0_NS1_11comp_targetILNS1_3genE8ELNS1_11target_archE1030ELNS1_3gpuE2ELNS1_3repE0EEENS1_38merge_mergepath_config_static_selectorELNS0_4arch9wavefront6targetE0EEEvSJ_.num_vgpr, 13
	.set _ZN7rocprim17ROCPRIM_400000_NS6detail17trampoline_kernelINS0_14default_configENS1_38merge_sort_block_merge_config_selectorIiiEEZZNS1_27merge_sort_block_merge_implIS3_N6thrust23THRUST_200600_302600_NS6detail15normal_iteratorINS8_10device_ptrIiEEEESD_jNS1_19radix_merge_compareILb0ELb0EiNS0_19identity_decomposerEEEEE10hipError_tT0_T1_T2_jT3_P12ihipStream_tbPNSt15iterator_traitsISI_E10value_typeEPNSO_ISJ_E10value_typeEPSK_NS1_7vsmem_tEENKUlT_SI_SJ_SK_E_clISD_PiSD_S10_EESH_SX_SI_SJ_SK_EUlSX_E0_NS1_11comp_targetILNS1_3genE8ELNS1_11target_archE1030ELNS1_3gpuE2ELNS1_3repE0EEENS1_38merge_mergepath_config_static_selectorELNS0_4arch9wavefront6targetE0EEEvSJ_.num_agpr, 0
	.set _ZN7rocprim17ROCPRIM_400000_NS6detail17trampoline_kernelINS0_14default_configENS1_38merge_sort_block_merge_config_selectorIiiEEZZNS1_27merge_sort_block_merge_implIS3_N6thrust23THRUST_200600_302600_NS6detail15normal_iteratorINS8_10device_ptrIiEEEESD_jNS1_19radix_merge_compareILb0ELb0EiNS0_19identity_decomposerEEEEE10hipError_tT0_T1_T2_jT3_P12ihipStream_tbPNSt15iterator_traitsISI_E10value_typeEPNSO_ISJ_E10value_typeEPSK_NS1_7vsmem_tEENKUlT_SI_SJ_SK_E_clISD_PiSD_S10_EESH_SX_SI_SJ_SK_EUlSX_E0_NS1_11comp_targetILNS1_3genE8ELNS1_11target_archE1030ELNS1_3gpuE2ELNS1_3repE0EEENS1_38merge_mergepath_config_static_selectorELNS0_4arch9wavefront6targetE0EEEvSJ_.numbered_sgpr, 25
	.set _ZN7rocprim17ROCPRIM_400000_NS6detail17trampoline_kernelINS0_14default_configENS1_38merge_sort_block_merge_config_selectorIiiEEZZNS1_27merge_sort_block_merge_implIS3_N6thrust23THRUST_200600_302600_NS6detail15normal_iteratorINS8_10device_ptrIiEEEESD_jNS1_19radix_merge_compareILb0ELb0EiNS0_19identity_decomposerEEEEE10hipError_tT0_T1_T2_jT3_P12ihipStream_tbPNSt15iterator_traitsISI_E10value_typeEPNSO_ISJ_E10value_typeEPSK_NS1_7vsmem_tEENKUlT_SI_SJ_SK_E_clISD_PiSD_S10_EESH_SX_SI_SJ_SK_EUlSX_E0_NS1_11comp_targetILNS1_3genE8ELNS1_11target_archE1030ELNS1_3gpuE2ELNS1_3repE0EEENS1_38merge_mergepath_config_static_selectorELNS0_4arch9wavefront6targetE0EEEvSJ_.num_named_barrier, 0
	.set _ZN7rocprim17ROCPRIM_400000_NS6detail17trampoline_kernelINS0_14default_configENS1_38merge_sort_block_merge_config_selectorIiiEEZZNS1_27merge_sort_block_merge_implIS3_N6thrust23THRUST_200600_302600_NS6detail15normal_iteratorINS8_10device_ptrIiEEEESD_jNS1_19radix_merge_compareILb0ELb0EiNS0_19identity_decomposerEEEEE10hipError_tT0_T1_T2_jT3_P12ihipStream_tbPNSt15iterator_traitsISI_E10value_typeEPNSO_ISJ_E10value_typeEPSK_NS1_7vsmem_tEENKUlT_SI_SJ_SK_E_clISD_PiSD_S10_EESH_SX_SI_SJ_SK_EUlSX_E0_NS1_11comp_targetILNS1_3genE8ELNS1_11target_archE1030ELNS1_3gpuE2ELNS1_3repE0EEENS1_38merge_mergepath_config_static_selectorELNS0_4arch9wavefront6targetE0EEEvSJ_.private_seg_size, 0
	.set _ZN7rocprim17ROCPRIM_400000_NS6detail17trampoline_kernelINS0_14default_configENS1_38merge_sort_block_merge_config_selectorIiiEEZZNS1_27merge_sort_block_merge_implIS3_N6thrust23THRUST_200600_302600_NS6detail15normal_iteratorINS8_10device_ptrIiEEEESD_jNS1_19radix_merge_compareILb0ELb0EiNS0_19identity_decomposerEEEEE10hipError_tT0_T1_T2_jT3_P12ihipStream_tbPNSt15iterator_traitsISI_E10value_typeEPNSO_ISJ_E10value_typeEPSK_NS1_7vsmem_tEENKUlT_SI_SJ_SK_E_clISD_PiSD_S10_EESH_SX_SI_SJ_SK_EUlSX_E0_NS1_11comp_targetILNS1_3genE8ELNS1_11target_archE1030ELNS1_3gpuE2ELNS1_3repE0EEENS1_38merge_mergepath_config_static_selectorELNS0_4arch9wavefront6targetE0EEEvSJ_.uses_vcc, 1
	.set _ZN7rocprim17ROCPRIM_400000_NS6detail17trampoline_kernelINS0_14default_configENS1_38merge_sort_block_merge_config_selectorIiiEEZZNS1_27merge_sort_block_merge_implIS3_N6thrust23THRUST_200600_302600_NS6detail15normal_iteratorINS8_10device_ptrIiEEEESD_jNS1_19radix_merge_compareILb0ELb0EiNS0_19identity_decomposerEEEEE10hipError_tT0_T1_T2_jT3_P12ihipStream_tbPNSt15iterator_traitsISI_E10value_typeEPNSO_ISJ_E10value_typeEPSK_NS1_7vsmem_tEENKUlT_SI_SJ_SK_E_clISD_PiSD_S10_EESH_SX_SI_SJ_SK_EUlSX_E0_NS1_11comp_targetILNS1_3genE8ELNS1_11target_archE1030ELNS1_3gpuE2ELNS1_3repE0EEENS1_38merge_mergepath_config_static_selectorELNS0_4arch9wavefront6targetE0EEEvSJ_.uses_flat_scratch, 0
	.set _ZN7rocprim17ROCPRIM_400000_NS6detail17trampoline_kernelINS0_14default_configENS1_38merge_sort_block_merge_config_selectorIiiEEZZNS1_27merge_sort_block_merge_implIS3_N6thrust23THRUST_200600_302600_NS6detail15normal_iteratorINS8_10device_ptrIiEEEESD_jNS1_19radix_merge_compareILb0ELb0EiNS0_19identity_decomposerEEEEE10hipError_tT0_T1_T2_jT3_P12ihipStream_tbPNSt15iterator_traitsISI_E10value_typeEPNSO_ISJ_E10value_typeEPSK_NS1_7vsmem_tEENKUlT_SI_SJ_SK_E_clISD_PiSD_S10_EESH_SX_SI_SJ_SK_EUlSX_E0_NS1_11comp_targetILNS1_3genE8ELNS1_11target_archE1030ELNS1_3gpuE2ELNS1_3repE0EEENS1_38merge_mergepath_config_static_selectorELNS0_4arch9wavefront6targetE0EEEvSJ_.has_dyn_sized_stack, 0
	.set _ZN7rocprim17ROCPRIM_400000_NS6detail17trampoline_kernelINS0_14default_configENS1_38merge_sort_block_merge_config_selectorIiiEEZZNS1_27merge_sort_block_merge_implIS3_N6thrust23THRUST_200600_302600_NS6detail15normal_iteratorINS8_10device_ptrIiEEEESD_jNS1_19radix_merge_compareILb0ELb0EiNS0_19identity_decomposerEEEEE10hipError_tT0_T1_T2_jT3_P12ihipStream_tbPNSt15iterator_traitsISI_E10value_typeEPNSO_ISJ_E10value_typeEPSK_NS1_7vsmem_tEENKUlT_SI_SJ_SK_E_clISD_PiSD_S10_EESH_SX_SI_SJ_SK_EUlSX_E0_NS1_11comp_targetILNS1_3genE8ELNS1_11target_archE1030ELNS1_3gpuE2ELNS1_3repE0EEENS1_38merge_mergepath_config_static_selectorELNS0_4arch9wavefront6targetE0EEEvSJ_.has_recursion, 0
	.set _ZN7rocprim17ROCPRIM_400000_NS6detail17trampoline_kernelINS0_14default_configENS1_38merge_sort_block_merge_config_selectorIiiEEZZNS1_27merge_sort_block_merge_implIS3_N6thrust23THRUST_200600_302600_NS6detail15normal_iteratorINS8_10device_ptrIiEEEESD_jNS1_19radix_merge_compareILb0ELb0EiNS0_19identity_decomposerEEEEE10hipError_tT0_T1_T2_jT3_P12ihipStream_tbPNSt15iterator_traitsISI_E10value_typeEPNSO_ISJ_E10value_typeEPSK_NS1_7vsmem_tEENKUlT_SI_SJ_SK_E_clISD_PiSD_S10_EESH_SX_SI_SJ_SK_EUlSX_E0_NS1_11comp_targetILNS1_3genE8ELNS1_11target_archE1030ELNS1_3gpuE2ELNS1_3repE0EEENS1_38merge_mergepath_config_static_selectorELNS0_4arch9wavefront6targetE0EEEvSJ_.has_indirect_call, 0
	.section	.AMDGPU.csdata,"",@progbits
; Kernel info:
; codeLenInByte = 1360
; TotalNumSgprs: 27
; NumVgprs: 13
; ScratchSize: 0
; MemoryBound: 0
; FloatMode: 240
; IeeeMode: 1
; LDSByteSize: 4112 bytes/workgroup (compile time only)
; SGPRBlocks: 0
; VGPRBlocks: 1
; NumSGPRsForWavesPerEU: 27
; NumVGPRsForWavesPerEU: 13
; Occupancy: 16
; WaveLimiterHint : 0
; COMPUTE_PGM_RSRC2:SCRATCH_EN: 0
; COMPUTE_PGM_RSRC2:USER_SGPR: 6
; COMPUTE_PGM_RSRC2:TRAP_HANDLER: 0
; COMPUTE_PGM_RSRC2:TGID_X_EN: 1
; COMPUTE_PGM_RSRC2:TGID_Y_EN: 1
; COMPUTE_PGM_RSRC2:TGID_Z_EN: 1
; COMPUTE_PGM_RSRC2:TIDIG_COMP_CNT: 0
	.section	.text._ZN7rocprim17ROCPRIM_400000_NS6detail17trampoline_kernelINS0_14default_configENS1_38merge_sort_block_merge_config_selectorIiiEEZZNS1_27merge_sort_block_merge_implIS3_N6thrust23THRUST_200600_302600_NS6detail15normal_iteratorINS8_10device_ptrIiEEEESD_jNS1_19radix_merge_compareILb0ELb0EiNS0_19identity_decomposerEEEEE10hipError_tT0_T1_T2_jT3_P12ihipStream_tbPNSt15iterator_traitsISI_E10value_typeEPNSO_ISJ_E10value_typeEPSK_NS1_7vsmem_tEENKUlT_SI_SJ_SK_E_clISD_PiSD_S10_EESH_SX_SI_SJ_SK_EUlSX_E1_NS1_11comp_targetILNS1_3genE0ELNS1_11target_archE4294967295ELNS1_3gpuE0ELNS1_3repE0EEENS1_36merge_oddeven_config_static_selectorELNS0_4arch9wavefront6targetE0EEEvSJ_,"axG",@progbits,_ZN7rocprim17ROCPRIM_400000_NS6detail17trampoline_kernelINS0_14default_configENS1_38merge_sort_block_merge_config_selectorIiiEEZZNS1_27merge_sort_block_merge_implIS3_N6thrust23THRUST_200600_302600_NS6detail15normal_iteratorINS8_10device_ptrIiEEEESD_jNS1_19radix_merge_compareILb0ELb0EiNS0_19identity_decomposerEEEEE10hipError_tT0_T1_T2_jT3_P12ihipStream_tbPNSt15iterator_traitsISI_E10value_typeEPNSO_ISJ_E10value_typeEPSK_NS1_7vsmem_tEENKUlT_SI_SJ_SK_E_clISD_PiSD_S10_EESH_SX_SI_SJ_SK_EUlSX_E1_NS1_11comp_targetILNS1_3genE0ELNS1_11target_archE4294967295ELNS1_3gpuE0ELNS1_3repE0EEENS1_36merge_oddeven_config_static_selectorELNS0_4arch9wavefront6targetE0EEEvSJ_,comdat
	.protected	_ZN7rocprim17ROCPRIM_400000_NS6detail17trampoline_kernelINS0_14default_configENS1_38merge_sort_block_merge_config_selectorIiiEEZZNS1_27merge_sort_block_merge_implIS3_N6thrust23THRUST_200600_302600_NS6detail15normal_iteratorINS8_10device_ptrIiEEEESD_jNS1_19radix_merge_compareILb0ELb0EiNS0_19identity_decomposerEEEEE10hipError_tT0_T1_T2_jT3_P12ihipStream_tbPNSt15iterator_traitsISI_E10value_typeEPNSO_ISJ_E10value_typeEPSK_NS1_7vsmem_tEENKUlT_SI_SJ_SK_E_clISD_PiSD_S10_EESH_SX_SI_SJ_SK_EUlSX_E1_NS1_11comp_targetILNS1_3genE0ELNS1_11target_archE4294967295ELNS1_3gpuE0ELNS1_3repE0EEENS1_36merge_oddeven_config_static_selectorELNS0_4arch9wavefront6targetE0EEEvSJ_ ; -- Begin function _ZN7rocprim17ROCPRIM_400000_NS6detail17trampoline_kernelINS0_14default_configENS1_38merge_sort_block_merge_config_selectorIiiEEZZNS1_27merge_sort_block_merge_implIS3_N6thrust23THRUST_200600_302600_NS6detail15normal_iteratorINS8_10device_ptrIiEEEESD_jNS1_19radix_merge_compareILb0ELb0EiNS0_19identity_decomposerEEEEE10hipError_tT0_T1_T2_jT3_P12ihipStream_tbPNSt15iterator_traitsISI_E10value_typeEPNSO_ISJ_E10value_typeEPSK_NS1_7vsmem_tEENKUlT_SI_SJ_SK_E_clISD_PiSD_S10_EESH_SX_SI_SJ_SK_EUlSX_E1_NS1_11comp_targetILNS1_3genE0ELNS1_11target_archE4294967295ELNS1_3gpuE0ELNS1_3repE0EEENS1_36merge_oddeven_config_static_selectorELNS0_4arch9wavefront6targetE0EEEvSJ_
	.globl	_ZN7rocprim17ROCPRIM_400000_NS6detail17trampoline_kernelINS0_14default_configENS1_38merge_sort_block_merge_config_selectorIiiEEZZNS1_27merge_sort_block_merge_implIS3_N6thrust23THRUST_200600_302600_NS6detail15normal_iteratorINS8_10device_ptrIiEEEESD_jNS1_19radix_merge_compareILb0ELb0EiNS0_19identity_decomposerEEEEE10hipError_tT0_T1_T2_jT3_P12ihipStream_tbPNSt15iterator_traitsISI_E10value_typeEPNSO_ISJ_E10value_typeEPSK_NS1_7vsmem_tEENKUlT_SI_SJ_SK_E_clISD_PiSD_S10_EESH_SX_SI_SJ_SK_EUlSX_E1_NS1_11comp_targetILNS1_3genE0ELNS1_11target_archE4294967295ELNS1_3gpuE0ELNS1_3repE0EEENS1_36merge_oddeven_config_static_selectorELNS0_4arch9wavefront6targetE0EEEvSJ_
	.p2align	8
	.type	_ZN7rocprim17ROCPRIM_400000_NS6detail17trampoline_kernelINS0_14default_configENS1_38merge_sort_block_merge_config_selectorIiiEEZZNS1_27merge_sort_block_merge_implIS3_N6thrust23THRUST_200600_302600_NS6detail15normal_iteratorINS8_10device_ptrIiEEEESD_jNS1_19radix_merge_compareILb0ELb0EiNS0_19identity_decomposerEEEEE10hipError_tT0_T1_T2_jT3_P12ihipStream_tbPNSt15iterator_traitsISI_E10value_typeEPNSO_ISJ_E10value_typeEPSK_NS1_7vsmem_tEENKUlT_SI_SJ_SK_E_clISD_PiSD_S10_EESH_SX_SI_SJ_SK_EUlSX_E1_NS1_11comp_targetILNS1_3genE0ELNS1_11target_archE4294967295ELNS1_3gpuE0ELNS1_3repE0EEENS1_36merge_oddeven_config_static_selectorELNS0_4arch9wavefront6targetE0EEEvSJ_,@function
_ZN7rocprim17ROCPRIM_400000_NS6detail17trampoline_kernelINS0_14default_configENS1_38merge_sort_block_merge_config_selectorIiiEEZZNS1_27merge_sort_block_merge_implIS3_N6thrust23THRUST_200600_302600_NS6detail15normal_iteratorINS8_10device_ptrIiEEEESD_jNS1_19radix_merge_compareILb0ELb0EiNS0_19identity_decomposerEEEEE10hipError_tT0_T1_T2_jT3_P12ihipStream_tbPNSt15iterator_traitsISI_E10value_typeEPNSO_ISJ_E10value_typeEPSK_NS1_7vsmem_tEENKUlT_SI_SJ_SK_E_clISD_PiSD_S10_EESH_SX_SI_SJ_SK_EUlSX_E1_NS1_11comp_targetILNS1_3genE0ELNS1_11target_archE4294967295ELNS1_3gpuE0ELNS1_3repE0EEENS1_36merge_oddeven_config_static_selectorELNS0_4arch9wavefront6targetE0EEEvSJ_: ; @_ZN7rocprim17ROCPRIM_400000_NS6detail17trampoline_kernelINS0_14default_configENS1_38merge_sort_block_merge_config_selectorIiiEEZZNS1_27merge_sort_block_merge_implIS3_N6thrust23THRUST_200600_302600_NS6detail15normal_iteratorINS8_10device_ptrIiEEEESD_jNS1_19radix_merge_compareILb0ELb0EiNS0_19identity_decomposerEEEEE10hipError_tT0_T1_T2_jT3_P12ihipStream_tbPNSt15iterator_traitsISI_E10value_typeEPNSO_ISJ_E10value_typeEPSK_NS1_7vsmem_tEENKUlT_SI_SJ_SK_E_clISD_PiSD_S10_EESH_SX_SI_SJ_SK_EUlSX_E1_NS1_11comp_targetILNS1_3genE0ELNS1_11target_archE4294967295ELNS1_3gpuE0ELNS1_3repE0EEENS1_36merge_oddeven_config_static_selectorELNS0_4arch9wavefront6targetE0EEEvSJ_
; %bb.0:
	.section	.rodata,"a",@progbits
	.p2align	6, 0x0
	.amdhsa_kernel _ZN7rocprim17ROCPRIM_400000_NS6detail17trampoline_kernelINS0_14default_configENS1_38merge_sort_block_merge_config_selectorIiiEEZZNS1_27merge_sort_block_merge_implIS3_N6thrust23THRUST_200600_302600_NS6detail15normal_iteratorINS8_10device_ptrIiEEEESD_jNS1_19radix_merge_compareILb0ELb0EiNS0_19identity_decomposerEEEEE10hipError_tT0_T1_T2_jT3_P12ihipStream_tbPNSt15iterator_traitsISI_E10value_typeEPNSO_ISJ_E10value_typeEPSK_NS1_7vsmem_tEENKUlT_SI_SJ_SK_E_clISD_PiSD_S10_EESH_SX_SI_SJ_SK_EUlSX_E1_NS1_11comp_targetILNS1_3genE0ELNS1_11target_archE4294967295ELNS1_3gpuE0ELNS1_3repE0EEENS1_36merge_oddeven_config_static_selectorELNS0_4arch9wavefront6targetE0EEEvSJ_
		.amdhsa_group_segment_fixed_size 0
		.amdhsa_private_segment_fixed_size 0
		.amdhsa_kernarg_size 48
		.amdhsa_user_sgpr_count 6
		.amdhsa_user_sgpr_private_segment_buffer 1
		.amdhsa_user_sgpr_dispatch_ptr 0
		.amdhsa_user_sgpr_queue_ptr 0
		.amdhsa_user_sgpr_kernarg_segment_ptr 1
		.amdhsa_user_sgpr_dispatch_id 0
		.amdhsa_user_sgpr_flat_scratch_init 0
		.amdhsa_user_sgpr_private_segment_size 0
		.amdhsa_wavefront_size32 1
		.amdhsa_uses_dynamic_stack 0
		.amdhsa_system_sgpr_private_segment_wavefront_offset 0
		.amdhsa_system_sgpr_workgroup_id_x 1
		.amdhsa_system_sgpr_workgroup_id_y 0
		.amdhsa_system_sgpr_workgroup_id_z 0
		.amdhsa_system_sgpr_workgroup_info 0
		.amdhsa_system_vgpr_workitem_id 0
		.amdhsa_next_free_vgpr 1
		.amdhsa_next_free_sgpr 1
		.amdhsa_reserve_vcc 0
		.amdhsa_reserve_flat_scratch 0
		.amdhsa_float_round_mode_32 0
		.amdhsa_float_round_mode_16_64 0
		.amdhsa_float_denorm_mode_32 3
		.amdhsa_float_denorm_mode_16_64 3
		.amdhsa_dx10_clamp 1
		.amdhsa_ieee_mode 1
		.amdhsa_fp16_overflow 0
		.amdhsa_workgroup_processor_mode 1
		.amdhsa_memory_ordered 1
		.amdhsa_forward_progress 1
		.amdhsa_shared_vgpr_count 0
		.amdhsa_exception_fp_ieee_invalid_op 0
		.amdhsa_exception_fp_denorm_src 0
		.amdhsa_exception_fp_ieee_div_zero 0
		.amdhsa_exception_fp_ieee_overflow 0
		.amdhsa_exception_fp_ieee_underflow 0
		.amdhsa_exception_fp_ieee_inexact 0
		.amdhsa_exception_int_div_zero 0
	.end_amdhsa_kernel
	.section	.text._ZN7rocprim17ROCPRIM_400000_NS6detail17trampoline_kernelINS0_14default_configENS1_38merge_sort_block_merge_config_selectorIiiEEZZNS1_27merge_sort_block_merge_implIS3_N6thrust23THRUST_200600_302600_NS6detail15normal_iteratorINS8_10device_ptrIiEEEESD_jNS1_19radix_merge_compareILb0ELb0EiNS0_19identity_decomposerEEEEE10hipError_tT0_T1_T2_jT3_P12ihipStream_tbPNSt15iterator_traitsISI_E10value_typeEPNSO_ISJ_E10value_typeEPSK_NS1_7vsmem_tEENKUlT_SI_SJ_SK_E_clISD_PiSD_S10_EESH_SX_SI_SJ_SK_EUlSX_E1_NS1_11comp_targetILNS1_3genE0ELNS1_11target_archE4294967295ELNS1_3gpuE0ELNS1_3repE0EEENS1_36merge_oddeven_config_static_selectorELNS0_4arch9wavefront6targetE0EEEvSJ_,"axG",@progbits,_ZN7rocprim17ROCPRIM_400000_NS6detail17trampoline_kernelINS0_14default_configENS1_38merge_sort_block_merge_config_selectorIiiEEZZNS1_27merge_sort_block_merge_implIS3_N6thrust23THRUST_200600_302600_NS6detail15normal_iteratorINS8_10device_ptrIiEEEESD_jNS1_19radix_merge_compareILb0ELb0EiNS0_19identity_decomposerEEEEE10hipError_tT0_T1_T2_jT3_P12ihipStream_tbPNSt15iterator_traitsISI_E10value_typeEPNSO_ISJ_E10value_typeEPSK_NS1_7vsmem_tEENKUlT_SI_SJ_SK_E_clISD_PiSD_S10_EESH_SX_SI_SJ_SK_EUlSX_E1_NS1_11comp_targetILNS1_3genE0ELNS1_11target_archE4294967295ELNS1_3gpuE0ELNS1_3repE0EEENS1_36merge_oddeven_config_static_selectorELNS0_4arch9wavefront6targetE0EEEvSJ_,comdat
.Lfunc_end748:
	.size	_ZN7rocprim17ROCPRIM_400000_NS6detail17trampoline_kernelINS0_14default_configENS1_38merge_sort_block_merge_config_selectorIiiEEZZNS1_27merge_sort_block_merge_implIS3_N6thrust23THRUST_200600_302600_NS6detail15normal_iteratorINS8_10device_ptrIiEEEESD_jNS1_19radix_merge_compareILb0ELb0EiNS0_19identity_decomposerEEEEE10hipError_tT0_T1_T2_jT3_P12ihipStream_tbPNSt15iterator_traitsISI_E10value_typeEPNSO_ISJ_E10value_typeEPSK_NS1_7vsmem_tEENKUlT_SI_SJ_SK_E_clISD_PiSD_S10_EESH_SX_SI_SJ_SK_EUlSX_E1_NS1_11comp_targetILNS1_3genE0ELNS1_11target_archE4294967295ELNS1_3gpuE0ELNS1_3repE0EEENS1_36merge_oddeven_config_static_selectorELNS0_4arch9wavefront6targetE0EEEvSJ_, .Lfunc_end748-_ZN7rocprim17ROCPRIM_400000_NS6detail17trampoline_kernelINS0_14default_configENS1_38merge_sort_block_merge_config_selectorIiiEEZZNS1_27merge_sort_block_merge_implIS3_N6thrust23THRUST_200600_302600_NS6detail15normal_iteratorINS8_10device_ptrIiEEEESD_jNS1_19radix_merge_compareILb0ELb0EiNS0_19identity_decomposerEEEEE10hipError_tT0_T1_T2_jT3_P12ihipStream_tbPNSt15iterator_traitsISI_E10value_typeEPNSO_ISJ_E10value_typeEPSK_NS1_7vsmem_tEENKUlT_SI_SJ_SK_E_clISD_PiSD_S10_EESH_SX_SI_SJ_SK_EUlSX_E1_NS1_11comp_targetILNS1_3genE0ELNS1_11target_archE4294967295ELNS1_3gpuE0ELNS1_3repE0EEENS1_36merge_oddeven_config_static_selectorELNS0_4arch9wavefront6targetE0EEEvSJ_
                                        ; -- End function
	.set _ZN7rocprim17ROCPRIM_400000_NS6detail17trampoline_kernelINS0_14default_configENS1_38merge_sort_block_merge_config_selectorIiiEEZZNS1_27merge_sort_block_merge_implIS3_N6thrust23THRUST_200600_302600_NS6detail15normal_iteratorINS8_10device_ptrIiEEEESD_jNS1_19radix_merge_compareILb0ELb0EiNS0_19identity_decomposerEEEEE10hipError_tT0_T1_T2_jT3_P12ihipStream_tbPNSt15iterator_traitsISI_E10value_typeEPNSO_ISJ_E10value_typeEPSK_NS1_7vsmem_tEENKUlT_SI_SJ_SK_E_clISD_PiSD_S10_EESH_SX_SI_SJ_SK_EUlSX_E1_NS1_11comp_targetILNS1_3genE0ELNS1_11target_archE4294967295ELNS1_3gpuE0ELNS1_3repE0EEENS1_36merge_oddeven_config_static_selectorELNS0_4arch9wavefront6targetE0EEEvSJ_.num_vgpr, 0
	.set _ZN7rocprim17ROCPRIM_400000_NS6detail17trampoline_kernelINS0_14default_configENS1_38merge_sort_block_merge_config_selectorIiiEEZZNS1_27merge_sort_block_merge_implIS3_N6thrust23THRUST_200600_302600_NS6detail15normal_iteratorINS8_10device_ptrIiEEEESD_jNS1_19radix_merge_compareILb0ELb0EiNS0_19identity_decomposerEEEEE10hipError_tT0_T1_T2_jT3_P12ihipStream_tbPNSt15iterator_traitsISI_E10value_typeEPNSO_ISJ_E10value_typeEPSK_NS1_7vsmem_tEENKUlT_SI_SJ_SK_E_clISD_PiSD_S10_EESH_SX_SI_SJ_SK_EUlSX_E1_NS1_11comp_targetILNS1_3genE0ELNS1_11target_archE4294967295ELNS1_3gpuE0ELNS1_3repE0EEENS1_36merge_oddeven_config_static_selectorELNS0_4arch9wavefront6targetE0EEEvSJ_.num_agpr, 0
	.set _ZN7rocprim17ROCPRIM_400000_NS6detail17trampoline_kernelINS0_14default_configENS1_38merge_sort_block_merge_config_selectorIiiEEZZNS1_27merge_sort_block_merge_implIS3_N6thrust23THRUST_200600_302600_NS6detail15normal_iteratorINS8_10device_ptrIiEEEESD_jNS1_19radix_merge_compareILb0ELb0EiNS0_19identity_decomposerEEEEE10hipError_tT0_T1_T2_jT3_P12ihipStream_tbPNSt15iterator_traitsISI_E10value_typeEPNSO_ISJ_E10value_typeEPSK_NS1_7vsmem_tEENKUlT_SI_SJ_SK_E_clISD_PiSD_S10_EESH_SX_SI_SJ_SK_EUlSX_E1_NS1_11comp_targetILNS1_3genE0ELNS1_11target_archE4294967295ELNS1_3gpuE0ELNS1_3repE0EEENS1_36merge_oddeven_config_static_selectorELNS0_4arch9wavefront6targetE0EEEvSJ_.numbered_sgpr, 0
	.set _ZN7rocprim17ROCPRIM_400000_NS6detail17trampoline_kernelINS0_14default_configENS1_38merge_sort_block_merge_config_selectorIiiEEZZNS1_27merge_sort_block_merge_implIS3_N6thrust23THRUST_200600_302600_NS6detail15normal_iteratorINS8_10device_ptrIiEEEESD_jNS1_19radix_merge_compareILb0ELb0EiNS0_19identity_decomposerEEEEE10hipError_tT0_T1_T2_jT3_P12ihipStream_tbPNSt15iterator_traitsISI_E10value_typeEPNSO_ISJ_E10value_typeEPSK_NS1_7vsmem_tEENKUlT_SI_SJ_SK_E_clISD_PiSD_S10_EESH_SX_SI_SJ_SK_EUlSX_E1_NS1_11comp_targetILNS1_3genE0ELNS1_11target_archE4294967295ELNS1_3gpuE0ELNS1_3repE0EEENS1_36merge_oddeven_config_static_selectorELNS0_4arch9wavefront6targetE0EEEvSJ_.num_named_barrier, 0
	.set _ZN7rocprim17ROCPRIM_400000_NS6detail17trampoline_kernelINS0_14default_configENS1_38merge_sort_block_merge_config_selectorIiiEEZZNS1_27merge_sort_block_merge_implIS3_N6thrust23THRUST_200600_302600_NS6detail15normal_iteratorINS8_10device_ptrIiEEEESD_jNS1_19radix_merge_compareILb0ELb0EiNS0_19identity_decomposerEEEEE10hipError_tT0_T1_T2_jT3_P12ihipStream_tbPNSt15iterator_traitsISI_E10value_typeEPNSO_ISJ_E10value_typeEPSK_NS1_7vsmem_tEENKUlT_SI_SJ_SK_E_clISD_PiSD_S10_EESH_SX_SI_SJ_SK_EUlSX_E1_NS1_11comp_targetILNS1_3genE0ELNS1_11target_archE4294967295ELNS1_3gpuE0ELNS1_3repE0EEENS1_36merge_oddeven_config_static_selectorELNS0_4arch9wavefront6targetE0EEEvSJ_.private_seg_size, 0
	.set _ZN7rocprim17ROCPRIM_400000_NS6detail17trampoline_kernelINS0_14default_configENS1_38merge_sort_block_merge_config_selectorIiiEEZZNS1_27merge_sort_block_merge_implIS3_N6thrust23THRUST_200600_302600_NS6detail15normal_iteratorINS8_10device_ptrIiEEEESD_jNS1_19radix_merge_compareILb0ELb0EiNS0_19identity_decomposerEEEEE10hipError_tT0_T1_T2_jT3_P12ihipStream_tbPNSt15iterator_traitsISI_E10value_typeEPNSO_ISJ_E10value_typeEPSK_NS1_7vsmem_tEENKUlT_SI_SJ_SK_E_clISD_PiSD_S10_EESH_SX_SI_SJ_SK_EUlSX_E1_NS1_11comp_targetILNS1_3genE0ELNS1_11target_archE4294967295ELNS1_3gpuE0ELNS1_3repE0EEENS1_36merge_oddeven_config_static_selectorELNS0_4arch9wavefront6targetE0EEEvSJ_.uses_vcc, 0
	.set _ZN7rocprim17ROCPRIM_400000_NS6detail17trampoline_kernelINS0_14default_configENS1_38merge_sort_block_merge_config_selectorIiiEEZZNS1_27merge_sort_block_merge_implIS3_N6thrust23THRUST_200600_302600_NS6detail15normal_iteratorINS8_10device_ptrIiEEEESD_jNS1_19radix_merge_compareILb0ELb0EiNS0_19identity_decomposerEEEEE10hipError_tT0_T1_T2_jT3_P12ihipStream_tbPNSt15iterator_traitsISI_E10value_typeEPNSO_ISJ_E10value_typeEPSK_NS1_7vsmem_tEENKUlT_SI_SJ_SK_E_clISD_PiSD_S10_EESH_SX_SI_SJ_SK_EUlSX_E1_NS1_11comp_targetILNS1_3genE0ELNS1_11target_archE4294967295ELNS1_3gpuE0ELNS1_3repE0EEENS1_36merge_oddeven_config_static_selectorELNS0_4arch9wavefront6targetE0EEEvSJ_.uses_flat_scratch, 0
	.set _ZN7rocprim17ROCPRIM_400000_NS6detail17trampoline_kernelINS0_14default_configENS1_38merge_sort_block_merge_config_selectorIiiEEZZNS1_27merge_sort_block_merge_implIS3_N6thrust23THRUST_200600_302600_NS6detail15normal_iteratorINS8_10device_ptrIiEEEESD_jNS1_19radix_merge_compareILb0ELb0EiNS0_19identity_decomposerEEEEE10hipError_tT0_T1_T2_jT3_P12ihipStream_tbPNSt15iterator_traitsISI_E10value_typeEPNSO_ISJ_E10value_typeEPSK_NS1_7vsmem_tEENKUlT_SI_SJ_SK_E_clISD_PiSD_S10_EESH_SX_SI_SJ_SK_EUlSX_E1_NS1_11comp_targetILNS1_3genE0ELNS1_11target_archE4294967295ELNS1_3gpuE0ELNS1_3repE0EEENS1_36merge_oddeven_config_static_selectorELNS0_4arch9wavefront6targetE0EEEvSJ_.has_dyn_sized_stack, 0
	.set _ZN7rocprim17ROCPRIM_400000_NS6detail17trampoline_kernelINS0_14default_configENS1_38merge_sort_block_merge_config_selectorIiiEEZZNS1_27merge_sort_block_merge_implIS3_N6thrust23THRUST_200600_302600_NS6detail15normal_iteratorINS8_10device_ptrIiEEEESD_jNS1_19radix_merge_compareILb0ELb0EiNS0_19identity_decomposerEEEEE10hipError_tT0_T1_T2_jT3_P12ihipStream_tbPNSt15iterator_traitsISI_E10value_typeEPNSO_ISJ_E10value_typeEPSK_NS1_7vsmem_tEENKUlT_SI_SJ_SK_E_clISD_PiSD_S10_EESH_SX_SI_SJ_SK_EUlSX_E1_NS1_11comp_targetILNS1_3genE0ELNS1_11target_archE4294967295ELNS1_3gpuE0ELNS1_3repE0EEENS1_36merge_oddeven_config_static_selectorELNS0_4arch9wavefront6targetE0EEEvSJ_.has_recursion, 0
	.set _ZN7rocprim17ROCPRIM_400000_NS6detail17trampoline_kernelINS0_14default_configENS1_38merge_sort_block_merge_config_selectorIiiEEZZNS1_27merge_sort_block_merge_implIS3_N6thrust23THRUST_200600_302600_NS6detail15normal_iteratorINS8_10device_ptrIiEEEESD_jNS1_19radix_merge_compareILb0ELb0EiNS0_19identity_decomposerEEEEE10hipError_tT0_T1_T2_jT3_P12ihipStream_tbPNSt15iterator_traitsISI_E10value_typeEPNSO_ISJ_E10value_typeEPSK_NS1_7vsmem_tEENKUlT_SI_SJ_SK_E_clISD_PiSD_S10_EESH_SX_SI_SJ_SK_EUlSX_E1_NS1_11comp_targetILNS1_3genE0ELNS1_11target_archE4294967295ELNS1_3gpuE0ELNS1_3repE0EEENS1_36merge_oddeven_config_static_selectorELNS0_4arch9wavefront6targetE0EEEvSJ_.has_indirect_call, 0
	.section	.AMDGPU.csdata,"",@progbits
; Kernel info:
; codeLenInByte = 0
; TotalNumSgprs: 0
; NumVgprs: 0
; ScratchSize: 0
; MemoryBound: 0
; FloatMode: 240
; IeeeMode: 1
; LDSByteSize: 0 bytes/workgroup (compile time only)
; SGPRBlocks: 0
; VGPRBlocks: 0
; NumSGPRsForWavesPerEU: 1
; NumVGPRsForWavesPerEU: 1
; Occupancy: 16
; WaveLimiterHint : 0
; COMPUTE_PGM_RSRC2:SCRATCH_EN: 0
; COMPUTE_PGM_RSRC2:USER_SGPR: 6
; COMPUTE_PGM_RSRC2:TRAP_HANDLER: 0
; COMPUTE_PGM_RSRC2:TGID_X_EN: 1
; COMPUTE_PGM_RSRC2:TGID_Y_EN: 0
; COMPUTE_PGM_RSRC2:TGID_Z_EN: 0
; COMPUTE_PGM_RSRC2:TIDIG_COMP_CNT: 0
	.section	.text._ZN7rocprim17ROCPRIM_400000_NS6detail17trampoline_kernelINS0_14default_configENS1_38merge_sort_block_merge_config_selectorIiiEEZZNS1_27merge_sort_block_merge_implIS3_N6thrust23THRUST_200600_302600_NS6detail15normal_iteratorINS8_10device_ptrIiEEEESD_jNS1_19radix_merge_compareILb0ELb0EiNS0_19identity_decomposerEEEEE10hipError_tT0_T1_T2_jT3_P12ihipStream_tbPNSt15iterator_traitsISI_E10value_typeEPNSO_ISJ_E10value_typeEPSK_NS1_7vsmem_tEENKUlT_SI_SJ_SK_E_clISD_PiSD_S10_EESH_SX_SI_SJ_SK_EUlSX_E1_NS1_11comp_targetILNS1_3genE10ELNS1_11target_archE1201ELNS1_3gpuE5ELNS1_3repE0EEENS1_36merge_oddeven_config_static_selectorELNS0_4arch9wavefront6targetE0EEEvSJ_,"axG",@progbits,_ZN7rocprim17ROCPRIM_400000_NS6detail17trampoline_kernelINS0_14default_configENS1_38merge_sort_block_merge_config_selectorIiiEEZZNS1_27merge_sort_block_merge_implIS3_N6thrust23THRUST_200600_302600_NS6detail15normal_iteratorINS8_10device_ptrIiEEEESD_jNS1_19radix_merge_compareILb0ELb0EiNS0_19identity_decomposerEEEEE10hipError_tT0_T1_T2_jT3_P12ihipStream_tbPNSt15iterator_traitsISI_E10value_typeEPNSO_ISJ_E10value_typeEPSK_NS1_7vsmem_tEENKUlT_SI_SJ_SK_E_clISD_PiSD_S10_EESH_SX_SI_SJ_SK_EUlSX_E1_NS1_11comp_targetILNS1_3genE10ELNS1_11target_archE1201ELNS1_3gpuE5ELNS1_3repE0EEENS1_36merge_oddeven_config_static_selectorELNS0_4arch9wavefront6targetE0EEEvSJ_,comdat
	.protected	_ZN7rocprim17ROCPRIM_400000_NS6detail17trampoline_kernelINS0_14default_configENS1_38merge_sort_block_merge_config_selectorIiiEEZZNS1_27merge_sort_block_merge_implIS3_N6thrust23THRUST_200600_302600_NS6detail15normal_iteratorINS8_10device_ptrIiEEEESD_jNS1_19radix_merge_compareILb0ELb0EiNS0_19identity_decomposerEEEEE10hipError_tT0_T1_T2_jT3_P12ihipStream_tbPNSt15iterator_traitsISI_E10value_typeEPNSO_ISJ_E10value_typeEPSK_NS1_7vsmem_tEENKUlT_SI_SJ_SK_E_clISD_PiSD_S10_EESH_SX_SI_SJ_SK_EUlSX_E1_NS1_11comp_targetILNS1_3genE10ELNS1_11target_archE1201ELNS1_3gpuE5ELNS1_3repE0EEENS1_36merge_oddeven_config_static_selectorELNS0_4arch9wavefront6targetE0EEEvSJ_ ; -- Begin function _ZN7rocprim17ROCPRIM_400000_NS6detail17trampoline_kernelINS0_14default_configENS1_38merge_sort_block_merge_config_selectorIiiEEZZNS1_27merge_sort_block_merge_implIS3_N6thrust23THRUST_200600_302600_NS6detail15normal_iteratorINS8_10device_ptrIiEEEESD_jNS1_19radix_merge_compareILb0ELb0EiNS0_19identity_decomposerEEEEE10hipError_tT0_T1_T2_jT3_P12ihipStream_tbPNSt15iterator_traitsISI_E10value_typeEPNSO_ISJ_E10value_typeEPSK_NS1_7vsmem_tEENKUlT_SI_SJ_SK_E_clISD_PiSD_S10_EESH_SX_SI_SJ_SK_EUlSX_E1_NS1_11comp_targetILNS1_3genE10ELNS1_11target_archE1201ELNS1_3gpuE5ELNS1_3repE0EEENS1_36merge_oddeven_config_static_selectorELNS0_4arch9wavefront6targetE0EEEvSJ_
	.globl	_ZN7rocprim17ROCPRIM_400000_NS6detail17trampoline_kernelINS0_14default_configENS1_38merge_sort_block_merge_config_selectorIiiEEZZNS1_27merge_sort_block_merge_implIS3_N6thrust23THRUST_200600_302600_NS6detail15normal_iteratorINS8_10device_ptrIiEEEESD_jNS1_19radix_merge_compareILb0ELb0EiNS0_19identity_decomposerEEEEE10hipError_tT0_T1_T2_jT3_P12ihipStream_tbPNSt15iterator_traitsISI_E10value_typeEPNSO_ISJ_E10value_typeEPSK_NS1_7vsmem_tEENKUlT_SI_SJ_SK_E_clISD_PiSD_S10_EESH_SX_SI_SJ_SK_EUlSX_E1_NS1_11comp_targetILNS1_3genE10ELNS1_11target_archE1201ELNS1_3gpuE5ELNS1_3repE0EEENS1_36merge_oddeven_config_static_selectorELNS0_4arch9wavefront6targetE0EEEvSJ_
	.p2align	8
	.type	_ZN7rocprim17ROCPRIM_400000_NS6detail17trampoline_kernelINS0_14default_configENS1_38merge_sort_block_merge_config_selectorIiiEEZZNS1_27merge_sort_block_merge_implIS3_N6thrust23THRUST_200600_302600_NS6detail15normal_iteratorINS8_10device_ptrIiEEEESD_jNS1_19radix_merge_compareILb0ELb0EiNS0_19identity_decomposerEEEEE10hipError_tT0_T1_T2_jT3_P12ihipStream_tbPNSt15iterator_traitsISI_E10value_typeEPNSO_ISJ_E10value_typeEPSK_NS1_7vsmem_tEENKUlT_SI_SJ_SK_E_clISD_PiSD_S10_EESH_SX_SI_SJ_SK_EUlSX_E1_NS1_11comp_targetILNS1_3genE10ELNS1_11target_archE1201ELNS1_3gpuE5ELNS1_3repE0EEENS1_36merge_oddeven_config_static_selectorELNS0_4arch9wavefront6targetE0EEEvSJ_,@function
_ZN7rocprim17ROCPRIM_400000_NS6detail17trampoline_kernelINS0_14default_configENS1_38merge_sort_block_merge_config_selectorIiiEEZZNS1_27merge_sort_block_merge_implIS3_N6thrust23THRUST_200600_302600_NS6detail15normal_iteratorINS8_10device_ptrIiEEEESD_jNS1_19radix_merge_compareILb0ELb0EiNS0_19identity_decomposerEEEEE10hipError_tT0_T1_T2_jT3_P12ihipStream_tbPNSt15iterator_traitsISI_E10value_typeEPNSO_ISJ_E10value_typeEPSK_NS1_7vsmem_tEENKUlT_SI_SJ_SK_E_clISD_PiSD_S10_EESH_SX_SI_SJ_SK_EUlSX_E1_NS1_11comp_targetILNS1_3genE10ELNS1_11target_archE1201ELNS1_3gpuE5ELNS1_3repE0EEENS1_36merge_oddeven_config_static_selectorELNS0_4arch9wavefront6targetE0EEEvSJ_: ; @_ZN7rocprim17ROCPRIM_400000_NS6detail17trampoline_kernelINS0_14default_configENS1_38merge_sort_block_merge_config_selectorIiiEEZZNS1_27merge_sort_block_merge_implIS3_N6thrust23THRUST_200600_302600_NS6detail15normal_iteratorINS8_10device_ptrIiEEEESD_jNS1_19radix_merge_compareILb0ELb0EiNS0_19identity_decomposerEEEEE10hipError_tT0_T1_T2_jT3_P12ihipStream_tbPNSt15iterator_traitsISI_E10value_typeEPNSO_ISJ_E10value_typeEPSK_NS1_7vsmem_tEENKUlT_SI_SJ_SK_E_clISD_PiSD_S10_EESH_SX_SI_SJ_SK_EUlSX_E1_NS1_11comp_targetILNS1_3genE10ELNS1_11target_archE1201ELNS1_3gpuE5ELNS1_3repE0EEENS1_36merge_oddeven_config_static_selectorELNS0_4arch9wavefront6targetE0EEEvSJ_
; %bb.0:
	.section	.rodata,"a",@progbits
	.p2align	6, 0x0
	.amdhsa_kernel _ZN7rocprim17ROCPRIM_400000_NS6detail17trampoline_kernelINS0_14default_configENS1_38merge_sort_block_merge_config_selectorIiiEEZZNS1_27merge_sort_block_merge_implIS3_N6thrust23THRUST_200600_302600_NS6detail15normal_iteratorINS8_10device_ptrIiEEEESD_jNS1_19radix_merge_compareILb0ELb0EiNS0_19identity_decomposerEEEEE10hipError_tT0_T1_T2_jT3_P12ihipStream_tbPNSt15iterator_traitsISI_E10value_typeEPNSO_ISJ_E10value_typeEPSK_NS1_7vsmem_tEENKUlT_SI_SJ_SK_E_clISD_PiSD_S10_EESH_SX_SI_SJ_SK_EUlSX_E1_NS1_11comp_targetILNS1_3genE10ELNS1_11target_archE1201ELNS1_3gpuE5ELNS1_3repE0EEENS1_36merge_oddeven_config_static_selectorELNS0_4arch9wavefront6targetE0EEEvSJ_
		.amdhsa_group_segment_fixed_size 0
		.amdhsa_private_segment_fixed_size 0
		.amdhsa_kernarg_size 48
		.amdhsa_user_sgpr_count 6
		.amdhsa_user_sgpr_private_segment_buffer 1
		.amdhsa_user_sgpr_dispatch_ptr 0
		.amdhsa_user_sgpr_queue_ptr 0
		.amdhsa_user_sgpr_kernarg_segment_ptr 1
		.amdhsa_user_sgpr_dispatch_id 0
		.amdhsa_user_sgpr_flat_scratch_init 0
		.amdhsa_user_sgpr_private_segment_size 0
		.amdhsa_wavefront_size32 1
		.amdhsa_uses_dynamic_stack 0
		.amdhsa_system_sgpr_private_segment_wavefront_offset 0
		.amdhsa_system_sgpr_workgroup_id_x 1
		.amdhsa_system_sgpr_workgroup_id_y 0
		.amdhsa_system_sgpr_workgroup_id_z 0
		.amdhsa_system_sgpr_workgroup_info 0
		.amdhsa_system_vgpr_workitem_id 0
		.amdhsa_next_free_vgpr 1
		.amdhsa_next_free_sgpr 1
		.amdhsa_reserve_vcc 0
		.amdhsa_reserve_flat_scratch 0
		.amdhsa_float_round_mode_32 0
		.amdhsa_float_round_mode_16_64 0
		.amdhsa_float_denorm_mode_32 3
		.amdhsa_float_denorm_mode_16_64 3
		.amdhsa_dx10_clamp 1
		.amdhsa_ieee_mode 1
		.amdhsa_fp16_overflow 0
		.amdhsa_workgroup_processor_mode 1
		.amdhsa_memory_ordered 1
		.amdhsa_forward_progress 1
		.amdhsa_shared_vgpr_count 0
		.amdhsa_exception_fp_ieee_invalid_op 0
		.amdhsa_exception_fp_denorm_src 0
		.amdhsa_exception_fp_ieee_div_zero 0
		.amdhsa_exception_fp_ieee_overflow 0
		.amdhsa_exception_fp_ieee_underflow 0
		.amdhsa_exception_fp_ieee_inexact 0
		.amdhsa_exception_int_div_zero 0
	.end_amdhsa_kernel
	.section	.text._ZN7rocprim17ROCPRIM_400000_NS6detail17trampoline_kernelINS0_14default_configENS1_38merge_sort_block_merge_config_selectorIiiEEZZNS1_27merge_sort_block_merge_implIS3_N6thrust23THRUST_200600_302600_NS6detail15normal_iteratorINS8_10device_ptrIiEEEESD_jNS1_19radix_merge_compareILb0ELb0EiNS0_19identity_decomposerEEEEE10hipError_tT0_T1_T2_jT3_P12ihipStream_tbPNSt15iterator_traitsISI_E10value_typeEPNSO_ISJ_E10value_typeEPSK_NS1_7vsmem_tEENKUlT_SI_SJ_SK_E_clISD_PiSD_S10_EESH_SX_SI_SJ_SK_EUlSX_E1_NS1_11comp_targetILNS1_3genE10ELNS1_11target_archE1201ELNS1_3gpuE5ELNS1_3repE0EEENS1_36merge_oddeven_config_static_selectorELNS0_4arch9wavefront6targetE0EEEvSJ_,"axG",@progbits,_ZN7rocprim17ROCPRIM_400000_NS6detail17trampoline_kernelINS0_14default_configENS1_38merge_sort_block_merge_config_selectorIiiEEZZNS1_27merge_sort_block_merge_implIS3_N6thrust23THRUST_200600_302600_NS6detail15normal_iteratorINS8_10device_ptrIiEEEESD_jNS1_19radix_merge_compareILb0ELb0EiNS0_19identity_decomposerEEEEE10hipError_tT0_T1_T2_jT3_P12ihipStream_tbPNSt15iterator_traitsISI_E10value_typeEPNSO_ISJ_E10value_typeEPSK_NS1_7vsmem_tEENKUlT_SI_SJ_SK_E_clISD_PiSD_S10_EESH_SX_SI_SJ_SK_EUlSX_E1_NS1_11comp_targetILNS1_3genE10ELNS1_11target_archE1201ELNS1_3gpuE5ELNS1_3repE0EEENS1_36merge_oddeven_config_static_selectorELNS0_4arch9wavefront6targetE0EEEvSJ_,comdat
.Lfunc_end749:
	.size	_ZN7rocprim17ROCPRIM_400000_NS6detail17trampoline_kernelINS0_14default_configENS1_38merge_sort_block_merge_config_selectorIiiEEZZNS1_27merge_sort_block_merge_implIS3_N6thrust23THRUST_200600_302600_NS6detail15normal_iteratorINS8_10device_ptrIiEEEESD_jNS1_19radix_merge_compareILb0ELb0EiNS0_19identity_decomposerEEEEE10hipError_tT0_T1_T2_jT3_P12ihipStream_tbPNSt15iterator_traitsISI_E10value_typeEPNSO_ISJ_E10value_typeEPSK_NS1_7vsmem_tEENKUlT_SI_SJ_SK_E_clISD_PiSD_S10_EESH_SX_SI_SJ_SK_EUlSX_E1_NS1_11comp_targetILNS1_3genE10ELNS1_11target_archE1201ELNS1_3gpuE5ELNS1_3repE0EEENS1_36merge_oddeven_config_static_selectorELNS0_4arch9wavefront6targetE0EEEvSJ_, .Lfunc_end749-_ZN7rocprim17ROCPRIM_400000_NS6detail17trampoline_kernelINS0_14default_configENS1_38merge_sort_block_merge_config_selectorIiiEEZZNS1_27merge_sort_block_merge_implIS3_N6thrust23THRUST_200600_302600_NS6detail15normal_iteratorINS8_10device_ptrIiEEEESD_jNS1_19radix_merge_compareILb0ELb0EiNS0_19identity_decomposerEEEEE10hipError_tT0_T1_T2_jT3_P12ihipStream_tbPNSt15iterator_traitsISI_E10value_typeEPNSO_ISJ_E10value_typeEPSK_NS1_7vsmem_tEENKUlT_SI_SJ_SK_E_clISD_PiSD_S10_EESH_SX_SI_SJ_SK_EUlSX_E1_NS1_11comp_targetILNS1_3genE10ELNS1_11target_archE1201ELNS1_3gpuE5ELNS1_3repE0EEENS1_36merge_oddeven_config_static_selectorELNS0_4arch9wavefront6targetE0EEEvSJ_
                                        ; -- End function
	.set _ZN7rocprim17ROCPRIM_400000_NS6detail17trampoline_kernelINS0_14default_configENS1_38merge_sort_block_merge_config_selectorIiiEEZZNS1_27merge_sort_block_merge_implIS3_N6thrust23THRUST_200600_302600_NS6detail15normal_iteratorINS8_10device_ptrIiEEEESD_jNS1_19radix_merge_compareILb0ELb0EiNS0_19identity_decomposerEEEEE10hipError_tT0_T1_T2_jT3_P12ihipStream_tbPNSt15iterator_traitsISI_E10value_typeEPNSO_ISJ_E10value_typeEPSK_NS1_7vsmem_tEENKUlT_SI_SJ_SK_E_clISD_PiSD_S10_EESH_SX_SI_SJ_SK_EUlSX_E1_NS1_11comp_targetILNS1_3genE10ELNS1_11target_archE1201ELNS1_3gpuE5ELNS1_3repE0EEENS1_36merge_oddeven_config_static_selectorELNS0_4arch9wavefront6targetE0EEEvSJ_.num_vgpr, 0
	.set _ZN7rocprim17ROCPRIM_400000_NS6detail17trampoline_kernelINS0_14default_configENS1_38merge_sort_block_merge_config_selectorIiiEEZZNS1_27merge_sort_block_merge_implIS3_N6thrust23THRUST_200600_302600_NS6detail15normal_iteratorINS8_10device_ptrIiEEEESD_jNS1_19radix_merge_compareILb0ELb0EiNS0_19identity_decomposerEEEEE10hipError_tT0_T1_T2_jT3_P12ihipStream_tbPNSt15iterator_traitsISI_E10value_typeEPNSO_ISJ_E10value_typeEPSK_NS1_7vsmem_tEENKUlT_SI_SJ_SK_E_clISD_PiSD_S10_EESH_SX_SI_SJ_SK_EUlSX_E1_NS1_11comp_targetILNS1_3genE10ELNS1_11target_archE1201ELNS1_3gpuE5ELNS1_3repE0EEENS1_36merge_oddeven_config_static_selectorELNS0_4arch9wavefront6targetE0EEEvSJ_.num_agpr, 0
	.set _ZN7rocprim17ROCPRIM_400000_NS6detail17trampoline_kernelINS0_14default_configENS1_38merge_sort_block_merge_config_selectorIiiEEZZNS1_27merge_sort_block_merge_implIS3_N6thrust23THRUST_200600_302600_NS6detail15normal_iteratorINS8_10device_ptrIiEEEESD_jNS1_19radix_merge_compareILb0ELb0EiNS0_19identity_decomposerEEEEE10hipError_tT0_T1_T2_jT3_P12ihipStream_tbPNSt15iterator_traitsISI_E10value_typeEPNSO_ISJ_E10value_typeEPSK_NS1_7vsmem_tEENKUlT_SI_SJ_SK_E_clISD_PiSD_S10_EESH_SX_SI_SJ_SK_EUlSX_E1_NS1_11comp_targetILNS1_3genE10ELNS1_11target_archE1201ELNS1_3gpuE5ELNS1_3repE0EEENS1_36merge_oddeven_config_static_selectorELNS0_4arch9wavefront6targetE0EEEvSJ_.numbered_sgpr, 0
	.set _ZN7rocprim17ROCPRIM_400000_NS6detail17trampoline_kernelINS0_14default_configENS1_38merge_sort_block_merge_config_selectorIiiEEZZNS1_27merge_sort_block_merge_implIS3_N6thrust23THRUST_200600_302600_NS6detail15normal_iteratorINS8_10device_ptrIiEEEESD_jNS1_19radix_merge_compareILb0ELb0EiNS0_19identity_decomposerEEEEE10hipError_tT0_T1_T2_jT3_P12ihipStream_tbPNSt15iterator_traitsISI_E10value_typeEPNSO_ISJ_E10value_typeEPSK_NS1_7vsmem_tEENKUlT_SI_SJ_SK_E_clISD_PiSD_S10_EESH_SX_SI_SJ_SK_EUlSX_E1_NS1_11comp_targetILNS1_3genE10ELNS1_11target_archE1201ELNS1_3gpuE5ELNS1_3repE0EEENS1_36merge_oddeven_config_static_selectorELNS0_4arch9wavefront6targetE0EEEvSJ_.num_named_barrier, 0
	.set _ZN7rocprim17ROCPRIM_400000_NS6detail17trampoline_kernelINS0_14default_configENS1_38merge_sort_block_merge_config_selectorIiiEEZZNS1_27merge_sort_block_merge_implIS3_N6thrust23THRUST_200600_302600_NS6detail15normal_iteratorINS8_10device_ptrIiEEEESD_jNS1_19radix_merge_compareILb0ELb0EiNS0_19identity_decomposerEEEEE10hipError_tT0_T1_T2_jT3_P12ihipStream_tbPNSt15iterator_traitsISI_E10value_typeEPNSO_ISJ_E10value_typeEPSK_NS1_7vsmem_tEENKUlT_SI_SJ_SK_E_clISD_PiSD_S10_EESH_SX_SI_SJ_SK_EUlSX_E1_NS1_11comp_targetILNS1_3genE10ELNS1_11target_archE1201ELNS1_3gpuE5ELNS1_3repE0EEENS1_36merge_oddeven_config_static_selectorELNS0_4arch9wavefront6targetE0EEEvSJ_.private_seg_size, 0
	.set _ZN7rocprim17ROCPRIM_400000_NS6detail17trampoline_kernelINS0_14default_configENS1_38merge_sort_block_merge_config_selectorIiiEEZZNS1_27merge_sort_block_merge_implIS3_N6thrust23THRUST_200600_302600_NS6detail15normal_iteratorINS8_10device_ptrIiEEEESD_jNS1_19radix_merge_compareILb0ELb0EiNS0_19identity_decomposerEEEEE10hipError_tT0_T1_T2_jT3_P12ihipStream_tbPNSt15iterator_traitsISI_E10value_typeEPNSO_ISJ_E10value_typeEPSK_NS1_7vsmem_tEENKUlT_SI_SJ_SK_E_clISD_PiSD_S10_EESH_SX_SI_SJ_SK_EUlSX_E1_NS1_11comp_targetILNS1_3genE10ELNS1_11target_archE1201ELNS1_3gpuE5ELNS1_3repE0EEENS1_36merge_oddeven_config_static_selectorELNS0_4arch9wavefront6targetE0EEEvSJ_.uses_vcc, 0
	.set _ZN7rocprim17ROCPRIM_400000_NS6detail17trampoline_kernelINS0_14default_configENS1_38merge_sort_block_merge_config_selectorIiiEEZZNS1_27merge_sort_block_merge_implIS3_N6thrust23THRUST_200600_302600_NS6detail15normal_iteratorINS8_10device_ptrIiEEEESD_jNS1_19radix_merge_compareILb0ELb0EiNS0_19identity_decomposerEEEEE10hipError_tT0_T1_T2_jT3_P12ihipStream_tbPNSt15iterator_traitsISI_E10value_typeEPNSO_ISJ_E10value_typeEPSK_NS1_7vsmem_tEENKUlT_SI_SJ_SK_E_clISD_PiSD_S10_EESH_SX_SI_SJ_SK_EUlSX_E1_NS1_11comp_targetILNS1_3genE10ELNS1_11target_archE1201ELNS1_3gpuE5ELNS1_3repE0EEENS1_36merge_oddeven_config_static_selectorELNS0_4arch9wavefront6targetE0EEEvSJ_.uses_flat_scratch, 0
	.set _ZN7rocprim17ROCPRIM_400000_NS6detail17trampoline_kernelINS0_14default_configENS1_38merge_sort_block_merge_config_selectorIiiEEZZNS1_27merge_sort_block_merge_implIS3_N6thrust23THRUST_200600_302600_NS6detail15normal_iteratorINS8_10device_ptrIiEEEESD_jNS1_19radix_merge_compareILb0ELb0EiNS0_19identity_decomposerEEEEE10hipError_tT0_T1_T2_jT3_P12ihipStream_tbPNSt15iterator_traitsISI_E10value_typeEPNSO_ISJ_E10value_typeEPSK_NS1_7vsmem_tEENKUlT_SI_SJ_SK_E_clISD_PiSD_S10_EESH_SX_SI_SJ_SK_EUlSX_E1_NS1_11comp_targetILNS1_3genE10ELNS1_11target_archE1201ELNS1_3gpuE5ELNS1_3repE0EEENS1_36merge_oddeven_config_static_selectorELNS0_4arch9wavefront6targetE0EEEvSJ_.has_dyn_sized_stack, 0
	.set _ZN7rocprim17ROCPRIM_400000_NS6detail17trampoline_kernelINS0_14default_configENS1_38merge_sort_block_merge_config_selectorIiiEEZZNS1_27merge_sort_block_merge_implIS3_N6thrust23THRUST_200600_302600_NS6detail15normal_iteratorINS8_10device_ptrIiEEEESD_jNS1_19radix_merge_compareILb0ELb0EiNS0_19identity_decomposerEEEEE10hipError_tT0_T1_T2_jT3_P12ihipStream_tbPNSt15iterator_traitsISI_E10value_typeEPNSO_ISJ_E10value_typeEPSK_NS1_7vsmem_tEENKUlT_SI_SJ_SK_E_clISD_PiSD_S10_EESH_SX_SI_SJ_SK_EUlSX_E1_NS1_11comp_targetILNS1_3genE10ELNS1_11target_archE1201ELNS1_3gpuE5ELNS1_3repE0EEENS1_36merge_oddeven_config_static_selectorELNS0_4arch9wavefront6targetE0EEEvSJ_.has_recursion, 0
	.set _ZN7rocprim17ROCPRIM_400000_NS6detail17trampoline_kernelINS0_14default_configENS1_38merge_sort_block_merge_config_selectorIiiEEZZNS1_27merge_sort_block_merge_implIS3_N6thrust23THRUST_200600_302600_NS6detail15normal_iteratorINS8_10device_ptrIiEEEESD_jNS1_19radix_merge_compareILb0ELb0EiNS0_19identity_decomposerEEEEE10hipError_tT0_T1_T2_jT3_P12ihipStream_tbPNSt15iterator_traitsISI_E10value_typeEPNSO_ISJ_E10value_typeEPSK_NS1_7vsmem_tEENKUlT_SI_SJ_SK_E_clISD_PiSD_S10_EESH_SX_SI_SJ_SK_EUlSX_E1_NS1_11comp_targetILNS1_3genE10ELNS1_11target_archE1201ELNS1_3gpuE5ELNS1_3repE0EEENS1_36merge_oddeven_config_static_selectorELNS0_4arch9wavefront6targetE0EEEvSJ_.has_indirect_call, 0
	.section	.AMDGPU.csdata,"",@progbits
; Kernel info:
; codeLenInByte = 0
; TotalNumSgprs: 0
; NumVgprs: 0
; ScratchSize: 0
; MemoryBound: 0
; FloatMode: 240
; IeeeMode: 1
; LDSByteSize: 0 bytes/workgroup (compile time only)
; SGPRBlocks: 0
; VGPRBlocks: 0
; NumSGPRsForWavesPerEU: 1
; NumVGPRsForWavesPerEU: 1
; Occupancy: 16
; WaveLimiterHint : 0
; COMPUTE_PGM_RSRC2:SCRATCH_EN: 0
; COMPUTE_PGM_RSRC2:USER_SGPR: 6
; COMPUTE_PGM_RSRC2:TRAP_HANDLER: 0
; COMPUTE_PGM_RSRC2:TGID_X_EN: 1
; COMPUTE_PGM_RSRC2:TGID_Y_EN: 0
; COMPUTE_PGM_RSRC2:TGID_Z_EN: 0
; COMPUTE_PGM_RSRC2:TIDIG_COMP_CNT: 0
	.section	.text._ZN7rocprim17ROCPRIM_400000_NS6detail17trampoline_kernelINS0_14default_configENS1_38merge_sort_block_merge_config_selectorIiiEEZZNS1_27merge_sort_block_merge_implIS3_N6thrust23THRUST_200600_302600_NS6detail15normal_iteratorINS8_10device_ptrIiEEEESD_jNS1_19radix_merge_compareILb0ELb0EiNS0_19identity_decomposerEEEEE10hipError_tT0_T1_T2_jT3_P12ihipStream_tbPNSt15iterator_traitsISI_E10value_typeEPNSO_ISJ_E10value_typeEPSK_NS1_7vsmem_tEENKUlT_SI_SJ_SK_E_clISD_PiSD_S10_EESH_SX_SI_SJ_SK_EUlSX_E1_NS1_11comp_targetILNS1_3genE5ELNS1_11target_archE942ELNS1_3gpuE9ELNS1_3repE0EEENS1_36merge_oddeven_config_static_selectorELNS0_4arch9wavefront6targetE0EEEvSJ_,"axG",@progbits,_ZN7rocprim17ROCPRIM_400000_NS6detail17trampoline_kernelINS0_14default_configENS1_38merge_sort_block_merge_config_selectorIiiEEZZNS1_27merge_sort_block_merge_implIS3_N6thrust23THRUST_200600_302600_NS6detail15normal_iteratorINS8_10device_ptrIiEEEESD_jNS1_19radix_merge_compareILb0ELb0EiNS0_19identity_decomposerEEEEE10hipError_tT0_T1_T2_jT3_P12ihipStream_tbPNSt15iterator_traitsISI_E10value_typeEPNSO_ISJ_E10value_typeEPSK_NS1_7vsmem_tEENKUlT_SI_SJ_SK_E_clISD_PiSD_S10_EESH_SX_SI_SJ_SK_EUlSX_E1_NS1_11comp_targetILNS1_3genE5ELNS1_11target_archE942ELNS1_3gpuE9ELNS1_3repE0EEENS1_36merge_oddeven_config_static_selectorELNS0_4arch9wavefront6targetE0EEEvSJ_,comdat
	.protected	_ZN7rocprim17ROCPRIM_400000_NS6detail17trampoline_kernelINS0_14default_configENS1_38merge_sort_block_merge_config_selectorIiiEEZZNS1_27merge_sort_block_merge_implIS3_N6thrust23THRUST_200600_302600_NS6detail15normal_iteratorINS8_10device_ptrIiEEEESD_jNS1_19radix_merge_compareILb0ELb0EiNS0_19identity_decomposerEEEEE10hipError_tT0_T1_T2_jT3_P12ihipStream_tbPNSt15iterator_traitsISI_E10value_typeEPNSO_ISJ_E10value_typeEPSK_NS1_7vsmem_tEENKUlT_SI_SJ_SK_E_clISD_PiSD_S10_EESH_SX_SI_SJ_SK_EUlSX_E1_NS1_11comp_targetILNS1_3genE5ELNS1_11target_archE942ELNS1_3gpuE9ELNS1_3repE0EEENS1_36merge_oddeven_config_static_selectorELNS0_4arch9wavefront6targetE0EEEvSJ_ ; -- Begin function _ZN7rocprim17ROCPRIM_400000_NS6detail17trampoline_kernelINS0_14default_configENS1_38merge_sort_block_merge_config_selectorIiiEEZZNS1_27merge_sort_block_merge_implIS3_N6thrust23THRUST_200600_302600_NS6detail15normal_iteratorINS8_10device_ptrIiEEEESD_jNS1_19radix_merge_compareILb0ELb0EiNS0_19identity_decomposerEEEEE10hipError_tT0_T1_T2_jT3_P12ihipStream_tbPNSt15iterator_traitsISI_E10value_typeEPNSO_ISJ_E10value_typeEPSK_NS1_7vsmem_tEENKUlT_SI_SJ_SK_E_clISD_PiSD_S10_EESH_SX_SI_SJ_SK_EUlSX_E1_NS1_11comp_targetILNS1_3genE5ELNS1_11target_archE942ELNS1_3gpuE9ELNS1_3repE0EEENS1_36merge_oddeven_config_static_selectorELNS0_4arch9wavefront6targetE0EEEvSJ_
	.globl	_ZN7rocprim17ROCPRIM_400000_NS6detail17trampoline_kernelINS0_14default_configENS1_38merge_sort_block_merge_config_selectorIiiEEZZNS1_27merge_sort_block_merge_implIS3_N6thrust23THRUST_200600_302600_NS6detail15normal_iteratorINS8_10device_ptrIiEEEESD_jNS1_19radix_merge_compareILb0ELb0EiNS0_19identity_decomposerEEEEE10hipError_tT0_T1_T2_jT3_P12ihipStream_tbPNSt15iterator_traitsISI_E10value_typeEPNSO_ISJ_E10value_typeEPSK_NS1_7vsmem_tEENKUlT_SI_SJ_SK_E_clISD_PiSD_S10_EESH_SX_SI_SJ_SK_EUlSX_E1_NS1_11comp_targetILNS1_3genE5ELNS1_11target_archE942ELNS1_3gpuE9ELNS1_3repE0EEENS1_36merge_oddeven_config_static_selectorELNS0_4arch9wavefront6targetE0EEEvSJ_
	.p2align	8
	.type	_ZN7rocprim17ROCPRIM_400000_NS6detail17trampoline_kernelINS0_14default_configENS1_38merge_sort_block_merge_config_selectorIiiEEZZNS1_27merge_sort_block_merge_implIS3_N6thrust23THRUST_200600_302600_NS6detail15normal_iteratorINS8_10device_ptrIiEEEESD_jNS1_19radix_merge_compareILb0ELb0EiNS0_19identity_decomposerEEEEE10hipError_tT0_T1_T2_jT3_P12ihipStream_tbPNSt15iterator_traitsISI_E10value_typeEPNSO_ISJ_E10value_typeEPSK_NS1_7vsmem_tEENKUlT_SI_SJ_SK_E_clISD_PiSD_S10_EESH_SX_SI_SJ_SK_EUlSX_E1_NS1_11comp_targetILNS1_3genE5ELNS1_11target_archE942ELNS1_3gpuE9ELNS1_3repE0EEENS1_36merge_oddeven_config_static_selectorELNS0_4arch9wavefront6targetE0EEEvSJ_,@function
_ZN7rocprim17ROCPRIM_400000_NS6detail17trampoline_kernelINS0_14default_configENS1_38merge_sort_block_merge_config_selectorIiiEEZZNS1_27merge_sort_block_merge_implIS3_N6thrust23THRUST_200600_302600_NS6detail15normal_iteratorINS8_10device_ptrIiEEEESD_jNS1_19radix_merge_compareILb0ELb0EiNS0_19identity_decomposerEEEEE10hipError_tT0_T1_T2_jT3_P12ihipStream_tbPNSt15iterator_traitsISI_E10value_typeEPNSO_ISJ_E10value_typeEPSK_NS1_7vsmem_tEENKUlT_SI_SJ_SK_E_clISD_PiSD_S10_EESH_SX_SI_SJ_SK_EUlSX_E1_NS1_11comp_targetILNS1_3genE5ELNS1_11target_archE942ELNS1_3gpuE9ELNS1_3repE0EEENS1_36merge_oddeven_config_static_selectorELNS0_4arch9wavefront6targetE0EEEvSJ_: ; @_ZN7rocprim17ROCPRIM_400000_NS6detail17trampoline_kernelINS0_14default_configENS1_38merge_sort_block_merge_config_selectorIiiEEZZNS1_27merge_sort_block_merge_implIS3_N6thrust23THRUST_200600_302600_NS6detail15normal_iteratorINS8_10device_ptrIiEEEESD_jNS1_19radix_merge_compareILb0ELb0EiNS0_19identity_decomposerEEEEE10hipError_tT0_T1_T2_jT3_P12ihipStream_tbPNSt15iterator_traitsISI_E10value_typeEPNSO_ISJ_E10value_typeEPSK_NS1_7vsmem_tEENKUlT_SI_SJ_SK_E_clISD_PiSD_S10_EESH_SX_SI_SJ_SK_EUlSX_E1_NS1_11comp_targetILNS1_3genE5ELNS1_11target_archE942ELNS1_3gpuE9ELNS1_3repE0EEENS1_36merge_oddeven_config_static_selectorELNS0_4arch9wavefront6targetE0EEEvSJ_
; %bb.0:
	.section	.rodata,"a",@progbits
	.p2align	6, 0x0
	.amdhsa_kernel _ZN7rocprim17ROCPRIM_400000_NS6detail17trampoline_kernelINS0_14default_configENS1_38merge_sort_block_merge_config_selectorIiiEEZZNS1_27merge_sort_block_merge_implIS3_N6thrust23THRUST_200600_302600_NS6detail15normal_iteratorINS8_10device_ptrIiEEEESD_jNS1_19radix_merge_compareILb0ELb0EiNS0_19identity_decomposerEEEEE10hipError_tT0_T1_T2_jT3_P12ihipStream_tbPNSt15iterator_traitsISI_E10value_typeEPNSO_ISJ_E10value_typeEPSK_NS1_7vsmem_tEENKUlT_SI_SJ_SK_E_clISD_PiSD_S10_EESH_SX_SI_SJ_SK_EUlSX_E1_NS1_11comp_targetILNS1_3genE5ELNS1_11target_archE942ELNS1_3gpuE9ELNS1_3repE0EEENS1_36merge_oddeven_config_static_selectorELNS0_4arch9wavefront6targetE0EEEvSJ_
		.amdhsa_group_segment_fixed_size 0
		.amdhsa_private_segment_fixed_size 0
		.amdhsa_kernarg_size 48
		.amdhsa_user_sgpr_count 6
		.amdhsa_user_sgpr_private_segment_buffer 1
		.amdhsa_user_sgpr_dispatch_ptr 0
		.amdhsa_user_sgpr_queue_ptr 0
		.amdhsa_user_sgpr_kernarg_segment_ptr 1
		.amdhsa_user_sgpr_dispatch_id 0
		.amdhsa_user_sgpr_flat_scratch_init 0
		.amdhsa_user_sgpr_private_segment_size 0
		.amdhsa_wavefront_size32 1
		.amdhsa_uses_dynamic_stack 0
		.amdhsa_system_sgpr_private_segment_wavefront_offset 0
		.amdhsa_system_sgpr_workgroup_id_x 1
		.amdhsa_system_sgpr_workgroup_id_y 0
		.amdhsa_system_sgpr_workgroup_id_z 0
		.amdhsa_system_sgpr_workgroup_info 0
		.amdhsa_system_vgpr_workitem_id 0
		.amdhsa_next_free_vgpr 1
		.amdhsa_next_free_sgpr 1
		.amdhsa_reserve_vcc 0
		.amdhsa_reserve_flat_scratch 0
		.amdhsa_float_round_mode_32 0
		.amdhsa_float_round_mode_16_64 0
		.amdhsa_float_denorm_mode_32 3
		.amdhsa_float_denorm_mode_16_64 3
		.amdhsa_dx10_clamp 1
		.amdhsa_ieee_mode 1
		.amdhsa_fp16_overflow 0
		.amdhsa_workgroup_processor_mode 1
		.amdhsa_memory_ordered 1
		.amdhsa_forward_progress 1
		.amdhsa_shared_vgpr_count 0
		.amdhsa_exception_fp_ieee_invalid_op 0
		.amdhsa_exception_fp_denorm_src 0
		.amdhsa_exception_fp_ieee_div_zero 0
		.amdhsa_exception_fp_ieee_overflow 0
		.amdhsa_exception_fp_ieee_underflow 0
		.amdhsa_exception_fp_ieee_inexact 0
		.amdhsa_exception_int_div_zero 0
	.end_amdhsa_kernel
	.section	.text._ZN7rocprim17ROCPRIM_400000_NS6detail17trampoline_kernelINS0_14default_configENS1_38merge_sort_block_merge_config_selectorIiiEEZZNS1_27merge_sort_block_merge_implIS3_N6thrust23THRUST_200600_302600_NS6detail15normal_iteratorINS8_10device_ptrIiEEEESD_jNS1_19radix_merge_compareILb0ELb0EiNS0_19identity_decomposerEEEEE10hipError_tT0_T1_T2_jT3_P12ihipStream_tbPNSt15iterator_traitsISI_E10value_typeEPNSO_ISJ_E10value_typeEPSK_NS1_7vsmem_tEENKUlT_SI_SJ_SK_E_clISD_PiSD_S10_EESH_SX_SI_SJ_SK_EUlSX_E1_NS1_11comp_targetILNS1_3genE5ELNS1_11target_archE942ELNS1_3gpuE9ELNS1_3repE0EEENS1_36merge_oddeven_config_static_selectorELNS0_4arch9wavefront6targetE0EEEvSJ_,"axG",@progbits,_ZN7rocprim17ROCPRIM_400000_NS6detail17trampoline_kernelINS0_14default_configENS1_38merge_sort_block_merge_config_selectorIiiEEZZNS1_27merge_sort_block_merge_implIS3_N6thrust23THRUST_200600_302600_NS6detail15normal_iteratorINS8_10device_ptrIiEEEESD_jNS1_19radix_merge_compareILb0ELb0EiNS0_19identity_decomposerEEEEE10hipError_tT0_T1_T2_jT3_P12ihipStream_tbPNSt15iterator_traitsISI_E10value_typeEPNSO_ISJ_E10value_typeEPSK_NS1_7vsmem_tEENKUlT_SI_SJ_SK_E_clISD_PiSD_S10_EESH_SX_SI_SJ_SK_EUlSX_E1_NS1_11comp_targetILNS1_3genE5ELNS1_11target_archE942ELNS1_3gpuE9ELNS1_3repE0EEENS1_36merge_oddeven_config_static_selectorELNS0_4arch9wavefront6targetE0EEEvSJ_,comdat
.Lfunc_end750:
	.size	_ZN7rocprim17ROCPRIM_400000_NS6detail17trampoline_kernelINS0_14default_configENS1_38merge_sort_block_merge_config_selectorIiiEEZZNS1_27merge_sort_block_merge_implIS3_N6thrust23THRUST_200600_302600_NS6detail15normal_iteratorINS8_10device_ptrIiEEEESD_jNS1_19radix_merge_compareILb0ELb0EiNS0_19identity_decomposerEEEEE10hipError_tT0_T1_T2_jT3_P12ihipStream_tbPNSt15iterator_traitsISI_E10value_typeEPNSO_ISJ_E10value_typeEPSK_NS1_7vsmem_tEENKUlT_SI_SJ_SK_E_clISD_PiSD_S10_EESH_SX_SI_SJ_SK_EUlSX_E1_NS1_11comp_targetILNS1_3genE5ELNS1_11target_archE942ELNS1_3gpuE9ELNS1_3repE0EEENS1_36merge_oddeven_config_static_selectorELNS0_4arch9wavefront6targetE0EEEvSJ_, .Lfunc_end750-_ZN7rocprim17ROCPRIM_400000_NS6detail17trampoline_kernelINS0_14default_configENS1_38merge_sort_block_merge_config_selectorIiiEEZZNS1_27merge_sort_block_merge_implIS3_N6thrust23THRUST_200600_302600_NS6detail15normal_iteratorINS8_10device_ptrIiEEEESD_jNS1_19radix_merge_compareILb0ELb0EiNS0_19identity_decomposerEEEEE10hipError_tT0_T1_T2_jT3_P12ihipStream_tbPNSt15iterator_traitsISI_E10value_typeEPNSO_ISJ_E10value_typeEPSK_NS1_7vsmem_tEENKUlT_SI_SJ_SK_E_clISD_PiSD_S10_EESH_SX_SI_SJ_SK_EUlSX_E1_NS1_11comp_targetILNS1_3genE5ELNS1_11target_archE942ELNS1_3gpuE9ELNS1_3repE0EEENS1_36merge_oddeven_config_static_selectorELNS0_4arch9wavefront6targetE0EEEvSJ_
                                        ; -- End function
	.set _ZN7rocprim17ROCPRIM_400000_NS6detail17trampoline_kernelINS0_14default_configENS1_38merge_sort_block_merge_config_selectorIiiEEZZNS1_27merge_sort_block_merge_implIS3_N6thrust23THRUST_200600_302600_NS6detail15normal_iteratorINS8_10device_ptrIiEEEESD_jNS1_19radix_merge_compareILb0ELb0EiNS0_19identity_decomposerEEEEE10hipError_tT0_T1_T2_jT3_P12ihipStream_tbPNSt15iterator_traitsISI_E10value_typeEPNSO_ISJ_E10value_typeEPSK_NS1_7vsmem_tEENKUlT_SI_SJ_SK_E_clISD_PiSD_S10_EESH_SX_SI_SJ_SK_EUlSX_E1_NS1_11comp_targetILNS1_3genE5ELNS1_11target_archE942ELNS1_3gpuE9ELNS1_3repE0EEENS1_36merge_oddeven_config_static_selectorELNS0_4arch9wavefront6targetE0EEEvSJ_.num_vgpr, 0
	.set _ZN7rocprim17ROCPRIM_400000_NS6detail17trampoline_kernelINS0_14default_configENS1_38merge_sort_block_merge_config_selectorIiiEEZZNS1_27merge_sort_block_merge_implIS3_N6thrust23THRUST_200600_302600_NS6detail15normal_iteratorINS8_10device_ptrIiEEEESD_jNS1_19radix_merge_compareILb0ELb0EiNS0_19identity_decomposerEEEEE10hipError_tT0_T1_T2_jT3_P12ihipStream_tbPNSt15iterator_traitsISI_E10value_typeEPNSO_ISJ_E10value_typeEPSK_NS1_7vsmem_tEENKUlT_SI_SJ_SK_E_clISD_PiSD_S10_EESH_SX_SI_SJ_SK_EUlSX_E1_NS1_11comp_targetILNS1_3genE5ELNS1_11target_archE942ELNS1_3gpuE9ELNS1_3repE0EEENS1_36merge_oddeven_config_static_selectorELNS0_4arch9wavefront6targetE0EEEvSJ_.num_agpr, 0
	.set _ZN7rocprim17ROCPRIM_400000_NS6detail17trampoline_kernelINS0_14default_configENS1_38merge_sort_block_merge_config_selectorIiiEEZZNS1_27merge_sort_block_merge_implIS3_N6thrust23THRUST_200600_302600_NS6detail15normal_iteratorINS8_10device_ptrIiEEEESD_jNS1_19radix_merge_compareILb0ELb0EiNS0_19identity_decomposerEEEEE10hipError_tT0_T1_T2_jT3_P12ihipStream_tbPNSt15iterator_traitsISI_E10value_typeEPNSO_ISJ_E10value_typeEPSK_NS1_7vsmem_tEENKUlT_SI_SJ_SK_E_clISD_PiSD_S10_EESH_SX_SI_SJ_SK_EUlSX_E1_NS1_11comp_targetILNS1_3genE5ELNS1_11target_archE942ELNS1_3gpuE9ELNS1_3repE0EEENS1_36merge_oddeven_config_static_selectorELNS0_4arch9wavefront6targetE0EEEvSJ_.numbered_sgpr, 0
	.set _ZN7rocprim17ROCPRIM_400000_NS6detail17trampoline_kernelINS0_14default_configENS1_38merge_sort_block_merge_config_selectorIiiEEZZNS1_27merge_sort_block_merge_implIS3_N6thrust23THRUST_200600_302600_NS6detail15normal_iteratorINS8_10device_ptrIiEEEESD_jNS1_19radix_merge_compareILb0ELb0EiNS0_19identity_decomposerEEEEE10hipError_tT0_T1_T2_jT3_P12ihipStream_tbPNSt15iterator_traitsISI_E10value_typeEPNSO_ISJ_E10value_typeEPSK_NS1_7vsmem_tEENKUlT_SI_SJ_SK_E_clISD_PiSD_S10_EESH_SX_SI_SJ_SK_EUlSX_E1_NS1_11comp_targetILNS1_3genE5ELNS1_11target_archE942ELNS1_3gpuE9ELNS1_3repE0EEENS1_36merge_oddeven_config_static_selectorELNS0_4arch9wavefront6targetE0EEEvSJ_.num_named_barrier, 0
	.set _ZN7rocprim17ROCPRIM_400000_NS6detail17trampoline_kernelINS0_14default_configENS1_38merge_sort_block_merge_config_selectorIiiEEZZNS1_27merge_sort_block_merge_implIS3_N6thrust23THRUST_200600_302600_NS6detail15normal_iteratorINS8_10device_ptrIiEEEESD_jNS1_19radix_merge_compareILb0ELb0EiNS0_19identity_decomposerEEEEE10hipError_tT0_T1_T2_jT3_P12ihipStream_tbPNSt15iterator_traitsISI_E10value_typeEPNSO_ISJ_E10value_typeEPSK_NS1_7vsmem_tEENKUlT_SI_SJ_SK_E_clISD_PiSD_S10_EESH_SX_SI_SJ_SK_EUlSX_E1_NS1_11comp_targetILNS1_3genE5ELNS1_11target_archE942ELNS1_3gpuE9ELNS1_3repE0EEENS1_36merge_oddeven_config_static_selectorELNS0_4arch9wavefront6targetE0EEEvSJ_.private_seg_size, 0
	.set _ZN7rocprim17ROCPRIM_400000_NS6detail17trampoline_kernelINS0_14default_configENS1_38merge_sort_block_merge_config_selectorIiiEEZZNS1_27merge_sort_block_merge_implIS3_N6thrust23THRUST_200600_302600_NS6detail15normal_iteratorINS8_10device_ptrIiEEEESD_jNS1_19radix_merge_compareILb0ELb0EiNS0_19identity_decomposerEEEEE10hipError_tT0_T1_T2_jT3_P12ihipStream_tbPNSt15iterator_traitsISI_E10value_typeEPNSO_ISJ_E10value_typeEPSK_NS1_7vsmem_tEENKUlT_SI_SJ_SK_E_clISD_PiSD_S10_EESH_SX_SI_SJ_SK_EUlSX_E1_NS1_11comp_targetILNS1_3genE5ELNS1_11target_archE942ELNS1_3gpuE9ELNS1_3repE0EEENS1_36merge_oddeven_config_static_selectorELNS0_4arch9wavefront6targetE0EEEvSJ_.uses_vcc, 0
	.set _ZN7rocprim17ROCPRIM_400000_NS6detail17trampoline_kernelINS0_14default_configENS1_38merge_sort_block_merge_config_selectorIiiEEZZNS1_27merge_sort_block_merge_implIS3_N6thrust23THRUST_200600_302600_NS6detail15normal_iteratorINS8_10device_ptrIiEEEESD_jNS1_19radix_merge_compareILb0ELb0EiNS0_19identity_decomposerEEEEE10hipError_tT0_T1_T2_jT3_P12ihipStream_tbPNSt15iterator_traitsISI_E10value_typeEPNSO_ISJ_E10value_typeEPSK_NS1_7vsmem_tEENKUlT_SI_SJ_SK_E_clISD_PiSD_S10_EESH_SX_SI_SJ_SK_EUlSX_E1_NS1_11comp_targetILNS1_3genE5ELNS1_11target_archE942ELNS1_3gpuE9ELNS1_3repE0EEENS1_36merge_oddeven_config_static_selectorELNS0_4arch9wavefront6targetE0EEEvSJ_.uses_flat_scratch, 0
	.set _ZN7rocprim17ROCPRIM_400000_NS6detail17trampoline_kernelINS0_14default_configENS1_38merge_sort_block_merge_config_selectorIiiEEZZNS1_27merge_sort_block_merge_implIS3_N6thrust23THRUST_200600_302600_NS6detail15normal_iteratorINS8_10device_ptrIiEEEESD_jNS1_19radix_merge_compareILb0ELb0EiNS0_19identity_decomposerEEEEE10hipError_tT0_T1_T2_jT3_P12ihipStream_tbPNSt15iterator_traitsISI_E10value_typeEPNSO_ISJ_E10value_typeEPSK_NS1_7vsmem_tEENKUlT_SI_SJ_SK_E_clISD_PiSD_S10_EESH_SX_SI_SJ_SK_EUlSX_E1_NS1_11comp_targetILNS1_3genE5ELNS1_11target_archE942ELNS1_3gpuE9ELNS1_3repE0EEENS1_36merge_oddeven_config_static_selectorELNS0_4arch9wavefront6targetE0EEEvSJ_.has_dyn_sized_stack, 0
	.set _ZN7rocprim17ROCPRIM_400000_NS6detail17trampoline_kernelINS0_14default_configENS1_38merge_sort_block_merge_config_selectorIiiEEZZNS1_27merge_sort_block_merge_implIS3_N6thrust23THRUST_200600_302600_NS6detail15normal_iteratorINS8_10device_ptrIiEEEESD_jNS1_19radix_merge_compareILb0ELb0EiNS0_19identity_decomposerEEEEE10hipError_tT0_T1_T2_jT3_P12ihipStream_tbPNSt15iterator_traitsISI_E10value_typeEPNSO_ISJ_E10value_typeEPSK_NS1_7vsmem_tEENKUlT_SI_SJ_SK_E_clISD_PiSD_S10_EESH_SX_SI_SJ_SK_EUlSX_E1_NS1_11comp_targetILNS1_3genE5ELNS1_11target_archE942ELNS1_3gpuE9ELNS1_3repE0EEENS1_36merge_oddeven_config_static_selectorELNS0_4arch9wavefront6targetE0EEEvSJ_.has_recursion, 0
	.set _ZN7rocprim17ROCPRIM_400000_NS6detail17trampoline_kernelINS0_14default_configENS1_38merge_sort_block_merge_config_selectorIiiEEZZNS1_27merge_sort_block_merge_implIS3_N6thrust23THRUST_200600_302600_NS6detail15normal_iteratorINS8_10device_ptrIiEEEESD_jNS1_19radix_merge_compareILb0ELb0EiNS0_19identity_decomposerEEEEE10hipError_tT0_T1_T2_jT3_P12ihipStream_tbPNSt15iterator_traitsISI_E10value_typeEPNSO_ISJ_E10value_typeEPSK_NS1_7vsmem_tEENKUlT_SI_SJ_SK_E_clISD_PiSD_S10_EESH_SX_SI_SJ_SK_EUlSX_E1_NS1_11comp_targetILNS1_3genE5ELNS1_11target_archE942ELNS1_3gpuE9ELNS1_3repE0EEENS1_36merge_oddeven_config_static_selectorELNS0_4arch9wavefront6targetE0EEEvSJ_.has_indirect_call, 0
	.section	.AMDGPU.csdata,"",@progbits
; Kernel info:
; codeLenInByte = 0
; TotalNumSgprs: 0
; NumVgprs: 0
; ScratchSize: 0
; MemoryBound: 0
; FloatMode: 240
; IeeeMode: 1
; LDSByteSize: 0 bytes/workgroup (compile time only)
; SGPRBlocks: 0
; VGPRBlocks: 0
; NumSGPRsForWavesPerEU: 1
; NumVGPRsForWavesPerEU: 1
; Occupancy: 16
; WaveLimiterHint : 0
; COMPUTE_PGM_RSRC2:SCRATCH_EN: 0
; COMPUTE_PGM_RSRC2:USER_SGPR: 6
; COMPUTE_PGM_RSRC2:TRAP_HANDLER: 0
; COMPUTE_PGM_RSRC2:TGID_X_EN: 1
; COMPUTE_PGM_RSRC2:TGID_Y_EN: 0
; COMPUTE_PGM_RSRC2:TGID_Z_EN: 0
; COMPUTE_PGM_RSRC2:TIDIG_COMP_CNT: 0
	.section	.text._ZN7rocprim17ROCPRIM_400000_NS6detail17trampoline_kernelINS0_14default_configENS1_38merge_sort_block_merge_config_selectorIiiEEZZNS1_27merge_sort_block_merge_implIS3_N6thrust23THRUST_200600_302600_NS6detail15normal_iteratorINS8_10device_ptrIiEEEESD_jNS1_19radix_merge_compareILb0ELb0EiNS0_19identity_decomposerEEEEE10hipError_tT0_T1_T2_jT3_P12ihipStream_tbPNSt15iterator_traitsISI_E10value_typeEPNSO_ISJ_E10value_typeEPSK_NS1_7vsmem_tEENKUlT_SI_SJ_SK_E_clISD_PiSD_S10_EESH_SX_SI_SJ_SK_EUlSX_E1_NS1_11comp_targetILNS1_3genE4ELNS1_11target_archE910ELNS1_3gpuE8ELNS1_3repE0EEENS1_36merge_oddeven_config_static_selectorELNS0_4arch9wavefront6targetE0EEEvSJ_,"axG",@progbits,_ZN7rocprim17ROCPRIM_400000_NS6detail17trampoline_kernelINS0_14default_configENS1_38merge_sort_block_merge_config_selectorIiiEEZZNS1_27merge_sort_block_merge_implIS3_N6thrust23THRUST_200600_302600_NS6detail15normal_iteratorINS8_10device_ptrIiEEEESD_jNS1_19radix_merge_compareILb0ELb0EiNS0_19identity_decomposerEEEEE10hipError_tT0_T1_T2_jT3_P12ihipStream_tbPNSt15iterator_traitsISI_E10value_typeEPNSO_ISJ_E10value_typeEPSK_NS1_7vsmem_tEENKUlT_SI_SJ_SK_E_clISD_PiSD_S10_EESH_SX_SI_SJ_SK_EUlSX_E1_NS1_11comp_targetILNS1_3genE4ELNS1_11target_archE910ELNS1_3gpuE8ELNS1_3repE0EEENS1_36merge_oddeven_config_static_selectorELNS0_4arch9wavefront6targetE0EEEvSJ_,comdat
	.protected	_ZN7rocprim17ROCPRIM_400000_NS6detail17trampoline_kernelINS0_14default_configENS1_38merge_sort_block_merge_config_selectorIiiEEZZNS1_27merge_sort_block_merge_implIS3_N6thrust23THRUST_200600_302600_NS6detail15normal_iteratorINS8_10device_ptrIiEEEESD_jNS1_19radix_merge_compareILb0ELb0EiNS0_19identity_decomposerEEEEE10hipError_tT0_T1_T2_jT3_P12ihipStream_tbPNSt15iterator_traitsISI_E10value_typeEPNSO_ISJ_E10value_typeEPSK_NS1_7vsmem_tEENKUlT_SI_SJ_SK_E_clISD_PiSD_S10_EESH_SX_SI_SJ_SK_EUlSX_E1_NS1_11comp_targetILNS1_3genE4ELNS1_11target_archE910ELNS1_3gpuE8ELNS1_3repE0EEENS1_36merge_oddeven_config_static_selectorELNS0_4arch9wavefront6targetE0EEEvSJ_ ; -- Begin function _ZN7rocprim17ROCPRIM_400000_NS6detail17trampoline_kernelINS0_14default_configENS1_38merge_sort_block_merge_config_selectorIiiEEZZNS1_27merge_sort_block_merge_implIS3_N6thrust23THRUST_200600_302600_NS6detail15normal_iteratorINS8_10device_ptrIiEEEESD_jNS1_19radix_merge_compareILb0ELb0EiNS0_19identity_decomposerEEEEE10hipError_tT0_T1_T2_jT3_P12ihipStream_tbPNSt15iterator_traitsISI_E10value_typeEPNSO_ISJ_E10value_typeEPSK_NS1_7vsmem_tEENKUlT_SI_SJ_SK_E_clISD_PiSD_S10_EESH_SX_SI_SJ_SK_EUlSX_E1_NS1_11comp_targetILNS1_3genE4ELNS1_11target_archE910ELNS1_3gpuE8ELNS1_3repE0EEENS1_36merge_oddeven_config_static_selectorELNS0_4arch9wavefront6targetE0EEEvSJ_
	.globl	_ZN7rocprim17ROCPRIM_400000_NS6detail17trampoline_kernelINS0_14default_configENS1_38merge_sort_block_merge_config_selectorIiiEEZZNS1_27merge_sort_block_merge_implIS3_N6thrust23THRUST_200600_302600_NS6detail15normal_iteratorINS8_10device_ptrIiEEEESD_jNS1_19radix_merge_compareILb0ELb0EiNS0_19identity_decomposerEEEEE10hipError_tT0_T1_T2_jT3_P12ihipStream_tbPNSt15iterator_traitsISI_E10value_typeEPNSO_ISJ_E10value_typeEPSK_NS1_7vsmem_tEENKUlT_SI_SJ_SK_E_clISD_PiSD_S10_EESH_SX_SI_SJ_SK_EUlSX_E1_NS1_11comp_targetILNS1_3genE4ELNS1_11target_archE910ELNS1_3gpuE8ELNS1_3repE0EEENS1_36merge_oddeven_config_static_selectorELNS0_4arch9wavefront6targetE0EEEvSJ_
	.p2align	8
	.type	_ZN7rocprim17ROCPRIM_400000_NS6detail17trampoline_kernelINS0_14default_configENS1_38merge_sort_block_merge_config_selectorIiiEEZZNS1_27merge_sort_block_merge_implIS3_N6thrust23THRUST_200600_302600_NS6detail15normal_iteratorINS8_10device_ptrIiEEEESD_jNS1_19radix_merge_compareILb0ELb0EiNS0_19identity_decomposerEEEEE10hipError_tT0_T1_T2_jT3_P12ihipStream_tbPNSt15iterator_traitsISI_E10value_typeEPNSO_ISJ_E10value_typeEPSK_NS1_7vsmem_tEENKUlT_SI_SJ_SK_E_clISD_PiSD_S10_EESH_SX_SI_SJ_SK_EUlSX_E1_NS1_11comp_targetILNS1_3genE4ELNS1_11target_archE910ELNS1_3gpuE8ELNS1_3repE0EEENS1_36merge_oddeven_config_static_selectorELNS0_4arch9wavefront6targetE0EEEvSJ_,@function
_ZN7rocprim17ROCPRIM_400000_NS6detail17trampoline_kernelINS0_14default_configENS1_38merge_sort_block_merge_config_selectorIiiEEZZNS1_27merge_sort_block_merge_implIS3_N6thrust23THRUST_200600_302600_NS6detail15normal_iteratorINS8_10device_ptrIiEEEESD_jNS1_19radix_merge_compareILb0ELb0EiNS0_19identity_decomposerEEEEE10hipError_tT0_T1_T2_jT3_P12ihipStream_tbPNSt15iterator_traitsISI_E10value_typeEPNSO_ISJ_E10value_typeEPSK_NS1_7vsmem_tEENKUlT_SI_SJ_SK_E_clISD_PiSD_S10_EESH_SX_SI_SJ_SK_EUlSX_E1_NS1_11comp_targetILNS1_3genE4ELNS1_11target_archE910ELNS1_3gpuE8ELNS1_3repE0EEENS1_36merge_oddeven_config_static_selectorELNS0_4arch9wavefront6targetE0EEEvSJ_: ; @_ZN7rocprim17ROCPRIM_400000_NS6detail17trampoline_kernelINS0_14default_configENS1_38merge_sort_block_merge_config_selectorIiiEEZZNS1_27merge_sort_block_merge_implIS3_N6thrust23THRUST_200600_302600_NS6detail15normal_iteratorINS8_10device_ptrIiEEEESD_jNS1_19radix_merge_compareILb0ELb0EiNS0_19identity_decomposerEEEEE10hipError_tT0_T1_T2_jT3_P12ihipStream_tbPNSt15iterator_traitsISI_E10value_typeEPNSO_ISJ_E10value_typeEPSK_NS1_7vsmem_tEENKUlT_SI_SJ_SK_E_clISD_PiSD_S10_EESH_SX_SI_SJ_SK_EUlSX_E1_NS1_11comp_targetILNS1_3genE4ELNS1_11target_archE910ELNS1_3gpuE8ELNS1_3repE0EEENS1_36merge_oddeven_config_static_selectorELNS0_4arch9wavefront6targetE0EEEvSJ_
; %bb.0:
	.section	.rodata,"a",@progbits
	.p2align	6, 0x0
	.amdhsa_kernel _ZN7rocprim17ROCPRIM_400000_NS6detail17trampoline_kernelINS0_14default_configENS1_38merge_sort_block_merge_config_selectorIiiEEZZNS1_27merge_sort_block_merge_implIS3_N6thrust23THRUST_200600_302600_NS6detail15normal_iteratorINS8_10device_ptrIiEEEESD_jNS1_19radix_merge_compareILb0ELb0EiNS0_19identity_decomposerEEEEE10hipError_tT0_T1_T2_jT3_P12ihipStream_tbPNSt15iterator_traitsISI_E10value_typeEPNSO_ISJ_E10value_typeEPSK_NS1_7vsmem_tEENKUlT_SI_SJ_SK_E_clISD_PiSD_S10_EESH_SX_SI_SJ_SK_EUlSX_E1_NS1_11comp_targetILNS1_3genE4ELNS1_11target_archE910ELNS1_3gpuE8ELNS1_3repE0EEENS1_36merge_oddeven_config_static_selectorELNS0_4arch9wavefront6targetE0EEEvSJ_
		.amdhsa_group_segment_fixed_size 0
		.amdhsa_private_segment_fixed_size 0
		.amdhsa_kernarg_size 48
		.amdhsa_user_sgpr_count 6
		.amdhsa_user_sgpr_private_segment_buffer 1
		.amdhsa_user_sgpr_dispatch_ptr 0
		.amdhsa_user_sgpr_queue_ptr 0
		.amdhsa_user_sgpr_kernarg_segment_ptr 1
		.amdhsa_user_sgpr_dispatch_id 0
		.amdhsa_user_sgpr_flat_scratch_init 0
		.amdhsa_user_sgpr_private_segment_size 0
		.amdhsa_wavefront_size32 1
		.amdhsa_uses_dynamic_stack 0
		.amdhsa_system_sgpr_private_segment_wavefront_offset 0
		.amdhsa_system_sgpr_workgroup_id_x 1
		.amdhsa_system_sgpr_workgroup_id_y 0
		.amdhsa_system_sgpr_workgroup_id_z 0
		.amdhsa_system_sgpr_workgroup_info 0
		.amdhsa_system_vgpr_workitem_id 0
		.amdhsa_next_free_vgpr 1
		.amdhsa_next_free_sgpr 1
		.amdhsa_reserve_vcc 0
		.amdhsa_reserve_flat_scratch 0
		.amdhsa_float_round_mode_32 0
		.amdhsa_float_round_mode_16_64 0
		.amdhsa_float_denorm_mode_32 3
		.amdhsa_float_denorm_mode_16_64 3
		.amdhsa_dx10_clamp 1
		.amdhsa_ieee_mode 1
		.amdhsa_fp16_overflow 0
		.amdhsa_workgroup_processor_mode 1
		.amdhsa_memory_ordered 1
		.amdhsa_forward_progress 1
		.amdhsa_shared_vgpr_count 0
		.amdhsa_exception_fp_ieee_invalid_op 0
		.amdhsa_exception_fp_denorm_src 0
		.amdhsa_exception_fp_ieee_div_zero 0
		.amdhsa_exception_fp_ieee_overflow 0
		.amdhsa_exception_fp_ieee_underflow 0
		.amdhsa_exception_fp_ieee_inexact 0
		.amdhsa_exception_int_div_zero 0
	.end_amdhsa_kernel
	.section	.text._ZN7rocprim17ROCPRIM_400000_NS6detail17trampoline_kernelINS0_14default_configENS1_38merge_sort_block_merge_config_selectorIiiEEZZNS1_27merge_sort_block_merge_implIS3_N6thrust23THRUST_200600_302600_NS6detail15normal_iteratorINS8_10device_ptrIiEEEESD_jNS1_19radix_merge_compareILb0ELb0EiNS0_19identity_decomposerEEEEE10hipError_tT0_T1_T2_jT3_P12ihipStream_tbPNSt15iterator_traitsISI_E10value_typeEPNSO_ISJ_E10value_typeEPSK_NS1_7vsmem_tEENKUlT_SI_SJ_SK_E_clISD_PiSD_S10_EESH_SX_SI_SJ_SK_EUlSX_E1_NS1_11comp_targetILNS1_3genE4ELNS1_11target_archE910ELNS1_3gpuE8ELNS1_3repE0EEENS1_36merge_oddeven_config_static_selectorELNS0_4arch9wavefront6targetE0EEEvSJ_,"axG",@progbits,_ZN7rocprim17ROCPRIM_400000_NS6detail17trampoline_kernelINS0_14default_configENS1_38merge_sort_block_merge_config_selectorIiiEEZZNS1_27merge_sort_block_merge_implIS3_N6thrust23THRUST_200600_302600_NS6detail15normal_iteratorINS8_10device_ptrIiEEEESD_jNS1_19radix_merge_compareILb0ELb0EiNS0_19identity_decomposerEEEEE10hipError_tT0_T1_T2_jT3_P12ihipStream_tbPNSt15iterator_traitsISI_E10value_typeEPNSO_ISJ_E10value_typeEPSK_NS1_7vsmem_tEENKUlT_SI_SJ_SK_E_clISD_PiSD_S10_EESH_SX_SI_SJ_SK_EUlSX_E1_NS1_11comp_targetILNS1_3genE4ELNS1_11target_archE910ELNS1_3gpuE8ELNS1_3repE0EEENS1_36merge_oddeven_config_static_selectorELNS0_4arch9wavefront6targetE0EEEvSJ_,comdat
.Lfunc_end751:
	.size	_ZN7rocprim17ROCPRIM_400000_NS6detail17trampoline_kernelINS0_14default_configENS1_38merge_sort_block_merge_config_selectorIiiEEZZNS1_27merge_sort_block_merge_implIS3_N6thrust23THRUST_200600_302600_NS6detail15normal_iteratorINS8_10device_ptrIiEEEESD_jNS1_19radix_merge_compareILb0ELb0EiNS0_19identity_decomposerEEEEE10hipError_tT0_T1_T2_jT3_P12ihipStream_tbPNSt15iterator_traitsISI_E10value_typeEPNSO_ISJ_E10value_typeEPSK_NS1_7vsmem_tEENKUlT_SI_SJ_SK_E_clISD_PiSD_S10_EESH_SX_SI_SJ_SK_EUlSX_E1_NS1_11comp_targetILNS1_3genE4ELNS1_11target_archE910ELNS1_3gpuE8ELNS1_3repE0EEENS1_36merge_oddeven_config_static_selectorELNS0_4arch9wavefront6targetE0EEEvSJ_, .Lfunc_end751-_ZN7rocprim17ROCPRIM_400000_NS6detail17trampoline_kernelINS0_14default_configENS1_38merge_sort_block_merge_config_selectorIiiEEZZNS1_27merge_sort_block_merge_implIS3_N6thrust23THRUST_200600_302600_NS6detail15normal_iteratorINS8_10device_ptrIiEEEESD_jNS1_19radix_merge_compareILb0ELb0EiNS0_19identity_decomposerEEEEE10hipError_tT0_T1_T2_jT3_P12ihipStream_tbPNSt15iterator_traitsISI_E10value_typeEPNSO_ISJ_E10value_typeEPSK_NS1_7vsmem_tEENKUlT_SI_SJ_SK_E_clISD_PiSD_S10_EESH_SX_SI_SJ_SK_EUlSX_E1_NS1_11comp_targetILNS1_3genE4ELNS1_11target_archE910ELNS1_3gpuE8ELNS1_3repE0EEENS1_36merge_oddeven_config_static_selectorELNS0_4arch9wavefront6targetE0EEEvSJ_
                                        ; -- End function
	.set _ZN7rocprim17ROCPRIM_400000_NS6detail17trampoline_kernelINS0_14default_configENS1_38merge_sort_block_merge_config_selectorIiiEEZZNS1_27merge_sort_block_merge_implIS3_N6thrust23THRUST_200600_302600_NS6detail15normal_iteratorINS8_10device_ptrIiEEEESD_jNS1_19radix_merge_compareILb0ELb0EiNS0_19identity_decomposerEEEEE10hipError_tT0_T1_T2_jT3_P12ihipStream_tbPNSt15iterator_traitsISI_E10value_typeEPNSO_ISJ_E10value_typeEPSK_NS1_7vsmem_tEENKUlT_SI_SJ_SK_E_clISD_PiSD_S10_EESH_SX_SI_SJ_SK_EUlSX_E1_NS1_11comp_targetILNS1_3genE4ELNS1_11target_archE910ELNS1_3gpuE8ELNS1_3repE0EEENS1_36merge_oddeven_config_static_selectorELNS0_4arch9wavefront6targetE0EEEvSJ_.num_vgpr, 0
	.set _ZN7rocprim17ROCPRIM_400000_NS6detail17trampoline_kernelINS0_14default_configENS1_38merge_sort_block_merge_config_selectorIiiEEZZNS1_27merge_sort_block_merge_implIS3_N6thrust23THRUST_200600_302600_NS6detail15normal_iteratorINS8_10device_ptrIiEEEESD_jNS1_19radix_merge_compareILb0ELb0EiNS0_19identity_decomposerEEEEE10hipError_tT0_T1_T2_jT3_P12ihipStream_tbPNSt15iterator_traitsISI_E10value_typeEPNSO_ISJ_E10value_typeEPSK_NS1_7vsmem_tEENKUlT_SI_SJ_SK_E_clISD_PiSD_S10_EESH_SX_SI_SJ_SK_EUlSX_E1_NS1_11comp_targetILNS1_3genE4ELNS1_11target_archE910ELNS1_3gpuE8ELNS1_3repE0EEENS1_36merge_oddeven_config_static_selectorELNS0_4arch9wavefront6targetE0EEEvSJ_.num_agpr, 0
	.set _ZN7rocprim17ROCPRIM_400000_NS6detail17trampoline_kernelINS0_14default_configENS1_38merge_sort_block_merge_config_selectorIiiEEZZNS1_27merge_sort_block_merge_implIS3_N6thrust23THRUST_200600_302600_NS6detail15normal_iteratorINS8_10device_ptrIiEEEESD_jNS1_19radix_merge_compareILb0ELb0EiNS0_19identity_decomposerEEEEE10hipError_tT0_T1_T2_jT3_P12ihipStream_tbPNSt15iterator_traitsISI_E10value_typeEPNSO_ISJ_E10value_typeEPSK_NS1_7vsmem_tEENKUlT_SI_SJ_SK_E_clISD_PiSD_S10_EESH_SX_SI_SJ_SK_EUlSX_E1_NS1_11comp_targetILNS1_3genE4ELNS1_11target_archE910ELNS1_3gpuE8ELNS1_3repE0EEENS1_36merge_oddeven_config_static_selectorELNS0_4arch9wavefront6targetE0EEEvSJ_.numbered_sgpr, 0
	.set _ZN7rocprim17ROCPRIM_400000_NS6detail17trampoline_kernelINS0_14default_configENS1_38merge_sort_block_merge_config_selectorIiiEEZZNS1_27merge_sort_block_merge_implIS3_N6thrust23THRUST_200600_302600_NS6detail15normal_iteratorINS8_10device_ptrIiEEEESD_jNS1_19radix_merge_compareILb0ELb0EiNS0_19identity_decomposerEEEEE10hipError_tT0_T1_T2_jT3_P12ihipStream_tbPNSt15iterator_traitsISI_E10value_typeEPNSO_ISJ_E10value_typeEPSK_NS1_7vsmem_tEENKUlT_SI_SJ_SK_E_clISD_PiSD_S10_EESH_SX_SI_SJ_SK_EUlSX_E1_NS1_11comp_targetILNS1_3genE4ELNS1_11target_archE910ELNS1_3gpuE8ELNS1_3repE0EEENS1_36merge_oddeven_config_static_selectorELNS0_4arch9wavefront6targetE0EEEvSJ_.num_named_barrier, 0
	.set _ZN7rocprim17ROCPRIM_400000_NS6detail17trampoline_kernelINS0_14default_configENS1_38merge_sort_block_merge_config_selectorIiiEEZZNS1_27merge_sort_block_merge_implIS3_N6thrust23THRUST_200600_302600_NS6detail15normal_iteratorINS8_10device_ptrIiEEEESD_jNS1_19radix_merge_compareILb0ELb0EiNS0_19identity_decomposerEEEEE10hipError_tT0_T1_T2_jT3_P12ihipStream_tbPNSt15iterator_traitsISI_E10value_typeEPNSO_ISJ_E10value_typeEPSK_NS1_7vsmem_tEENKUlT_SI_SJ_SK_E_clISD_PiSD_S10_EESH_SX_SI_SJ_SK_EUlSX_E1_NS1_11comp_targetILNS1_3genE4ELNS1_11target_archE910ELNS1_3gpuE8ELNS1_3repE0EEENS1_36merge_oddeven_config_static_selectorELNS0_4arch9wavefront6targetE0EEEvSJ_.private_seg_size, 0
	.set _ZN7rocprim17ROCPRIM_400000_NS6detail17trampoline_kernelINS0_14default_configENS1_38merge_sort_block_merge_config_selectorIiiEEZZNS1_27merge_sort_block_merge_implIS3_N6thrust23THRUST_200600_302600_NS6detail15normal_iteratorINS8_10device_ptrIiEEEESD_jNS1_19radix_merge_compareILb0ELb0EiNS0_19identity_decomposerEEEEE10hipError_tT0_T1_T2_jT3_P12ihipStream_tbPNSt15iterator_traitsISI_E10value_typeEPNSO_ISJ_E10value_typeEPSK_NS1_7vsmem_tEENKUlT_SI_SJ_SK_E_clISD_PiSD_S10_EESH_SX_SI_SJ_SK_EUlSX_E1_NS1_11comp_targetILNS1_3genE4ELNS1_11target_archE910ELNS1_3gpuE8ELNS1_3repE0EEENS1_36merge_oddeven_config_static_selectorELNS0_4arch9wavefront6targetE0EEEvSJ_.uses_vcc, 0
	.set _ZN7rocprim17ROCPRIM_400000_NS6detail17trampoline_kernelINS0_14default_configENS1_38merge_sort_block_merge_config_selectorIiiEEZZNS1_27merge_sort_block_merge_implIS3_N6thrust23THRUST_200600_302600_NS6detail15normal_iteratorINS8_10device_ptrIiEEEESD_jNS1_19radix_merge_compareILb0ELb0EiNS0_19identity_decomposerEEEEE10hipError_tT0_T1_T2_jT3_P12ihipStream_tbPNSt15iterator_traitsISI_E10value_typeEPNSO_ISJ_E10value_typeEPSK_NS1_7vsmem_tEENKUlT_SI_SJ_SK_E_clISD_PiSD_S10_EESH_SX_SI_SJ_SK_EUlSX_E1_NS1_11comp_targetILNS1_3genE4ELNS1_11target_archE910ELNS1_3gpuE8ELNS1_3repE0EEENS1_36merge_oddeven_config_static_selectorELNS0_4arch9wavefront6targetE0EEEvSJ_.uses_flat_scratch, 0
	.set _ZN7rocprim17ROCPRIM_400000_NS6detail17trampoline_kernelINS0_14default_configENS1_38merge_sort_block_merge_config_selectorIiiEEZZNS1_27merge_sort_block_merge_implIS3_N6thrust23THRUST_200600_302600_NS6detail15normal_iteratorINS8_10device_ptrIiEEEESD_jNS1_19radix_merge_compareILb0ELb0EiNS0_19identity_decomposerEEEEE10hipError_tT0_T1_T2_jT3_P12ihipStream_tbPNSt15iterator_traitsISI_E10value_typeEPNSO_ISJ_E10value_typeEPSK_NS1_7vsmem_tEENKUlT_SI_SJ_SK_E_clISD_PiSD_S10_EESH_SX_SI_SJ_SK_EUlSX_E1_NS1_11comp_targetILNS1_3genE4ELNS1_11target_archE910ELNS1_3gpuE8ELNS1_3repE0EEENS1_36merge_oddeven_config_static_selectorELNS0_4arch9wavefront6targetE0EEEvSJ_.has_dyn_sized_stack, 0
	.set _ZN7rocprim17ROCPRIM_400000_NS6detail17trampoline_kernelINS0_14default_configENS1_38merge_sort_block_merge_config_selectorIiiEEZZNS1_27merge_sort_block_merge_implIS3_N6thrust23THRUST_200600_302600_NS6detail15normal_iteratorINS8_10device_ptrIiEEEESD_jNS1_19radix_merge_compareILb0ELb0EiNS0_19identity_decomposerEEEEE10hipError_tT0_T1_T2_jT3_P12ihipStream_tbPNSt15iterator_traitsISI_E10value_typeEPNSO_ISJ_E10value_typeEPSK_NS1_7vsmem_tEENKUlT_SI_SJ_SK_E_clISD_PiSD_S10_EESH_SX_SI_SJ_SK_EUlSX_E1_NS1_11comp_targetILNS1_3genE4ELNS1_11target_archE910ELNS1_3gpuE8ELNS1_3repE0EEENS1_36merge_oddeven_config_static_selectorELNS0_4arch9wavefront6targetE0EEEvSJ_.has_recursion, 0
	.set _ZN7rocprim17ROCPRIM_400000_NS6detail17trampoline_kernelINS0_14default_configENS1_38merge_sort_block_merge_config_selectorIiiEEZZNS1_27merge_sort_block_merge_implIS3_N6thrust23THRUST_200600_302600_NS6detail15normal_iteratorINS8_10device_ptrIiEEEESD_jNS1_19radix_merge_compareILb0ELb0EiNS0_19identity_decomposerEEEEE10hipError_tT0_T1_T2_jT3_P12ihipStream_tbPNSt15iterator_traitsISI_E10value_typeEPNSO_ISJ_E10value_typeEPSK_NS1_7vsmem_tEENKUlT_SI_SJ_SK_E_clISD_PiSD_S10_EESH_SX_SI_SJ_SK_EUlSX_E1_NS1_11comp_targetILNS1_3genE4ELNS1_11target_archE910ELNS1_3gpuE8ELNS1_3repE0EEENS1_36merge_oddeven_config_static_selectorELNS0_4arch9wavefront6targetE0EEEvSJ_.has_indirect_call, 0
	.section	.AMDGPU.csdata,"",@progbits
; Kernel info:
; codeLenInByte = 0
; TotalNumSgprs: 0
; NumVgprs: 0
; ScratchSize: 0
; MemoryBound: 0
; FloatMode: 240
; IeeeMode: 1
; LDSByteSize: 0 bytes/workgroup (compile time only)
; SGPRBlocks: 0
; VGPRBlocks: 0
; NumSGPRsForWavesPerEU: 1
; NumVGPRsForWavesPerEU: 1
; Occupancy: 16
; WaveLimiterHint : 0
; COMPUTE_PGM_RSRC2:SCRATCH_EN: 0
; COMPUTE_PGM_RSRC2:USER_SGPR: 6
; COMPUTE_PGM_RSRC2:TRAP_HANDLER: 0
; COMPUTE_PGM_RSRC2:TGID_X_EN: 1
; COMPUTE_PGM_RSRC2:TGID_Y_EN: 0
; COMPUTE_PGM_RSRC2:TGID_Z_EN: 0
; COMPUTE_PGM_RSRC2:TIDIG_COMP_CNT: 0
	.section	.text._ZN7rocprim17ROCPRIM_400000_NS6detail17trampoline_kernelINS0_14default_configENS1_38merge_sort_block_merge_config_selectorIiiEEZZNS1_27merge_sort_block_merge_implIS3_N6thrust23THRUST_200600_302600_NS6detail15normal_iteratorINS8_10device_ptrIiEEEESD_jNS1_19radix_merge_compareILb0ELb0EiNS0_19identity_decomposerEEEEE10hipError_tT0_T1_T2_jT3_P12ihipStream_tbPNSt15iterator_traitsISI_E10value_typeEPNSO_ISJ_E10value_typeEPSK_NS1_7vsmem_tEENKUlT_SI_SJ_SK_E_clISD_PiSD_S10_EESH_SX_SI_SJ_SK_EUlSX_E1_NS1_11comp_targetILNS1_3genE3ELNS1_11target_archE908ELNS1_3gpuE7ELNS1_3repE0EEENS1_36merge_oddeven_config_static_selectorELNS0_4arch9wavefront6targetE0EEEvSJ_,"axG",@progbits,_ZN7rocprim17ROCPRIM_400000_NS6detail17trampoline_kernelINS0_14default_configENS1_38merge_sort_block_merge_config_selectorIiiEEZZNS1_27merge_sort_block_merge_implIS3_N6thrust23THRUST_200600_302600_NS6detail15normal_iteratorINS8_10device_ptrIiEEEESD_jNS1_19radix_merge_compareILb0ELb0EiNS0_19identity_decomposerEEEEE10hipError_tT0_T1_T2_jT3_P12ihipStream_tbPNSt15iterator_traitsISI_E10value_typeEPNSO_ISJ_E10value_typeEPSK_NS1_7vsmem_tEENKUlT_SI_SJ_SK_E_clISD_PiSD_S10_EESH_SX_SI_SJ_SK_EUlSX_E1_NS1_11comp_targetILNS1_3genE3ELNS1_11target_archE908ELNS1_3gpuE7ELNS1_3repE0EEENS1_36merge_oddeven_config_static_selectorELNS0_4arch9wavefront6targetE0EEEvSJ_,comdat
	.protected	_ZN7rocprim17ROCPRIM_400000_NS6detail17trampoline_kernelINS0_14default_configENS1_38merge_sort_block_merge_config_selectorIiiEEZZNS1_27merge_sort_block_merge_implIS3_N6thrust23THRUST_200600_302600_NS6detail15normal_iteratorINS8_10device_ptrIiEEEESD_jNS1_19radix_merge_compareILb0ELb0EiNS0_19identity_decomposerEEEEE10hipError_tT0_T1_T2_jT3_P12ihipStream_tbPNSt15iterator_traitsISI_E10value_typeEPNSO_ISJ_E10value_typeEPSK_NS1_7vsmem_tEENKUlT_SI_SJ_SK_E_clISD_PiSD_S10_EESH_SX_SI_SJ_SK_EUlSX_E1_NS1_11comp_targetILNS1_3genE3ELNS1_11target_archE908ELNS1_3gpuE7ELNS1_3repE0EEENS1_36merge_oddeven_config_static_selectorELNS0_4arch9wavefront6targetE0EEEvSJ_ ; -- Begin function _ZN7rocprim17ROCPRIM_400000_NS6detail17trampoline_kernelINS0_14default_configENS1_38merge_sort_block_merge_config_selectorIiiEEZZNS1_27merge_sort_block_merge_implIS3_N6thrust23THRUST_200600_302600_NS6detail15normal_iteratorINS8_10device_ptrIiEEEESD_jNS1_19radix_merge_compareILb0ELb0EiNS0_19identity_decomposerEEEEE10hipError_tT0_T1_T2_jT3_P12ihipStream_tbPNSt15iterator_traitsISI_E10value_typeEPNSO_ISJ_E10value_typeEPSK_NS1_7vsmem_tEENKUlT_SI_SJ_SK_E_clISD_PiSD_S10_EESH_SX_SI_SJ_SK_EUlSX_E1_NS1_11comp_targetILNS1_3genE3ELNS1_11target_archE908ELNS1_3gpuE7ELNS1_3repE0EEENS1_36merge_oddeven_config_static_selectorELNS0_4arch9wavefront6targetE0EEEvSJ_
	.globl	_ZN7rocprim17ROCPRIM_400000_NS6detail17trampoline_kernelINS0_14default_configENS1_38merge_sort_block_merge_config_selectorIiiEEZZNS1_27merge_sort_block_merge_implIS3_N6thrust23THRUST_200600_302600_NS6detail15normal_iteratorINS8_10device_ptrIiEEEESD_jNS1_19radix_merge_compareILb0ELb0EiNS0_19identity_decomposerEEEEE10hipError_tT0_T1_T2_jT3_P12ihipStream_tbPNSt15iterator_traitsISI_E10value_typeEPNSO_ISJ_E10value_typeEPSK_NS1_7vsmem_tEENKUlT_SI_SJ_SK_E_clISD_PiSD_S10_EESH_SX_SI_SJ_SK_EUlSX_E1_NS1_11comp_targetILNS1_3genE3ELNS1_11target_archE908ELNS1_3gpuE7ELNS1_3repE0EEENS1_36merge_oddeven_config_static_selectorELNS0_4arch9wavefront6targetE0EEEvSJ_
	.p2align	8
	.type	_ZN7rocprim17ROCPRIM_400000_NS6detail17trampoline_kernelINS0_14default_configENS1_38merge_sort_block_merge_config_selectorIiiEEZZNS1_27merge_sort_block_merge_implIS3_N6thrust23THRUST_200600_302600_NS6detail15normal_iteratorINS8_10device_ptrIiEEEESD_jNS1_19radix_merge_compareILb0ELb0EiNS0_19identity_decomposerEEEEE10hipError_tT0_T1_T2_jT3_P12ihipStream_tbPNSt15iterator_traitsISI_E10value_typeEPNSO_ISJ_E10value_typeEPSK_NS1_7vsmem_tEENKUlT_SI_SJ_SK_E_clISD_PiSD_S10_EESH_SX_SI_SJ_SK_EUlSX_E1_NS1_11comp_targetILNS1_3genE3ELNS1_11target_archE908ELNS1_3gpuE7ELNS1_3repE0EEENS1_36merge_oddeven_config_static_selectorELNS0_4arch9wavefront6targetE0EEEvSJ_,@function
_ZN7rocprim17ROCPRIM_400000_NS6detail17trampoline_kernelINS0_14default_configENS1_38merge_sort_block_merge_config_selectorIiiEEZZNS1_27merge_sort_block_merge_implIS3_N6thrust23THRUST_200600_302600_NS6detail15normal_iteratorINS8_10device_ptrIiEEEESD_jNS1_19radix_merge_compareILb0ELb0EiNS0_19identity_decomposerEEEEE10hipError_tT0_T1_T2_jT3_P12ihipStream_tbPNSt15iterator_traitsISI_E10value_typeEPNSO_ISJ_E10value_typeEPSK_NS1_7vsmem_tEENKUlT_SI_SJ_SK_E_clISD_PiSD_S10_EESH_SX_SI_SJ_SK_EUlSX_E1_NS1_11comp_targetILNS1_3genE3ELNS1_11target_archE908ELNS1_3gpuE7ELNS1_3repE0EEENS1_36merge_oddeven_config_static_selectorELNS0_4arch9wavefront6targetE0EEEvSJ_: ; @_ZN7rocprim17ROCPRIM_400000_NS6detail17trampoline_kernelINS0_14default_configENS1_38merge_sort_block_merge_config_selectorIiiEEZZNS1_27merge_sort_block_merge_implIS3_N6thrust23THRUST_200600_302600_NS6detail15normal_iteratorINS8_10device_ptrIiEEEESD_jNS1_19radix_merge_compareILb0ELb0EiNS0_19identity_decomposerEEEEE10hipError_tT0_T1_T2_jT3_P12ihipStream_tbPNSt15iterator_traitsISI_E10value_typeEPNSO_ISJ_E10value_typeEPSK_NS1_7vsmem_tEENKUlT_SI_SJ_SK_E_clISD_PiSD_S10_EESH_SX_SI_SJ_SK_EUlSX_E1_NS1_11comp_targetILNS1_3genE3ELNS1_11target_archE908ELNS1_3gpuE7ELNS1_3repE0EEENS1_36merge_oddeven_config_static_selectorELNS0_4arch9wavefront6targetE0EEEvSJ_
; %bb.0:
	.section	.rodata,"a",@progbits
	.p2align	6, 0x0
	.amdhsa_kernel _ZN7rocprim17ROCPRIM_400000_NS6detail17trampoline_kernelINS0_14default_configENS1_38merge_sort_block_merge_config_selectorIiiEEZZNS1_27merge_sort_block_merge_implIS3_N6thrust23THRUST_200600_302600_NS6detail15normal_iteratorINS8_10device_ptrIiEEEESD_jNS1_19radix_merge_compareILb0ELb0EiNS0_19identity_decomposerEEEEE10hipError_tT0_T1_T2_jT3_P12ihipStream_tbPNSt15iterator_traitsISI_E10value_typeEPNSO_ISJ_E10value_typeEPSK_NS1_7vsmem_tEENKUlT_SI_SJ_SK_E_clISD_PiSD_S10_EESH_SX_SI_SJ_SK_EUlSX_E1_NS1_11comp_targetILNS1_3genE3ELNS1_11target_archE908ELNS1_3gpuE7ELNS1_3repE0EEENS1_36merge_oddeven_config_static_selectorELNS0_4arch9wavefront6targetE0EEEvSJ_
		.amdhsa_group_segment_fixed_size 0
		.amdhsa_private_segment_fixed_size 0
		.amdhsa_kernarg_size 48
		.amdhsa_user_sgpr_count 6
		.amdhsa_user_sgpr_private_segment_buffer 1
		.amdhsa_user_sgpr_dispatch_ptr 0
		.amdhsa_user_sgpr_queue_ptr 0
		.amdhsa_user_sgpr_kernarg_segment_ptr 1
		.amdhsa_user_sgpr_dispatch_id 0
		.amdhsa_user_sgpr_flat_scratch_init 0
		.amdhsa_user_sgpr_private_segment_size 0
		.amdhsa_wavefront_size32 1
		.amdhsa_uses_dynamic_stack 0
		.amdhsa_system_sgpr_private_segment_wavefront_offset 0
		.amdhsa_system_sgpr_workgroup_id_x 1
		.amdhsa_system_sgpr_workgroup_id_y 0
		.amdhsa_system_sgpr_workgroup_id_z 0
		.amdhsa_system_sgpr_workgroup_info 0
		.amdhsa_system_vgpr_workitem_id 0
		.amdhsa_next_free_vgpr 1
		.amdhsa_next_free_sgpr 1
		.amdhsa_reserve_vcc 0
		.amdhsa_reserve_flat_scratch 0
		.amdhsa_float_round_mode_32 0
		.amdhsa_float_round_mode_16_64 0
		.amdhsa_float_denorm_mode_32 3
		.amdhsa_float_denorm_mode_16_64 3
		.amdhsa_dx10_clamp 1
		.amdhsa_ieee_mode 1
		.amdhsa_fp16_overflow 0
		.amdhsa_workgroup_processor_mode 1
		.amdhsa_memory_ordered 1
		.amdhsa_forward_progress 1
		.amdhsa_shared_vgpr_count 0
		.amdhsa_exception_fp_ieee_invalid_op 0
		.amdhsa_exception_fp_denorm_src 0
		.amdhsa_exception_fp_ieee_div_zero 0
		.amdhsa_exception_fp_ieee_overflow 0
		.amdhsa_exception_fp_ieee_underflow 0
		.amdhsa_exception_fp_ieee_inexact 0
		.amdhsa_exception_int_div_zero 0
	.end_amdhsa_kernel
	.section	.text._ZN7rocprim17ROCPRIM_400000_NS6detail17trampoline_kernelINS0_14default_configENS1_38merge_sort_block_merge_config_selectorIiiEEZZNS1_27merge_sort_block_merge_implIS3_N6thrust23THRUST_200600_302600_NS6detail15normal_iteratorINS8_10device_ptrIiEEEESD_jNS1_19radix_merge_compareILb0ELb0EiNS0_19identity_decomposerEEEEE10hipError_tT0_T1_T2_jT3_P12ihipStream_tbPNSt15iterator_traitsISI_E10value_typeEPNSO_ISJ_E10value_typeEPSK_NS1_7vsmem_tEENKUlT_SI_SJ_SK_E_clISD_PiSD_S10_EESH_SX_SI_SJ_SK_EUlSX_E1_NS1_11comp_targetILNS1_3genE3ELNS1_11target_archE908ELNS1_3gpuE7ELNS1_3repE0EEENS1_36merge_oddeven_config_static_selectorELNS0_4arch9wavefront6targetE0EEEvSJ_,"axG",@progbits,_ZN7rocprim17ROCPRIM_400000_NS6detail17trampoline_kernelINS0_14default_configENS1_38merge_sort_block_merge_config_selectorIiiEEZZNS1_27merge_sort_block_merge_implIS3_N6thrust23THRUST_200600_302600_NS6detail15normal_iteratorINS8_10device_ptrIiEEEESD_jNS1_19radix_merge_compareILb0ELb0EiNS0_19identity_decomposerEEEEE10hipError_tT0_T1_T2_jT3_P12ihipStream_tbPNSt15iterator_traitsISI_E10value_typeEPNSO_ISJ_E10value_typeEPSK_NS1_7vsmem_tEENKUlT_SI_SJ_SK_E_clISD_PiSD_S10_EESH_SX_SI_SJ_SK_EUlSX_E1_NS1_11comp_targetILNS1_3genE3ELNS1_11target_archE908ELNS1_3gpuE7ELNS1_3repE0EEENS1_36merge_oddeven_config_static_selectorELNS0_4arch9wavefront6targetE0EEEvSJ_,comdat
.Lfunc_end752:
	.size	_ZN7rocprim17ROCPRIM_400000_NS6detail17trampoline_kernelINS0_14default_configENS1_38merge_sort_block_merge_config_selectorIiiEEZZNS1_27merge_sort_block_merge_implIS3_N6thrust23THRUST_200600_302600_NS6detail15normal_iteratorINS8_10device_ptrIiEEEESD_jNS1_19radix_merge_compareILb0ELb0EiNS0_19identity_decomposerEEEEE10hipError_tT0_T1_T2_jT3_P12ihipStream_tbPNSt15iterator_traitsISI_E10value_typeEPNSO_ISJ_E10value_typeEPSK_NS1_7vsmem_tEENKUlT_SI_SJ_SK_E_clISD_PiSD_S10_EESH_SX_SI_SJ_SK_EUlSX_E1_NS1_11comp_targetILNS1_3genE3ELNS1_11target_archE908ELNS1_3gpuE7ELNS1_3repE0EEENS1_36merge_oddeven_config_static_selectorELNS0_4arch9wavefront6targetE0EEEvSJ_, .Lfunc_end752-_ZN7rocprim17ROCPRIM_400000_NS6detail17trampoline_kernelINS0_14default_configENS1_38merge_sort_block_merge_config_selectorIiiEEZZNS1_27merge_sort_block_merge_implIS3_N6thrust23THRUST_200600_302600_NS6detail15normal_iteratorINS8_10device_ptrIiEEEESD_jNS1_19radix_merge_compareILb0ELb0EiNS0_19identity_decomposerEEEEE10hipError_tT0_T1_T2_jT3_P12ihipStream_tbPNSt15iterator_traitsISI_E10value_typeEPNSO_ISJ_E10value_typeEPSK_NS1_7vsmem_tEENKUlT_SI_SJ_SK_E_clISD_PiSD_S10_EESH_SX_SI_SJ_SK_EUlSX_E1_NS1_11comp_targetILNS1_3genE3ELNS1_11target_archE908ELNS1_3gpuE7ELNS1_3repE0EEENS1_36merge_oddeven_config_static_selectorELNS0_4arch9wavefront6targetE0EEEvSJ_
                                        ; -- End function
	.set _ZN7rocprim17ROCPRIM_400000_NS6detail17trampoline_kernelINS0_14default_configENS1_38merge_sort_block_merge_config_selectorIiiEEZZNS1_27merge_sort_block_merge_implIS3_N6thrust23THRUST_200600_302600_NS6detail15normal_iteratorINS8_10device_ptrIiEEEESD_jNS1_19radix_merge_compareILb0ELb0EiNS0_19identity_decomposerEEEEE10hipError_tT0_T1_T2_jT3_P12ihipStream_tbPNSt15iterator_traitsISI_E10value_typeEPNSO_ISJ_E10value_typeEPSK_NS1_7vsmem_tEENKUlT_SI_SJ_SK_E_clISD_PiSD_S10_EESH_SX_SI_SJ_SK_EUlSX_E1_NS1_11comp_targetILNS1_3genE3ELNS1_11target_archE908ELNS1_3gpuE7ELNS1_3repE0EEENS1_36merge_oddeven_config_static_selectorELNS0_4arch9wavefront6targetE0EEEvSJ_.num_vgpr, 0
	.set _ZN7rocprim17ROCPRIM_400000_NS6detail17trampoline_kernelINS0_14default_configENS1_38merge_sort_block_merge_config_selectorIiiEEZZNS1_27merge_sort_block_merge_implIS3_N6thrust23THRUST_200600_302600_NS6detail15normal_iteratorINS8_10device_ptrIiEEEESD_jNS1_19radix_merge_compareILb0ELb0EiNS0_19identity_decomposerEEEEE10hipError_tT0_T1_T2_jT3_P12ihipStream_tbPNSt15iterator_traitsISI_E10value_typeEPNSO_ISJ_E10value_typeEPSK_NS1_7vsmem_tEENKUlT_SI_SJ_SK_E_clISD_PiSD_S10_EESH_SX_SI_SJ_SK_EUlSX_E1_NS1_11comp_targetILNS1_3genE3ELNS1_11target_archE908ELNS1_3gpuE7ELNS1_3repE0EEENS1_36merge_oddeven_config_static_selectorELNS0_4arch9wavefront6targetE0EEEvSJ_.num_agpr, 0
	.set _ZN7rocprim17ROCPRIM_400000_NS6detail17trampoline_kernelINS0_14default_configENS1_38merge_sort_block_merge_config_selectorIiiEEZZNS1_27merge_sort_block_merge_implIS3_N6thrust23THRUST_200600_302600_NS6detail15normal_iteratorINS8_10device_ptrIiEEEESD_jNS1_19radix_merge_compareILb0ELb0EiNS0_19identity_decomposerEEEEE10hipError_tT0_T1_T2_jT3_P12ihipStream_tbPNSt15iterator_traitsISI_E10value_typeEPNSO_ISJ_E10value_typeEPSK_NS1_7vsmem_tEENKUlT_SI_SJ_SK_E_clISD_PiSD_S10_EESH_SX_SI_SJ_SK_EUlSX_E1_NS1_11comp_targetILNS1_3genE3ELNS1_11target_archE908ELNS1_3gpuE7ELNS1_3repE0EEENS1_36merge_oddeven_config_static_selectorELNS0_4arch9wavefront6targetE0EEEvSJ_.numbered_sgpr, 0
	.set _ZN7rocprim17ROCPRIM_400000_NS6detail17trampoline_kernelINS0_14default_configENS1_38merge_sort_block_merge_config_selectorIiiEEZZNS1_27merge_sort_block_merge_implIS3_N6thrust23THRUST_200600_302600_NS6detail15normal_iteratorINS8_10device_ptrIiEEEESD_jNS1_19radix_merge_compareILb0ELb0EiNS0_19identity_decomposerEEEEE10hipError_tT0_T1_T2_jT3_P12ihipStream_tbPNSt15iterator_traitsISI_E10value_typeEPNSO_ISJ_E10value_typeEPSK_NS1_7vsmem_tEENKUlT_SI_SJ_SK_E_clISD_PiSD_S10_EESH_SX_SI_SJ_SK_EUlSX_E1_NS1_11comp_targetILNS1_3genE3ELNS1_11target_archE908ELNS1_3gpuE7ELNS1_3repE0EEENS1_36merge_oddeven_config_static_selectorELNS0_4arch9wavefront6targetE0EEEvSJ_.num_named_barrier, 0
	.set _ZN7rocprim17ROCPRIM_400000_NS6detail17trampoline_kernelINS0_14default_configENS1_38merge_sort_block_merge_config_selectorIiiEEZZNS1_27merge_sort_block_merge_implIS3_N6thrust23THRUST_200600_302600_NS6detail15normal_iteratorINS8_10device_ptrIiEEEESD_jNS1_19radix_merge_compareILb0ELb0EiNS0_19identity_decomposerEEEEE10hipError_tT0_T1_T2_jT3_P12ihipStream_tbPNSt15iterator_traitsISI_E10value_typeEPNSO_ISJ_E10value_typeEPSK_NS1_7vsmem_tEENKUlT_SI_SJ_SK_E_clISD_PiSD_S10_EESH_SX_SI_SJ_SK_EUlSX_E1_NS1_11comp_targetILNS1_3genE3ELNS1_11target_archE908ELNS1_3gpuE7ELNS1_3repE0EEENS1_36merge_oddeven_config_static_selectorELNS0_4arch9wavefront6targetE0EEEvSJ_.private_seg_size, 0
	.set _ZN7rocprim17ROCPRIM_400000_NS6detail17trampoline_kernelINS0_14default_configENS1_38merge_sort_block_merge_config_selectorIiiEEZZNS1_27merge_sort_block_merge_implIS3_N6thrust23THRUST_200600_302600_NS6detail15normal_iteratorINS8_10device_ptrIiEEEESD_jNS1_19radix_merge_compareILb0ELb0EiNS0_19identity_decomposerEEEEE10hipError_tT0_T1_T2_jT3_P12ihipStream_tbPNSt15iterator_traitsISI_E10value_typeEPNSO_ISJ_E10value_typeEPSK_NS1_7vsmem_tEENKUlT_SI_SJ_SK_E_clISD_PiSD_S10_EESH_SX_SI_SJ_SK_EUlSX_E1_NS1_11comp_targetILNS1_3genE3ELNS1_11target_archE908ELNS1_3gpuE7ELNS1_3repE0EEENS1_36merge_oddeven_config_static_selectorELNS0_4arch9wavefront6targetE0EEEvSJ_.uses_vcc, 0
	.set _ZN7rocprim17ROCPRIM_400000_NS6detail17trampoline_kernelINS0_14default_configENS1_38merge_sort_block_merge_config_selectorIiiEEZZNS1_27merge_sort_block_merge_implIS3_N6thrust23THRUST_200600_302600_NS6detail15normal_iteratorINS8_10device_ptrIiEEEESD_jNS1_19radix_merge_compareILb0ELb0EiNS0_19identity_decomposerEEEEE10hipError_tT0_T1_T2_jT3_P12ihipStream_tbPNSt15iterator_traitsISI_E10value_typeEPNSO_ISJ_E10value_typeEPSK_NS1_7vsmem_tEENKUlT_SI_SJ_SK_E_clISD_PiSD_S10_EESH_SX_SI_SJ_SK_EUlSX_E1_NS1_11comp_targetILNS1_3genE3ELNS1_11target_archE908ELNS1_3gpuE7ELNS1_3repE0EEENS1_36merge_oddeven_config_static_selectorELNS0_4arch9wavefront6targetE0EEEvSJ_.uses_flat_scratch, 0
	.set _ZN7rocprim17ROCPRIM_400000_NS6detail17trampoline_kernelINS0_14default_configENS1_38merge_sort_block_merge_config_selectorIiiEEZZNS1_27merge_sort_block_merge_implIS3_N6thrust23THRUST_200600_302600_NS6detail15normal_iteratorINS8_10device_ptrIiEEEESD_jNS1_19radix_merge_compareILb0ELb0EiNS0_19identity_decomposerEEEEE10hipError_tT0_T1_T2_jT3_P12ihipStream_tbPNSt15iterator_traitsISI_E10value_typeEPNSO_ISJ_E10value_typeEPSK_NS1_7vsmem_tEENKUlT_SI_SJ_SK_E_clISD_PiSD_S10_EESH_SX_SI_SJ_SK_EUlSX_E1_NS1_11comp_targetILNS1_3genE3ELNS1_11target_archE908ELNS1_3gpuE7ELNS1_3repE0EEENS1_36merge_oddeven_config_static_selectorELNS0_4arch9wavefront6targetE0EEEvSJ_.has_dyn_sized_stack, 0
	.set _ZN7rocprim17ROCPRIM_400000_NS6detail17trampoline_kernelINS0_14default_configENS1_38merge_sort_block_merge_config_selectorIiiEEZZNS1_27merge_sort_block_merge_implIS3_N6thrust23THRUST_200600_302600_NS6detail15normal_iteratorINS8_10device_ptrIiEEEESD_jNS1_19radix_merge_compareILb0ELb0EiNS0_19identity_decomposerEEEEE10hipError_tT0_T1_T2_jT3_P12ihipStream_tbPNSt15iterator_traitsISI_E10value_typeEPNSO_ISJ_E10value_typeEPSK_NS1_7vsmem_tEENKUlT_SI_SJ_SK_E_clISD_PiSD_S10_EESH_SX_SI_SJ_SK_EUlSX_E1_NS1_11comp_targetILNS1_3genE3ELNS1_11target_archE908ELNS1_3gpuE7ELNS1_3repE0EEENS1_36merge_oddeven_config_static_selectorELNS0_4arch9wavefront6targetE0EEEvSJ_.has_recursion, 0
	.set _ZN7rocprim17ROCPRIM_400000_NS6detail17trampoline_kernelINS0_14default_configENS1_38merge_sort_block_merge_config_selectorIiiEEZZNS1_27merge_sort_block_merge_implIS3_N6thrust23THRUST_200600_302600_NS6detail15normal_iteratorINS8_10device_ptrIiEEEESD_jNS1_19radix_merge_compareILb0ELb0EiNS0_19identity_decomposerEEEEE10hipError_tT0_T1_T2_jT3_P12ihipStream_tbPNSt15iterator_traitsISI_E10value_typeEPNSO_ISJ_E10value_typeEPSK_NS1_7vsmem_tEENKUlT_SI_SJ_SK_E_clISD_PiSD_S10_EESH_SX_SI_SJ_SK_EUlSX_E1_NS1_11comp_targetILNS1_3genE3ELNS1_11target_archE908ELNS1_3gpuE7ELNS1_3repE0EEENS1_36merge_oddeven_config_static_selectorELNS0_4arch9wavefront6targetE0EEEvSJ_.has_indirect_call, 0
	.section	.AMDGPU.csdata,"",@progbits
; Kernel info:
; codeLenInByte = 0
; TotalNumSgprs: 0
; NumVgprs: 0
; ScratchSize: 0
; MemoryBound: 0
; FloatMode: 240
; IeeeMode: 1
; LDSByteSize: 0 bytes/workgroup (compile time only)
; SGPRBlocks: 0
; VGPRBlocks: 0
; NumSGPRsForWavesPerEU: 1
; NumVGPRsForWavesPerEU: 1
; Occupancy: 16
; WaveLimiterHint : 0
; COMPUTE_PGM_RSRC2:SCRATCH_EN: 0
; COMPUTE_PGM_RSRC2:USER_SGPR: 6
; COMPUTE_PGM_RSRC2:TRAP_HANDLER: 0
; COMPUTE_PGM_RSRC2:TGID_X_EN: 1
; COMPUTE_PGM_RSRC2:TGID_Y_EN: 0
; COMPUTE_PGM_RSRC2:TGID_Z_EN: 0
; COMPUTE_PGM_RSRC2:TIDIG_COMP_CNT: 0
	.section	.text._ZN7rocprim17ROCPRIM_400000_NS6detail17trampoline_kernelINS0_14default_configENS1_38merge_sort_block_merge_config_selectorIiiEEZZNS1_27merge_sort_block_merge_implIS3_N6thrust23THRUST_200600_302600_NS6detail15normal_iteratorINS8_10device_ptrIiEEEESD_jNS1_19radix_merge_compareILb0ELb0EiNS0_19identity_decomposerEEEEE10hipError_tT0_T1_T2_jT3_P12ihipStream_tbPNSt15iterator_traitsISI_E10value_typeEPNSO_ISJ_E10value_typeEPSK_NS1_7vsmem_tEENKUlT_SI_SJ_SK_E_clISD_PiSD_S10_EESH_SX_SI_SJ_SK_EUlSX_E1_NS1_11comp_targetILNS1_3genE2ELNS1_11target_archE906ELNS1_3gpuE6ELNS1_3repE0EEENS1_36merge_oddeven_config_static_selectorELNS0_4arch9wavefront6targetE0EEEvSJ_,"axG",@progbits,_ZN7rocprim17ROCPRIM_400000_NS6detail17trampoline_kernelINS0_14default_configENS1_38merge_sort_block_merge_config_selectorIiiEEZZNS1_27merge_sort_block_merge_implIS3_N6thrust23THRUST_200600_302600_NS6detail15normal_iteratorINS8_10device_ptrIiEEEESD_jNS1_19radix_merge_compareILb0ELb0EiNS0_19identity_decomposerEEEEE10hipError_tT0_T1_T2_jT3_P12ihipStream_tbPNSt15iterator_traitsISI_E10value_typeEPNSO_ISJ_E10value_typeEPSK_NS1_7vsmem_tEENKUlT_SI_SJ_SK_E_clISD_PiSD_S10_EESH_SX_SI_SJ_SK_EUlSX_E1_NS1_11comp_targetILNS1_3genE2ELNS1_11target_archE906ELNS1_3gpuE6ELNS1_3repE0EEENS1_36merge_oddeven_config_static_selectorELNS0_4arch9wavefront6targetE0EEEvSJ_,comdat
	.protected	_ZN7rocprim17ROCPRIM_400000_NS6detail17trampoline_kernelINS0_14default_configENS1_38merge_sort_block_merge_config_selectorIiiEEZZNS1_27merge_sort_block_merge_implIS3_N6thrust23THRUST_200600_302600_NS6detail15normal_iteratorINS8_10device_ptrIiEEEESD_jNS1_19radix_merge_compareILb0ELb0EiNS0_19identity_decomposerEEEEE10hipError_tT0_T1_T2_jT3_P12ihipStream_tbPNSt15iterator_traitsISI_E10value_typeEPNSO_ISJ_E10value_typeEPSK_NS1_7vsmem_tEENKUlT_SI_SJ_SK_E_clISD_PiSD_S10_EESH_SX_SI_SJ_SK_EUlSX_E1_NS1_11comp_targetILNS1_3genE2ELNS1_11target_archE906ELNS1_3gpuE6ELNS1_3repE0EEENS1_36merge_oddeven_config_static_selectorELNS0_4arch9wavefront6targetE0EEEvSJ_ ; -- Begin function _ZN7rocprim17ROCPRIM_400000_NS6detail17trampoline_kernelINS0_14default_configENS1_38merge_sort_block_merge_config_selectorIiiEEZZNS1_27merge_sort_block_merge_implIS3_N6thrust23THRUST_200600_302600_NS6detail15normal_iteratorINS8_10device_ptrIiEEEESD_jNS1_19radix_merge_compareILb0ELb0EiNS0_19identity_decomposerEEEEE10hipError_tT0_T1_T2_jT3_P12ihipStream_tbPNSt15iterator_traitsISI_E10value_typeEPNSO_ISJ_E10value_typeEPSK_NS1_7vsmem_tEENKUlT_SI_SJ_SK_E_clISD_PiSD_S10_EESH_SX_SI_SJ_SK_EUlSX_E1_NS1_11comp_targetILNS1_3genE2ELNS1_11target_archE906ELNS1_3gpuE6ELNS1_3repE0EEENS1_36merge_oddeven_config_static_selectorELNS0_4arch9wavefront6targetE0EEEvSJ_
	.globl	_ZN7rocprim17ROCPRIM_400000_NS6detail17trampoline_kernelINS0_14default_configENS1_38merge_sort_block_merge_config_selectorIiiEEZZNS1_27merge_sort_block_merge_implIS3_N6thrust23THRUST_200600_302600_NS6detail15normal_iteratorINS8_10device_ptrIiEEEESD_jNS1_19radix_merge_compareILb0ELb0EiNS0_19identity_decomposerEEEEE10hipError_tT0_T1_T2_jT3_P12ihipStream_tbPNSt15iterator_traitsISI_E10value_typeEPNSO_ISJ_E10value_typeEPSK_NS1_7vsmem_tEENKUlT_SI_SJ_SK_E_clISD_PiSD_S10_EESH_SX_SI_SJ_SK_EUlSX_E1_NS1_11comp_targetILNS1_3genE2ELNS1_11target_archE906ELNS1_3gpuE6ELNS1_3repE0EEENS1_36merge_oddeven_config_static_selectorELNS0_4arch9wavefront6targetE0EEEvSJ_
	.p2align	8
	.type	_ZN7rocprim17ROCPRIM_400000_NS6detail17trampoline_kernelINS0_14default_configENS1_38merge_sort_block_merge_config_selectorIiiEEZZNS1_27merge_sort_block_merge_implIS3_N6thrust23THRUST_200600_302600_NS6detail15normal_iteratorINS8_10device_ptrIiEEEESD_jNS1_19radix_merge_compareILb0ELb0EiNS0_19identity_decomposerEEEEE10hipError_tT0_T1_T2_jT3_P12ihipStream_tbPNSt15iterator_traitsISI_E10value_typeEPNSO_ISJ_E10value_typeEPSK_NS1_7vsmem_tEENKUlT_SI_SJ_SK_E_clISD_PiSD_S10_EESH_SX_SI_SJ_SK_EUlSX_E1_NS1_11comp_targetILNS1_3genE2ELNS1_11target_archE906ELNS1_3gpuE6ELNS1_3repE0EEENS1_36merge_oddeven_config_static_selectorELNS0_4arch9wavefront6targetE0EEEvSJ_,@function
_ZN7rocprim17ROCPRIM_400000_NS6detail17trampoline_kernelINS0_14default_configENS1_38merge_sort_block_merge_config_selectorIiiEEZZNS1_27merge_sort_block_merge_implIS3_N6thrust23THRUST_200600_302600_NS6detail15normal_iteratorINS8_10device_ptrIiEEEESD_jNS1_19radix_merge_compareILb0ELb0EiNS0_19identity_decomposerEEEEE10hipError_tT0_T1_T2_jT3_P12ihipStream_tbPNSt15iterator_traitsISI_E10value_typeEPNSO_ISJ_E10value_typeEPSK_NS1_7vsmem_tEENKUlT_SI_SJ_SK_E_clISD_PiSD_S10_EESH_SX_SI_SJ_SK_EUlSX_E1_NS1_11comp_targetILNS1_3genE2ELNS1_11target_archE906ELNS1_3gpuE6ELNS1_3repE0EEENS1_36merge_oddeven_config_static_selectorELNS0_4arch9wavefront6targetE0EEEvSJ_: ; @_ZN7rocprim17ROCPRIM_400000_NS6detail17trampoline_kernelINS0_14default_configENS1_38merge_sort_block_merge_config_selectorIiiEEZZNS1_27merge_sort_block_merge_implIS3_N6thrust23THRUST_200600_302600_NS6detail15normal_iteratorINS8_10device_ptrIiEEEESD_jNS1_19radix_merge_compareILb0ELb0EiNS0_19identity_decomposerEEEEE10hipError_tT0_T1_T2_jT3_P12ihipStream_tbPNSt15iterator_traitsISI_E10value_typeEPNSO_ISJ_E10value_typeEPSK_NS1_7vsmem_tEENKUlT_SI_SJ_SK_E_clISD_PiSD_S10_EESH_SX_SI_SJ_SK_EUlSX_E1_NS1_11comp_targetILNS1_3genE2ELNS1_11target_archE906ELNS1_3gpuE6ELNS1_3repE0EEENS1_36merge_oddeven_config_static_selectorELNS0_4arch9wavefront6targetE0EEEvSJ_
; %bb.0:
	.section	.rodata,"a",@progbits
	.p2align	6, 0x0
	.amdhsa_kernel _ZN7rocprim17ROCPRIM_400000_NS6detail17trampoline_kernelINS0_14default_configENS1_38merge_sort_block_merge_config_selectorIiiEEZZNS1_27merge_sort_block_merge_implIS3_N6thrust23THRUST_200600_302600_NS6detail15normal_iteratorINS8_10device_ptrIiEEEESD_jNS1_19radix_merge_compareILb0ELb0EiNS0_19identity_decomposerEEEEE10hipError_tT0_T1_T2_jT3_P12ihipStream_tbPNSt15iterator_traitsISI_E10value_typeEPNSO_ISJ_E10value_typeEPSK_NS1_7vsmem_tEENKUlT_SI_SJ_SK_E_clISD_PiSD_S10_EESH_SX_SI_SJ_SK_EUlSX_E1_NS1_11comp_targetILNS1_3genE2ELNS1_11target_archE906ELNS1_3gpuE6ELNS1_3repE0EEENS1_36merge_oddeven_config_static_selectorELNS0_4arch9wavefront6targetE0EEEvSJ_
		.amdhsa_group_segment_fixed_size 0
		.amdhsa_private_segment_fixed_size 0
		.amdhsa_kernarg_size 48
		.amdhsa_user_sgpr_count 6
		.amdhsa_user_sgpr_private_segment_buffer 1
		.amdhsa_user_sgpr_dispatch_ptr 0
		.amdhsa_user_sgpr_queue_ptr 0
		.amdhsa_user_sgpr_kernarg_segment_ptr 1
		.amdhsa_user_sgpr_dispatch_id 0
		.amdhsa_user_sgpr_flat_scratch_init 0
		.amdhsa_user_sgpr_private_segment_size 0
		.amdhsa_wavefront_size32 1
		.amdhsa_uses_dynamic_stack 0
		.amdhsa_system_sgpr_private_segment_wavefront_offset 0
		.amdhsa_system_sgpr_workgroup_id_x 1
		.amdhsa_system_sgpr_workgroup_id_y 0
		.amdhsa_system_sgpr_workgroup_id_z 0
		.amdhsa_system_sgpr_workgroup_info 0
		.amdhsa_system_vgpr_workitem_id 0
		.amdhsa_next_free_vgpr 1
		.amdhsa_next_free_sgpr 1
		.amdhsa_reserve_vcc 0
		.amdhsa_reserve_flat_scratch 0
		.amdhsa_float_round_mode_32 0
		.amdhsa_float_round_mode_16_64 0
		.amdhsa_float_denorm_mode_32 3
		.amdhsa_float_denorm_mode_16_64 3
		.amdhsa_dx10_clamp 1
		.amdhsa_ieee_mode 1
		.amdhsa_fp16_overflow 0
		.amdhsa_workgroup_processor_mode 1
		.amdhsa_memory_ordered 1
		.amdhsa_forward_progress 1
		.amdhsa_shared_vgpr_count 0
		.amdhsa_exception_fp_ieee_invalid_op 0
		.amdhsa_exception_fp_denorm_src 0
		.amdhsa_exception_fp_ieee_div_zero 0
		.amdhsa_exception_fp_ieee_overflow 0
		.amdhsa_exception_fp_ieee_underflow 0
		.amdhsa_exception_fp_ieee_inexact 0
		.amdhsa_exception_int_div_zero 0
	.end_amdhsa_kernel
	.section	.text._ZN7rocprim17ROCPRIM_400000_NS6detail17trampoline_kernelINS0_14default_configENS1_38merge_sort_block_merge_config_selectorIiiEEZZNS1_27merge_sort_block_merge_implIS3_N6thrust23THRUST_200600_302600_NS6detail15normal_iteratorINS8_10device_ptrIiEEEESD_jNS1_19radix_merge_compareILb0ELb0EiNS0_19identity_decomposerEEEEE10hipError_tT0_T1_T2_jT3_P12ihipStream_tbPNSt15iterator_traitsISI_E10value_typeEPNSO_ISJ_E10value_typeEPSK_NS1_7vsmem_tEENKUlT_SI_SJ_SK_E_clISD_PiSD_S10_EESH_SX_SI_SJ_SK_EUlSX_E1_NS1_11comp_targetILNS1_3genE2ELNS1_11target_archE906ELNS1_3gpuE6ELNS1_3repE0EEENS1_36merge_oddeven_config_static_selectorELNS0_4arch9wavefront6targetE0EEEvSJ_,"axG",@progbits,_ZN7rocprim17ROCPRIM_400000_NS6detail17trampoline_kernelINS0_14default_configENS1_38merge_sort_block_merge_config_selectorIiiEEZZNS1_27merge_sort_block_merge_implIS3_N6thrust23THRUST_200600_302600_NS6detail15normal_iteratorINS8_10device_ptrIiEEEESD_jNS1_19radix_merge_compareILb0ELb0EiNS0_19identity_decomposerEEEEE10hipError_tT0_T1_T2_jT3_P12ihipStream_tbPNSt15iterator_traitsISI_E10value_typeEPNSO_ISJ_E10value_typeEPSK_NS1_7vsmem_tEENKUlT_SI_SJ_SK_E_clISD_PiSD_S10_EESH_SX_SI_SJ_SK_EUlSX_E1_NS1_11comp_targetILNS1_3genE2ELNS1_11target_archE906ELNS1_3gpuE6ELNS1_3repE0EEENS1_36merge_oddeven_config_static_selectorELNS0_4arch9wavefront6targetE0EEEvSJ_,comdat
.Lfunc_end753:
	.size	_ZN7rocprim17ROCPRIM_400000_NS6detail17trampoline_kernelINS0_14default_configENS1_38merge_sort_block_merge_config_selectorIiiEEZZNS1_27merge_sort_block_merge_implIS3_N6thrust23THRUST_200600_302600_NS6detail15normal_iteratorINS8_10device_ptrIiEEEESD_jNS1_19radix_merge_compareILb0ELb0EiNS0_19identity_decomposerEEEEE10hipError_tT0_T1_T2_jT3_P12ihipStream_tbPNSt15iterator_traitsISI_E10value_typeEPNSO_ISJ_E10value_typeEPSK_NS1_7vsmem_tEENKUlT_SI_SJ_SK_E_clISD_PiSD_S10_EESH_SX_SI_SJ_SK_EUlSX_E1_NS1_11comp_targetILNS1_3genE2ELNS1_11target_archE906ELNS1_3gpuE6ELNS1_3repE0EEENS1_36merge_oddeven_config_static_selectorELNS0_4arch9wavefront6targetE0EEEvSJ_, .Lfunc_end753-_ZN7rocprim17ROCPRIM_400000_NS6detail17trampoline_kernelINS0_14default_configENS1_38merge_sort_block_merge_config_selectorIiiEEZZNS1_27merge_sort_block_merge_implIS3_N6thrust23THRUST_200600_302600_NS6detail15normal_iteratorINS8_10device_ptrIiEEEESD_jNS1_19radix_merge_compareILb0ELb0EiNS0_19identity_decomposerEEEEE10hipError_tT0_T1_T2_jT3_P12ihipStream_tbPNSt15iterator_traitsISI_E10value_typeEPNSO_ISJ_E10value_typeEPSK_NS1_7vsmem_tEENKUlT_SI_SJ_SK_E_clISD_PiSD_S10_EESH_SX_SI_SJ_SK_EUlSX_E1_NS1_11comp_targetILNS1_3genE2ELNS1_11target_archE906ELNS1_3gpuE6ELNS1_3repE0EEENS1_36merge_oddeven_config_static_selectorELNS0_4arch9wavefront6targetE0EEEvSJ_
                                        ; -- End function
	.set _ZN7rocprim17ROCPRIM_400000_NS6detail17trampoline_kernelINS0_14default_configENS1_38merge_sort_block_merge_config_selectorIiiEEZZNS1_27merge_sort_block_merge_implIS3_N6thrust23THRUST_200600_302600_NS6detail15normal_iteratorINS8_10device_ptrIiEEEESD_jNS1_19radix_merge_compareILb0ELb0EiNS0_19identity_decomposerEEEEE10hipError_tT0_T1_T2_jT3_P12ihipStream_tbPNSt15iterator_traitsISI_E10value_typeEPNSO_ISJ_E10value_typeEPSK_NS1_7vsmem_tEENKUlT_SI_SJ_SK_E_clISD_PiSD_S10_EESH_SX_SI_SJ_SK_EUlSX_E1_NS1_11comp_targetILNS1_3genE2ELNS1_11target_archE906ELNS1_3gpuE6ELNS1_3repE0EEENS1_36merge_oddeven_config_static_selectorELNS0_4arch9wavefront6targetE0EEEvSJ_.num_vgpr, 0
	.set _ZN7rocprim17ROCPRIM_400000_NS6detail17trampoline_kernelINS0_14default_configENS1_38merge_sort_block_merge_config_selectorIiiEEZZNS1_27merge_sort_block_merge_implIS3_N6thrust23THRUST_200600_302600_NS6detail15normal_iteratorINS8_10device_ptrIiEEEESD_jNS1_19radix_merge_compareILb0ELb0EiNS0_19identity_decomposerEEEEE10hipError_tT0_T1_T2_jT3_P12ihipStream_tbPNSt15iterator_traitsISI_E10value_typeEPNSO_ISJ_E10value_typeEPSK_NS1_7vsmem_tEENKUlT_SI_SJ_SK_E_clISD_PiSD_S10_EESH_SX_SI_SJ_SK_EUlSX_E1_NS1_11comp_targetILNS1_3genE2ELNS1_11target_archE906ELNS1_3gpuE6ELNS1_3repE0EEENS1_36merge_oddeven_config_static_selectorELNS0_4arch9wavefront6targetE0EEEvSJ_.num_agpr, 0
	.set _ZN7rocprim17ROCPRIM_400000_NS6detail17trampoline_kernelINS0_14default_configENS1_38merge_sort_block_merge_config_selectorIiiEEZZNS1_27merge_sort_block_merge_implIS3_N6thrust23THRUST_200600_302600_NS6detail15normal_iteratorINS8_10device_ptrIiEEEESD_jNS1_19radix_merge_compareILb0ELb0EiNS0_19identity_decomposerEEEEE10hipError_tT0_T1_T2_jT3_P12ihipStream_tbPNSt15iterator_traitsISI_E10value_typeEPNSO_ISJ_E10value_typeEPSK_NS1_7vsmem_tEENKUlT_SI_SJ_SK_E_clISD_PiSD_S10_EESH_SX_SI_SJ_SK_EUlSX_E1_NS1_11comp_targetILNS1_3genE2ELNS1_11target_archE906ELNS1_3gpuE6ELNS1_3repE0EEENS1_36merge_oddeven_config_static_selectorELNS0_4arch9wavefront6targetE0EEEvSJ_.numbered_sgpr, 0
	.set _ZN7rocprim17ROCPRIM_400000_NS6detail17trampoline_kernelINS0_14default_configENS1_38merge_sort_block_merge_config_selectorIiiEEZZNS1_27merge_sort_block_merge_implIS3_N6thrust23THRUST_200600_302600_NS6detail15normal_iteratorINS8_10device_ptrIiEEEESD_jNS1_19radix_merge_compareILb0ELb0EiNS0_19identity_decomposerEEEEE10hipError_tT0_T1_T2_jT3_P12ihipStream_tbPNSt15iterator_traitsISI_E10value_typeEPNSO_ISJ_E10value_typeEPSK_NS1_7vsmem_tEENKUlT_SI_SJ_SK_E_clISD_PiSD_S10_EESH_SX_SI_SJ_SK_EUlSX_E1_NS1_11comp_targetILNS1_3genE2ELNS1_11target_archE906ELNS1_3gpuE6ELNS1_3repE0EEENS1_36merge_oddeven_config_static_selectorELNS0_4arch9wavefront6targetE0EEEvSJ_.num_named_barrier, 0
	.set _ZN7rocprim17ROCPRIM_400000_NS6detail17trampoline_kernelINS0_14default_configENS1_38merge_sort_block_merge_config_selectorIiiEEZZNS1_27merge_sort_block_merge_implIS3_N6thrust23THRUST_200600_302600_NS6detail15normal_iteratorINS8_10device_ptrIiEEEESD_jNS1_19radix_merge_compareILb0ELb0EiNS0_19identity_decomposerEEEEE10hipError_tT0_T1_T2_jT3_P12ihipStream_tbPNSt15iterator_traitsISI_E10value_typeEPNSO_ISJ_E10value_typeEPSK_NS1_7vsmem_tEENKUlT_SI_SJ_SK_E_clISD_PiSD_S10_EESH_SX_SI_SJ_SK_EUlSX_E1_NS1_11comp_targetILNS1_3genE2ELNS1_11target_archE906ELNS1_3gpuE6ELNS1_3repE0EEENS1_36merge_oddeven_config_static_selectorELNS0_4arch9wavefront6targetE0EEEvSJ_.private_seg_size, 0
	.set _ZN7rocprim17ROCPRIM_400000_NS6detail17trampoline_kernelINS0_14default_configENS1_38merge_sort_block_merge_config_selectorIiiEEZZNS1_27merge_sort_block_merge_implIS3_N6thrust23THRUST_200600_302600_NS6detail15normal_iteratorINS8_10device_ptrIiEEEESD_jNS1_19radix_merge_compareILb0ELb0EiNS0_19identity_decomposerEEEEE10hipError_tT0_T1_T2_jT3_P12ihipStream_tbPNSt15iterator_traitsISI_E10value_typeEPNSO_ISJ_E10value_typeEPSK_NS1_7vsmem_tEENKUlT_SI_SJ_SK_E_clISD_PiSD_S10_EESH_SX_SI_SJ_SK_EUlSX_E1_NS1_11comp_targetILNS1_3genE2ELNS1_11target_archE906ELNS1_3gpuE6ELNS1_3repE0EEENS1_36merge_oddeven_config_static_selectorELNS0_4arch9wavefront6targetE0EEEvSJ_.uses_vcc, 0
	.set _ZN7rocprim17ROCPRIM_400000_NS6detail17trampoline_kernelINS0_14default_configENS1_38merge_sort_block_merge_config_selectorIiiEEZZNS1_27merge_sort_block_merge_implIS3_N6thrust23THRUST_200600_302600_NS6detail15normal_iteratorINS8_10device_ptrIiEEEESD_jNS1_19radix_merge_compareILb0ELb0EiNS0_19identity_decomposerEEEEE10hipError_tT0_T1_T2_jT3_P12ihipStream_tbPNSt15iterator_traitsISI_E10value_typeEPNSO_ISJ_E10value_typeEPSK_NS1_7vsmem_tEENKUlT_SI_SJ_SK_E_clISD_PiSD_S10_EESH_SX_SI_SJ_SK_EUlSX_E1_NS1_11comp_targetILNS1_3genE2ELNS1_11target_archE906ELNS1_3gpuE6ELNS1_3repE0EEENS1_36merge_oddeven_config_static_selectorELNS0_4arch9wavefront6targetE0EEEvSJ_.uses_flat_scratch, 0
	.set _ZN7rocprim17ROCPRIM_400000_NS6detail17trampoline_kernelINS0_14default_configENS1_38merge_sort_block_merge_config_selectorIiiEEZZNS1_27merge_sort_block_merge_implIS3_N6thrust23THRUST_200600_302600_NS6detail15normal_iteratorINS8_10device_ptrIiEEEESD_jNS1_19radix_merge_compareILb0ELb0EiNS0_19identity_decomposerEEEEE10hipError_tT0_T1_T2_jT3_P12ihipStream_tbPNSt15iterator_traitsISI_E10value_typeEPNSO_ISJ_E10value_typeEPSK_NS1_7vsmem_tEENKUlT_SI_SJ_SK_E_clISD_PiSD_S10_EESH_SX_SI_SJ_SK_EUlSX_E1_NS1_11comp_targetILNS1_3genE2ELNS1_11target_archE906ELNS1_3gpuE6ELNS1_3repE0EEENS1_36merge_oddeven_config_static_selectorELNS0_4arch9wavefront6targetE0EEEvSJ_.has_dyn_sized_stack, 0
	.set _ZN7rocprim17ROCPRIM_400000_NS6detail17trampoline_kernelINS0_14default_configENS1_38merge_sort_block_merge_config_selectorIiiEEZZNS1_27merge_sort_block_merge_implIS3_N6thrust23THRUST_200600_302600_NS6detail15normal_iteratorINS8_10device_ptrIiEEEESD_jNS1_19radix_merge_compareILb0ELb0EiNS0_19identity_decomposerEEEEE10hipError_tT0_T1_T2_jT3_P12ihipStream_tbPNSt15iterator_traitsISI_E10value_typeEPNSO_ISJ_E10value_typeEPSK_NS1_7vsmem_tEENKUlT_SI_SJ_SK_E_clISD_PiSD_S10_EESH_SX_SI_SJ_SK_EUlSX_E1_NS1_11comp_targetILNS1_3genE2ELNS1_11target_archE906ELNS1_3gpuE6ELNS1_3repE0EEENS1_36merge_oddeven_config_static_selectorELNS0_4arch9wavefront6targetE0EEEvSJ_.has_recursion, 0
	.set _ZN7rocprim17ROCPRIM_400000_NS6detail17trampoline_kernelINS0_14default_configENS1_38merge_sort_block_merge_config_selectorIiiEEZZNS1_27merge_sort_block_merge_implIS3_N6thrust23THRUST_200600_302600_NS6detail15normal_iteratorINS8_10device_ptrIiEEEESD_jNS1_19radix_merge_compareILb0ELb0EiNS0_19identity_decomposerEEEEE10hipError_tT0_T1_T2_jT3_P12ihipStream_tbPNSt15iterator_traitsISI_E10value_typeEPNSO_ISJ_E10value_typeEPSK_NS1_7vsmem_tEENKUlT_SI_SJ_SK_E_clISD_PiSD_S10_EESH_SX_SI_SJ_SK_EUlSX_E1_NS1_11comp_targetILNS1_3genE2ELNS1_11target_archE906ELNS1_3gpuE6ELNS1_3repE0EEENS1_36merge_oddeven_config_static_selectorELNS0_4arch9wavefront6targetE0EEEvSJ_.has_indirect_call, 0
	.section	.AMDGPU.csdata,"",@progbits
; Kernel info:
; codeLenInByte = 0
; TotalNumSgprs: 0
; NumVgprs: 0
; ScratchSize: 0
; MemoryBound: 0
; FloatMode: 240
; IeeeMode: 1
; LDSByteSize: 0 bytes/workgroup (compile time only)
; SGPRBlocks: 0
; VGPRBlocks: 0
; NumSGPRsForWavesPerEU: 1
; NumVGPRsForWavesPerEU: 1
; Occupancy: 16
; WaveLimiterHint : 0
; COMPUTE_PGM_RSRC2:SCRATCH_EN: 0
; COMPUTE_PGM_RSRC2:USER_SGPR: 6
; COMPUTE_PGM_RSRC2:TRAP_HANDLER: 0
; COMPUTE_PGM_RSRC2:TGID_X_EN: 1
; COMPUTE_PGM_RSRC2:TGID_Y_EN: 0
; COMPUTE_PGM_RSRC2:TGID_Z_EN: 0
; COMPUTE_PGM_RSRC2:TIDIG_COMP_CNT: 0
	.section	.text._ZN7rocprim17ROCPRIM_400000_NS6detail17trampoline_kernelINS0_14default_configENS1_38merge_sort_block_merge_config_selectorIiiEEZZNS1_27merge_sort_block_merge_implIS3_N6thrust23THRUST_200600_302600_NS6detail15normal_iteratorINS8_10device_ptrIiEEEESD_jNS1_19radix_merge_compareILb0ELb0EiNS0_19identity_decomposerEEEEE10hipError_tT0_T1_T2_jT3_P12ihipStream_tbPNSt15iterator_traitsISI_E10value_typeEPNSO_ISJ_E10value_typeEPSK_NS1_7vsmem_tEENKUlT_SI_SJ_SK_E_clISD_PiSD_S10_EESH_SX_SI_SJ_SK_EUlSX_E1_NS1_11comp_targetILNS1_3genE9ELNS1_11target_archE1100ELNS1_3gpuE3ELNS1_3repE0EEENS1_36merge_oddeven_config_static_selectorELNS0_4arch9wavefront6targetE0EEEvSJ_,"axG",@progbits,_ZN7rocprim17ROCPRIM_400000_NS6detail17trampoline_kernelINS0_14default_configENS1_38merge_sort_block_merge_config_selectorIiiEEZZNS1_27merge_sort_block_merge_implIS3_N6thrust23THRUST_200600_302600_NS6detail15normal_iteratorINS8_10device_ptrIiEEEESD_jNS1_19radix_merge_compareILb0ELb0EiNS0_19identity_decomposerEEEEE10hipError_tT0_T1_T2_jT3_P12ihipStream_tbPNSt15iterator_traitsISI_E10value_typeEPNSO_ISJ_E10value_typeEPSK_NS1_7vsmem_tEENKUlT_SI_SJ_SK_E_clISD_PiSD_S10_EESH_SX_SI_SJ_SK_EUlSX_E1_NS1_11comp_targetILNS1_3genE9ELNS1_11target_archE1100ELNS1_3gpuE3ELNS1_3repE0EEENS1_36merge_oddeven_config_static_selectorELNS0_4arch9wavefront6targetE0EEEvSJ_,comdat
	.protected	_ZN7rocprim17ROCPRIM_400000_NS6detail17trampoline_kernelINS0_14default_configENS1_38merge_sort_block_merge_config_selectorIiiEEZZNS1_27merge_sort_block_merge_implIS3_N6thrust23THRUST_200600_302600_NS6detail15normal_iteratorINS8_10device_ptrIiEEEESD_jNS1_19radix_merge_compareILb0ELb0EiNS0_19identity_decomposerEEEEE10hipError_tT0_T1_T2_jT3_P12ihipStream_tbPNSt15iterator_traitsISI_E10value_typeEPNSO_ISJ_E10value_typeEPSK_NS1_7vsmem_tEENKUlT_SI_SJ_SK_E_clISD_PiSD_S10_EESH_SX_SI_SJ_SK_EUlSX_E1_NS1_11comp_targetILNS1_3genE9ELNS1_11target_archE1100ELNS1_3gpuE3ELNS1_3repE0EEENS1_36merge_oddeven_config_static_selectorELNS0_4arch9wavefront6targetE0EEEvSJ_ ; -- Begin function _ZN7rocprim17ROCPRIM_400000_NS6detail17trampoline_kernelINS0_14default_configENS1_38merge_sort_block_merge_config_selectorIiiEEZZNS1_27merge_sort_block_merge_implIS3_N6thrust23THRUST_200600_302600_NS6detail15normal_iteratorINS8_10device_ptrIiEEEESD_jNS1_19radix_merge_compareILb0ELb0EiNS0_19identity_decomposerEEEEE10hipError_tT0_T1_T2_jT3_P12ihipStream_tbPNSt15iterator_traitsISI_E10value_typeEPNSO_ISJ_E10value_typeEPSK_NS1_7vsmem_tEENKUlT_SI_SJ_SK_E_clISD_PiSD_S10_EESH_SX_SI_SJ_SK_EUlSX_E1_NS1_11comp_targetILNS1_3genE9ELNS1_11target_archE1100ELNS1_3gpuE3ELNS1_3repE0EEENS1_36merge_oddeven_config_static_selectorELNS0_4arch9wavefront6targetE0EEEvSJ_
	.globl	_ZN7rocprim17ROCPRIM_400000_NS6detail17trampoline_kernelINS0_14default_configENS1_38merge_sort_block_merge_config_selectorIiiEEZZNS1_27merge_sort_block_merge_implIS3_N6thrust23THRUST_200600_302600_NS6detail15normal_iteratorINS8_10device_ptrIiEEEESD_jNS1_19radix_merge_compareILb0ELb0EiNS0_19identity_decomposerEEEEE10hipError_tT0_T1_T2_jT3_P12ihipStream_tbPNSt15iterator_traitsISI_E10value_typeEPNSO_ISJ_E10value_typeEPSK_NS1_7vsmem_tEENKUlT_SI_SJ_SK_E_clISD_PiSD_S10_EESH_SX_SI_SJ_SK_EUlSX_E1_NS1_11comp_targetILNS1_3genE9ELNS1_11target_archE1100ELNS1_3gpuE3ELNS1_3repE0EEENS1_36merge_oddeven_config_static_selectorELNS0_4arch9wavefront6targetE0EEEvSJ_
	.p2align	8
	.type	_ZN7rocprim17ROCPRIM_400000_NS6detail17trampoline_kernelINS0_14default_configENS1_38merge_sort_block_merge_config_selectorIiiEEZZNS1_27merge_sort_block_merge_implIS3_N6thrust23THRUST_200600_302600_NS6detail15normal_iteratorINS8_10device_ptrIiEEEESD_jNS1_19radix_merge_compareILb0ELb0EiNS0_19identity_decomposerEEEEE10hipError_tT0_T1_T2_jT3_P12ihipStream_tbPNSt15iterator_traitsISI_E10value_typeEPNSO_ISJ_E10value_typeEPSK_NS1_7vsmem_tEENKUlT_SI_SJ_SK_E_clISD_PiSD_S10_EESH_SX_SI_SJ_SK_EUlSX_E1_NS1_11comp_targetILNS1_3genE9ELNS1_11target_archE1100ELNS1_3gpuE3ELNS1_3repE0EEENS1_36merge_oddeven_config_static_selectorELNS0_4arch9wavefront6targetE0EEEvSJ_,@function
_ZN7rocprim17ROCPRIM_400000_NS6detail17trampoline_kernelINS0_14default_configENS1_38merge_sort_block_merge_config_selectorIiiEEZZNS1_27merge_sort_block_merge_implIS3_N6thrust23THRUST_200600_302600_NS6detail15normal_iteratorINS8_10device_ptrIiEEEESD_jNS1_19radix_merge_compareILb0ELb0EiNS0_19identity_decomposerEEEEE10hipError_tT0_T1_T2_jT3_P12ihipStream_tbPNSt15iterator_traitsISI_E10value_typeEPNSO_ISJ_E10value_typeEPSK_NS1_7vsmem_tEENKUlT_SI_SJ_SK_E_clISD_PiSD_S10_EESH_SX_SI_SJ_SK_EUlSX_E1_NS1_11comp_targetILNS1_3genE9ELNS1_11target_archE1100ELNS1_3gpuE3ELNS1_3repE0EEENS1_36merge_oddeven_config_static_selectorELNS0_4arch9wavefront6targetE0EEEvSJ_: ; @_ZN7rocprim17ROCPRIM_400000_NS6detail17trampoline_kernelINS0_14default_configENS1_38merge_sort_block_merge_config_selectorIiiEEZZNS1_27merge_sort_block_merge_implIS3_N6thrust23THRUST_200600_302600_NS6detail15normal_iteratorINS8_10device_ptrIiEEEESD_jNS1_19radix_merge_compareILb0ELb0EiNS0_19identity_decomposerEEEEE10hipError_tT0_T1_T2_jT3_P12ihipStream_tbPNSt15iterator_traitsISI_E10value_typeEPNSO_ISJ_E10value_typeEPSK_NS1_7vsmem_tEENKUlT_SI_SJ_SK_E_clISD_PiSD_S10_EESH_SX_SI_SJ_SK_EUlSX_E1_NS1_11comp_targetILNS1_3genE9ELNS1_11target_archE1100ELNS1_3gpuE3ELNS1_3repE0EEENS1_36merge_oddeven_config_static_selectorELNS0_4arch9wavefront6targetE0EEEvSJ_
; %bb.0:
	.section	.rodata,"a",@progbits
	.p2align	6, 0x0
	.amdhsa_kernel _ZN7rocprim17ROCPRIM_400000_NS6detail17trampoline_kernelINS0_14default_configENS1_38merge_sort_block_merge_config_selectorIiiEEZZNS1_27merge_sort_block_merge_implIS3_N6thrust23THRUST_200600_302600_NS6detail15normal_iteratorINS8_10device_ptrIiEEEESD_jNS1_19radix_merge_compareILb0ELb0EiNS0_19identity_decomposerEEEEE10hipError_tT0_T1_T2_jT3_P12ihipStream_tbPNSt15iterator_traitsISI_E10value_typeEPNSO_ISJ_E10value_typeEPSK_NS1_7vsmem_tEENKUlT_SI_SJ_SK_E_clISD_PiSD_S10_EESH_SX_SI_SJ_SK_EUlSX_E1_NS1_11comp_targetILNS1_3genE9ELNS1_11target_archE1100ELNS1_3gpuE3ELNS1_3repE0EEENS1_36merge_oddeven_config_static_selectorELNS0_4arch9wavefront6targetE0EEEvSJ_
		.amdhsa_group_segment_fixed_size 0
		.amdhsa_private_segment_fixed_size 0
		.amdhsa_kernarg_size 48
		.amdhsa_user_sgpr_count 6
		.amdhsa_user_sgpr_private_segment_buffer 1
		.amdhsa_user_sgpr_dispatch_ptr 0
		.amdhsa_user_sgpr_queue_ptr 0
		.amdhsa_user_sgpr_kernarg_segment_ptr 1
		.amdhsa_user_sgpr_dispatch_id 0
		.amdhsa_user_sgpr_flat_scratch_init 0
		.amdhsa_user_sgpr_private_segment_size 0
		.amdhsa_wavefront_size32 1
		.amdhsa_uses_dynamic_stack 0
		.amdhsa_system_sgpr_private_segment_wavefront_offset 0
		.amdhsa_system_sgpr_workgroup_id_x 1
		.amdhsa_system_sgpr_workgroup_id_y 0
		.amdhsa_system_sgpr_workgroup_id_z 0
		.amdhsa_system_sgpr_workgroup_info 0
		.amdhsa_system_vgpr_workitem_id 0
		.amdhsa_next_free_vgpr 1
		.amdhsa_next_free_sgpr 1
		.amdhsa_reserve_vcc 0
		.amdhsa_reserve_flat_scratch 0
		.amdhsa_float_round_mode_32 0
		.amdhsa_float_round_mode_16_64 0
		.amdhsa_float_denorm_mode_32 3
		.amdhsa_float_denorm_mode_16_64 3
		.amdhsa_dx10_clamp 1
		.amdhsa_ieee_mode 1
		.amdhsa_fp16_overflow 0
		.amdhsa_workgroup_processor_mode 1
		.amdhsa_memory_ordered 1
		.amdhsa_forward_progress 1
		.amdhsa_shared_vgpr_count 0
		.amdhsa_exception_fp_ieee_invalid_op 0
		.amdhsa_exception_fp_denorm_src 0
		.amdhsa_exception_fp_ieee_div_zero 0
		.amdhsa_exception_fp_ieee_overflow 0
		.amdhsa_exception_fp_ieee_underflow 0
		.amdhsa_exception_fp_ieee_inexact 0
		.amdhsa_exception_int_div_zero 0
	.end_amdhsa_kernel
	.section	.text._ZN7rocprim17ROCPRIM_400000_NS6detail17trampoline_kernelINS0_14default_configENS1_38merge_sort_block_merge_config_selectorIiiEEZZNS1_27merge_sort_block_merge_implIS3_N6thrust23THRUST_200600_302600_NS6detail15normal_iteratorINS8_10device_ptrIiEEEESD_jNS1_19radix_merge_compareILb0ELb0EiNS0_19identity_decomposerEEEEE10hipError_tT0_T1_T2_jT3_P12ihipStream_tbPNSt15iterator_traitsISI_E10value_typeEPNSO_ISJ_E10value_typeEPSK_NS1_7vsmem_tEENKUlT_SI_SJ_SK_E_clISD_PiSD_S10_EESH_SX_SI_SJ_SK_EUlSX_E1_NS1_11comp_targetILNS1_3genE9ELNS1_11target_archE1100ELNS1_3gpuE3ELNS1_3repE0EEENS1_36merge_oddeven_config_static_selectorELNS0_4arch9wavefront6targetE0EEEvSJ_,"axG",@progbits,_ZN7rocprim17ROCPRIM_400000_NS6detail17trampoline_kernelINS0_14default_configENS1_38merge_sort_block_merge_config_selectorIiiEEZZNS1_27merge_sort_block_merge_implIS3_N6thrust23THRUST_200600_302600_NS6detail15normal_iteratorINS8_10device_ptrIiEEEESD_jNS1_19radix_merge_compareILb0ELb0EiNS0_19identity_decomposerEEEEE10hipError_tT0_T1_T2_jT3_P12ihipStream_tbPNSt15iterator_traitsISI_E10value_typeEPNSO_ISJ_E10value_typeEPSK_NS1_7vsmem_tEENKUlT_SI_SJ_SK_E_clISD_PiSD_S10_EESH_SX_SI_SJ_SK_EUlSX_E1_NS1_11comp_targetILNS1_3genE9ELNS1_11target_archE1100ELNS1_3gpuE3ELNS1_3repE0EEENS1_36merge_oddeven_config_static_selectorELNS0_4arch9wavefront6targetE0EEEvSJ_,comdat
.Lfunc_end754:
	.size	_ZN7rocprim17ROCPRIM_400000_NS6detail17trampoline_kernelINS0_14default_configENS1_38merge_sort_block_merge_config_selectorIiiEEZZNS1_27merge_sort_block_merge_implIS3_N6thrust23THRUST_200600_302600_NS6detail15normal_iteratorINS8_10device_ptrIiEEEESD_jNS1_19radix_merge_compareILb0ELb0EiNS0_19identity_decomposerEEEEE10hipError_tT0_T1_T2_jT3_P12ihipStream_tbPNSt15iterator_traitsISI_E10value_typeEPNSO_ISJ_E10value_typeEPSK_NS1_7vsmem_tEENKUlT_SI_SJ_SK_E_clISD_PiSD_S10_EESH_SX_SI_SJ_SK_EUlSX_E1_NS1_11comp_targetILNS1_3genE9ELNS1_11target_archE1100ELNS1_3gpuE3ELNS1_3repE0EEENS1_36merge_oddeven_config_static_selectorELNS0_4arch9wavefront6targetE0EEEvSJ_, .Lfunc_end754-_ZN7rocprim17ROCPRIM_400000_NS6detail17trampoline_kernelINS0_14default_configENS1_38merge_sort_block_merge_config_selectorIiiEEZZNS1_27merge_sort_block_merge_implIS3_N6thrust23THRUST_200600_302600_NS6detail15normal_iteratorINS8_10device_ptrIiEEEESD_jNS1_19radix_merge_compareILb0ELb0EiNS0_19identity_decomposerEEEEE10hipError_tT0_T1_T2_jT3_P12ihipStream_tbPNSt15iterator_traitsISI_E10value_typeEPNSO_ISJ_E10value_typeEPSK_NS1_7vsmem_tEENKUlT_SI_SJ_SK_E_clISD_PiSD_S10_EESH_SX_SI_SJ_SK_EUlSX_E1_NS1_11comp_targetILNS1_3genE9ELNS1_11target_archE1100ELNS1_3gpuE3ELNS1_3repE0EEENS1_36merge_oddeven_config_static_selectorELNS0_4arch9wavefront6targetE0EEEvSJ_
                                        ; -- End function
	.set _ZN7rocprim17ROCPRIM_400000_NS6detail17trampoline_kernelINS0_14default_configENS1_38merge_sort_block_merge_config_selectorIiiEEZZNS1_27merge_sort_block_merge_implIS3_N6thrust23THRUST_200600_302600_NS6detail15normal_iteratorINS8_10device_ptrIiEEEESD_jNS1_19radix_merge_compareILb0ELb0EiNS0_19identity_decomposerEEEEE10hipError_tT0_T1_T2_jT3_P12ihipStream_tbPNSt15iterator_traitsISI_E10value_typeEPNSO_ISJ_E10value_typeEPSK_NS1_7vsmem_tEENKUlT_SI_SJ_SK_E_clISD_PiSD_S10_EESH_SX_SI_SJ_SK_EUlSX_E1_NS1_11comp_targetILNS1_3genE9ELNS1_11target_archE1100ELNS1_3gpuE3ELNS1_3repE0EEENS1_36merge_oddeven_config_static_selectorELNS0_4arch9wavefront6targetE0EEEvSJ_.num_vgpr, 0
	.set _ZN7rocprim17ROCPRIM_400000_NS6detail17trampoline_kernelINS0_14default_configENS1_38merge_sort_block_merge_config_selectorIiiEEZZNS1_27merge_sort_block_merge_implIS3_N6thrust23THRUST_200600_302600_NS6detail15normal_iteratorINS8_10device_ptrIiEEEESD_jNS1_19radix_merge_compareILb0ELb0EiNS0_19identity_decomposerEEEEE10hipError_tT0_T1_T2_jT3_P12ihipStream_tbPNSt15iterator_traitsISI_E10value_typeEPNSO_ISJ_E10value_typeEPSK_NS1_7vsmem_tEENKUlT_SI_SJ_SK_E_clISD_PiSD_S10_EESH_SX_SI_SJ_SK_EUlSX_E1_NS1_11comp_targetILNS1_3genE9ELNS1_11target_archE1100ELNS1_3gpuE3ELNS1_3repE0EEENS1_36merge_oddeven_config_static_selectorELNS0_4arch9wavefront6targetE0EEEvSJ_.num_agpr, 0
	.set _ZN7rocprim17ROCPRIM_400000_NS6detail17trampoline_kernelINS0_14default_configENS1_38merge_sort_block_merge_config_selectorIiiEEZZNS1_27merge_sort_block_merge_implIS3_N6thrust23THRUST_200600_302600_NS6detail15normal_iteratorINS8_10device_ptrIiEEEESD_jNS1_19radix_merge_compareILb0ELb0EiNS0_19identity_decomposerEEEEE10hipError_tT0_T1_T2_jT3_P12ihipStream_tbPNSt15iterator_traitsISI_E10value_typeEPNSO_ISJ_E10value_typeEPSK_NS1_7vsmem_tEENKUlT_SI_SJ_SK_E_clISD_PiSD_S10_EESH_SX_SI_SJ_SK_EUlSX_E1_NS1_11comp_targetILNS1_3genE9ELNS1_11target_archE1100ELNS1_3gpuE3ELNS1_3repE0EEENS1_36merge_oddeven_config_static_selectorELNS0_4arch9wavefront6targetE0EEEvSJ_.numbered_sgpr, 0
	.set _ZN7rocprim17ROCPRIM_400000_NS6detail17trampoline_kernelINS0_14default_configENS1_38merge_sort_block_merge_config_selectorIiiEEZZNS1_27merge_sort_block_merge_implIS3_N6thrust23THRUST_200600_302600_NS6detail15normal_iteratorINS8_10device_ptrIiEEEESD_jNS1_19radix_merge_compareILb0ELb0EiNS0_19identity_decomposerEEEEE10hipError_tT0_T1_T2_jT3_P12ihipStream_tbPNSt15iterator_traitsISI_E10value_typeEPNSO_ISJ_E10value_typeEPSK_NS1_7vsmem_tEENKUlT_SI_SJ_SK_E_clISD_PiSD_S10_EESH_SX_SI_SJ_SK_EUlSX_E1_NS1_11comp_targetILNS1_3genE9ELNS1_11target_archE1100ELNS1_3gpuE3ELNS1_3repE0EEENS1_36merge_oddeven_config_static_selectorELNS0_4arch9wavefront6targetE0EEEvSJ_.num_named_barrier, 0
	.set _ZN7rocprim17ROCPRIM_400000_NS6detail17trampoline_kernelINS0_14default_configENS1_38merge_sort_block_merge_config_selectorIiiEEZZNS1_27merge_sort_block_merge_implIS3_N6thrust23THRUST_200600_302600_NS6detail15normal_iteratorINS8_10device_ptrIiEEEESD_jNS1_19radix_merge_compareILb0ELb0EiNS0_19identity_decomposerEEEEE10hipError_tT0_T1_T2_jT3_P12ihipStream_tbPNSt15iterator_traitsISI_E10value_typeEPNSO_ISJ_E10value_typeEPSK_NS1_7vsmem_tEENKUlT_SI_SJ_SK_E_clISD_PiSD_S10_EESH_SX_SI_SJ_SK_EUlSX_E1_NS1_11comp_targetILNS1_3genE9ELNS1_11target_archE1100ELNS1_3gpuE3ELNS1_3repE0EEENS1_36merge_oddeven_config_static_selectorELNS0_4arch9wavefront6targetE0EEEvSJ_.private_seg_size, 0
	.set _ZN7rocprim17ROCPRIM_400000_NS6detail17trampoline_kernelINS0_14default_configENS1_38merge_sort_block_merge_config_selectorIiiEEZZNS1_27merge_sort_block_merge_implIS3_N6thrust23THRUST_200600_302600_NS6detail15normal_iteratorINS8_10device_ptrIiEEEESD_jNS1_19radix_merge_compareILb0ELb0EiNS0_19identity_decomposerEEEEE10hipError_tT0_T1_T2_jT3_P12ihipStream_tbPNSt15iterator_traitsISI_E10value_typeEPNSO_ISJ_E10value_typeEPSK_NS1_7vsmem_tEENKUlT_SI_SJ_SK_E_clISD_PiSD_S10_EESH_SX_SI_SJ_SK_EUlSX_E1_NS1_11comp_targetILNS1_3genE9ELNS1_11target_archE1100ELNS1_3gpuE3ELNS1_3repE0EEENS1_36merge_oddeven_config_static_selectorELNS0_4arch9wavefront6targetE0EEEvSJ_.uses_vcc, 0
	.set _ZN7rocprim17ROCPRIM_400000_NS6detail17trampoline_kernelINS0_14default_configENS1_38merge_sort_block_merge_config_selectorIiiEEZZNS1_27merge_sort_block_merge_implIS3_N6thrust23THRUST_200600_302600_NS6detail15normal_iteratorINS8_10device_ptrIiEEEESD_jNS1_19radix_merge_compareILb0ELb0EiNS0_19identity_decomposerEEEEE10hipError_tT0_T1_T2_jT3_P12ihipStream_tbPNSt15iterator_traitsISI_E10value_typeEPNSO_ISJ_E10value_typeEPSK_NS1_7vsmem_tEENKUlT_SI_SJ_SK_E_clISD_PiSD_S10_EESH_SX_SI_SJ_SK_EUlSX_E1_NS1_11comp_targetILNS1_3genE9ELNS1_11target_archE1100ELNS1_3gpuE3ELNS1_3repE0EEENS1_36merge_oddeven_config_static_selectorELNS0_4arch9wavefront6targetE0EEEvSJ_.uses_flat_scratch, 0
	.set _ZN7rocprim17ROCPRIM_400000_NS6detail17trampoline_kernelINS0_14default_configENS1_38merge_sort_block_merge_config_selectorIiiEEZZNS1_27merge_sort_block_merge_implIS3_N6thrust23THRUST_200600_302600_NS6detail15normal_iteratorINS8_10device_ptrIiEEEESD_jNS1_19radix_merge_compareILb0ELb0EiNS0_19identity_decomposerEEEEE10hipError_tT0_T1_T2_jT3_P12ihipStream_tbPNSt15iterator_traitsISI_E10value_typeEPNSO_ISJ_E10value_typeEPSK_NS1_7vsmem_tEENKUlT_SI_SJ_SK_E_clISD_PiSD_S10_EESH_SX_SI_SJ_SK_EUlSX_E1_NS1_11comp_targetILNS1_3genE9ELNS1_11target_archE1100ELNS1_3gpuE3ELNS1_3repE0EEENS1_36merge_oddeven_config_static_selectorELNS0_4arch9wavefront6targetE0EEEvSJ_.has_dyn_sized_stack, 0
	.set _ZN7rocprim17ROCPRIM_400000_NS6detail17trampoline_kernelINS0_14default_configENS1_38merge_sort_block_merge_config_selectorIiiEEZZNS1_27merge_sort_block_merge_implIS3_N6thrust23THRUST_200600_302600_NS6detail15normal_iteratorINS8_10device_ptrIiEEEESD_jNS1_19radix_merge_compareILb0ELb0EiNS0_19identity_decomposerEEEEE10hipError_tT0_T1_T2_jT3_P12ihipStream_tbPNSt15iterator_traitsISI_E10value_typeEPNSO_ISJ_E10value_typeEPSK_NS1_7vsmem_tEENKUlT_SI_SJ_SK_E_clISD_PiSD_S10_EESH_SX_SI_SJ_SK_EUlSX_E1_NS1_11comp_targetILNS1_3genE9ELNS1_11target_archE1100ELNS1_3gpuE3ELNS1_3repE0EEENS1_36merge_oddeven_config_static_selectorELNS0_4arch9wavefront6targetE0EEEvSJ_.has_recursion, 0
	.set _ZN7rocprim17ROCPRIM_400000_NS6detail17trampoline_kernelINS0_14default_configENS1_38merge_sort_block_merge_config_selectorIiiEEZZNS1_27merge_sort_block_merge_implIS3_N6thrust23THRUST_200600_302600_NS6detail15normal_iteratorINS8_10device_ptrIiEEEESD_jNS1_19radix_merge_compareILb0ELb0EiNS0_19identity_decomposerEEEEE10hipError_tT0_T1_T2_jT3_P12ihipStream_tbPNSt15iterator_traitsISI_E10value_typeEPNSO_ISJ_E10value_typeEPSK_NS1_7vsmem_tEENKUlT_SI_SJ_SK_E_clISD_PiSD_S10_EESH_SX_SI_SJ_SK_EUlSX_E1_NS1_11comp_targetILNS1_3genE9ELNS1_11target_archE1100ELNS1_3gpuE3ELNS1_3repE0EEENS1_36merge_oddeven_config_static_selectorELNS0_4arch9wavefront6targetE0EEEvSJ_.has_indirect_call, 0
	.section	.AMDGPU.csdata,"",@progbits
; Kernel info:
; codeLenInByte = 0
; TotalNumSgprs: 0
; NumVgprs: 0
; ScratchSize: 0
; MemoryBound: 0
; FloatMode: 240
; IeeeMode: 1
; LDSByteSize: 0 bytes/workgroup (compile time only)
; SGPRBlocks: 0
; VGPRBlocks: 0
; NumSGPRsForWavesPerEU: 1
; NumVGPRsForWavesPerEU: 1
; Occupancy: 16
; WaveLimiterHint : 0
; COMPUTE_PGM_RSRC2:SCRATCH_EN: 0
; COMPUTE_PGM_RSRC2:USER_SGPR: 6
; COMPUTE_PGM_RSRC2:TRAP_HANDLER: 0
; COMPUTE_PGM_RSRC2:TGID_X_EN: 1
; COMPUTE_PGM_RSRC2:TGID_Y_EN: 0
; COMPUTE_PGM_RSRC2:TGID_Z_EN: 0
; COMPUTE_PGM_RSRC2:TIDIG_COMP_CNT: 0
	.section	.text._ZN7rocprim17ROCPRIM_400000_NS6detail17trampoline_kernelINS0_14default_configENS1_38merge_sort_block_merge_config_selectorIiiEEZZNS1_27merge_sort_block_merge_implIS3_N6thrust23THRUST_200600_302600_NS6detail15normal_iteratorINS8_10device_ptrIiEEEESD_jNS1_19radix_merge_compareILb0ELb0EiNS0_19identity_decomposerEEEEE10hipError_tT0_T1_T2_jT3_P12ihipStream_tbPNSt15iterator_traitsISI_E10value_typeEPNSO_ISJ_E10value_typeEPSK_NS1_7vsmem_tEENKUlT_SI_SJ_SK_E_clISD_PiSD_S10_EESH_SX_SI_SJ_SK_EUlSX_E1_NS1_11comp_targetILNS1_3genE8ELNS1_11target_archE1030ELNS1_3gpuE2ELNS1_3repE0EEENS1_36merge_oddeven_config_static_selectorELNS0_4arch9wavefront6targetE0EEEvSJ_,"axG",@progbits,_ZN7rocprim17ROCPRIM_400000_NS6detail17trampoline_kernelINS0_14default_configENS1_38merge_sort_block_merge_config_selectorIiiEEZZNS1_27merge_sort_block_merge_implIS3_N6thrust23THRUST_200600_302600_NS6detail15normal_iteratorINS8_10device_ptrIiEEEESD_jNS1_19radix_merge_compareILb0ELb0EiNS0_19identity_decomposerEEEEE10hipError_tT0_T1_T2_jT3_P12ihipStream_tbPNSt15iterator_traitsISI_E10value_typeEPNSO_ISJ_E10value_typeEPSK_NS1_7vsmem_tEENKUlT_SI_SJ_SK_E_clISD_PiSD_S10_EESH_SX_SI_SJ_SK_EUlSX_E1_NS1_11comp_targetILNS1_3genE8ELNS1_11target_archE1030ELNS1_3gpuE2ELNS1_3repE0EEENS1_36merge_oddeven_config_static_selectorELNS0_4arch9wavefront6targetE0EEEvSJ_,comdat
	.protected	_ZN7rocprim17ROCPRIM_400000_NS6detail17trampoline_kernelINS0_14default_configENS1_38merge_sort_block_merge_config_selectorIiiEEZZNS1_27merge_sort_block_merge_implIS3_N6thrust23THRUST_200600_302600_NS6detail15normal_iteratorINS8_10device_ptrIiEEEESD_jNS1_19radix_merge_compareILb0ELb0EiNS0_19identity_decomposerEEEEE10hipError_tT0_T1_T2_jT3_P12ihipStream_tbPNSt15iterator_traitsISI_E10value_typeEPNSO_ISJ_E10value_typeEPSK_NS1_7vsmem_tEENKUlT_SI_SJ_SK_E_clISD_PiSD_S10_EESH_SX_SI_SJ_SK_EUlSX_E1_NS1_11comp_targetILNS1_3genE8ELNS1_11target_archE1030ELNS1_3gpuE2ELNS1_3repE0EEENS1_36merge_oddeven_config_static_selectorELNS0_4arch9wavefront6targetE0EEEvSJ_ ; -- Begin function _ZN7rocprim17ROCPRIM_400000_NS6detail17trampoline_kernelINS0_14default_configENS1_38merge_sort_block_merge_config_selectorIiiEEZZNS1_27merge_sort_block_merge_implIS3_N6thrust23THRUST_200600_302600_NS6detail15normal_iteratorINS8_10device_ptrIiEEEESD_jNS1_19radix_merge_compareILb0ELb0EiNS0_19identity_decomposerEEEEE10hipError_tT0_T1_T2_jT3_P12ihipStream_tbPNSt15iterator_traitsISI_E10value_typeEPNSO_ISJ_E10value_typeEPSK_NS1_7vsmem_tEENKUlT_SI_SJ_SK_E_clISD_PiSD_S10_EESH_SX_SI_SJ_SK_EUlSX_E1_NS1_11comp_targetILNS1_3genE8ELNS1_11target_archE1030ELNS1_3gpuE2ELNS1_3repE0EEENS1_36merge_oddeven_config_static_selectorELNS0_4arch9wavefront6targetE0EEEvSJ_
	.globl	_ZN7rocprim17ROCPRIM_400000_NS6detail17trampoline_kernelINS0_14default_configENS1_38merge_sort_block_merge_config_selectorIiiEEZZNS1_27merge_sort_block_merge_implIS3_N6thrust23THRUST_200600_302600_NS6detail15normal_iteratorINS8_10device_ptrIiEEEESD_jNS1_19radix_merge_compareILb0ELb0EiNS0_19identity_decomposerEEEEE10hipError_tT0_T1_T2_jT3_P12ihipStream_tbPNSt15iterator_traitsISI_E10value_typeEPNSO_ISJ_E10value_typeEPSK_NS1_7vsmem_tEENKUlT_SI_SJ_SK_E_clISD_PiSD_S10_EESH_SX_SI_SJ_SK_EUlSX_E1_NS1_11comp_targetILNS1_3genE8ELNS1_11target_archE1030ELNS1_3gpuE2ELNS1_3repE0EEENS1_36merge_oddeven_config_static_selectorELNS0_4arch9wavefront6targetE0EEEvSJ_
	.p2align	8
	.type	_ZN7rocprim17ROCPRIM_400000_NS6detail17trampoline_kernelINS0_14default_configENS1_38merge_sort_block_merge_config_selectorIiiEEZZNS1_27merge_sort_block_merge_implIS3_N6thrust23THRUST_200600_302600_NS6detail15normal_iteratorINS8_10device_ptrIiEEEESD_jNS1_19radix_merge_compareILb0ELb0EiNS0_19identity_decomposerEEEEE10hipError_tT0_T1_T2_jT3_P12ihipStream_tbPNSt15iterator_traitsISI_E10value_typeEPNSO_ISJ_E10value_typeEPSK_NS1_7vsmem_tEENKUlT_SI_SJ_SK_E_clISD_PiSD_S10_EESH_SX_SI_SJ_SK_EUlSX_E1_NS1_11comp_targetILNS1_3genE8ELNS1_11target_archE1030ELNS1_3gpuE2ELNS1_3repE0EEENS1_36merge_oddeven_config_static_selectorELNS0_4arch9wavefront6targetE0EEEvSJ_,@function
_ZN7rocprim17ROCPRIM_400000_NS6detail17trampoline_kernelINS0_14default_configENS1_38merge_sort_block_merge_config_selectorIiiEEZZNS1_27merge_sort_block_merge_implIS3_N6thrust23THRUST_200600_302600_NS6detail15normal_iteratorINS8_10device_ptrIiEEEESD_jNS1_19radix_merge_compareILb0ELb0EiNS0_19identity_decomposerEEEEE10hipError_tT0_T1_T2_jT3_P12ihipStream_tbPNSt15iterator_traitsISI_E10value_typeEPNSO_ISJ_E10value_typeEPSK_NS1_7vsmem_tEENKUlT_SI_SJ_SK_E_clISD_PiSD_S10_EESH_SX_SI_SJ_SK_EUlSX_E1_NS1_11comp_targetILNS1_3genE8ELNS1_11target_archE1030ELNS1_3gpuE2ELNS1_3repE0EEENS1_36merge_oddeven_config_static_selectorELNS0_4arch9wavefront6targetE0EEEvSJ_: ; @_ZN7rocprim17ROCPRIM_400000_NS6detail17trampoline_kernelINS0_14default_configENS1_38merge_sort_block_merge_config_selectorIiiEEZZNS1_27merge_sort_block_merge_implIS3_N6thrust23THRUST_200600_302600_NS6detail15normal_iteratorINS8_10device_ptrIiEEEESD_jNS1_19radix_merge_compareILb0ELb0EiNS0_19identity_decomposerEEEEE10hipError_tT0_T1_T2_jT3_P12ihipStream_tbPNSt15iterator_traitsISI_E10value_typeEPNSO_ISJ_E10value_typeEPSK_NS1_7vsmem_tEENKUlT_SI_SJ_SK_E_clISD_PiSD_S10_EESH_SX_SI_SJ_SK_EUlSX_E1_NS1_11comp_targetILNS1_3genE8ELNS1_11target_archE1030ELNS1_3gpuE2ELNS1_3repE0EEENS1_36merge_oddeven_config_static_selectorELNS0_4arch9wavefront6targetE0EEEvSJ_
; %bb.0:
	s_load_dword s7, s[4:5], 0x20
	s_waitcnt lgkmcnt(0)
	s_lshr_b32 s0, s7, 8
	s_cmp_eq_u32 s6, s0
	s_cselect_b32 s16, -1, 0
	s_cmp_lg_u32 s6, s0
	s_cselect_b32 s0, -1, 0
	s_lshl_b32 s2, s6, 8
	s_sub_i32 s1, s7, s2
	v_cmp_gt_u32_e64 s1, s1, v0
	s_or_b32 s0, s0, s1
	s_and_saveexec_b32 s3, s0
	s_cbranch_execz .LBB755_24
; %bb.1:
	s_load_dwordx8 s[8:15], s[4:5], 0x0
	s_mov_b32 s3, 0
	v_lshlrev_b32_e32 v1, 2, v0
	s_lshl_b64 s[18:19], s[2:3], 2
	s_load_dword s4, s[4:5], 0x24
	v_add_nc_u32_e32 v0, s2, v0
	s_mov_b32 s2, -1
	s_waitcnt lgkmcnt(0)
	s_add_u32 s20, s8, s18
	s_addc_u32 s21, s9, s19
	s_add_u32 s12, s12, s18
	s_addc_u32 s13, s13, s19
	s_lshr_b32 s0, s4, 8
	s_clause 0x1
	global_load_dword v2, v1, s[12:13]
	global_load_dword v3, v1, s[20:21]
	s_sub_i32 s3, 0, s0
	s_and_b32 s3, s6, s3
	s_and_b32 s0, s3, s0
	s_lshl_b32 s5, s3, 8
	s_sub_i32 s3, 0, s4
	s_cmp_eq_u32 s0, 0
	s_cselect_b32 s0, -1, 0
	s_and_b32 s6, s0, exec_lo
	s_cselect_b32 s3, s4, s3
	s_add_i32 s3, s3, s5
	s_cmp_gt_u32 s7, s3
	s_cbranch_scc1 .LBB755_9
; %bb.2:
	s_and_b32 vcc_lo, exec_lo, s16
	s_cbranch_vccz .LBB755_6
; %bb.3:
	s_mov_b32 s2, exec_lo
	v_cmpx_gt_u32_e64 s7, v0
	s_cbranch_execz .LBB755_5
; %bb.4:
	v_mov_b32_e32 v1, 0
	v_lshlrev_b64 v[4:5], 2, v[0:1]
	v_add_co_u32 v6, vcc_lo, s10, v4
	v_add_co_ci_u32_e64 v7, null, s11, v5, vcc_lo
	v_add_co_u32 v4, vcc_lo, s14, v4
	v_add_co_ci_u32_e64 v5, null, s15, v5, vcc_lo
	s_waitcnt vmcnt(0)
	global_store_dword v[6:7], v3, off
	global_store_dword v[4:5], v2, off
.LBB755_5:
	s_or_b32 exec_lo, exec_lo, s2
	s_mov_b32 s2, 0
.LBB755_6:
	s_andn2_b32 vcc_lo, exec_lo, s2
	s_cbranch_vccnz .LBB755_8
; %bb.7:
	v_mov_b32_e32 v1, 0
	v_lshlrev_b64 v[4:5], 2, v[0:1]
	v_add_co_u32 v6, vcc_lo, s10, v4
	v_add_co_ci_u32_e64 v7, null, s11, v5, vcc_lo
	v_add_co_u32 v4, vcc_lo, s14, v4
	v_add_co_ci_u32_e64 v5, null, s15, v5, vcc_lo
	s_waitcnt vmcnt(0)
	global_store_dword v[6:7], v3, off
	global_store_dword v[4:5], v2, off
.LBB755_8:
	s_mov_b32 s2, 0
.LBB755_9:
	s_andn2_b32 vcc_lo, exec_lo, s2
	s_cbranch_vccnz .LBB755_24
; %bb.10:
	s_min_u32 s2, s3, s7
	s_andn2_b32 vcc_lo, exec_lo, s16
	s_add_i32 s6, s5, s2
	s_min_u32 s5, s5, s2
	v_subrev_nc_u32_e32 v0, s6, v0
	s_add_i32 s4, s2, s4
	s_min_u32 s4, s4, s7
	v_add_nc_u32_e32 v4, s5, v0
	s_mov_b32 s5, -1
	s_cbranch_vccnz .LBB755_18
; %bb.11:
	s_and_saveexec_b32 s5, s1
	s_cbranch_execz .LBB755_17
; %bb.12:
	v_mov_b32_e32 v5, s2
	s_cmp_ge_u32 s3, s4
	s_cbranch_scc1 .LBB755_16
; %bb.13:
	v_mov_b32_e32 v6, s4
	v_mov_b32_e32 v5, s2
	;; [unrolled: 1-line block ×3, first 2 shown]
	s_mov_b32 s1, 0
	.p2align	6
.LBB755_14:                             ; =>This Inner Loop Header: Depth=1
	v_add_nc_u32_e32 v0, v5, v6
	v_lshrrev_b32_e32 v0, 1, v0
	v_lshlrev_b64 v[7:8], 2, v[0:1]
	v_add_co_u32 v7, vcc_lo, s8, v7
	v_add_co_ci_u32_e64 v8, null, s9, v8, vcc_lo
	global_load_dword v7, v[7:8], off
	s_waitcnt vmcnt(0)
	v_cmp_gt_i32_e32 vcc_lo, v3, v7
	v_cndmask_b32_e64 v8, 0, 1, vcc_lo
	v_cmp_le_i32_e32 vcc_lo, v7, v3
	v_cndmask_b32_e64 v7, 0, 1, vcc_lo
	v_cndmask_b32_e64 v7, v7, v8, s0
	v_add_nc_u32_e32 v8, 1, v0
	v_and_b32_e32 v7, 1, v7
	v_cmp_eq_u32_e32 vcc_lo, 1, v7
	v_cndmask_b32_e32 v6, v0, v6, vcc_lo
	v_cndmask_b32_e32 v5, v5, v8, vcc_lo
	v_cmp_ge_u32_e32 vcc_lo, v5, v6
	s_or_b32 s1, vcc_lo, s1
	s_andn2_b32 exec_lo, exec_lo, s1
	s_cbranch_execnz .LBB755_14
; %bb.15:
	s_or_b32 exec_lo, exec_lo, s1
.LBB755_16:
	v_add_nc_u32_e32 v0, v5, v4
	v_mov_b32_e32 v1, 0
	v_lshlrev_b64 v[0:1], 2, v[0:1]
	v_add_co_u32 v5, vcc_lo, s10, v0
	v_add_co_ci_u32_e64 v6, null, s11, v1, vcc_lo
	v_add_co_u32 v0, vcc_lo, s14, v0
	v_add_co_ci_u32_e64 v1, null, s15, v1, vcc_lo
	s_waitcnt vmcnt(0)
	global_store_dword v[5:6], v3, off
	global_store_dword v[0:1], v2, off
.LBB755_17:
	s_or_b32 exec_lo, exec_lo, s5
	s_mov_b32 s5, 0
.LBB755_18:
	s_andn2_b32 vcc_lo, exec_lo, s5
	s_cbranch_vccnz .LBB755_24
; %bb.19:
	v_mov_b32_e32 v5, s2
	s_cmp_ge_u32 s3, s4
	s_cbranch_scc1 .LBB755_23
; %bb.20:
	v_mov_b32_e32 v6, s4
	v_mov_b32_e32 v5, s2
	;; [unrolled: 1-line block ×3, first 2 shown]
	s_mov_b32 s1, 0
	.p2align	6
.LBB755_21:                             ; =>This Inner Loop Header: Depth=1
	v_add_nc_u32_e32 v0, v5, v6
	v_lshrrev_b32_e32 v0, 1, v0
	v_lshlrev_b64 v[7:8], 2, v[0:1]
	v_add_co_u32 v7, vcc_lo, s8, v7
	v_add_co_ci_u32_e64 v8, null, s9, v8, vcc_lo
	global_load_dword v7, v[7:8], off
	s_waitcnt vmcnt(0)
	v_cmp_gt_i32_e32 vcc_lo, v3, v7
	v_cndmask_b32_e64 v8, 0, 1, vcc_lo
	v_cmp_le_i32_e32 vcc_lo, v7, v3
	v_cndmask_b32_e64 v7, 0, 1, vcc_lo
	v_cndmask_b32_e64 v7, v7, v8, s0
	v_add_nc_u32_e32 v8, 1, v0
	v_and_b32_e32 v7, 1, v7
	v_cmp_eq_u32_e32 vcc_lo, 1, v7
	v_cndmask_b32_e32 v6, v0, v6, vcc_lo
	v_cndmask_b32_e32 v5, v5, v8, vcc_lo
	v_cmp_ge_u32_e32 vcc_lo, v5, v6
	s_or_b32 s1, vcc_lo, s1
	s_andn2_b32 exec_lo, exec_lo, s1
	s_cbranch_execnz .LBB755_21
; %bb.22:
	s_or_b32 exec_lo, exec_lo, s1
.LBB755_23:
	v_add_nc_u32_e32 v0, v5, v4
	v_mov_b32_e32 v1, 0
	v_lshlrev_b64 v[0:1], 2, v[0:1]
	v_add_co_u32 v4, vcc_lo, s10, v0
	v_add_co_ci_u32_e64 v5, null, s11, v1, vcc_lo
	v_add_co_u32 v0, vcc_lo, s14, v0
	v_add_co_ci_u32_e64 v1, null, s15, v1, vcc_lo
	s_waitcnt vmcnt(0)
	global_store_dword v[4:5], v3, off
	global_store_dword v[0:1], v2, off
.LBB755_24:
	s_endpgm
	.section	.rodata,"a",@progbits
	.p2align	6, 0x0
	.amdhsa_kernel _ZN7rocprim17ROCPRIM_400000_NS6detail17trampoline_kernelINS0_14default_configENS1_38merge_sort_block_merge_config_selectorIiiEEZZNS1_27merge_sort_block_merge_implIS3_N6thrust23THRUST_200600_302600_NS6detail15normal_iteratorINS8_10device_ptrIiEEEESD_jNS1_19radix_merge_compareILb0ELb0EiNS0_19identity_decomposerEEEEE10hipError_tT0_T1_T2_jT3_P12ihipStream_tbPNSt15iterator_traitsISI_E10value_typeEPNSO_ISJ_E10value_typeEPSK_NS1_7vsmem_tEENKUlT_SI_SJ_SK_E_clISD_PiSD_S10_EESH_SX_SI_SJ_SK_EUlSX_E1_NS1_11comp_targetILNS1_3genE8ELNS1_11target_archE1030ELNS1_3gpuE2ELNS1_3repE0EEENS1_36merge_oddeven_config_static_selectorELNS0_4arch9wavefront6targetE0EEEvSJ_
		.amdhsa_group_segment_fixed_size 0
		.amdhsa_private_segment_fixed_size 0
		.amdhsa_kernarg_size 48
		.amdhsa_user_sgpr_count 6
		.amdhsa_user_sgpr_private_segment_buffer 1
		.amdhsa_user_sgpr_dispatch_ptr 0
		.amdhsa_user_sgpr_queue_ptr 0
		.amdhsa_user_sgpr_kernarg_segment_ptr 1
		.amdhsa_user_sgpr_dispatch_id 0
		.amdhsa_user_sgpr_flat_scratch_init 0
		.amdhsa_user_sgpr_private_segment_size 0
		.amdhsa_wavefront_size32 1
		.amdhsa_uses_dynamic_stack 0
		.amdhsa_system_sgpr_private_segment_wavefront_offset 0
		.amdhsa_system_sgpr_workgroup_id_x 1
		.amdhsa_system_sgpr_workgroup_id_y 0
		.amdhsa_system_sgpr_workgroup_id_z 0
		.amdhsa_system_sgpr_workgroup_info 0
		.amdhsa_system_vgpr_workitem_id 0
		.amdhsa_next_free_vgpr 9
		.amdhsa_next_free_sgpr 22
		.amdhsa_reserve_vcc 1
		.amdhsa_reserve_flat_scratch 0
		.amdhsa_float_round_mode_32 0
		.amdhsa_float_round_mode_16_64 0
		.amdhsa_float_denorm_mode_32 3
		.amdhsa_float_denorm_mode_16_64 3
		.amdhsa_dx10_clamp 1
		.amdhsa_ieee_mode 1
		.amdhsa_fp16_overflow 0
		.amdhsa_workgroup_processor_mode 1
		.amdhsa_memory_ordered 1
		.amdhsa_forward_progress 1
		.amdhsa_shared_vgpr_count 0
		.amdhsa_exception_fp_ieee_invalid_op 0
		.amdhsa_exception_fp_denorm_src 0
		.amdhsa_exception_fp_ieee_div_zero 0
		.amdhsa_exception_fp_ieee_overflow 0
		.amdhsa_exception_fp_ieee_underflow 0
		.amdhsa_exception_fp_ieee_inexact 0
		.amdhsa_exception_int_div_zero 0
	.end_amdhsa_kernel
	.section	.text._ZN7rocprim17ROCPRIM_400000_NS6detail17trampoline_kernelINS0_14default_configENS1_38merge_sort_block_merge_config_selectorIiiEEZZNS1_27merge_sort_block_merge_implIS3_N6thrust23THRUST_200600_302600_NS6detail15normal_iteratorINS8_10device_ptrIiEEEESD_jNS1_19radix_merge_compareILb0ELb0EiNS0_19identity_decomposerEEEEE10hipError_tT0_T1_T2_jT3_P12ihipStream_tbPNSt15iterator_traitsISI_E10value_typeEPNSO_ISJ_E10value_typeEPSK_NS1_7vsmem_tEENKUlT_SI_SJ_SK_E_clISD_PiSD_S10_EESH_SX_SI_SJ_SK_EUlSX_E1_NS1_11comp_targetILNS1_3genE8ELNS1_11target_archE1030ELNS1_3gpuE2ELNS1_3repE0EEENS1_36merge_oddeven_config_static_selectorELNS0_4arch9wavefront6targetE0EEEvSJ_,"axG",@progbits,_ZN7rocprim17ROCPRIM_400000_NS6detail17trampoline_kernelINS0_14default_configENS1_38merge_sort_block_merge_config_selectorIiiEEZZNS1_27merge_sort_block_merge_implIS3_N6thrust23THRUST_200600_302600_NS6detail15normal_iteratorINS8_10device_ptrIiEEEESD_jNS1_19radix_merge_compareILb0ELb0EiNS0_19identity_decomposerEEEEE10hipError_tT0_T1_T2_jT3_P12ihipStream_tbPNSt15iterator_traitsISI_E10value_typeEPNSO_ISJ_E10value_typeEPSK_NS1_7vsmem_tEENKUlT_SI_SJ_SK_E_clISD_PiSD_S10_EESH_SX_SI_SJ_SK_EUlSX_E1_NS1_11comp_targetILNS1_3genE8ELNS1_11target_archE1030ELNS1_3gpuE2ELNS1_3repE0EEENS1_36merge_oddeven_config_static_selectorELNS0_4arch9wavefront6targetE0EEEvSJ_,comdat
.Lfunc_end755:
	.size	_ZN7rocprim17ROCPRIM_400000_NS6detail17trampoline_kernelINS0_14default_configENS1_38merge_sort_block_merge_config_selectorIiiEEZZNS1_27merge_sort_block_merge_implIS3_N6thrust23THRUST_200600_302600_NS6detail15normal_iteratorINS8_10device_ptrIiEEEESD_jNS1_19radix_merge_compareILb0ELb0EiNS0_19identity_decomposerEEEEE10hipError_tT0_T1_T2_jT3_P12ihipStream_tbPNSt15iterator_traitsISI_E10value_typeEPNSO_ISJ_E10value_typeEPSK_NS1_7vsmem_tEENKUlT_SI_SJ_SK_E_clISD_PiSD_S10_EESH_SX_SI_SJ_SK_EUlSX_E1_NS1_11comp_targetILNS1_3genE8ELNS1_11target_archE1030ELNS1_3gpuE2ELNS1_3repE0EEENS1_36merge_oddeven_config_static_selectorELNS0_4arch9wavefront6targetE0EEEvSJ_, .Lfunc_end755-_ZN7rocprim17ROCPRIM_400000_NS6detail17trampoline_kernelINS0_14default_configENS1_38merge_sort_block_merge_config_selectorIiiEEZZNS1_27merge_sort_block_merge_implIS3_N6thrust23THRUST_200600_302600_NS6detail15normal_iteratorINS8_10device_ptrIiEEEESD_jNS1_19radix_merge_compareILb0ELb0EiNS0_19identity_decomposerEEEEE10hipError_tT0_T1_T2_jT3_P12ihipStream_tbPNSt15iterator_traitsISI_E10value_typeEPNSO_ISJ_E10value_typeEPSK_NS1_7vsmem_tEENKUlT_SI_SJ_SK_E_clISD_PiSD_S10_EESH_SX_SI_SJ_SK_EUlSX_E1_NS1_11comp_targetILNS1_3genE8ELNS1_11target_archE1030ELNS1_3gpuE2ELNS1_3repE0EEENS1_36merge_oddeven_config_static_selectorELNS0_4arch9wavefront6targetE0EEEvSJ_
                                        ; -- End function
	.set _ZN7rocprim17ROCPRIM_400000_NS6detail17trampoline_kernelINS0_14default_configENS1_38merge_sort_block_merge_config_selectorIiiEEZZNS1_27merge_sort_block_merge_implIS3_N6thrust23THRUST_200600_302600_NS6detail15normal_iteratorINS8_10device_ptrIiEEEESD_jNS1_19radix_merge_compareILb0ELb0EiNS0_19identity_decomposerEEEEE10hipError_tT0_T1_T2_jT3_P12ihipStream_tbPNSt15iterator_traitsISI_E10value_typeEPNSO_ISJ_E10value_typeEPSK_NS1_7vsmem_tEENKUlT_SI_SJ_SK_E_clISD_PiSD_S10_EESH_SX_SI_SJ_SK_EUlSX_E1_NS1_11comp_targetILNS1_3genE8ELNS1_11target_archE1030ELNS1_3gpuE2ELNS1_3repE0EEENS1_36merge_oddeven_config_static_selectorELNS0_4arch9wavefront6targetE0EEEvSJ_.num_vgpr, 9
	.set _ZN7rocprim17ROCPRIM_400000_NS6detail17trampoline_kernelINS0_14default_configENS1_38merge_sort_block_merge_config_selectorIiiEEZZNS1_27merge_sort_block_merge_implIS3_N6thrust23THRUST_200600_302600_NS6detail15normal_iteratorINS8_10device_ptrIiEEEESD_jNS1_19radix_merge_compareILb0ELb0EiNS0_19identity_decomposerEEEEE10hipError_tT0_T1_T2_jT3_P12ihipStream_tbPNSt15iterator_traitsISI_E10value_typeEPNSO_ISJ_E10value_typeEPSK_NS1_7vsmem_tEENKUlT_SI_SJ_SK_E_clISD_PiSD_S10_EESH_SX_SI_SJ_SK_EUlSX_E1_NS1_11comp_targetILNS1_3genE8ELNS1_11target_archE1030ELNS1_3gpuE2ELNS1_3repE0EEENS1_36merge_oddeven_config_static_selectorELNS0_4arch9wavefront6targetE0EEEvSJ_.num_agpr, 0
	.set _ZN7rocprim17ROCPRIM_400000_NS6detail17trampoline_kernelINS0_14default_configENS1_38merge_sort_block_merge_config_selectorIiiEEZZNS1_27merge_sort_block_merge_implIS3_N6thrust23THRUST_200600_302600_NS6detail15normal_iteratorINS8_10device_ptrIiEEEESD_jNS1_19radix_merge_compareILb0ELb0EiNS0_19identity_decomposerEEEEE10hipError_tT0_T1_T2_jT3_P12ihipStream_tbPNSt15iterator_traitsISI_E10value_typeEPNSO_ISJ_E10value_typeEPSK_NS1_7vsmem_tEENKUlT_SI_SJ_SK_E_clISD_PiSD_S10_EESH_SX_SI_SJ_SK_EUlSX_E1_NS1_11comp_targetILNS1_3genE8ELNS1_11target_archE1030ELNS1_3gpuE2ELNS1_3repE0EEENS1_36merge_oddeven_config_static_selectorELNS0_4arch9wavefront6targetE0EEEvSJ_.numbered_sgpr, 22
	.set _ZN7rocprim17ROCPRIM_400000_NS6detail17trampoline_kernelINS0_14default_configENS1_38merge_sort_block_merge_config_selectorIiiEEZZNS1_27merge_sort_block_merge_implIS3_N6thrust23THRUST_200600_302600_NS6detail15normal_iteratorINS8_10device_ptrIiEEEESD_jNS1_19radix_merge_compareILb0ELb0EiNS0_19identity_decomposerEEEEE10hipError_tT0_T1_T2_jT3_P12ihipStream_tbPNSt15iterator_traitsISI_E10value_typeEPNSO_ISJ_E10value_typeEPSK_NS1_7vsmem_tEENKUlT_SI_SJ_SK_E_clISD_PiSD_S10_EESH_SX_SI_SJ_SK_EUlSX_E1_NS1_11comp_targetILNS1_3genE8ELNS1_11target_archE1030ELNS1_3gpuE2ELNS1_3repE0EEENS1_36merge_oddeven_config_static_selectorELNS0_4arch9wavefront6targetE0EEEvSJ_.num_named_barrier, 0
	.set _ZN7rocprim17ROCPRIM_400000_NS6detail17trampoline_kernelINS0_14default_configENS1_38merge_sort_block_merge_config_selectorIiiEEZZNS1_27merge_sort_block_merge_implIS3_N6thrust23THRUST_200600_302600_NS6detail15normal_iteratorINS8_10device_ptrIiEEEESD_jNS1_19radix_merge_compareILb0ELb0EiNS0_19identity_decomposerEEEEE10hipError_tT0_T1_T2_jT3_P12ihipStream_tbPNSt15iterator_traitsISI_E10value_typeEPNSO_ISJ_E10value_typeEPSK_NS1_7vsmem_tEENKUlT_SI_SJ_SK_E_clISD_PiSD_S10_EESH_SX_SI_SJ_SK_EUlSX_E1_NS1_11comp_targetILNS1_3genE8ELNS1_11target_archE1030ELNS1_3gpuE2ELNS1_3repE0EEENS1_36merge_oddeven_config_static_selectorELNS0_4arch9wavefront6targetE0EEEvSJ_.private_seg_size, 0
	.set _ZN7rocprim17ROCPRIM_400000_NS6detail17trampoline_kernelINS0_14default_configENS1_38merge_sort_block_merge_config_selectorIiiEEZZNS1_27merge_sort_block_merge_implIS3_N6thrust23THRUST_200600_302600_NS6detail15normal_iteratorINS8_10device_ptrIiEEEESD_jNS1_19radix_merge_compareILb0ELb0EiNS0_19identity_decomposerEEEEE10hipError_tT0_T1_T2_jT3_P12ihipStream_tbPNSt15iterator_traitsISI_E10value_typeEPNSO_ISJ_E10value_typeEPSK_NS1_7vsmem_tEENKUlT_SI_SJ_SK_E_clISD_PiSD_S10_EESH_SX_SI_SJ_SK_EUlSX_E1_NS1_11comp_targetILNS1_3genE8ELNS1_11target_archE1030ELNS1_3gpuE2ELNS1_3repE0EEENS1_36merge_oddeven_config_static_selectorELNS0_4arch9wavefront6targetE0EEEvSJ_.uses_vcc, 1
	.set _ZN7rocprim17ROCPRIM_400000_NS6detail17trampoline_kernelINS0_14default_configENS1_38merge_sort_block_merge_config_selectorIiiEEZZNS1_27merge_sort_block_merge_implIS3_N6thrust23THRUST_200600_302600_NS6detail15normal_iteratorINS8_10device_ptrIiEEEESD_jNS1_19radix_merge_compareILb0ELb0EiNS0_19identity_decomposerEEEEE10hipError_tT0_T1_T2_jT3_P12ihipStream_tbPNSt15iterator_traitsISI_E10value_typeEPNSO_ISJ_E10value_typeEPSK_NS1_7vsmem_tEENKUlT_SI_SJ_SK_E_clISD_PiSD_S10_EESH_SX_SI_SJ_SK_EUlSX_E1_NS1_11comp_targetILNS1_3genE8ELNS1_11target_archE1030ELNS1_3gpuE2ELNS1_3repE0EEENS1_36merge_oddeven_config_static_selectorELNS0_4arch9wavefront6targetE0EEEvSJ_.uses_flat_scratch, 0
	.set _ZN7rocprim17ROCPRIM_400000_NS6detail17trampoline_kernelINS0_14default_configENS1_38merge_sort_block_merge_config_selectorIiiEEZZNS1_27merge_sort_block_merge_implIS3_N6thrust23THRUST_200600_302600_NS6detail15normal_iteratorINS8_10device_ptrIiEEEESD_jNS1_19radix_merge_compareILb0ELb0EiNS0_19identity_decomposerEEEEE10hipError_tT0_T1_T2_jT3_P12ihipStream_tbPNSt15iterator_traitsISI_E10value_typeEPNSO_ISJ_E10value_typeEPSK_NS1_7vsmem_tEENKUlT_SI_SJ_SK_E_clISD_PiSD_S10_EESH_SX_SI_SJ_SK_EUlSX_E1_NS1_11comp_targetILNS1_3genE8ELNS1_11target_archE1030ELNS1_3gpuE2ELNS1_3repE0EEENS1_36merge_oddeven_config_static_selectorELNS0_4arch9wavefront6targetE0EEEvSJ_.has_dyn_sized_stack, 0
	.set _ZN7rocprim17ROCPRIM_400000_NS6detail17trampoline_kernelINS0_14default_configENS1_38merge_sort_block_merge_config_selectorIiiEEZZNS1_27merge_sort_block_merge_implIS3_N6thrust23THRUST_200600_302600_NS6detail15normal_iteratorINS8_10device_ptrIiEEEESD_jNS1_19radix_merge_compareILb0ELb0EiNS0_19identity_decomposerEEEEE10hipError_tT0_T1_T2_jT3_P12ihipStream_tbPNSt15iterator_traitsISI_E10value_typeEPNSO_ISJ_E10value_typeEPSK_NS1_7vsmem_tEENKUlT_SI_SJ_SK_E_clISD_PiSD_S10_EESH_SX_SI_SJ_SK_EUlSX_E1_NS1_11comp_targetILNS1_3genE8ELNS1_11target_archE1030ELNS1_3gpuE2ELNS1_3repE0EEENS1_36merge_oddeven_config_static_selectorELNS0_4arch9wavefront6targetE0EEEvSJ_.has_recursion, 0
	.set _ZN7rocprim17ROCPRIM_400000_NS6detail17trampoline_kernelINS0_14default_configENS1_38merge_sort_block_merge_config_selectorIiiEEZZNS1_27merge_sort_block_merge_implIS3_N6thrust23THRUST_200600_302600_NS6detail15normal_iteratorINS8_10device_ptrIiEEEESD_jNS1_19radix_merge_compareILb0ELb0EiNS0_19identity_decomposerEEEEE10hipError_tT0_T1_T2_jT3_P12ihipStream_tbPNSt15iterator_traitsISI_E10value_typeEPNSO_ISJ_E10value_typeEPSK_NS1_7vsmem_tEENKUlT_SI_SJ_SK_E_clISD_PiSD_S10_EESH_SX_SI_SJ_SK_EUlSX_E1_NS1_11comp_targetILNS1_3genE8ELNS1_11target_archE1030ELNS1_3gpuE2ELNS1_3repE0EEENS1_36merge_oddeven_config_static_selectorELNS0_4arch9wavefront6targetE0EEEvSJ_.has_indirect_call, 0
	.section	.AMDGPU.csdata,"",@progbits
; Kernel info:
; codeLenInByte = 892
; TotalNumSgprs: 24
; NumVgprs: 9
; ScratchSize: 0
; MemoryBound: 0
; FloatMode: 240
; IeeeMode: 1
; LDSByteSize: 0 bytes/workgroup (compile time only)
; SGPRBlocks: 0
; VGPRBlocks: 1
; NumSGPRsForWavesPerEU: 24
; NumVGPRsForWavesPerEU: 9
; Occupancy: 16
; WaveLimiterHint : 0
; COMPUTE_PGM_RSRC2:SCRATCH_EN: 0
; COMPUTE_PGM_RSRC2:USER_SGPR: 6
; COMPUTE_PGM_RSRC2:TRAP_HANDLER: 0
; COMPUTE_PGM_RSRC2:TGID_X_EN: 1
; COMPUTE_PGM_RSRC2:TGID_Y_EN: 0
; COMPUTE_PGM_RSRC2:TGID_Z_EN: 0
; COMPUTE_PGM_RSRC2:TIDIG_COMP_CNT: 0
	.section	.text._ZN7rocprim17ROCPRIM_400000_NS6detail17trampoline_kernelINS0_14default_configENS1_38merge_sort_block_merge_config_selectorIiiEEZZNS1_27merge_sort_block_merge_implIS3_N6thrust23THRUST_200600_302600_NS6detail15normal_iteratorINS8_10device_ptrIiEEEESD_jNS1_19radix_merge_compareILb0ELb1EiNS0_19identity_decomposerEEEEE10hipError_tT0_T1_T2_jT3_P12ihipStream_tbPNSt15iterator_traitsISI_E10value_typeEPNSO_ISJ_E10value_typeEPSK_NS1_7vsmem_tEENKUlT_SI_SJ_SK_E_clIPiSD_S10_SD_EESH_SX_SI_SJ_SK_EUlSX_E_NS1_11comp_targetILNS1_3genE0ELNS1_11target_archE4294967295ELNS1_3gpuE0ELNS1_3repE0EEENS1_48merge_mergepath_partition_config_static_selectorELNS0_4arch9wavefront6targetE0EEEvSJ_,"axG",@progbits,_ZN7rocprim17ROCPRIM_400000_NS6detail17trampoline_kernelINS0_14default_configENS1_38merge_sort_block_merge_config_selectorIiiEEZZNS1_27merge_sort_block_merge_implIS3_N6thrust23THRUST_200600_302600_NS6detail15normal_iteratorINS8_10device_ptrIiEEEESD_jNS1_19radix_merge_compareILb0ELb1EiNS0_19identity_decomposerEEEEE10hipError_tT0_T1_T2_jT3_P12ihipStream_tbPNSt15iterator_traitsISI_E10value_typeEPNSO_ISJ_E10value_typeEPSK_NS1_7vsmem_tEENKUlT_SI_SJ_SK_E_clIPiSD_S10_SD_EESH_SX_SI_SJ_SK_EUlSX_E_NS1_11comp_targetILNS1_3genE0ELNS1_11target_archE4294967295ELNS1_3gpuE0ELNS1_3repE0EEENS1_48merge_mergepath_partition_config_static_selectorELNS0_4arch9wavefront6targetE0EEEvSJ_,comdat
	.protected	_ZN7rocprim17ROCPRIM_400000_NS6detail17trampoline_kernelINS0_14default_configENS1_38merge_sort_block_merge_config_selectorIiiEEZZNS1_27merge_sort_block_merge_implIS3_N6thrust23THRUST_200600_302600_NS6detail15normal_iteratorINS8_10device_ptrIiEEEESD_jNS1_19radix_merge_compareILb0ELb1EiNS0_19identity_decomposerEEEEE10hipError_tT0_T1_T2_jT3_P12ihipStream_tbPNSt15iterator_traitsISI_E10value_typeEPNSO_ISJ_E10value_typeEPSK_NS1_7vsmem_tEENKUlT_SI_SJ_SK_E_clIPiSD_S10_SD_EESH_SX_SI_SJ_SK_EUlSX_E_NS1_11comp_targetILNS1_3genE0ELNS1_11target_archE4294967295ELNS1_3gpuE0ELNS1_3repE0EEENS1_48merge_mergepath_partition_config_static_selectorELNS0_4arch9wavefront6targetE0EEEvSJ_ ; -- Begin function _ZN7rocprim17ROCPRIM_400000_NS6detail17trampoline_kernelINS0_14default_configENS1_38merge_sort_block_merge_config_selectorIiiEEZZNS1_27merge_sort_block_merge_implIS3_N6thrust23THRUST_200600_302600_NS6detail15normal_iteratorINS8_10device_ptrIiEEEESD_jNS1_19radix_merge_compareILb0ELb1EiNS0_19identity_decomposerEEEEE10hipError_tT0_T1_T2_jT3_P12ihipStream_tbPNSt15iterator_traitsISI_E10value_typeEPNSO_ISJ_E10value_typeEPSK_NS1_7vsmem_tEENKUlT_SI_SJ_SK_E_clIPiSD_S10_SD_EESH_SX_SI_SJ_SK_EUlSX_E_NS1_11comp_targetILNS1_3genE0ELNS1_11target_archE4294967295ELNS1_3gpuE0ELNS1_3repE0EEENS1_48merge_mergepath_partition_config_static_selectorELNS0_4arch9wavefront6targetE0EEEvSJ_
	.globl	_ZN7rocprim17ROCPRIM_400000_NS6detail17trampoline_kernelINS0_14default_configENS1_38merge_sort_block_merge_config_selectorIiiEEZZNS1_27merge_sort_block_merge_implIS3_N6thrust23THRUST_200600_302600_NS6detail15normal_iteratorINS8_10device_ptrIiEEEESD_jNS1_19radix_merge_compareILb0ELb1EiNS0_19identity_decomposerEEEEE10hipError_tT0_T1_T2_jT3_P12ihipStream_tbPNSt15iterator_traitsISI_E10value_typeEPNSO_ISJ_E10value_typeEPSK_NS1_7vsmem_tEENKUlT_SI_SJ_SK_E_clIPiSD_S10_SD_EESH_SX_SI_SJ_SK_EUlSX_E_NS1_11comp_targetILNS1_3genE0ELNS1_11target_archE4294967295ELNS1_3gpuE0ELNS1_3repE0EEENS1_48merge_mergepath_partition_config_static_selectorELNS0_4arch9wavefront6targetE0EEEvSJ_
	.p2align	8
	.type	_ZN7rocprim17ROCPRIM_400000_NS6detail17trampoline_kernelINS0_14default_configENS1_38merge_sort_block_merge_config_selectorIiiEEZZNS1_27merge_sort_block_merge_implIS3_N6thrust23THRUST_200600_302600_NS6detail15normal_iteratorINS8_10device_ptrIiEEEESD_jNS1_19radix_merge_compareILb0ELb1EiNS0_19identity_decomposerEEEEE10hipError_tT0_T1_T2_jT3_P12ihipStream_tbPNSt15iterator_traitsISI_E10value_typeEPNSO_ISJ_E10value_typeEPSK_NS1_7vsmem_tEENKUlT_SI_SJ_SK_E_clIPiSD_S10_SD_EESH_SX_SI_SJ_SK_EUlSX_E_NS1_11comp_targetILNS1_3genE0ELNS1_11target_archE4294967295ELNS1_3gpuE0ELNS1_3repE0EEENS1_48merge_mergepath_partition_config_static_selectorELNS0_4arch9wavefront6targetE0EEEvSJ_,@function
_ZN7rocprim17ROCPRIM_400000_NS6detail17trampoline_kernelINS0_14default_configENS1_38merge_sort_block_merge_config_selectorIiiEEZZNS1_27merge_sort_block_merge_implIS3_N6thrust23THRUST_200600_302600_NS6detail15normal_iteratorINS8_10device_ptrIiEEEESD_jNS1_19radix_merge_compareILb0ELb1EiNS0_19identity_decomposerEEEEE10hipError_tT0_T1_T2_jT3_P12ihipStream_tbPNSt15iterator_traitsISI_E10value_typeEPNSO_ISJ_E10value_typeEPSK_NS1_7vsmem_tEENKUlT_SI_SJ_SK_E_clIPiSD_S10_SD_EESH_SX_SI_SJ_SK_EUlSX_E_NS1_11comp_targetILNS1_3genE0ELNS1_11target_archE4294967295ELNS1_3gpuE0ELNS1_3repE0EEENS1_48merge_mergepath_partition_config_static_selectorELNS0_4arch9wavefront6targetE0EEEvSJ_: ; @_ZN7rocprim17ROCPRIM_400000_NS6detail17trampoline_kernelINS0_14default_configENS1_38merge_sort_block_merge_config_selectorIiiEEZZNS1_27merge_sort_block_merge_implIS3_N6thrust23THRUST_200600_302600_NS6detail15normal_iteratorINS8_10device_ptrIiEEEESD_jNS1_19radix_merge_compareILb0ELb1EiNS0_19identity_decomposerEEEEE10hipError_tT0_T1_T2_jT3_P12ihipStream_tbPNSt15iterator_traitsISI_E10value_typeEPNSO_ISJ_E10value_typeEPSK_NS1_7vsmem_tEENKUlT_SI_SJ_SK_E_clIPiSD_S10_SD_EESH_SX_SI_SJ_SK_EUlSX_E_NS1_11comp_targetILNS1_3genE0ELNS1_11target_archE4294967295ELNS1_3gpuE0ELNS1_3repE0EEENS1_48merge_mergepath_partition_config_static_selectorELNS0_4arch9wavefront6targetE0EEEvSJ_
; %bb.0:
	.section	.rodata,"a",@progbits
	.p2align	6, 0x0
	.amdhsa_kernel _ZN7rocprim17ROCPRIM_400000_NS6detail17trampoline_kernelINS0_14default_configENS1_38merge_sort_block_merge_config_selectorIiiEEZZNS1_27merge_sort_block_merge_implIS3_N6thrust23THRUST_200600_302600_NS6detail15normal_iteratorINS8_10device_ptrIiEEEESD_jNS1_19radix_merge_compareILb0ELb1EiNS0_19identity_decomposerEEEEE10hipError_tT0_T1_T2_jT3_P12ihipStream_tbPNSt15iterator_traitsISI_E10value_typeEPNSO_ISJ_E10value_typeEPSK_NS1_7vsmem_tEENKUlT_SI_SJ_SK_E_clIPiSD_S10_SD_EESH_SX_SI_SJ_SK_EUlSX_E_NS1_11comp_targetILNS1_3genE0ELNS1_11target_archE4294967295ELNS1_3gpuE0ELNS1_3repE0EEENS1_48merge_mergepath_partition_config_static_selectorELNS0_4arch9wavefront6targetE0EEEvSJ_
		.amdhsa_group_segment_fixed_size 0
		.amdhsa_private_segment_fixed_size 0
		.amdhsa_kernarg_size 40
		.amdhsa_user_sgpr_count 6
		.amdhsa_user_sgpr_private_segment_buffer 1
		.amdhsa_user_sgpr_dispatch_ptr 0
		.amdhsa_user_sgpr_queue_ptr 0
		.amdhsa_user_sgpr_kernarg_segment_ptr 1
		.amdhsa_user_sgpr_dispatch_id 0
		.amdhsa_user_sgpr_flat_scratch_init 0
		.amdhsa_user_sgpr_private_segment_size 0
		.amdhsa_wavefront_size32 1
		.amdhsa_uses_dynamic_stack 0
		.amdhsa_system_sgpr_private_segment_wavefront_offset 0
		.amdhsa_system_sgpr_workgroup_id_x 1
		.amdhsa_system_sgpr_workgroup_id_y 0
		.amdhsa_system_sgpr_workgroup_id_z 0
		.amdhsa_system_sgpr_workgroup_info 0
		.amdhsa_system_vgpr_workitem_id 0
		.amdhsa_next_free_vgpr 1
		.amdhsa_next_free_sgpr 1
		.amdhsa_reserve_vcc 0
		.amdhsa_reserve_flat_scratch 0
		.amdhsa_float_round_mode_32 0
		.amdhsa_float_round_mode_16_64 0
		.amdhsa_float_denorm_mode_32 3
		.amdhsa_float_denorm_mode_16_64 3
		.amdhsa_dx10_clamp 1
		.amdhsa_ieee_mode 1
		.amdhsa_fp16_overflow 0
		.amdhsa_workgroup_processor_mode 1
		.amdhsa_memory_ordered 1
		.amdhsa_forward_progress 1
		.amdhsa_shared_vgpr_count 0
		.amdhsa_exception_fp_ieee_invalid_op 0
		.amdhsa_exception_fp_denorm_src 0
		.amdhsa_exception_fp_ieee_div_zero 0
		.amdhsa_exception_fp_ieee_overflow 0
		.amdhsa_exception_fp_ieee_underflow 0
		.amdhsa_exception_fp_ieee_inexact 0
		.amdhsa_exception_int_div_zero 0
	.end_amdhsa_kernel
	.section	.text._ZN7rocprim17ROCPRIM_400000_NS6detail17trampoline_kernelINS0_14default_configENS1_38merge_sort_block_merge_config_selectorIiiEEZZNS1_27merge_sort_block_merge_implIS3_N6thrust23THRUST_200600_302600_NS6detail15normal_iteratorINS8_10device_ptrIiEEEESD_jNS1_19radix_merge_compareILb0ELb1EiNS0_19identity_decomposerEEEEE10hipError_tT0_T1_T2_jT3_P12ihipStream_tbPNSt15iterator_traitsISI_E10value_typeEPNSO_ISJ_E10value_typeEPSK_NS1_7vsmem_tEENKUlT_SI_SJ_SK_E_clIPiSD_S10_SD_EESH_SX_SI_SJ_SK_EUlSX_E_NS1_11comp_targetILNS1_3genE0ELNS1_11target_archE4294967295ELNS1_3gpuE0ELNS1_3repE0EEENS1_48merge_mergepath_partition_config_static_selectorELNS0_4arch9wavefront6targetE0EEEvSJ_,"axG",@progbits,_ZN7rocprim17ROCPRIM_400000_NS6detail17trampoline_kernelINS0_14default_configENS1_38merge_sort_block_merge_config_selectorIiiEEZZNS1_27merge_sort_block_merge_implIS3_N6thrust23THRUST_200600_302600_NS6detail15normal_iteratorINS8_10device_ptrIiEEEESD_jNS1_19radix_merge_compareILb0ELb1EiNS0_19identity_decomposerEEEEE10hipError_tT0_T1_T2_jT3_P12ihipStream_tbPNSt15iterator_traitsISI_E10value_typeEPNSO_ISJ_E10value_typeEPSK_NS1_7vsmem_tEENKUlT_SI_SJ_SK_E_clIPiSD_S10_SD_EESH_SX_SI_SJ_SK_EUlSX_E_NS1_11comp_targetILNS1_3genE0ELNS1_11target_archE4294967295ELNS1_3gpuE0ELNS1_3repE0EEENS1_48merge_mergepath_partition_config_static_selectorELNS0_4arch9wavefront6targetE0EEEvSJ_,comdat
.Lfunc_end756:
	.size	_ZN7rocprim17ROCPRIM_400000_NS6detail17trampoline_kernelINS0_14default_configENS1_38merge_sort_block_merge_config_selectorIiiEEZZNS1_27merge_sort_block_merge_implIS3_N6thrust23THRUST_200600_302600_NS6detail15normal_iteratorINS8_10device_ptrIiEEEESD_jNS1_19radix_merge_compareILb0ELb1EiNS0_19identity_decomposerEEEEE10hipError_tT0_T1_T2_jT3_P12ihipStream_tbPNSt15iterator_traitsISI_E10value_typeEPNSO_ISJ_E10value_typeEPSK_NS1_7vsmem_tEENKUlT_SI_SJ_SK_E_clIPiSD_S10_SD_EESH_SX_SI_SJ_SK_EUlSX_E_NS1_11comp_targetILNS1_3genE0ELNS1_11target_archE4294967295ELNS1_3gpuE0ELNS1_3repE0EEENS1_48merge_mergepath_partition_config_static_selectorELNS0_4arch9wavefront6targetE0EEEvSJ_, .Lfunc_end756-_ZN7rocprim17ROCPRIM_400000_NS6detail17trampoline_kernelINS0_14default_configENS1_38merge_sort_block_merge_config_selectorIiiEEZZNS1_27merge_sort_block_merge_implIS3_N6thrust23THRUST_200600_302600_NS6detail15normal_iteratorINS8_10device_ptrIiEEEESD_jNS1_19radix_merge_compareILb0ELb1EiNS0_19identity_decomposerEEEEE10hipError_tT0_T1_T2_jT3_P12ihipStream_tbPNSt15iterator_traitsISI_E10value_typeEPNSO_ISJ_E10value_typeEPSK_NS1_7vsmem_tEENKUlT_SI_SJ_SK_E_clIPiSD_S10_SD_EESH_SX_SI_SJ_SK_EUlSX_E_NS1_11comp_targetILNS1_3genE0ELNS1_11target_archE4294967295ELNS1_3gpuE0ELNS1_3repE0EEENS1_48merge_mergepath_partition_config_static_selectorELNS0_4arch9wavefront6targetE0EEEvSJ_
                                        ; -- End function
	.set _ZN7rocprim17ROCPRIM_400000_NS6detail17trampoline_kernelINS0_14default_configENS1_38merge_sort_block_merge_config_selectorIiiEEZZNS1_27merge_sort_block_merge_implIS3_N6thrust23THRUST_200600_302600_NS6detail15normal_iteratorINS8_10device_ptrIiEEEESD_jNS1_19radix_merge_compareILb0ELb1EiNS0_19identity_decomposerEEEEE10hipError_tT0_T1_T2_jT3_P12ihipStream_tbPNSt15iterator_traitsISI_E10value_typeEPNSO_ISJ_E10value_typeEPSK_NS1_7vsmem_tEENKUlT_SI_SJ_SK_E_clIPiSD_S10_SD_EESH_SX_SI_SJ_SK_EUlSX_E_NS1_11comp_targetILNS1_3genE0ELNS1_11target_archE4294967295ELNS1_3gpuE0ELNS1_3repE0EEENS1_48merge_mergepath_partition_config_static_selectorELNS0_4arch9wavefront6targetE0EEEvSJ_.num_vgpr, 0
	.set _ZN7rocprim17ROCPRIM_400000_NS6detail17trampoline_kernelINS0_14default_configENS1_38merge_sort_block_merge_config_selectorIiiEEZZNS1_27merge_sort_block_merge_implIS3_N6thrust23THRUST_200600_302600_NS6detail15normal_iteratorINS8_10device_ptrIiEEEESD_jNS1_19radix_merge_compareILb0ELb1EiNS0_19identity_decomposerEEEEE10hipError_tT0_T1_T2_jT3_P12ihipStream_tbPNSt15iterator_traitsISI_E10value_typeEPNSO_ISJ_E10value_typeEPSK_NS1_7vsmem_tEENKUlT_SI_SJ_SK_E_clIPiSD_S10_SD_EESH_SX_SI_SJ_SK_EUlSX_E_NS1_11comp_targetILNS1_3genE0ELNS1_11target_archE4294967295ELNS1_3gpuE0ELNS1_3repE0EEENS1_48merge_mergepath_partition_config_static_selectorELNS0_4arch9wavefront6targetE0EEEvSJ_.num_agpr, 0
	.set _ZN7rocprim17ROCPRIM_400000_NS6detail17trampoline_kernelINS0_14default_configENS1_38merge_sort_block_merge_config_selectorIiiEEZZNS1_27merge_sort_block_merge_implIS3_N6thrust23THRUST_200600_302600_NS6detail15normal_iteratorINS8_10device_ptrIiEEEESD_jNS1_19radix_merge_compareILb0ELb1EiNS0_19identity_decomposerEEEEE10hipError_tT0_T1_T2_jT3_P12ihipStream_tbPNSt15iterator_traitsISI_E10value_typeEPNSO_ISJ_E10value_typeEPSK_NS1_7vsmem_tEENKUlT_SI_SJ_SK_E_clIPiSD_S10_SD_EESH_SX_SI_SJ_SK_EUlSX_E_NS1_11comp_targetILNS1_3genE0ELNS1_11target_archE4294967295ELNS1_3gpuE0ELNS1_3repE0EEENS1_48merge_mergepath_partition_config_static_selectorELNS0_4arch9wavefront6targetE0EEEvSJ_.numbered_sgpr, 0
	.set _ZN7rocprim17ROCPRIM_400000_NS6detail17trampoline_kernelINS0_14default_configENS1_38merge_sort_block_merge_config_selectorIiiEEZZNS1_27merge_sort_block_merge_implIS3_N6thrust23THRUST_200600_302600_NS6detail15normal_iteratorINS8_10device_ptrIiEEEESD_jNS1_19radix_merge_compareILb0ELb1EiNS0_19identity_decomposerEEEEE10hipError_tT0_T1_T2_jT3_P12ihipStream_tbPNSt15iterator_traitsISI_E10value_typeEPNSO_ISJ_E10value_typeEPSK_NS1_7vsmem_tEENKUlT_SI_SJ_SK_E_clIPiSD_S10_SD_EESH_SX_SI_SJ_SK_EUlSX_E_NS1_11comp_targetILNS1_3genE0ELNS1_11target_archE4294967295ELNS1_3gpuE0ELNS1_3repE0EEENS1_48merge_mergepath_partition_config_static_selectorELNS0_4arch9wavefront6targetE0EEEvSJ_.num_named_barrier, 0
	.set _ZN7rocprim17ROCPRIM_400000_NS6detail17trampoline_kernelINS0_14default_configENS1_38merge_sort_block_merge_config_selectorIiiEEZZNS1_27merge_sort_block_merge_implIS3_N6thrust23THRUST_200600_302600_NS6detail15normal_iteratorINS8_10device_ptrIiEEEESD_jNS1_19radix_merge_compareILb0ELb1EiNS0_19identity_decomposerEEEEE10hipError_tT0_T1_T2_jT3_P12ihipStream_tbPNSt15iterator_traitsISI_E10value_typeEPNSO_ISJ_E10value_typeEPSK_NS1_7vsmem_tEENKUlT_SI_SJ_SK_E_clIPiSD_S10_SD_EESH_SX_SI_SJ_SK_EUlSX_E_NS1_11comp_targetILNS1_3genE0ELNS1_11target_archE4294967295ELNS1_3gpuE0ELNS1_3repE0EEENS1_48merge_mergepath_partition_config_static_selectorELNS0_4arch9wavefront6targetE0EEEvSJ_.private_seg_size, 0
	.set _ZN7rocprim17ROCPRIM_400000_NS6detail17trampoline_kernelINS0_14default_configENS1_38merge_sort_block_merge_config_selectorIiiEEZZNS1_27merge_sort_block_merge_implIS3_N6thrust23THRUST_200600_302600_NS6detail15normal_iteratorINS8_10device_ptrIiEEEESD_jNS1_19radix_merge_compareILb0ELb1EiNS0_19identity_decomposerEEEEE10hipError_tT0_T1_T2_jT3_P12ihipStream_tbPNSt15iterator_traitsISI_E10value_typeEPNSO_ISJ_E10value_typeEPSK_NS1_7vsmem_tEENKUlT_SI_SJ_SK_E_clIPiSD_S10_SD_EESH_SX_SI_SJ_SK_EUlSX_E_NS1_11comp_targetILNS1_3genE0ELNS1_11target_archE4294967295ELNS1_3gpuE0ELNS1_3repE0EEENS1_48merge_mergepath_partition_config_static_selectorELNS0_4arch9wavefront6targetE0EEEvSJ_.uses_vcc, 0
	.set _ZN7rocprim17ROCPRIM_400000_NS6detail17trampoline_kernelINS0_14default_configENS1_38merge_sort_block_merge_config_selectorIiiEEZZNS1_27merge_sort_block_merge_implIS3_N6thrust23THRUST_200600_302600_NS6detail15normal_iteratorINS8_10device_ptrIiEEEESD_jNS1_19radix_merge_compareILb0ELb1EiNS0_19identity_decomposerEEEEE10hipError_tT0_T1_T2_jT3_P12ihipStream_tbPNSt15iterator_traitsISI_E10value_typeEPNSO_ISJ_E10value_typeEPSK_NS1_7vsmem_tEENKUlT_SI_SJ_SK_E_clIPiSD_S10_SD_EESH_SX_SI_SJ_SK_EUlSX_E_NS1_11comp_targetILNS1_3genE0ELNS1_11target_archE4294967295ELNS1_3gpuE0ELNS1_3repE0EEENS1_48merge_mergepath_partition_config_static_selectorELNS0_4arch9wavefront6targetE0EEEvSJ_.uses_flat_scratch, 0
	.set _ZN7rocprim17ROCPRIM_400000_NS6detail17trampoline_kernelINS0_14default_configENS1_38merge_sort_block_merge_config_selectorIiiEEZZNS1_27merge_sort_block_merge_implIS3_N6thrust23THRUST_200600_302600_NS6detail15normal_iteratorINS8_10device_ptrIiEEEESD_jNS1_19radix_merge_compareILb0ELb1EiNS0_19identity_decomposerEEEEE10hipError_tT0_T1_T2_jT3_P12ihipStream_tbPNSt15iterator_traitsISI_E10value_typeEPNSO_ISJ_E10value_typeEPSK_NS1_7vsmem_tEENKUlT_SI_SJ_SK_E_clIPiSD_S10_SD_EESH_SX_SI_SJ_SK_EUlSX_E_NS1_11comp_targetILNS1_3genE0ELNS1_11target_archE4294967295ELNS1_3gpuE0ELNS1_3repE0EEENS1_48merge_mergepath_partition_config_static_selectorELNS0_4arch9wavefront6targetE0EEEvSJ_.has_dyn_sized_stack, 0
	.set _ZN7rocprim17ROCPRIM_400000_NS6detail17trampoline_kernelINS0_14default_configENS1_38merge_sort_block_merge_config_selectorIiiEEZZNS1_27merge_sort_block_merge_implIS3_N6thrust23THRUST_200600_302600_NS6detail15normal_iteratorINS8_10device_ptrIiEEEESD_jNS1_19radix_merge_compareILb0ELb1EiNS0_19identity_decomposerEEEEE10hipError_tT0_T1_T2_jT3_P12ihipStream_tbPNSt15iterator_traitsISI_E10value_typeEPNSO_ISJ_E10value_typeEPSK_NS1_7vsmem_tEENKUlT_SI_SJ_SK_E_clIPiSD_S10_SD_EESH_SX_SI_SJ_SK_EUlSX_E_NS1_11comp_targetILNS1_3genE0ELNS1_11target_archE4294967295ELNS1_3gpuE0ELNS1_3repE0EEENS1_48merge_mergepath_partition_config_static_selectorELNS0_4arch9wavefront6targetE0EEEvSJ_.has_recursion, 0
	.set _ZN7rocprim17ROCPRIM_400000_NS6detail17trampoline_kernelINS0_14default_configENS1_38merge_sort_block_merge_config_selectorIiiEEZZNS1_27merge_sort_block_merge_implIS3_N6thrust23THRUST_200600_302600_NS6detail15normal_iteratorINS8_10device_ptrIiEEEESD_jNS1_19radix_merge_compareILb0ELb1EiNS0_19identity_decomposerEEEEE10hipError_tT0_T1_T2_jT3_P12ihipStream_tbPNSt15iterator_traitsISI_E10value_typeEPNSO_ISJ_E10value_typeEPSK_NS1_7vsmem_tEENKUlT_SI_SJ_SK_E_clIPiSD_S10_SD_EESH_SX_SI_SJ_SK_EUlSX_E_NS1_11comp_targetILNS1_3genE0ELNS1_11target_archE4294967295ELNS1_3gpuE0ELNS1_3repE0EEENS1_48merge_mergepath_partition_config_static_selectorELNS0_4arch9wavefront6targetE0EEEvSJ_.has_indirect_call, 0
	.section	.AMDGPU.csdata,"",@progbits
; Kernel info:
; codeLenInByte = 0
; TotalNumSgprs: 0
; NumVgprs: 0
; ScratchSize: 0
; MemoryBound: 0
; FloatMode: 240
; IeeeMode: 1
; LDSByteSize: 0 bytes/workgroup (compile time only)
; SGPRBlocks: 0
; VGPRBlocks: 0
; NumSGPRsForWavesPerEU: 1
; NumVGPRsForWavesPerEU: 1
; Occupancy: 16
; WaveLimiterHint : 0
; COMPUTE_PGM_RSRC2:SCRATCH_EN: 0
; COMPUTE_PGM_RSRC2:USER_SGPR: 6
; COMPUTE_PGM_RSRC2:TRAP_HANDLER: 0
; COMPUTE_PGM_RSRC2:TGID_X_EN: 1
; COMPUTE_PGM_RSRC2:TGID_Y_EN: 0
; COMPUTE_PGM_RSRC2:TGID_Z_EN: 0
; COMPUTE_PGM_RSRC2:TIDIG_COMP_CNT: 0
	.section	.text._ZN7rocprim17ROCPRIM_400000_NS6detail17trampoline_kernelINS0_14default_configENS1_38merge_sort_block_merge_config_selectorIiiEEZZNS1_27merge_sort_block_merge_implIS3_N6thrust23THRUST_200600_302600_NS6detail15normal_iteratorINS8_10device_ptrIiEEEESD_jNS1_19radix_merge_compareILb0ELb1EiNS0_19identity_decomposerEEEEE10hipError_tT0_T1_T2_jT3_P12ihipStream_tbPNSt15iterator_traitsISI_E10value_typeEPNSO_ISJ_E10value_typeEPSK_NS1_7vsmem_tEENKUlT_SI_SJ_SK_E_clIPiSD_S10_SD_EESH_SX_SI_SJ_SK_EUlSX_E_NS1_11comp_targetILNS1_3genE10ELNS1_11target_archE1201ELNS1_3gpuE5ELNS1_3repE0EEENS1_48merge_mergepath_partition_config_static_selectorELNS0_4arch9wavefront6targetE0EEEvSJ_,"axG",@progbits,_ZN7rocprim17ROCPRIM_400000_NS6detail17trampoline_kernelINS0_14default_configENS1_38merge_sort_block_merge_config_selectorIiiEEZZNS1_27merge_sort_block_merge_implIS3_N6thrust23THRUST_200600_302600_NS6detail15normal_iteratorINS8_10device_ptrIiEEEESD_jNS1_19radix_merge_compareILb0ELb1EiNS0_19identity_decomposerEEEEE10hipError_tT0_T1_T2_jT3_P12ihipStream_tbPNSt15iterator_traitsISI_E10value_typeEPNSO_ISJ_E10value_typeEPSK_NS1_7vsmem_tEENKUlT_SI_SJ_SK_E_clIPiSD_S10_SD_EESH_SX_SI_SJ_SK_EUlSX_E_NS1_11comp_targetILNS1_3genE10ELNS1_11target_archE1201ELNS1_3gpuE5ELNS1_3repE0EEENS1_48merge_mergepath_partition_config_static_selectorELNS0_4arch9wavefront6targetE0EEEvSJ_,comdat
	.protected	_ZN7rocprim17ROCPRIM_400000_NS6detail17trampoline_kernelINS0_14default_configENS1_38merge_sort_block_merge_config_selectorIiiEEZZNS1_27merge_sort_block_merge_implIS3_N6thrust23THRUST_200600_302600_NS6detail15normal_iteratorINS8_10device_ptrIiEEEESD_jNS1_19radix_merge_compareILb0ELb1EiNS0_19identity_decomposerEEEEE10hipError_tT0_T1_T2_jT3_P12ihipStream_tbPNSt15iterator_traitsISI_E10value_typeEPNSO_ISJ_E10value_typeEPSK_NS1_7vsmem_tEENKUlT_SI_SJ_SK_E_clIPiSD_S10_SD_EESH_SX_SI_SJ_SK_EUlSX_E_NS1_11comp_targetILNS1_3genE10ELNS1_11target_archE1201ELNS1_3gpuE5ELNS1_3repE0EEENS1_48merge_mergepath_partition_config_static_selectorELNS0_4arch9wavefront6targetE0EEEvSJ_ ; -- Begin function _ZN7rocprim17ROCPRIM_400000_NS6detail17trampoline_kernelINS0_14default_configENS1_38merge_sort_block_merge_config_selectorIiiEEZZNS1_27merge_sort_block_merge_implIS3_N6thrust23THRUST_200600_302600_NS6detail15normal_iteratorINS8_10device_ptrIiEEEESD_jNS1_19radix_merge_compareILb0ELb1EiNS0_19identity_decomposerEEEEE10hipError_tT0_T1_T2_jT3_P12ihipStream_tbPNSt15iterator_traitsISI_E10value_typeEPNSO_ISJ_E10value_typeEPSK_NS1_7vsmem_tEENKUlT_SI_SJ_SK_E_clIPiSD_S10_SD_EESH_SX_SI_SJ_SK_EUlSX_E_NS1_11comp_targetILNS1_3genE10ELNS1_11target_archE1201ELNS1_3gpuE5ELNS1_3repE0EEENS1_48merge_mergepath_partition_config_static_selectorELNS0_4arch9wavefront6targetE0EEEvSJ_
	.globl	_ZN7rocprim17ROCPRIM_400000_NS6detail17trampoline_kernelINS0_14default_configENS1_38merge_sort_block_merge_config_selectorIiiEEZZNS1_27merge_sort_block_merge_implIS3_N6thrust23THRUST_200600_302600_NS6detail15normal_iteratorINS8_10device_ptrIiEEEESD_jNS1_19radix_merge_compareILb0ELb1EiNS0_19identity_decomposerEEEEE10hipError_tT0_T1_T2_jT3_P12ihipStream_tbPNSt15iterator_traitsISI_E10value_typeEPNSO_ISJ_E10value_typeEPSK_NS1_7vsmem_tEENKUlT_SI_SJ_SK_E_clIPiSD_S10_SD_EESH_SX_SI_SJ_SK_EUlSX_E_NS1_11comp_targetILNS1_3genE10ELNS1_11target_archE1201ELNS1_3gpuE5ELNS1_3repE0EEENS1_48merge_mergepath_partition_config_static_selectorELNS0_4arch9wavefront6targetE0EEEvSJ_
	.p2align	8
	.type	_ZN7rocprim17ROCPRIM_400000_NS6detail17trampoline_kernelINS0_14default_configENS1_38merge_sort_block_merge_config_selectorIiiEEZZNS1_27merge_sort_block_merge_implIS3_N6thrust23THRUST_200600_302600_NS6detail15normal_iteratorINS8_10device_ptrIiEEEESD_jNS1_19radix_merge_compareILb0ELb1EiNS0_19identity_decomposerEEEEE10hipError_tT0_T1_T2_jT3_P12ihipStream_tbPNSt15iterator_traitsISI_E10value_typeEPNSO_ISJ_E10value_typeEPSK_NS1_7vsmem_tEENKUlT_SI_SJ_SK_E_clIPiSD_S10_SD_EESH_SX_SI_SJ_SK_EUlSX_E_NS1_11comp_targetILNS1_3genE10ELNS1_11target_archE1201ELNS1_3gpuE5ELNS1_3repE0EEENS1_48merge_mergepath_partition_config_static_selectorELNS0_4arch9wavefront6targetE0EEEvSJ_,@function
_ZN7rocprim17ROCPRIM_400000_NS6detail17trampoline_kernelINS0_14default_configENS1_38merge_sort_block_merge_config_selectorIiiEEZZNS1_27merge_sort_block_merge_implIS3_N6thrust23THRUST_200600_302600_NS6detail15normal_iteratorINS8_10device_ptrIiEEEESD_jNS1_19radix_merge_compareILb0ELb1EiNS0_19identity_decomposerEEEEE10hipError_tT0_T1_T2_jT3_P12ihipStream_tbPNSt15iterator_traitsISI_E10value_typeEPNSO_ISJ_E10value_typeEPSK_NS1_7vsmem_tEENKUlT_SI_SJ_SK_E_clIPiSD_S10_SD_EESH_SX_SI_SJ_SK_EUlSX_E_NS1_11comp_targetILNS1_3genE10ELNS1_11target_archE1201ELNS1_3gpuE5ELNS1_3repE0EEENS1_48merge_mergepath_partition_config_static_selectorELNS0_4arch9wavefront6targetE0EEEvSJ_: ; @_ZN7rocprim17ROCPRIM_400000_NS6detail17trampoline_kernelINS0_14default_configENS1_38merge_sort_block_merge_config_selectorIiiEEZZNS1_27merge_sort_block_merge_implIS3_N6thrust23THRUST_200600_302600_NS6detail15normal_iteratorINS8_10device_ptrIiEEEESD_jNS1_19radix_merge_compareILb0ELb1EiNS0_19identity_decomposerEEEEE10hipError_tT0_T1_T2_jT3_P12ihipStream_tbPNSt15iterator_traitsISI_E10value_typeEPNSO_ISJ_E10value_typeEPSK_NS1_7vsmem_tEENKUlT_SI_SJ_SK_E_clIPiSD_S10_SD_EESH_SX_SI_SJ_SK_EUlSX_E_NS1_11comp_targetILNS1_3genE10ELNS1_11target_archE1201ELNS1_3gpuE5ELNS1_3repE0EEENS1_48merge_mergepath_partition_config_static_selectorELNS0_4arch9wavefront6targetE0EEEvSJ_
; %bb.0:
	.section	.rodata,"a",@progbits
	.p2align	6, 0x0
	.amdhsa_kernel _ZN7rocprim17ROCPRIM_400000_NS6detail17trampoline_kernelINS0_14default_configENS1_38merge_sort_block_merge_config_selectorIiiEEZZNS1_27merge_sort_block_merge_implIS3_N6thrust23THRUST_200600_302600_NS6detail15normal_iteratorINS8_10device_ptrIiEEEESD_jNS1_19radix_merge_compareILb0ELb1EiNS0_19identity_decomposerEEEEE10hipError_tT0_T1_T2_jT3_P12ihipStream_tbPNSt15iterator_traitsISI_E10value_typeEPNSO_ISJ_E10value_typeEPSK_NS1_7vsmem_tEENKUlT_SI_SJ_SK_E_clIPiSD_S10_SD_EESH_SX_SI_SJ_SK_EUlSX_E_NS1_11comp_targetILNS1_3genE10ELNS1_11target_archE1201ELNS1_3gpuE5ELNS1_3repE0EEENS1_48merge_mergepath_partition_config_static_selectorELNS0_4arch9wavefront6targetE0EEEvSJ_
		.amdhsa_group_segment_fixed_size 0
		.amdhsa_private_segment_fixed_size 0
		.amdhsa_kernarg_size 40
		.amdhsa_user_sgpr_count 6
		.amdhsa_user_sgpr_private_segment_buffer 1
		.amdhsa_user_sgpr_dispatch_ptr 0
		.amdhsa_user_sgpr_queue_ptr 0
		.amdhsa_user_sgpr_kernarg_segment_ptr 1
		.amdhsa_user_sgpr_dispatch_id 0
		.amdhsa_user_sgpr_flat_scratch_init 0
		.amdhsa_user_sgpr_private_segment_size 0
		.amdhsa_wavefront_size32 1
		.amdhsa_uses_dynamic_stack 0
		.amdhsa_system_sgpr_private_segment_wavefront_offset 0
		.amdhsa_system_sgpr_workgroup_id_x 1
		.amdhsa_system_sgpr_workgroup_id_y 0
		.amdhsa_system_sgpr_workgroup_id_z 0
		.amdhsa_system_sgpr_workgroup_info 0
		.amdhsa_system_vgpr_workitem_id 0
		.amdhsa_next_free_vgpr 1
		.amdhsa_next_free_sgpr 1
		.amdhsa_reserve_vcc 0
		.amdhsa_reserve_flat_scratch 0
		.amdhsa_float_round_mode_32 0
		.amdhsa_float_round_mode_16_64 0
		.amdhsa_float_denorm_mode_32 3
		.amdhsa_float_denorm_mode_16_64 3
		.amdhsa_dx10_clamp 1
		.amdhsa_ieee_mode 1
		.amdhsa_fp16_overflow 0
		.amdhsa_workgroup_processor_mode 1
		.amdhsa_memory_ordered 1
		.amdhsa_forward_progress 1
		.amdhsa_shared_vgpr_count 0
		.amdhsa_exception_fp_ieee_invalid_op 0
		.amdhsa_exception_fp_denorm_src 0
		.amdhsa_exception_fp_ieee_div_zero 0
		.amdhsa_exception_fp_ieee_overflow 0
		.amdhsa_exception_fp_ieee_underflow 0
		.amdhsa_exception_fp_ieee_inexact 0
		.amdhsa_exception_int_div_zero 0
	.end_amdhsa_kernel
	.section	.text._ZN7rocprim17ROCPRIM_400000_NS6detail17trampoline_kernelINS0_14default_configENS1_38merge_sort_block_merge_config_selectorIiiEEZZNS1_27merge_sort_block_merge_implIS3_N6thrust23THRUST_200600_302600_NS6detail15normal_iteratorINS8_10device_ptrIiEEEESD_jNS1_19radix_merge_compareILb0ELb1EiNS0_19identity_decomposerEEEEE10hipError_tT0_T1_T2_jT3_P12ihipStream_tbPNSt15iterator_traitsISI_E10value_typeEPNSO_ISJ_E10value_typeEPSK_NS1_7vsmem_tEENKUlT_SI_SJ_SK_E_clIPiSD_S10_SD_EESH_SX_SI_SJ_SK_EUlSX_E_NS1_11comp_targetILNS1_3genE10ELNS1_11target_archE1201ELNS1_3gpuE5ELNS1_3repE0EEENS1_48merge_mergepath_partition_config_static_selectorELNS0_4arch9wavefront6targetE0EEEvSJ_,"axG",@progbits,_ZN7rocprim17ROCPRIM_400000_NS6detail17trampoline_kernelINS0_14default_configENS1_38merge_sort_block_merge_config_selectorIiiEEZZNS1_27merge_sort_block_merge_implIS3_N6thrust23THRUST_200600_302600_NS6detail15normal_iteratorINS8_10device_ptrIiEEEESD_jNS1_19radix_merge_compareILb0ELb1EiNS0_19identity_decomposerEEEEE10hipError_tT0_T1_T2_jT3_P12ihipStream_tbPNSt15iterator_traitsISI_E10value_typeEPNSO_ISJ_E10value_typeEPSK_NS1_7vsmem_tEENKUlT_SI_SJ_SK_E_clIPiSD_S10_SD_EESH_SX_SI_SJ_SK_EUlSX_E_NS1_11comp_targetILNS1_3genE10ELNS1_11target_archE1201ELNS1_3gpuE5ELNS1_3repE0EEENS1_48merge_mergepath_partition_config_static_selectorELNS0_4arch9wavefront6targetE0EEEvSJ_,comdat
.Lfunc_end757:
	.size	_ZN7rocprim17ROCPRIM_400000_NS6detail17trampoline_kernelINS0_14default_configENS1_38merge_sort_block_merge_config_selectorIiiEEZZNS1_27merge_sort_block_merge_implIS3_N6thrust23THRUST_200600_302600_NS6detail15normal_iteratorINS8_10device_ptrIiEEEESD_jNS1_19radix_merge_compareILb0ELb1EiNS0_19identity_decomposerEEEEE10hipError_tT0_T1_T2_jT3_P12ihipStream_tbPNSt15iterator_traitsISI_E10value_typeEPNSO_ISJ_E10value_typeEPSK_NS1_7vsmem_tEENKUlT_SI_SJ_SK_E_clIPiSD_S10_SD_EESH_SX_SI_SJ_SK_EUlSX_E_NS1_11comp_targetILNS1_3genE10ELNS1_11target_archE1201ELNS1_3gpuE5ELNS1_3repE0EEENS1_48merge_mergepath_partition_config_static_selectorELNS0_4arch9wavefront6targetE0EEEvSJ_, .Lfunc_end757-_ZN7rocprim17ROCPRIM_400000_NS6detail17trampoline_kernelINS0_14default_configENS1_38merge_sort_block_merge_config_selectorIiiEEZZNS1_27merge_sort_block_merge_implIS3_N6thrust23THRUST_200600_302600_NS6detail15normal_iteratorINS8_10device_ptrIiEEEESD_jNS1_19radix_merge_compareILb0ELb1EiNS0_19identity_decomposerEEEEE10hipError_tT0_T1_T2_jT3_P12ihipStream_tbPNSt15iterator_traitsISI_E10value_typeEPNSO_ISJ_E10value_typeEPSK_NS1_7vsmem_tEENKUlT_SI_SJ_SK_E_clIPiSD_S10_SD_EESH_SX_SI_SJ_SK_EUlSX_E_NS1_11comp_targetILNS1_3genE10ELNS1_11target_archE1201ELNS1_3gpuE5ELNS1_3repE0EEENS1_48merge_mergepath_partition_config_static_selectorELNS0_4arch9wavefront6targetE0EEEvSJ_
                                        ; -- End function
	.set _ZN7rocprim17ROCPRIM_400000_NS6detail17trampoline_kernelINS0_14default_configENS1_38merge_sort_block_merge_config_selectorIiiEEZZNS1_27merge_sort_block_merge_implIS3_N6thrust23THRUST_200600_302600_NS6detail15normal_iteratorINS8_10device_ptrIiEEEESD_jNS1_19radix_merge_compareILb0ELb1EiNS0_19identity_decomposerEEEEE10hipError_tT0_T1_T2_jT3_P12ihipStream_tbPNSt15iterator_traitsISI_E10value_typeEPNSO_ISJ_E10value_typeEPSK_NS1_7vsmem_tEENKUlT_SI_SJ_SK_E_clIPiSD_S10_SD_EESH_SX_SI_SJ_SK_EUlSX_E_NS1_11comp_targetILNS1_3genE10ELNS1_11target_archE1201ELNS1_3gpuE5ELNS1_3repE0EEENS1_48merge_mergepath_partition_config_static_selectorELNS0_4arch9wavefront6targetE0EEEvSJ_.num_vgpr, 0
	.set _ZN7rocprim17ROCPRIM_400000_NS6detail17trampoline_kernelINS0_14default_configENS1_38merge_sort_block_merge_config_selectorIiiEEZZNS1_27merge_sort_block_merge_implIS3_N6thrust23THRUST_200600_302600_NS6detail15normal_iteratorINS8_10device_ptrIiEEEESD_jNS1_19radix_merge_compareILb0ELb1EiNS0_19identity_decomposerEEEEE10hipError_tT0_T1_T2_jT3_P12ihipStream_tbPNSt15iterator_traitsISI_E10value_typeEPNSO_ISJ_E10value_typeEPSK_NS1_7vsmem_tEENKUlT_SI_SJ_SK_E_clIPiSD_S10_SD_EESH_SX_SI_SJ_SK_EUlSX_E_NS1_11comp_targetILNS1_3genE10ELNS1_11target_archE1201ELNS1_3gpuE5ELNS1_3repE0EEENS1_48merge_mergepath_partition_config_static_selectorELNS0_4arch9wavefront6targetE0EEEvSJ_.num_agpr, 0
	.set _ZN7rocprim17ROCPRIM_400000_NS6detail17trampoline_kernelINS0_14default_configENS1_38merge_sort_block_merge_config_selectorIiiEEZZNS1_27merge_sort_block_merge_implIS3_N6thrust23THRUST_200600_302600_NS6detail15normal_iteratorINS8_10device_ptrIiEEEESD_jNS1_19radix_merge_compareILb0ELb1EiNS0_19identity_decomposerEEEEE10hipError_tT0_T1_T2_jT3_P12ihipStream_tbPNSt15iterator_traitsISI_E10value_typeEPNSO_ISJ_E10value_typeEPSK_NS1_7vsmem_tEENKUlT_SI_SJ_SK_E_clIPiSD_S10_SD_EESH_SX_SI_SJ_SK_EUlSX_E_NS1_11comp_targetILNS1_3genE10ELNS1_11target_archE1201ELNS1_3gpuE5ELNS1_3repE0EEENS1_48merge_mergepath_partition_config_static_selectorELNS0_4arch9wavefront6targetE0EEEvSJ_.numbered_sgpr, 0
	.set _ZN7rocprim17ROCPRIM_400000_NS6detail17trampoline_kernelINS0_14default_configENS1_38merge_sort_block_merge_config_selectorIiiEEZZNS1_27merge_sort_block_merge_implIS3_N6thrust23THRUST_200600_302600_NS6detail15normal_iteratorINS8_10device_ptrIiEEEESD_jNS1_19radix_merge_compareILb0ELb1EiNS0_19identity_decomposerEEEEE10hipError_tT0_T1_T2_jT3_P12ihipStream_tbPNSt15iterator_traitsISI_E10value_typeEPNSO_ISJ_E10value_typeEPSK_NS1_7vsmem_tEENKUlT_SI_SJ_SK_E_clIPiSD_S10_SD_EESH_SX_SI_SJ_SK_EUlSX_E_NS1_11comp_targetILNS1_3genE10ELNS1_11target_archE1201ELNS1_3gpuE5ELNS1_3repE0EEENS1_48merge_mergepath_partition_config_static_selectorELNS0_4arch9wavefront6targetE0EEEvSJ_.num_named_barrier, 0
	.set _ZN7rocprim17ROCPRIM_400000_NS6detail17trampoline_kernelINS0_14default_configENS1_38merge_sort_block_merge_config_selectorIiiEEZZNS1_27merge_sort_block_merge_implIS3_N6thrust23THRUST_200600_302600_NS6detail15normal_iteratorINS8_10device_ptrIiEEEESD_jNS1_19radix_merge_compareILb0ELb1EiNS0_19identity_decomposerEEEEE10hipError_tT0_T1_T2_jT3_P12ihipStream_tbPNSt15iterator_traitsISI_E10value_typeEPNSO_ISJ_E10value_typeEPSK_NS1_7vsmem_tEENKUlT_SI_SJ_SK_E_clIPiSD_S10_SD_EESH_SX_SI_SJ_SK_EUlSX_E_NS1_11comp_targetILNS1_3genE10ELNS1_11target_archE1201ELNS1_3gpuE5ELNS1_3repE0EEENS1_48merge_mergepath_partition_config_static_selectorELNS0_4arch9wavefront6targetE0EEEvSJ_.private_seg_size, 0
	.set _ZN7rocprim17ROCPRIM_400000_NS6detail17trampoline_kernelINS0_14default_configENS1_38merge_sort_block_merge_config_selectorIiiEEZZNS1_27merge_sort_block_merge_implIS3_N6thrust23THRUST_200600_302600_NS6detail15normal_iteratorINS8_10device_ptrIiEEEESD_jNS1_19radix_merge_compareILb0ELb1EiNS0_19identity_decomposerEEEEE10hipError_tT0_T1_T2_jT3_P12ihipStream_tbPNSt15iterator_traitsISI_E10value_typeEPNSO_ISJ_E10value_typeEPSK_NS1_7vsmem_tEENKUlT_SI_SJ_SK_E_clIPiSD_S10_SD_EESH_SX_SI_SJ_SK_EUlSX_E_NS1_11comp_targetILNS1_3genE10ELNS1_11target_archE1201ELNS1_3gpuE5ELNS1_3repE0EEENS1_48merge_mergepath_partition_config_static_selectorELNS0_4arch9wavefront6targetE0EEEvSJ_.uses_vcc, 0
	.set _ZN7rocprim17ROCPRIM_400000_NS6detail17trampoline_kernelINS0_14default_configENS1_38merge_sort_block_merge_config_selectorIiiEEZZNS1_27merge_sort_block_merge_implIS3_N6thrust23THRUST_200600_302600_NS6detail15normal_iteratorINS8_10device_ptrIiEEEESD_jNS1_19radix_merge_compareILb0ELb1EiNS0_19identity_decomposerEEEEE10hipError_tT0_T1_T2_jT3_P12ihipStream_tbPNSt15iterator_traitsISI_E10value_typeEPNSO_ISJ_E10value_typeEPSK_NS1_7vsmem_tEENKUlT_SI_SJ_SK_E_clIPiSD_S10_SD_EESH_SX_SI_SJ_SK_EUlSX_E_NS1_11comp_targetILNS1_3genE10ELNS1_11target_archE1201ELNS1_3gpuE5ELNS1_3repE0EEENS1_48merge_mergepath_partition_config_static_selectorELNS0_4arch9wavefront6targetE0EEEvSJ_.uses_flat_scratch, 0
	.set _ZN7rocprim17ROCPRIM_400000_NS6detail17trampoline_kernelINS0_14default_configENS1_38merge_sort_block_merge_config_selectorIiiEEZZNS1_27merge_sort_block_merge_implIS3_N6thrust23THRUST_200600_302600_NS6detail15normal_iteratorINS8_10device_ptrIiEEEESD_jNS1_19radix_merge_compareILb0ELb1EiNS0_19identity_decomposerEEEEE10hipError_tT0_T1_T2_jT3_P12ihipStream_tbPNSt15iterator_traitsISI_E10value_typeEPNSO_ISJ_E10value_typeEPSK_NS1_7vsmem_tEENKUlT_SI_SJ_SK_E_clIPiSD_S10_SD_EESH_SX_SI_SJ_SK_EUlSX_E_NS1_11comp_targetILNS1_3genE10ELNS1_11target_archE1201ELNS1_3gpuE5ELNS1_3repE0EEENS1_48merge_mergepath_partition_config_static_selectorELNS0_4arch9wavefront6targetE0EEEvSJ_.has_dyn_sized_stack, 0
	.set _ZN7rocprim17ROCPRIM_400000_NS6detail17trampoline_kernelINS0_14default_configENS1_38merge_sort_block_merge_config_selectorIiiEEZZNS1_27merge_sort_block_merge_implIS3_N6thrust23THRUST_200600_302600_NS6detail15normal_iteratorINS8_10device_ptrIiEEEESD_jNS1_19radix_merge_compareILb0ELb1EiNS0_19identity_decomposerEEEEE10hipError_tT0_T1_T2_jT3_P12ihipStream_tbPNSt15iterator_traitsISI_E10value_typeEPNSO_ISJ_E10value_typeEPSK_NS1_7vsmem_tEENKUlT_SI_SJ_SK_E_clIPiSD_S10_SD_EESH_SX_SI_SJ_SK_EUlSX_E_NS1_11comp_targetILNS1_3genE10ELNS1_11target_archE1201ELNS1_3gpuE5ELNS1_3repE0EEENS1_48merge_mergepath_partition_config_static_selectorELNS0_4arch9wavefront6targetE0EEEvSJ_.has_recursion, 0
	.set _ZN7rocprim17ROCPRIM_400000_NS6detail17trampoline_kernelINS0_14default_configENS1_38merge_sort_block_merge_config_selectorIiiEEZZNS1_27merge_sort_block_merge_implIS3_N6thrust23THRUST_200600_302600_NS6detail15normal_iteratorINS8_10device_ptrIiEEEESD_jNS1_19radix_merge_compareILb0ELb1EiNS0_19identity_decomposerEEEEE10hipError_tT0_T1_T2_jT3_P12ihipStream_tbPNSt15iterator_traitsISI_E10value_typeEPNSO_ISJ_E10value_typeEPSK_NS1_7vsmem_tEENKUlT_SI_SJ_SK_E_clIPiSD_S10_SD_EESH_SX_SI_SJ_SK_EUlSX_E_NS1_11comp_targetILNS1_3genE10ELNS1_11target_archE1201ELNS1_3gpuE5ELNS1_3repE0EEENS1_48merge_mergepath_partition_config_static_selectorELNS0_4arch9wavefront6targetE0EEEvSJ_.has_indirect_call, 0
	.section	.AMDGPU.csdata,"",@progbits
; Kernel info:
; codeLenInByte = 0
; TotalNumSgprs: 0
; NumVgprs: 0
; ScratchSize: 0
; MemoryBound: 0
; FloatMode: 240
; IeeeMode: 1
; LDSByteSize: 0 bytes/workgroup (compile time only)
; SGPRBlocks: 0
; VGPRBlocks: 0
; NumSGPRsForWavesPerEU: 1
; NumVGPRsForWavesPerEU: 1
; Occupancy: 16
; WaveLimiterHint : 0
; COMPUTE_PGM_RSRC2:SCRATCH_EN: 0
; COMPUTE_PGM_RSRC2:USER_SGPR: 6
; COMPUTE_PGM_RSRC2:TRAP_HANDLER: 0
; COMPUTE_PGM_RSRC2:TGID_X_EN: 1
; COMPUTE_PGM_RSRC2:TGID_Y_EN: 0
; COMPUTE_PGM_RSRC2:TGID_Z_EN: 0
; COMPUTE_PGM_RSRC2:TIDIG_COMP_CNT: 0
	.section	.text._ZN7rocprim17ROCPRIM_400000_NS6detail17trampoline_kernelINS0_14default_configENS1_38merge_sort_block_merge_config_selectorIiiEEZZNS1_27merge_sort_block_merge_implIS3_N6thrust23THRUST_200600_302600_NS6detail15normal_iteratorINS8_10device_ptrIiEEEESD_jNS1_19radix_merge_compareILb0ELb1EiNS0_19identity_decomposerEEEEE10hipError_tT0_T1_T2_jT3_P12ihipStream_tbPNSt15iterator_traitsISI_E10value_typeEPNSO_ISJ_E10value_typeEPSK_NS1_7vsmem_tEENKUlT_SI_SJ_SK_E_clIPiSD_S10_SD_EESH_SX_SI_SJ_SK_EUlSX_E_NS1_11comp_targetILNS1_3genE5ELNS1_11target_archE942ELNS1_3gpuE9ELNS1_3repE0EEENS1_48merge_mergepath_partition_config_static_selectorELNS0_4arch9wavefront6targetE0EEEvSJ_,"axG",@progbits,_ZN7rocprim17ROCPRIM_400000_NS6detail17trampoline_kernelINS0_14default_configENS1_38merge_sort_block_merge_config_selectorIiiEEZZNS1_27merge_sort_block_merge_implIS3_N6thrust23THRUST_200600_302600_NS6detail15normal_iteratorINS8_10device_ptrIiEEEESD_jNS1_19radix_merge_compareILb0ELb1EiNS0_19identity_decomposerEEEEE10hipError_tT0_T1_T2_jT3_P12ihipStream_tbPNSt15iterator_traitsISI_E10value_typeEPNSO_ISJ_E10value_typeEPSK_NS1_7vsmem_tEENKUlT_SI_SJ_SK_E_clIPiSD_S10_SD_EESH_SX_SI_SJ_SK_EUlSX_E_NS1_11comp_targetILNS1_3genE5ELNS1_11target_archE942ELNS1_3gpuE9ELNS1_3repE0EEENS1_48merge_mergepath_partition_config_static_selectorELNS0_4arch9wavefront6targetE0EEEvSJ_,comdat
	.protected	_ZN7rocprim17ROCPRIM_400000_NS6detail17trampoline_kernelINS0_14default_configENS1_38merge_sort_block_merge_config_selectorIiiEEZZNS1_27merge_sort_block_merge_implIS3_N6thrust23THRUST_200600_302600_NS6detail15normal_iteratorINS8_10device_ptrIiEEEESD_jNS1_19radix_merge_compareILb0ELb1EiNS0_19identity_decomposerEEEEE10hipError_tT0_T1_T2_jT3_P12ihipStream_tbPNSt15iterator_traitsISI_E10value_typeEPNSO_ISJ_E10value_typeEPSK_NS1_7vsmem_tEENKUlT_SI_SJ_SK_E_clIPiSD_S10_SD_EESH_SX_SI_SJ_SK_EUlSX_E_NS1_11comp_targetILNS1_3genE5ELNS1_11target_archE942ELNS1_3gpuE9ELNS1_3repE0EEENS1_48merge_mergepath_partition_config_static_selectorELNS0_4arch9wavefront6targetE0EEEvSJ_ ; -- Begin function _ZN7rocprim17ROCPRIM_400000_NS6detail17trampoline_kernelINS0_14default_configENS1_38merge_sort_block_merge_config_selectorIiiEEZZNS1_27merge_sort_block_merge_implIS3_N6thrust23THRUST_200600_302600_NS6detail15normal_iteratorINS8_10device_ptrIiEEEESD_jNS1_19radix_merge_compareILb0ELb1EiNS0_19identity_decomposerEEEEE10hipError_tT0_T1_T2_jT3_P12ihipStream_tbPNSt15iterator_traitsISI_E10value_typeEPNSO_ISJ_E10value_typeEPSK_NS1_7vsmem_tEENKUlT_SI_SJ_SK_E_clIPiSD_S10_SD_EESH_SX_SI_SJ_SK_EUlSX_E_NS1_11comp_targetILNS1_3genE5ELNS1_11target_archE942ELNS1_3gpuE9ELNS1_3repE0EEENS1_48merge_mergepath_partition_config_static_selectorELNS0_4arch9wavefront6targetE0EEEvSJ_
	.globl	_ZN7rocprim17ROCPRIM_400000_NS6detail17trampoline_kernelINS0_14default_configENS1_38merge_sort_block_merge_config_selectorIiiEEZZNS1_27merge_sort_block_merge_implIS3_N6thrust23THRUST_200600_302600_NS6detail15normal_iteratorINS8_10device_ptrIiEEEESD_jNS1_19radix_merge_compareILb0ELb1EiNS0_19identity_decomposerEEEEE10hipError_tT0_T1_T2_jT3_P12ihipStream_tbPNSt15iterator_traitsISI_E10value_typeEPNSO_ISJ_E10value_typeEPSK_NS1_7vsmem_tEENKUlT_SI_SJ_SK_E_clIPiSD_S10_SD_EESH_SX_SI_SJ_SK_EUlSX_E_NS1_11comp_targetILNS1_3genE5ELNS1_11target_archE942ELNS1_3gpuE9ELNS1_3repE0EEENS1_48merge_mergepath_partition_config_static_selectorELNS0_4arch9wavefront6targetE0EEEvSJ_
	.p2align	8
	.type	_ZN7rocprim17ROCPRIM_400000_NS6detail17trampoline_kernelINS0_14default_configENS1_38merge_sort_block_merge_config_selectorIiiEEZZNS1_27merge_sort_block_merge_implIS3_N6thrust23THRUST_200600_302600_NS6detail15normal_iteratorINS8_10device_ptrIiEEEESD_jNS1_19radix_merge_compareILb0ELb1EiNS0_19identity_decomposerEEEEE10hipError_tT0_T1_T2_jT3_P12ihipStream_tbPNSt15iterator_traitsISI_E10value_typeEPNSO_ISJ_E10value_typeEPSK_NS1_7vsmem_tEENKUlT_SI_SJ_SK_E_clIPiSD_S10_SD_EESH_SX_SI_SJ_SK_EUlSX_E_NS1_11comp_targetILNS1_3genE5ELNS1_11target_archE942ELNS1_3gpuE9ELNS1_3repE0EEENS1_48merge_mergepath_partition_config_static_selectorELNS0_4arch9wavefront6targetE0EEEvSJ_,@function
_ZN7rocprim17ROCPRIM_400000_NS6detail17trampoline_kernelINS0_14default_configENS1_38merge_sort_block_merge_config_selectorIiiEEZZNS1_27merge_sort_block_merge_implIS3_N6thrust23THRUST_200600_302600_NS6detail15normal_iteratorINS8_10device_ptrIiEEEESD_jNS1_19radix_merge_compareILb0ELb1EiNS0_19identity_decomposerEEEEE10hipError_tT0_T1_T2_jT3_P12ihipStream_tbPNSt15iterator_traitsISI_E10value_typeEPNSO_ISJ_E10value_typeEPSK_NS1_7vsmem_tEENKUlT_SI_SJ_SK_E_clIPiSD_S10_SD_EESH_SX_SI_SJ_SK_EUlSX_E_NS1_11comp_targetILNS1_3genE5ELNS1_11target_archE942ELNS1_3gpuE9ELNS1_3repE0EEENS1_48merge_mergepath_partition_config_static_selectorELNS0_4arch9wavefront6targetE0EEEvSJ_: ; @_ZN7rocprim17ROCPRIM_400000_NS6detail17trampoline_kernelINS0_14default_configENS1_38merge_sort_block_merge_config_selectorIiiEEZZNS1_27merge_sort_block_merge_implIS3_N6thrust23THRUST_200600_302600_NS6detail15normal_iteratorINS8_10device_ptrIiEEEESD_jNS1_19radix_merge_compareILb0ELb1EiNS0_19identity_decomposerEEEEE10hipError_tT0_T1_T2_jT3_P12ihipStream_tbPNSt15iterator_traitsISI_E10value_typeEPNSO_ISJ_E10value_typeEPSK_NS1_7vsmem_tEENKUlT_SI_SJ_SK_E_clIPiSD_S10_SD_EESH_SX_SI_SJ_SK_EUlSX_E_NS1_11comp_targetILNS1_3genE5ELNS1_11target_archE942ELNS1_3gpuE9ELNS1_3repE0EEENS1_48merge_mergepath_partition_config_static_selectorELNS0_4arch9wavefront6targetE0EEEvSJ_
; %bb.0:
	.section	.rodata,"a",@progbits
	.p2align	6, 0x0
	.amdhsa_kernel _ZN7rocprim17ROCPRIM_400000_NS6detail17trampoline_kernelINS0_14default_configENS1_38merge_sort_block_merge_config_selectorIiiEEZZNS1_27merge_sort_block_merge_implIS3_N6thrust23THRUST_200600_302600_NS6detail15normal_iteratorINS8_10device_ptrIiEEEESD_jNS1_19radix_merge_compareILb0ELb1EiNS0_19identity_decomposerEEEEE10hipError_tT0_T1_T2_jT3_P12ihipStream_tbPNSt15iterator_traitsISI_E10value_typeEPNSO_ISJ_E10value_typeEPSK_NS1_7vsmem_tEENKUlT_SI_SJ_SK_E_clIPiSD_S10_SD_EESH_SX_SI_SJ_SK_EUlSX_E_NS1_11comp_targetILNS1_3genE5ELNS1_11target_archE942ELNS1_3gpuE9ELNS1_3repE0EEENS1_48merge_mergepath_partition_config_static_selectorELNS0_4arch9wavefront6targetE0EEEvSJ_
		.amdhsa_group_segment_fixed_size 0
		.amdhsa_private_segment_fixed_size 0
		.amdhsa_kernarg_size 40
		.amdhsa_user_sgpr_count 6
		.amdhsa_user_sgpr_private_segment_buffer 1
		.amdhsa_user_sgpr_dispatch_ptr 0
		.amdhsa_user_sgpr_queue_ptr 0
		.amdhsa_user_sgpr_kernarg_segment_ptr 1
		.amdhsa_user_sgpr_dispatch_id 0
		.amdhsa_user_sgpr_flat_scratch_init 0
		.amdhsa_user_sgpr_private_segment_size 0
		.amdhsa_wavefront_size32 1
		.amdhsa_uses_dynamic_stack 0
		.amdhsa_system_sgpr_private_segment_wavefront_offset 0
		.amdhsa_system_sgpr_workgroup_id_x 1
		.amdhsa_system_sgpr_workgroup_id_y 0
		.amdhsa_system_sgpr_workgroup_id_z 0
		.amdhsa_system_sgpr_workgroup_info 0
		.amdhsa_system_vgpr_workitem_id 0
		.amdhsa_next_free_vgpr 1
		.amdhsa_next_free_sgpr 1
		.amdhsa_reserve_vcc 0
		.amdhsa_reserve_flat_scratch 0
		.amdhsa_float_round_mode_32 0
		.amdhsa_float_round_mode_16_64 0
		.amdhsa_float_denorm_mode_32 3
		.amdhsa_float_denorm_mode_16_64 3
		.amdhsa_dx10_clamp 1
		.amdhsa_ieee_mode 1
		.amdhsa_fp16_overflow 0
		.amdhsa_workgroup_processor_mode 1
		.amdhsa_memory_ordered 1
		.amdhsa_forward_progress 1
		.amdhsa_shared_vgpr_count 0
		.amdhsa_exception_fp_ieee_invalid_op 0
		.amdhsa_exception_fp_denorm_src 0
		.amdhsa_exception_fp_ieee_div_zero 0
		.amdhsa_exception_fp_ieee_overflow 0
		.amdhsa_exception_fp_ieee_underflow 0
		.amdhsa_exception_fp_ieee_inexact 0
		.amdhsa_exception_int_div_zero 0
	.end_amdhsa_kernel
	.section	.text._ZN7rocprim17ROCPRIM_400000_NS6detail17trampoline_kernelINS0_14default_configENS1_38merge_sort_block_merge_config_selectorIiiEEZZNS1_27merge_sort_block_merge_implIS3_N6thrust23THRUST_200600_302600_NS6detail15normal_iteratorINS8_10device_ptrIiEEEESD_jNS1_19radix_merge_compareILb0ELb1EiNS0_19identity_decomposerEEEEE10hipError_tT0_T1_T2_jT3_P12ihipStream_tbPNSt15iterator_traitsISI_E10value_typeEPNSO_ISJ_E10value_typeEPSK_NS1_7vsmem_tEENKUlT_SI_SJ_SK_E_clIPiSD_S10_SD_EESH_SX_SI_SJ_SK_EUlSX_E_NS1_11comp_targetILNS1_3genE5ELNS1_11target_archE942ELNS1_3gpuE9ELNS1_3repE0EEENS1_48merge_mergepath_partition_config_static_selectorELNS0_4arch9wavefront6targetE0EEEvSJ_,"axG",@progbits,_ZN7rocprim17ROCPRIM_400000_NS6detail17trampoline_kernelINS0_14default_configENS1_38merge_sort_block_merge_config_selectorIiiEEZZNS1_27merge_sort_block_merge_implIS3_N6thrust23THRUST_200600_302600_NS6detail15normal_iteratorINS8_10device_ptrIiEEEESD_jNS1_19radix_merge_compareILb0ELb1EiNS0_19identity_decomposerEEEEE10hipError_tT0_T1_T2_jT3_P12ihipStream_tbPNSt15iterator_traitsISI_E10value_typeEPNSO_ISJ_E10value_typeEPSK_NS1_7vsmem_tEENKUlT_SI_SJ_SK_E_clIPiSD_S10_SD_EESH_SX_SI_SJ_SK_EUlSX_E_NS1_11comp_targetILNS1_3genE5ELNS1_11target_archE942ELNS1_3gpuE9ELNS1_3repE0EEENS1_48merge_mergepath_partition_config_static_selectorELNS0_4arch9wavefront6targetE0EEEvSJ_,comdat
.Lfunc_end758:
	.size	_ZN7rocprim17ROCPRIM_400000_NS6detail17trampoline_kernelINS0_14default_configENS1_38merge_sort_block_merge_config_selectorIiiEEZZNS1_27merge_sort_block_merge_implIS3_N6thrust23THRUST_200600_302600_NS6detail15normal_iteratorINS8_10device_ptrIiEEEESD_jNS1_19radix_merge_compareILb0ELb1EiNS0_19identity_decomposerEEEEE10hipError_tT0_T1_T2_jT3_P12ihipStream_tbPNSt15iterator_traitsISI_E10value_typeEPNSO_ISJ_E10value_typeEPSK_NS1_7vsmem_tEENKUlT_SI_SJ_SK_E_clIPiSD_S10_SD_EESH_SX_SI_SJ_SK_EUlSX_E_NS1_11comp_targetILNS1_3genE5ELNS1_11target_archE942ELNS1_3gpuE9ELNS1_3repE0EEENS1_48merge_mergepath_partition_config_static_selectorELNS0_4arch9wavefront6targetE0EEEvSJ_, .Lfunc_end758-_ZN7rocprim17ROCPRIM_400000_NS6detail17trampoline_kernelINS0_14default_configENS1_38merge_sort_block_merge_config_selectorIiiEEZZNS1_27merge_sort_block_merge_implIS3_N6thrust23THRUST_200600_302600_NS6detail15normal_iteratorINS8_10device_ptrIiEEEESD_jNS1_19radix_merge_compareILb0ELb1EiNS0_19identity_decomposerEEEEE10hipError_tT0_T1_T2_jT3_P12ihipStream_tbPNSt15iterator_traitsISI_E10value_typeEPNSO_ISJ_E10value_typeEPSK_NS1_7vsmem_tEENKUlT_SI_SJ_SK_E_clIPiSD_S10_SD_EESH_SX_SI_SJ_SK_EUlSX_E_NS1_11comp_targetILNS1_3genE5ELNS1_11target_archE942ELNS1_3gpuE9ELNS1_3repE0EEENS1_48merge_mergepath_partition_config_static_selectorELNS0_4arch9wavefront6targetE0EEEvSJ_
                                        ; -- End function
	.set _ZN7rocprim17ROCPRIM_400000_NS6detail17trampoline_kernelINS0_14default_configENS1_38merge_sort_block_merge_config_selectorIiiEEZZNS1_27merge_sort_block_merge_implIS3_N6thrust23THRUST_200600_302600_NS6detail15normal_iteratorINS8_10device_ptrIiEEEESD_jNS1_19radix_merge_compareILb0ELb1EiNS0_19identity_decomposerEEEEE10hipError_tT0_T1_T2_jT3_P12ihipStream_tbPNSt15iterator_traitsISI_E10value_typeEPNSO_ISJ_E10value_typeEPSK_NS1_7vsmem_tEENKUlT_SI_SJ_SK_E_clIPiSD_S10_SD_EESH_SX_SI_SJ_SK_EUlSX_E_NS1_11comp_targetILNS1_3genE5ELNS1_11target_archE942ELNS1_3gpuE9ELNS1_3repE0EEENS1_48merge_mergepath_partition_config_static_selectorELNS0_4arch9wavefront6targetE0EEEvSJ_.num_vgpr, 0
	.set _ZN7rocprim17ROCPRIM_400000_NS6detail17trampoline_kernelINS0_14default_configENS1_38merge_sort_block_merge_config_selectorIiiEEZZNS1_27merge_sort_block_merge_implIS3_N6thrust23THRUST_200600_302600_NS6detail15normal_iteratorINS8_10device_ptrIiEEEESD_jNS1_19radix_merge_compareILb0ELb1EiNS0_19identity_decomposerEEEEE10hipError_tT0_T1_T2_jT3_P12ihipStream_tbPNSt15iterator_traitsISI_E10value_typeEPNSO_ISJ_E10value_typeEPSK_NS1_7vsmem_tEENKUlT_SI_SJ_SK_E_clIPiSD_S10_SD_EESH_SX_SI_SJ_SK_EUlSX_E_NS1_11comp_targetILNS1_3genE5ELNS1_11target_archE942ELNS1_3gpuE9ELNS1_3repE0EEENS1_48merge_mergepath_partition_config_static_selectorELNS0_4arch9wavefront6targetE0EEEvSJ_.num_agpr, 0
	.set _ZN7rocprim17ROCPRIM_400000_NS6detail17trampoline_kernelINS0_14default_configENS1_38merge_sort_block_merge_config_selectorIiiEEZZNS1_27merge_sort_block_merge_implIS3_N6thrust23THRUST_200600_302600_NS6detail15normal_iteratorINS8_10device_ptrIiEEEESD_jNS1_19radix_merge_compareILb0ELb1EiNS0_19identity_decomposerEEEEE10hipError_tT0_T1_T2_jT3_P12ihipStream_tbPNSt15iterator_traitsISI_E10value_typeEPNSO_ISJ_E10value_typeEPSK_NS1_7vsmem_tEENKUlT_SI_SJ_SK_E_clIPiSD_S10_SD_EESH_SX_SI_SJ_SK_EUlSX_E_NS1_11comp_targetILNS1_3genE5ELNS1_11target_archE942ELNS1_3gpuE9ELNS1_3repE0EEENS1_48merge_mergepath_partition_config_static_selectorELNS0_4arch9wavefront6targetE0EEEvSJ_.numbered_sgpr, 0
	.set _ZN7rocprim17ROCPRIM_400000_NS6detail17trampoline_kernelINS0_14default_configENS1_38merge_sort_block_merge_config_selectorIiiEEZZNS1_27merge_sort_block_merge_implIS3_N6thrust23THRUST_200600_302600_NS6detail15normal_iteratorINS8_10device_ptrIiEEEESD_jNS1_19radix_merge_compareILb0ELb1EiNS0_19identity_decomposerEEEEE10hipError_tT0_T1_T2_jT3_P12ihipStream_tbPNSt15iterator_traitsISI_E10value_typeEPNSO_ISJ_E10value_typeEPSK_NS1_7vsmem_tEENKUlT_SI_SJ_SK_E_clIPiSD_S10_SD_EESH_SX_SI_SJ_SK_EUlSX_E_NS1_11comp_targetILNS1_3genE5ELNS1_11target_archE942ELNS1_3gpuE9ELNS1_3repE0EEENS1_48merge_mergepath_partition_config_static_selectorELNS0_4arch9wavefront6targetE0EEEvSJ_.num_named_barrier, 0
	.set _ZN7rocprim17ROCPRIM_400000_NS6detail17trampoline_kernelINS0_14default_configENS1_38merge_sort_block_merge_config_selectorIiiEEZZNS1_27merge_sort_block_merge_implIS3_N6thrust23THRUST_200600_302600_NS6detail15normal_iteratorINS8_10device_ptrIiEEEESD_jNS1_19radix_merge_compareILb0ELb1EiNS0_19identity_decomposerEEEEE10hipError_tT0_T1_T2_jT3_P12ihipStream_tbPNSt15iterator_traitsISI_E10value_typeEPNSO_ISJ_E10value_typeEPSK_NS1_7vsmem_tEENKUlT_SI_SJ_SK_E_clIPiSD_S10_SD_EESH_SX_SI_SJ_SK_EUlSX_E_NS1_11comp_targetILNS1_3genE5ELNS1_11target_archE942ELNS1_3gpuE9ELNS1_3repE0EEENS1_48merge_mergepath_partition_config_static_selectorELNS0_4arch9wavefront6targetE0EEEvSJ_.private_seg_size, 0
	.set _ZN7rocprim17ROCPRIM_400000_NS6detail17trampoline_kernelINS0_14default_configENS1_38merge_sort_block_merge_config_selectorIiiEEZZNS1_27merge_sort_block_merge_implIS3_N6thrust23THRUST_200600_302600_NS6detail15normal_iteratorINS8_10device_ptrIiEEEESD_jNS1_19radix_merge_compareILb0ELb1EiNS0_19identity_decomposerEEEEE10hipError_tT0_T1_T2_jT3_P12ihipStream_tbPNSt15iterator_traitsISI_E10value_typeEPNSO_ISJ_E10value_typeEPSK_NS1_7vsmem_tEENKUlT_SI_SJ_SK_E_clIPiSD_S10_SD_EESH_SX_SI_SJ_SK_EUlSX_E_NS1_11comp_targetILNS1_3genE5ELNS1_11target_archE942ELNS1_3gpuE9ELNS1_3repE0EEENS1_48merge_mergepath_partition_config_static_selectorELNS0_4arch9wavefront6targetE0EEEvSJ_.uses_vcc, 0
	.set _ZN7rocprim17ROCPRIM_400000_NS6detail17trampoline_kernelINS0_14default_configENS1_38merge_sort_block_merge_config_selectorIiiEEZZNS1_27merge_sort_block_merge_implIS3_N6thrust23THRUST_200600_302600_NS6detail15normal_iteratorINS8_10device_ptrIiEEEESD_jNS1_19radix_merge_compareILb0ELb1EiNS0_19identity_decomposerEEEEE10hipError_tT0_T1_T2_jT3_P12ihipStream_tbPNSt15iterator_traitsISI_E10value_typeEPNSO_ISJ_E10value_typeEPSK_NS1_7vsmem_tEENKUlT_SI_SJ_SK_E_clIPiSD_S10_SD_EESH_SX_SI_SJ_SK_EUlSX_E_NS1_11comp_targetILNS1_3genE5ELNS1_11target_archE942ELNS1_3gpuE9ELNS1_3repE0EEENS1_48merge_mergepath_partition_config_static_selectorELNS0_4arch9wavefront6targetE0EEEvSJ_.uses_flat_scratch, 0
	.set _ZN7rocprim17ROCPRIM_400000_NS6detail17trampoline_kernelINS0_14default_configENS1_38merge_sort_block_merge_config_selectorIiiEEZZNS1_27merge_sort_block_merge_implIS3_N6thrust23THRUST_200600_302600_NS6detail15normal_iteratorINS8_10device_ptrIiEEEESD_jNS1_19radix_merge_compareILb0ELb1EiNS0_19identity_decomposerEEEEE10hipError_tT0_T1_T2_jT3_P12ihipStream_tbPNSt15iterator_traitsISI_E10value_typeEPNSO_ISJ_E10value_typeEPSK_NS1_7vsmem_tEENKUlT_SI_SJ_SK_E_clIPiSD_S10_SD_EESH_SX_SI_SJ_SK_EUlSX_E_NS1_11comp_targetILNS1_3genE5ELNS1_11target_archE942ELNS1_3gpuE9ELNS1_3repE0EEENS1_48merge_mergepath_partition_config_static_selectorELNS0_4arch9wavefront6targetE0EEEvSJ_.has_dyn_sized_stack, 0
	.set _ZN7rocprim17ROCPRIM_400000_NS6detail17trampoline_kernelINS0_14default_configENS1_38merge_sort_block_merge_config_selectorIiiEEZZNS1_27merge_sort_block_merge_implIS3_N6thrust23THRUST_200600_302600_NS6detail15normal_iteratorINS8_10device_ptrIiEEEESD_jNS1_19radix_merge_compareILb0ELb1EiNS0_19identity_decomposerEEEEE10hipError_tT0_T1_T2_jT3_P12ihipStream_tbPNSt15iterator_traitsISI_E10value_typeEPNSO_ISJ_E10value_typeEPSK_NS1_7vsmem_tEENKUlT_SI_SJ_SK_E_clIPiSD_S10_SD_EESH_SX_SI_SJ_SK_EUlSX_E_NS1_11comp_targetILNS1_3genE5ELNS1_11target_archE942ELNS1_3gpuE9ELNS1_3repE0EEENS1_48merge_mergepath_partition_config_static_selectorELNS0_4arch9wavefront6targetE0EEEvSJ_.has_recursion, 0
	.set _ZN7rocprim17ROCPRIM_400000_NS6detail17trampoline_kernelINS0_14default_configENS1_38merge_sort_block_merge_config_selectorIiiEEZZNS1_27merge_sort_block_merge_implIS3_N6thrust23THRUST_200600_302600_NS6detail15normal_iteratorINS8_10device_ptrIiEEEESD_jNS1_19radix_merge_compareILb0ELb1EiNS0_19identity_decomposerEEEEE10hipError_tT0_T1_T2_jT3_P12ihipStream_tbPNSt15iterator_traitsISI_E10value_typeEPNSO_ISJ_E10value_typeEPSK_NS1_7vsmem_tEENKUlT_SI_SJ_SK_E_clIPiSD_S10_SD_EESH_SX_SI_SJ_SK_EUlSX_E_NS1_11comp_targetILNS1_3genE5ELNS1_11target_archE942ELNS1_3gpuE9ELNS1_3repE0EEENS1_48merge_mergepath_partition_config_static_selectorELNS0_4arch9wavefront6targetE0EEEvSJ_.has_indirect_call, 0
	.section	.AMDGPU.csdata,"",@progbits
; Kernel info:
; codeLenInByte = 0
; TotalNumSgprs: 0
; NumVgprs: 0
; ScratchSize: 0
; MemoryBound: 0
; FloatMode: 240
; IeeeMode: 1
; LDSByteSize: 0 bytes/workgroup (compile time only)
; SGPRBlocks: 0
; VGPRBlocks: 0
; NumSGPRsForWavesPerEU: 1
; NumVGPRsForWavesPerEU: 1
; Occupancy: 16
; WaveLimiterHint : 0
; COMPUTE_PGM_RSRC2:SCRATCH_EN: 0
; COMPUTE_PGM_RSRC2:USER_SGPR: 6
; COMPUTE_PGM_RSRC2:TRAP_HANDLER: 0
; COMPUTE_PGM_RSRC2:TGID_X_EN: 1
; COMPUTE_PGM_RSRC2:TGID_Y_EN: 0
; COMPUTE_PGM_RSRC2:TGID_Z_EN: 0
; COMPUTE_PGM_RSRC2:TIDIG_COMP_CNT: 0
	.section	.text._ZN7rocprim17ROCPRIM_400000_NS6detail17trampoline_kernelINS0_14default_configENS1_38merge_sort_block_merge_config_selectorIiiEEZZNS1_27merge_sort_block_merge_implIS3_N6thrust23THRUST_200600_302600_NS6detail15normal_iteratorINS8_10device_ptrIiEEEESD_jNS1_19radix_merge_compareILb0ELb1EiNS0_19identity_decomposerEEEEE10hipError_tT0_T1_T2_jT3_P12ihipStream_tbPNSt15iterator_traitsISI_E10value_typeEPNSO_ISJ_E10value_typeEPSK_NS1_7vsmem_tEENKUlT_SI_SJ_SK_E_clIPiSD_S10_SD_EESH_SX_SI_SJ_SK_EUlSX_E_NS1_11comp_targetILNS1_3genE4ELNS1_11target_archE910ELNS1_3gpuE8ELNS1_3repE0EEENS1_48merge_mergepath_partition_config_static_selectorELNS0_4arch9wavefront6targetE0EEEvSJ_,"axG",@progbits,_ZN7rocprim17ROCPRIM_400000_NS6detail17trampoline_kernelINS0_14default_configENS1_38merge_sort_block_merge_config_selectorIiiEEZZNS1_27merge_sort_block_merge_implIS3_N6thrust23THRUST_200600_302600_NS6detail15normal_iteratorINS8_10device_ptrIiEEEESD_jNS1_19radix_merge_compareILb0ELb1EiNS0_19identity_decomposerEEEEE10hipError_tT0_T1_T2_jT3_P12ihipStream_tbPNSt15iterator_traitsISI_E10value_typeEPNSO_ISJ_E10value_typeEPSK_NS1_7vsmem_tEENKUlT_SI_SJ_SK_E_clIPiSD_S10_SD_EESH_SX_SI_SJ_SK_EUlSX_E_NS1_11comp_targetILNS1_3genE4ELNS1_11target_archE910ELNS1_3gpuE8ELNS1_3repE0EEENS1_48merge_mergepath_partition_config_static_selectorELNS0_4arch9wavefront6targetE0EEEvSJ_,comdat
	.protected	_ZN7rocprim17ROCPRIM_400000_NS6detail17trampoline_kernelINS0_14default_configENS1_38merge_sort_block_merge_config_selectorIiiEEZZNS1_27merge_sort_block_merge_implIS3_N6thrust23THRUST_200600_302600_NS6detail15normal_iteratorINS8_10device_ptrIiEEEESD_jNS1_19radix_merge_compareILb0ELb1EiNS0_19identity_decomposerEEEEE10hipError_tT0_T1_T2_jT3_P12ihipStream_tbPNSt15iterator_traitsISI_E10value_typeEPNSO_ISJ_E10value_typeEPSK_NS1_7vsmem_tEENKUlT_SI_SJ_SK_E_clIPiSD_S10_SD_EESH_SX_SI_SJ_SK_EUlSX_E_NS1_11comp_targetILNS1_3genE4ELNS1_11target_archE910ELNS1_3gpuE8ELNS1_3repE0EEENS1_48merge_mergepath_partition_config_static_selectorELNS0_4arch9wavefront6targetE0EEEvSJ_ ; -- Begin function _ZN7rocprim17ROCPRIM_400000_NS6detail17trampoline_kernelINS0_14default_configENS1_38merge_sort_block_merge_config_selectorIiiEEZZNS1_27merge_sort_block_merge_implIS3_N6thrust23THRUST_200600_302600_NS6detail15normal_iteratorINS8_10device_ptrIiEEEESD_jNS1_19radix_merge_compareILb0ELb1EiNS0_19identity_decomposerEEEEE10hipError_tT0_T1_T2_jT3_P12ihipStream_tbPNSt15iterator_traitsISI_E10value_typeEPNSO_ISJ_E10value_typeEPSK_NS1_7vsmem_tEENKUlT_SI_SJ_SK_E_clIPiSD_S10_SD_EESH_SX_SI_SJ_SK_EUlSX_E_NS1_11comp_targetILNS1_3genE4ELNS1_11target_archE910ELNS1_3gpuE8ELNS1_3repE0EEENS1_48merge_mergepath_partition_config_static_selectorELNS0_4arch9wavefront6targetE0EEEvSJ_
	.globl	_ZN7rocprim17ROCPRIM_400000_NS6detail17trampoline_kernelINS0_14default_configENS1_38merge_sort_block_merge_config_selectorIiiEEZZNS1_27merge_sort_block_merge_implIS3_N6thrust23THRUST_200600_302600_NS6detail15normal_iteratorINS8_10device_ptrIiEEEESD_jNS1_19radix_merge_compareILb0ELb1EiNS0_19identity_decomposerEEEEE10hipError_tT0_T1_T2_jT3_P12ihipStream_tbPNSt15iterator_traitsISI_E10value_typeEPNSO_ISJ_E10value_typeEPSK_NS1_7vsmem_tEENKUlT_SI_SJ_SK_E_clIPiSD_S10_SD_EESH_SX_SI_SJ_SK_EUlSX_E_NS1_11comp_targetILNS1_3genE4ELNS1_11target_archE910ELNS1_3gpuE8ELNS1_3repE0EEENS1_48merge_mergepath_partition_config_static_selectorELNS0_4arch9wavefront6targetE0EEEvSJ_
	.p2align	8
	.type	_ZN7rocprim17ROCPRIM_400000_NS6detail17trampoline_kernelINS0_14default_configENS1_38merge_sort_block_merge_config_selectorIiiEEZZNS1_27merge_sort_block_merge_implIS3_N6thrust23THRUST_200600_302600_NS6detail15normal_iteratorINS8_10device_ptrIiEEEESD_jNS1_19radix_merge_compareILb0ELb1EiNS0_19identity_decomposerEEEEE10hipError_tT0_T1_T2_jT3_P12ihipStream_tbPNSt15iterator_traitsISI_E10value_typeEPNSO_ISJ_E10value_typeEPSK_NS1_7vsmem_tEENKUlT_SI_SJ_SK_E_clIPiSD_S10_SD_EESH_SX_SI_SJ_SK_EUlSX_E_NS1_11comp_targetILNS1_3genE4ELNS1_11target_archE910ELNS1_3gpuE8ELNS1_3repE0EEENS1_48merge_mergepath_partition_config_static_selectorELNS0_4arch9wavefront6targetE0EEEvSJ_,@function
_ZN7rocprim17ROCPRIM_400000_NS6detail17trampoline_kernelINS0_14default_configENS1_38merge_sort_block_merge_config_selectorIiiEEZZNS1_27merge_sort_block_merge_implIS3_N6thrust23THRUST_200600_302600_NS6detail15normal_iteratorINS8_10device_ptrIiEEEESD_jNS1_19radix_merge_compareILb0ELb1EiNS0_19identity_decomposerEEEEE10hipError_tT0_T1_T2_jT3_P12ihipStream_tbPNSt15iterator_traitsISI_E10value_typeEPNSO_ISJ_E10value_typeEPSK_NS1_7vsmem_tEENKUlT_SI_SJ_SK_E_clIPiSD_S10_SD_EESH_SX_SI_SJ_SK_EUlSX_E_NS1_11comp_targetILNS1_3genE4ELNS1_11target_archE910ELNS1_3gpuE8ELNS1_3repE0EEENS1_48merge_mergepath_partition_config_static_selectorELNS0_4arch9wavefront6targetE0EEEvSJ_: ; @_ZN7rocprim17ROCPRIM_400000_NS6detail17trampoline_kernelINS0_14default_configENS1_38merge_sort_block_merge_config_selectorIiiEEZZNS1_27merge_sort_block_merge_implIS3_N6thrust23THRUST_200600_302600_NS6detail15normal_iteratorINS8_10device_ptrIiEEEESD_jNS1_19radix_merge_compareILb0ELb1EiNS0_19identity_decomposerEEEEE10hipError_tT0_T1_T2_jT3_P12ihipStream_tbPNSt15iterator_traitsISI_E10value_typeEPNSO_ISJ_E10value_typeEPSK_NS1_7vsmem_tEENKUlT_SI_SJ_SK_E_clIPiSD_S10_SD_EESH_SX_SI_SJ_SK_EUlSX_E_NS1_11comp_targetILNS1_3genE4ELNS1_11target_archE910ELNS1_3gpuE8ELNS1_3repE0EEENS1_48merge_mergepath_partition_config_static_selectorELNS0_4arch9wavefront6targetE0EEEvSJ_
; %bb.0:
	.section	.rodata,"a",@progbits
	.p2align	6, 0x0
	.amdhsa_kernel _ZN7rocprim17ROCPRIM_400000_NS6detail17trampoline_kernelINS0_14default_configENS1_38merge_sort_block_merge_config_selectorIiiEEZZNS1_27merge_sort_block_merge_implIS3_N6thrust23THRUST_200600_302600_NS6detail15normal_iteratorINS8_10device_ptrIiEEEESD_jNS1_19radix_merge_compareILb0ELb1EiNS0_19identity_decomposerEEEEE10hipError_tT0_T1_T2_jT3_P12ihipStream_tbPNSt15iterator_traitsISI_E10value_typeEPNSO_ISJ_E10value_typeEPSK_NS1_7vsmem_tEENKUlT_SI_SJ_SK_E_clIPiSD_S10_SD_EESH_SX_SI_SJ_SK_EUlSX_E_NS1_11comp_targetILNS1_3genE4ELNS1_11target_archE910ELNS1_3gpuE8ELNS1_3repE0EEENS1_48merge_mergepath_partition_config_static_selectorELNS0_4arch9wavefront6targetE0EEEvSJ_
		.amdhsa_group_segment_fixed_size 0
		.amdhsa_private_segment_fixed_size 0
		.amdhsa_kernarg_size 40
		.amdhsa_user_sgpr_count 6
		.amdhsa_user_sgpr_private_segment_buffer 1
		.amdhsa_user_sgpr_dispatch_ptr 0
		.amdhsa_user_sgpr_queue_ptr 0
		.amdhsa_user_sgpr_kernarg_segment_ptr 1
		.amdhsa_user_sgpr_dispatch_id 0
		.amdhsa_user_sgpr_flat_scratch_init 0
		.amdhsa_user_sgpr_private_segment_size 0
		.amdhsa_wavefront_size32 1
		.amdhsa_uses_dynamic_stack 0
		.amdhsa_system_sgpr_private_segment_wavefront_offset 0
		.amdhsa_system_sgpr_workgroup_id_x 1
		.amdhsa_system_sgpr_workgroup_id_y 0
		.amdhsa_system_sgpr_workgroup_id_z 0
		.amdhsa_system_sgpr_workgroup_info 0
		.amdhsa_system_vgpr_workitem_id 0
		.amdhsa_next_free_vgpr 1
		.amdhsa_next_free_sgpr 1
		.amdhsa_reserve_vcc 0
		.amdhsa_reserve_flat_scratch 0
		.amdhsa_float_round_mode_32 0
		.amdhsa_float_round_mode_16_64 0
		.amdhsa_float_denorm_mode_32 3
		.amdhsa_float_denorm_mode_16_64 3
		.amdhsa_dx10_clamp 1
		.amdhsa_ieee_mode 1
		.amdhsa_fp16_overflow 0
		.amdhsa_workgroup_processor_mode 1
		.amdhsa_memory_ordered 1
		.amdhsa_forward_progress 1
		.amdhsa_shared_vgpr_count 0
		.amdhsa_exception_fp_ieee_invalid_op 0
		.amdhsa_exception_fp_denorm_src 0
		.amdhsa_exception_fp_ieee_div_zero 0
		.amdhsa_exception_fp_ieee_overflow 0
		.amdhsa_exception_fp_ieee_underflow 0
		.amdhsa_exception_fp_ieee_inexact 0
		.amdhsa_exception_int_div_zero 0
	.end_amdhsa_kernel
	.section	.text._ZN7rocprim17ROCPRIM_400000_NS6detail17trampoline_kernelINS0_14default_configENS1_38merge_sort_block_merge_config_selectorIiiEEZZNS1_27merge_sort_block_merge_implIS3_N6thrust23THRUST_200600_302600_NS6detail15normal_iteratorINS8_10device_ptrIiEEEESD_jNS1_19radix_merge_compareILb0ELb1EiNS0_19identity_decomposerEEEEE10hipError_tT0_T1_T2_jT3_P12ihipStream_tbPNSt15iterator_traitsISI_E10value_typeEPNSO_ISJ_E10value_typeEPSK_NS1_7vsmem_tEENKUlT_SI_SJ_SK_E_clIPiSD_S10_SD_EESH_SX_SI_SJ_SK_EUlSX_E_NS1_11comp_targetILNS1_3genE4ELNS1_11target_archE910ELNS1_3gpuE8ELNS1_3repE0EEENS1_48merge_mergepath_partition_config_static_selectorELNS0_4arch9wavefront6targetE0EEEvSJ_,"axG",@progbits,_ZN7rocprim17ROCPRIM_400000_NS6detail17trampoline_kernelINS0_14default_configENS1_38merge_sort_block_merge_config_selectorIiiEEZZNS1_27merge_sort_block_merge_implIS3_N6thrust23THRUST_200600_302600_NS6detail15normal_iteratorINS8_10device_ptrIiEEEESD_jNS1_19radix_merge_compareILb0ELb1EiNS0_19identity_decomposerEEEEE10hipError_tT0_T1_T2_jT3_P12ihipStream_tbPNSt15iterator_traitsISI_E10value_typeEPNSO_ISJ_E10value_typeEPSK_NS1_7vsmem_tEENKUlT_SI_SJ_SK_E_clIPiSD_S10_SD_EESH_SX_SI_SJ_SK_EUlSX_E_NS1_11comp_targetILNS1_3genE4ELNS1_11target_archE910ELNS1_3gpuE8ELNS1_3repE0EEENS1_48merge_mergepath_partition_config_static_selectorELNS0_4arch9wavefront6targetE0EEEvSJ_,comdat
.Lfunc_end759:
	.size	_ZN7rocprim17ROCPRIM_400000_NS6detail17trampoline_kernelINS0_14default_configENS1_38merge_sort_block_merge_config_selectorIiiEEZZNS1_27merge_sort_block_merge_implIS3_N6thrust23THRUST_200600_302600_NS6detail15normal_iteratorINS8_10device_ptrIiEEEESD_jNS1_19radix_merge_compareILb0ELb1EiNS0_19identity_decomposerEEEEE10hipError_tT0_T1_T2_jT3_P12ihipStream_tbPNSt15iterator_traitsISI_E10value_typeEPNSO_ISJ_E10value_typeEPSK_NS1_7vsmem_tEENKUlT_SI_SJ_SK_E_clIPiSD_S10_SD_EESH_SX_SI_SJ_SK_EUlSX_E_NS1_11comp_targetILNS1_3genE4ELNS1_11target_archE910ELNS1_3gpuE8ELNS1_3repE0EEENS1_48merge_mergepath_partition_config_static_selectorELNS0_4arch9wavefront6targetE0EEEvSJ_, .Lfunc_end759-_ZN7rocprim17ROCPRIM_400000_NS6detail17trampoline_kernelINS0_14default_configENS1_38merge_sort_block_merge_config_selectorIiiEEZZNS1_27merge_sort_block_merge_implIS3_N6thrust23THRUST_200600_302600_NS6detail15normal_iteratorINS8_10device_ptrIiEEEESD_jNS1_19radix_merge_compareILb0ELb1EiNS0_19identity_decomposerEEEEE10hipError_tT0_T1_T2_jT3_P12ihipStream_tbPNSt15iterator_traitsISI_E10value_typeEPNSO_ISJ_E10value_typeEPSK_NS1_7vsmem_tEENKUlT_SI_SJ_SK_E_clIPiSD_S10_SD_EESH_SX_SI_SJ_SK_EUlSX_E_NS1_11comp_targetILNS1_3genE4ELNS1_11target_archE910ELNS1_3gpuE8ELNS1_3repE0EEENS1_48merge_mergepath_partition_config_static_selectorELNS0_4arch9wavefront6targetE0EEEvSJ_
                                        ; -- End function
	.set _ZN7rocprim17ROCPRIM_400000_NS6detail17trampoline_kernelINS0_14default_configENS1_38merge_sort_block_merge_config_selectorIiiEEZZNS1_27merge_sort_block_merge_implIS3_N6thrust23THRUST_200600_302600_NS6detail15normal_iteratorINS8_10device_ptrIiEEEESD_jNS1_19radix_merge_compareILb0ELb1EiNS0_19identity_decomposerEEEEE10hipError_tT0_T1_T2_jT3_P12ihipStream_tbPNSt15iterator_traitsISI_E10value_typeEPNSO_ISJ_E10value_typeEPSK_NS1_7vsmem_tEENKUlT_SI_SJ_SK_E_clIPiSD_S10_SD_EESH_SX_SI_SJ_SK_EUlSX_E_NS1_11comp_targetILNS1_3genE4ELNS1_11target_archE910ELNS1_3gpuE8ELNS1_3repE0EEENS1_48merge_mergepath_partition_config_static_selectorELNS0_4arch9wavefront6targetE0EEEvSJ_.num_vgpr, 0
	.set _ZN7rocprim17ROCPRIM_400000_NS6detail17trampoline_kernelINS0_14default_configENS1_38merge_sort_block_merge_config_selectorIiiEEZZNS1_27merge_sort_block_merge_implIS3_N6thrust23THRUST_200600_302600_NS6detail15normal_iteratorINS8_10device_ptrIiEEEESD_jNS1_19radix_merge_compareILb0ELb1EiNS0_19identity_decomposerEEEEE10hipError_tT0_T1_T2_jT3_P12ihipStream_tbPNSt15iterator_traitsISI_E10value_typeEPNSO_ISJ_E10value_typeEPSK_NS1_7vsmem_tEENKUlT_SI_SJ_SK_E_clIPiSD_S10_SD_EESH_SX_SI_SJ_SK_EUlSX_E_NS1_11comp_targetILNS1_3genE4ELNS1_11target_archE910ELNS1_3gpuE8ELNS1_3repE0EEENS1_48merge_mergepath_partition_config_static_selectorELNS0_4arch9wavefront6targetE0EEEvSJ_.num_agpr, 0
	.set _ZN7rocprim17ROCPRIM_400000_NS6detail17trampoline_kernelINS0_14default_configENS1_38merge_sort_block_merge_config_selectorIiiEEZZNS1_27merge_sort_block_merge_implIS3_N6thrust23THRUST_200600_302600_NS6detail15normal_iteratorINS8_10device_ptrIiEEEESD_jNS1_19radix_merge_compareILb0ELb1EiNS0_19identity_decomposerEEEEE10hipError_tT0_T1_T2_jT3_P12ihipStream_tbPNSt15iterator_traitsISI_E10value_typeEPNSO_ISJ_E10value_typeEPSK_NS1_7vsmem_tEENKUlT_SI_SJ_SK_E_clIPiSD_S10_SD_EESH_SX_SI_SJ_SK_EUlSX_E_NS1_11comp_targetILNS1_3genE4ELNS1_11target_archE910ELNS1_3gpuE8ELNS1_3repE0EEENS1_48merge_mergepath_partition_config_static_selectorELNS0_4arch9wavefront6targetE0EEEvSJ_.numbered_sgpr, 0
	.set _ZN7rocprim17ROCPRIM_400000_NS6detail17trampoline_kernelINS0_14default_configENS1_38merge_sort_block_merge_config_selectorIiiEEZZNS1_27merge_sort_block_merge_implIS3_N6thrust23THRUST_200600_302600_NS6detail15normal_iteratorINS8_10device_ptrIiEEEESD_jNS1_19radix_merge_compareILb0ELb1EiNS0_19identity_decomposerEEEEE10hipError_tT0_T1_T2_jT3_P12ihipStream_tbPNSt15iterator_traitsISI_E10value_typeEPNSO_ISJ_E10value_typeEPSK_NS1_7vsmem_tEENKUlT_SI_SJ_SK_E_clIPiSD_S10_SD_EESH_SX_SI_SJ_SK_EUlSX_E_NS1_11comp_targetILNS1_3genE4ELNS1_11target_archE910ELNS1_3gpuE8ELNS1_3repE0EEENS1_48merge_mergepath_partition_config_static_selectorELNS0_4arch9wavefront6targetE0EEEvSJ_.num_named_barrier, 0
	.set _ZN7rocprim17ROCPRIM_400000_NS6detail17trampoline_kernelINS0_14default_configENS1_38merge_sort_block_merge_config_selectorIiiEEZZNS1_27merge_sort_block_merge_implIS3_N6thrust23THRUST_200600_302600_NS6detail15normal_iteratorINS8_10device_ptrIiEEEESD_jNS1_19radix_merge_compareILb0ELb1EiNS0_19identity_decomposerEEEEE10hipError_tT0_T1_T2_jT3_P12ihipStream_tbPNSt15iterator_traitsISI_E10value_typeEPNSO_ISJ_E10value_typeEPSK_NS1_7vsmem_tEENKUlT_SI_SJ_SK_E_clIPiSD_S10_SD_EESH_SX_SI_SJ_SK_EUlSX_E_NS1_11comp_targetILNS1_3genE4ELNS1_11target_archE910ELNS1_3gpuE8ELNS1_3repE0EEENS1_48merge_mergepath_partition_config_static_selectorELNS0_4arch9wavefront6targetE0EEEvSJ_.private_seg_size, 0
	.set _ZN7rocprim17ROCPRIM_400000_NS6detail17trampoline_kernelINS0_14default_configENS1_38merge_sort_block_merge_config_selectorIiiEEZZNS1_27merge_sort_block_merge_implIS3_N6thrust23THRUST_200600_302600_NS6detail15normal_iteratorINS8_10device_ptrIiEEEESD_jNS1_19radix_merge_compareILb0ELb1EiNS0_19identity_decomposerEEEEE10hipError_tT0_T1_T2_jT3_P12ihipStream_tbPNSt15iterator_traitsISI_E10value_typeEPNSO_ISJ_E10value_typeEPSK_NS1_7vsmem_tEENKUlT_SI_SJ_SK_E_clIPiSD_S10_SD_EESH_SX_SI_SJ_SK_EUlSX_E_NS1_11comp_targetILNS1_3genE4ELNS1_11target_archE910ELNS1_3gpuE8ELNS1_3repE0EEENS1_48merge_mergepath_partition_config_static_selectorELNS0_4arch9wavefront6targetE0EEEvSJ_.uses_vcc, 0
	.set _ZN7rocprim17ROCPRIM_400000_NS6detail17trampoline_kernelINS0_14default_configENS1_38merge_sort_block_merge_config_selectorIiiEEZZNS1_27merge_sort_block_merge_implIS3_N6thrust23THRUST_200600_302600_NS6detail15normal_iteratorINS8_10device_ptrIiEEEESD_jNS1_19radix_merge_compareILb0ELb1EiNS0_19identity_decomposerEEEEE10hipError_tT0_T1_T2_jT3_P12ihipStream_tbPNSt15iterator_traitsISI_E10value_typeEPNSO_ISJ_E10value_typeEPSK_NS1_7vsmem_tEENKUlT_SI_SJ_SK_E_clIPiSD_S10_SD_EESH_SX_SI_SJ_SK_EUlSX_E_NS1_11comp_targetILNS1_3genE4ELNS1_11target_archE910ELNS1_3gpuE8ELNS1_3repE0EEENS1_48merge_mergepath_partition_config_static_selectorELNS0_4arch9wavefront6targetE0EEEvSJ_.uses_flat_scratch, 0
	.set _ZN7rocprim17ROCPRIM_400000_NS6detail17trampoline_kernelINS0_14default_configENS1_38merge_sort_block_merge_config_selectorIiiEEZZNS1_27merge_sort_block_merge_implIS3_N6thrust23THRUST_200600_302600_NS6detail15normal_iteratorINS8_10device_ptrIiEEEESD_jNS1_19radix_merge_compareILb0ELb1EiNS0_19identity_decomposerEEEEE10hipError_tT0_T1_T2_jT3_P12ihipStream_tbPNSt15iterator_traitsISI_E10value_typeEPNSO_ISJ_E10value_typeEPSK_NS1_7vsmem_tEENKUlT_SI_SJ_SK_E_clIPiSD_S10_SD_EESH_SX_SI_SJ_SK_EUlSX_E_NS1_11comp_targetILNS1_3genE4ELNS1_11target_archE910ELNS1_3gpuE8ELNS1_3repE0EEENS1_48merge_mergepath_partition_config_static_selectorELNS0_4arch9wavefront6targetE0EEEvSJ_.has_dyn_sized_stack, 0
	.set _ZN7rocprim17ROCPRIM_400000_NS6detail17trampoline_kernelINS0_14default_configENS1_38merge_sort_block_merge_config_selectorIiiEEZZNS1_27merge_sort_block_merge_implIS3_N6thrust23THRUST_200600_302600_NS6detail15normal_iteratorINS8_10device_ptrIiEEEESD_jNS1_19radix_merge_compareILb0ELb1EiNS0_19identity_decomposerEEEEE10hipError_tT0_T1_T2_jT3_P12ihipStream_tbPNSt15iterator_traitsISI_E10value_typeEPNSO_ISJ_E10value_typeEPSK_NS1_7vsmem_tEENKUlT_SI_SJ_SK_E_clIPiSD_S10_SD_EESH_SX_SI_SJ_SK_EUlSX_E_NS1_11comp_targetILNS1_3genE4ELNS1_11target_archE910ELNS1_3gpuE8ELNS1_3repE0EEENS1_48merge_mergepath_partition_config_static_selectorELNS0_4arch9wavefront6targetE0EEEvSJ_.has_recursion, 0
	.set _ZN7rocprim17ROCPRIM_400000_NS6detail17trampoline_kernelINS0_14default_configENS1_38merge_sort_block_merge_config_selectorIiiEEZZNS1_27merge_sort_block_merge_implIS3_N6thrust23THRUST_200600_302600_NS6detail15normal_iteratorINS8_10device_ptrIiEEEESD_jNS1_19radix_merge_compareILb0ELb1EiNS0_19identity_decomposerEEEEE10hipError_tT0_T1_T2_jT3_P12ihipStream_tbPNSt15iterator_traitsISI_E10value_typeEPNSO_ISJ_E10value_typeEPSK_NS1_7vsmem_tEENKUlT_SI_SJ_SK_E_clIPiSD_S10_SD_EESH_SX_SI_SJ_SK_EUlSX_E_NS1_11comp_targetILNS1_3genE4ELNS1_11target_archE910ELNS1_3gpuE8ELNS1_3repE0EEENS1_48merge_mergepath_partition_config_static_selectorELNS0_4arch9wavefront6targetE0EEEvSJ_.has_indirect_call, 0
	.section	.AMDGPU.csdata,"",@progbits
; Kernel info:
; codeLenInByte = 0
; TotalNumSgprs: 0
; NumVgprs: 0
; ScratchSize: 0
; MemoryBound: 0
; FloatMode: 240
; IeeeMode: 1
; LDSByteSize: 0 bytes/workgroup (compile time only)
; SGPRBlocks: 0
; VGPRBlocks: 0
; NumSGPRsForWavesPerEU: 1
; NumVGPRsForWavesPerEU: 1
; Occupancy: 16
; WaveLimiterHint : 0
; COMPUTE_PGM_RSRC2:SCRATCH_EN: 0
; COMPUTE_PGM_RSRC2:USER_SGPR: 6
; COMPUTE_PGM_RSRC2:TRAP_HANDLER: 0
; COMPUTE_PGM_RSRC2:TGID_X_EN: 1
; COMPUTE_PGM_RSRC2:TGID_Y_EN: 0
; COMPUTE_PGM_RSRC2:TGID_Z_EN: 0
; COMPUTE_PGM_RSRC2:TIDIG_COMP_CNT: 0
	.section	.text._ZN7rocprim17ROCPRIM_400000_NS6detail17trampoline_kernelINS0_14default_configENS1_38merge_sort_block_merge_config_selectorIiiEEZZNS1_27merge_sort_block_merge_implIS3_N6thrust23THRUST_200600_302600_NS6detail15normal_iteratorINS8_10device_ptrIiEEEESD_jNS1_19radix_merge_compareILb0ELb1EiNS0_19identity_decomposerEEEEE10hipError_tT0_T1_T2_jT3_P12ihipStream_tbPNSt15iterator_traitsISI_E10value_typeEPNSO_ISJ_E10value_typeEPSK_NS1_7vsmem_tEENKUlT_SI_SJ_SK_E_clIPiSD_S10_SD_EESH_SX_SI_SJ_SK_EUlSX_E_NS1_11comp_targetILNS1_3genE3ELNS1_11target_archE908ELNS1_3gpuE7ELNS1_3repE0EEENS1_48merge_mergepath_partition_config_static_selectorELNS0_4arch9wavefront6targetE0EEEvSJ_,"axG",@progbits,_ZN7rocprim17ROCPRIM_400000_NS6detail17trampoline_kernelINS0_14default_configENS1_38merge_sort_block_merge_config_selectorIiiEEZZNS1_27merge_sort_block_merge_implIS3_N6thrust23THRUST_200600_302600_NS6detail15normal_iteratorINS8_10device_ptrIiEEEESD_jNS1_19radix_merge_compareILb0ELb1EiNS0_19identity_decomposerEEEEE10hipError_tT0_T1_T2_jT3_P12ihipStream_tbPNSt15iterator_traitsISI_E10value_typeEPNSO_ISJ_E10value_typeEPSK_NS1_7vsmem_tEENKUlT_SI_SJ_SK_E_clIPiSD_S10_SD_EESH_SX_SI_SJ_SK_EUlSX_E_NS1_11comp_targetILNS1_3genE3ELNS1_11target_archE908ELNS1_3gpuE7ELNS1_3repE0EEENS1_48merge_mergepath_partition_config_static_selectorELNS0_4arch9wavefront6targetE0EEEvSJ_,comdat
	.protected	_ZN7rocprim17ROCPRIM_400000_NS6detail17trampoline_kernelINS0_14default_configENS1_38merge_sort_block_merge_config_selectorIiiEEZZNS1_27merge_sort_block_merge_implIS3_N6thrust23THRUST_200600_302600_NS6detail15normal_iteratorINS8_10device_ptrIiEEEESD_jNS1_19radix_merge_compareILb0ELb1EiNS0_19identity_decomposerEEEEE10hipError_tT0_T1_T2_jT3_P12ihipStream_tbPNSt15iterator_traitsISI_E10value_typeEPNSO_ISJ_E10value_typeEPSK_NS1_7vsmem_tEENKUlT_SI_SJ_SK_E_clIPiSD_S10_SD_EESH_SX_SI_SJ_SK_EUlSX_E_NS1_11comp_targetILNS1_3genE3ELNS1_11target_archE908ELNS1_3gpuE7ELNS1_3repE0EEENS1_48merge_mergepath_partition_config_static_selectorELNS0_4arch9wavefront6targetE0EEEvSJ_ ; -- Begin function _ZN7rocprim17ROCPRIM_400000_NS6detail17trampoline_kernelINS0_14default_configENS1_38merge_sort_block_merge_config_selectorIiiEEZZNS1_27merge_sort_block_merge_implIS3_N6thrust23THRUST_200600_302600_NS6detail15normal_iteratorINS8_10device_ptrIiEEEESD_jNS1_19radix_merge_compareILb0ELb1EiNS0_19identity_decomposerEEEEE10hipError_tT0_T1_T2_jT3_P12ihipStream_tbPNSt15iterator_traitsISI_E10value_typeEPNSO_ISJ_E10value_typeEPSK_NS1_7vsmem_tEENKUlT_SI_SJ_SK_E_clIPiSD_S10_SD_EESH_SX_SI_SJ_SK_EUlSX_E_NS1_11comp_targetILNS1_3genE3ELNS1_11target_archE908ELNS1_3gpuE7ELNS1_3repE0EEENS1_48merge_mergepath_partition_config_static_selectorELNS0_4arch9wavefront6targetE0EEEvSJ_
	.globl	_ZN7rocprim17ROCPRIM_400000_NS6detail17trampoline_kernelINS0_14default_configENS1_38merge_sort_block_merge_config_selectorIiiEEZZNS1_27merge_sort_block_merge_implIS3_N6thrust23THRUST_200600_302600_NS6detail15normal_iteratorINS8_10device_ptrIiEEEESD_jNS1_19radix_merge_compareILb0ELb1EiNS0_19identity_decomposerEEEEE10hipError_tT0_T1_T2_jT3_P12ihipStream_tbPNSt15iterator_traitsISI_E10value_typeEPNSO_ISJ_E10value_typeEPSK_NS1_7vsmem_tEENKUlT_SI_SJ_SK_E_clIPiSD_S10_SD_EESH_SX_SI_SJ_SK_EUlSX_E_NS1_11comp_targetILNS1_3genE3ELNS1_11target_archE908ELNS1_3gpuE7ELNS1_3repE0EEENS1_48merge_mergepath_partition_config_static_selectorELNS0_4arch9wavefront6targetE0EEEvSJ_
	.p2align	8
	.type	_ZN7rocprim17ROCPRIM_400000_NS6detail17trampoline_kernelINS0_14default_configENS1_38merge_sort_block_merge_config_selectorIiiEEZZNS1_27merge_sort_block_merge_implIS3_N6thrust23THRUST_200600_302600_NS6detail15normal_iteratorINS8_10device_ptrIiEEEESD_jNS1_19radix_merge_compareILb0ELb1EiNS0_19identity_decomposerEEEEE10hipError_tT0_T1_T2_jT3_P12ihipStream_tbPNSt15iterator_traitsISI_E10value_typeEPNSO_ISJ_E10value_typeEPSK_NS1_7vsmem_tEENKUlT_SI_SJ_SK_E_clIPiSD_S10_SD_EESH_SX_SI_SJ_SK_EUlSX_E_NS1_11comp_targetILNS1_3genE3ELNS1_11target_archE908ELNS1_3gpuE7ELNS1_3repE0EEENS1_48merge_mergepath_partition_config_static_selectorELNS0_4arch9wavefront6targetE0EEEvSJ_,@function
_ZN7rocprim17ROCPRIM_400000_NS6detail17trampoline_kernelINS0_14default_configENS1_38merge_sort_block_merge_config_selectorIiiEEZZNS1_27merge_sort_block_merge_implIS3_N6thrust23THRUST_200600_302600_NS6detail15normal_iteratorINS8_10device_ptrIiEEEESD_jNS1_19radix_merge_compareILb0ELb1EiNS0_19identity_decomposerEEEEE10hipError_tT0_T1_T2_jT3_P12ihipStream_tbPNSt15iterator_traitsISI_E10value_typeEPNSO_ISJ_E10value_typeEPSK_NS1_7vsmem_tEENKUlT_SI_SJ_SK_E_clIPiSD_S10_SD_EESH_SX_SI_SJ_SK_EUlSX_E_NS1_11comp_targetILNS1_3genE3ELNS1_11target_archE908ELNS1_3gpuE7ELNS1_3repE0EEENS1_48merge_mergepath_partition_config_static_selectorELNS0_4arch9wavefront6targetE0EEEvSJ_: ; @_ZN7rocprim17ROCPRIM_400000_NS6detail17trampoline_kernelINS0_14default_configENS1_38merge_sort_block_merge_config_selectorIiiEEZZNS1_27merge_sort_block_merge_implIS3_N6thrust23THRUST_200600_302600_NS6detail15normal_iteratorINS8_10device_ptrIiEEEESD_jNS1_19radix_merge_compareILb0ELb1EiNS0_19identity_decomposerEEEEE10hipError_tT0_T1_T2_jT3_P12ihipStream_tbPNSt15iterator_traitsISI_E10value_typeEPNSO_ISJ_E10value_typeEPSK_NS1_7vsmem_tEENKUlT_SI_SJ_SK_E_clIPiSD_S10_SD_EESH_SX_SI_SJ_SK_EUlSX_E_NS1_11comp_targetILNS1_3genE3ELNS1_11target_archE908ELNS1_3gpuE7ELNS1_3repE0EEENS1_48merge_mergepath_partition_config_static_selectorELNS0_4arch9wavefront6targetE0EEEvSJ_
; %bb.0:
	.section	.rodata,"a",@progbits
	.p2align	6, 0x0
	.amdhsa_kernel _ZN7rocprim17ROCPRIM_400000_NS6detail17trampoline_kernelINS0_14default_configENS1_38merge_sort_block_merge_config_selectorIiiEEZZNS1_27merge_sort_block_merge_implIS3_N6thrust23THRUST_200600_302600_NS6detail15normal_iteratorINS8_10device_ptrIiEEEESD_jNS1_19radix_merge_compareILb0ELb1EiNS0_19identity_decomposerEEEEE10hipError_tT0_T1_T2_jT3_P12ihipStream_tbPNSt15iterator_traitsISI_E10value_typeEPNSO_ISJ_E10value_typeEPSK_NS1_7vsmem_tEENKUlT_SI_SJ_SK_E_clIPiSD_S10_SD_EESH_SX_SI_SJ_SK_EUlSX_E_NS1_11comp_targetILNS1_3genE3ELNS1_11target_archE908ELNS1_3gpuE7ELNS1_3repE0EEENS1_48merge_mergepath_partition_config_static_selectorELNS0_4arch9wavefront6targetE0EEEvSJ_
		.amdhsa_group_segment_fixed_size 0
		.amdhsa_private_segment_fixed_size 0
		.amdhsa_kernarg_size 40
		.amdhsa_user_sgpr_count 6
		.amdhsa_user_sgpr_private_segment_buffer 1
		.amdhsa_user_sgpr_dispatch_ptr 0
		.amdhsa_user_sgpr_queue_ptr 0
		.amdhsa_user_sgpr_kernarg_segment_ptr 1
		.amdhsa_user_sgpr_dispatch_id 0
		.amdhsa_user_sgpr_flat_scratch_init 0
		.amdhsa_user_sgpr_private_segment_size 0
		.amdhsa_wavefront_size32 1
		.amdhsa_uses_dynamic_stack 0
		.amdhsa_system_sgpr_private_segment_wavefront_offset 0
		.amdhsa_system_sgpr_workgroup_id_x 1
		.amdhsa_system_sgpr_workgroup_id_y 0
		.amdhsa_system_sgpr_workgroup_id_z 0
		.amdhsa_system_sgpr_workgroup_info 0
		.amdhsa_system_vgpr_workitem_id 0
		.amdhsa_next_free_vgpr 1
		.amdhsa_next_free_sgpr 1
		.amdhsa_reserve_vcc 0
		.amdhsa_reserve_flat_scratch 0
		.amdhsa_float_round_mode_32 0
		.amdhsa_float_round_mode_16_64 0
		.amdhsa_float_denorm_mode_32 3
		.amdhsa_float_denorm_mode_16_64 3
		.amdhsa_dx10_clamp 1
		.amdhsa_ieee_mode 1
		.amdhsa_fp16_overflow 0
		.amdhsa_workgroup_processor_mode 1
		.amdhsa_memory_ordered 1
		.amdhsa_forward_progress 1
		.amdhsa_shared_vgpr_count 0
		.amdhsa_exception_fp_ieee_invalid_op 0
		.amdhsa_exception_fp_denorm_src 0
		.amdhsa_exception_fp_ieee_div_zero 0
		.amdhsa_exception_fp_ieee_overflow 0
		.amdhsa_exception_fp_ieee_underflow 0
		.amdhsa_exception_fp_ieee_inexact 0
		.amdhsa_exception_int_div_zero 0
	.end_amdhsa_kernel
	.section	.text._ZN7rocprim17ROCPRIM_400000_NS6detail17trampoline_kernelINS0_14default_configENS1_38merge_sort_block_merge_config_selectorIiiEEZZNS1_27merge_sort_block_merge_implIS3_N6thrust23THRUST_200600_302600_NS6detail15normal_iteratorINS8_10device_ptrIiEEEESD_jNS1_19radix_merge_compareILb0ELb1EiNS0_19identity_decomposerEEEEE10hipError_tT0_T1_T2_jT3_P12ihipStream_tbPNSt15iterator_traitsISI_E10value_typeEPNSO_ISJ_E10value_typeEPSK_NS1_7vsmem_tEENKUlT_SI_SJ_SK_E_clIPiSD_S10_SD_EESH_SX_SI_SJ_SK_EUlSX_E_NS1_11comp_targetILNS1_3genE3ELNS1_11target_archE908ELNS1_3gpuE7ELNS1_3repE0EEENS1_48merge_mergepath_partition_config_static_selectorELNS0_4arch9wavefront6targetE0EEEvSJ_,"axG",@progbits,_ZN7rocprim17ROCPRIM_400000_NS6detail17trampoline_kernelINS0_14default_configENS1_38merge_sort_block_merge_config_selectorIiiEEZZNS1_27merge_sort_block_merge_implIS3_N6thrust23THRUST_200600_302600_NS6detail15normal_iteratorINS8_10device_ptrIiEEEESD_jNS1_19radix_merge_compareILb0ELb1EiNS0_19identity_decomposerEEEEE10hipError_tT0_T1_T2_jT3_P12ihipStream_tbPNSt15iterator_traitsISI_E10value_typeEPNSO_ISJ_E10value_typeEPSK_NS1_7vsmem_tEENKUlT_SI_SJ_SK_E_clIPiSD_S10_SD_EESH_SX_SI_SJ_SK_EUlSX_E_NS1_11comp_targetILNS1_3genE3ELNS1_11target_archE908ELNS1_3gpuE7ELNS1_3repE0EEENS1_48merge_mergepath_partition_config_static_selectorELNS0_4arch9wavefront6targetE0EEEvSJ_,comdat
.Lfunc_end760:
	.size	_ZN7rocprim17ROCPRIM_400000_NS6detail17trampoline_kernelINS0_14default_configENS1_38merge_sort_block_merge_config_selectorIiiEEZZNS1_27merge_sort_block_merge_implIS3_N6thrust23THRUST_200600_302600_NS6detail15normal_iteratorINS8_10device_ptrIiEEEESD_jNS1_19radix_merge_compareILb0ELb1EiNS0_19identity_decomposerEEEEE10hipError_tT0_T1_T2_jT3_P12ihipStream_tbPNSt15iterator_traitsISI_E10value_typeEPNSO_ISJ_E10value_typeEPSK_NS1_7vsmem_tEENKUlT_SI_SJ_SK_E_clIPiSD_S10_SD_EESH_SX_SI_SJ_SK_EUlSX_E_NS1_11comp_targetILNS1_3genE3ELNS1_11target_archE908ELNS1_3gpuE7ELNS1_3repE0EEENS1_48merge_mergepath_partition_config_static_selectorELNS0_4arch9wavefront6targetE0EEEvSJ_, .Lfunc_end760-_ZN7rocprim17ROCPRIM_400000_NS6detail17trampoline_kernelINS0_14default_configENS1_38merge_sort_block_merge_config_selectorIiiEEZZNS1_27merge_sort_block_merge_implIS3_N6thrust23THRUST_200600_302600_NS6detail15normal_iteratorINS8_10device_ptrIiEEEESD_jNS1_19radix_merge_compareILb0ELb1EiNS0_19identity_decomposerEEEEE10hipError_tT0_T1_T2_jT3_P12ihipStream_tbPNSt15iterator_traitsISI_E10value_typeEPNSO_ISJ_E10value_typeEPSK_NS1_7vsmem_tEENKUlT_SI_SJ_SK_E_clIPiSD_S10_SD_EESH_SX_SI_SJ_SK_EUlSX_E_NS1_11comp_targetILNS1_3genE3ELNS1_11target_archE908ELNS1_3gpuE7ELNS1_3repE0EEENS1_48merge_mergepath_partition_config_static_selectorELNS0_4arch9wavefront6targetE0EEEvSJ_
                                        ; -- End function
	.set _ZN7rocprim17ROCPRIM_400000_NS6detail17trampoline_kernelINS0_14default_configENS1_38merge_sort_block_merge_config_selectorIiiEEZZNS1_27merge_sort_block_merge_implIS3_N6thrust23THRUST_200600_302600_NS6detail15normal_iteratorINS8_10device_ptrIiEEEESD_jNS1_19radix_merge_compareILb0ELb1EiNS0_19identity_decomposerEEEEE10hipError_tT0_T1_T2_jT3_P12ihipStream_tbPNSt15iterator_traitsISI_E10value_typeEPNSO_ISJ_E10value_typeEPSK_NS1_7vsmem_tEENKUlT_SI_SJ_SK_E_clIPiSD_S10_SD_EESH_SX_SI_SJ_SK_EUlSX_E_NS1_11comp_targetILNS1_3genE3ELNS1_11target_archE908ELNS1_3gpuE7ELNS1_3repE0EEENS1_48merge_mergepath_partition_config_static_selectorELNS0_4arch9wavefront6targetE0EEEvSJ_.num_vgpr, 0
	.set _ZN7rocprim17ROCPRIM_400000_NS6detail17trampoline_kernelINS0_14default_configENS1_38merge_sort_block_merge_config_selectorIiiEEZZNS1_27merge_sort_block_merge_implIS3_N6thrust23THRUST_200600_302600_NS6detail15normal_iteratorINS8_10device_ptrIiEEEESD_jNS1_19radix_merge_compareILb0ELb1EiNS0_19identity_decomposerEEEEE10hipError_tT0_T1_T2_jT3_P12ihipStream_tbPNSt15iterator_traitsISI_E10value_typeEPNSO_ISJ_E10value_typeEPSK_NS1_7vsmem_tEENKUlT_SI_SJ_SK_E_clIPiSD_S10_SD_EESH_SX_SI_SJ_SK_EUlSX_E_NS1_11comp_targetILNS1_3genE3ELNS1_11target_archE908ELNS1_3gpuE7ELNS1_3repE0EEENS1_48merge_mergepath_partition_config_static_selectorELNS0_4arch9wavefront6targetE0EEEvSJ_.num_agpr, 0
	.set _ZN7rocprim17ROCPRIM_400000_NS6detail17trampoline_kernelINS0_14default_configENS1_38merge_sort_block_merge_config_selectorIiiEEZZNS1_27merge_sort_block_merge_implIS3_N6thrust23THRUST_200600_302600_NS6detail15normal_iteratorINS8_10device_ptrIiEEEESD_jNS1_19radix_merge_compareILb0ELb1EiNS0_19identity_decomposerEEEEE10hipError_tT0_T1_T2_jT3_P12ihipStream_tbPNSt15iterator_traitsISI_E10value_typeEPNSO_ISJ_E10value_typeEPSK_NS1_7vsmem_tEENKUlT_SI_SJ_SK_E_clIPiSD_S10_SD_EESH_SX_SI_SJ_SK_EUlSX_E_NS1_11comp_targetILNS1_3genE3ELNS1_11target_archE908ELNS1_3gpuE7ELNS1_3repE0EEENS1_48merge_mergepath_partition_config_static_selectorELNS0_4arch9wavefront6targetE0EEEvSJ_.numbered_sgpr, 0
	.set _ZN7rocprim17ROCPRIM_400000_NS6detail17trampoline_kernelINS0_14default_configENS1_38merge_sort_block_merge_config_selectorIiiEEZZNS1_27merge_sort_block_merge_implIS3_N6thrust23THRUST_200600_302600_NS6detail15normal_iteratorINS8_10device_ptrIiEEEESD_jNS1_19radix_merge_compareILb0ELb1EiNS0_19identity_decomposerEEEEE10hipError_tT0_T1_T2_jT3_P12ihipStream_tbPNSt15iterator_traitsISI_E10value_typeEPNSO_ISJ_E10value_typeEPSK_NS1_7vsmem_tEENKUlT_SI_SJ_SK_E_clIPiSD_S10_SD_EESH_SX_SI_SJ_SK_EUlSX_E_NS1_11comp_targetILNS1_3genE3ELNS1_11target_archE908ELNS1_3gpuE7ELNS1_3repE0EEENS1_48merge_mergepath_partition_config_static_selectorELNS0_4arch9wavefront6targetE0EEEvSJ_.num_named_barrier, 0
	.set _ZN7rocprim17ROCPRIM_400000_NS6detail17trampoline_kernelINS0_14default_configENS1_38merge_sort_block_merge_config_selectorIiiEEZZNS1_27merge_sort_block_merge_implIS3_N6thrust23THRUST_200600_302600_NS6detail15normal_iteratorINS8_10device_ptrIiEEEESD_jNS1_19radix_merge_compareILb0ELb1EiNS0_19identity_decomposerEEEEE10hipError_tT0_T1_T2_jT3_P12ihipStream_tbPNSt15iterator_traitsISI_E10value_typeEPNSO_ISJ_E10value_typeEPSK_NS1_7vsmem_tEENKUlT_SI_SJ_SK_E_clIPiSD_S10_SD_EESH_SX_SI_SJ_SK_EUlSX_E_NS1_11comp_targetILNS1_3genE3ELNS1_11target_archE908ELNS1_3gpuE7ELNS1_3repE0EEENS1_48merge_mergepath_partition_config_static_selectorELNS0_4arch9wavefront6targetE0EEEvSJ_.private_seg_size, 0
	.set _ZN7rocprim17ROCPRIM_400000_NS6detail17trampoline_kernelINS0_14default_configENS1_38merge_sort_block_merge_config_selectorIiiEEZZNS1_27merge_sort_block_merge_implIS3_N6thrust23THRUST_200600_302600_NS6detail15normal_iteratorINS8_10device_ptrIiEEEESD_jNS1_19radix_merge_compareILb0ELb1EiNS0_19identity_decomposerEEEEE10hipError_tT0_T1_T2_jT3_P12ihipStream_tbPNSt15iterator_traitsISI_E10value_typeEPNSO_ISJ_E10value_typeEPSK_NS1_7vsmem_tEENKUlT_SI_SJ_SK_E_clIPiSD_S10_SD_EESH_SX_SI_SJ_SK_EUlSX_E_NS1_11comp_targetILNS1_3genE3ELNS1_11target_archE908ELNS1_3gpuE7ELNS1_3repE0EEENS1_48merge_mergepath_partition_config_static_selectorELNS0_4arch9wavefront6targetE0EEEvSJ_.uses_vcc, 0
	.set _ZN7rocprim17ROCPRIM_400000_NS6detail17trampoline_kernelINS0_14default_configENS1_38merge_sort_block_merge_config_selectorIiiEEZZNS1_27merge_sort_block_merge_implIS3_N6thrust23THRUST_200600_302600_NS6detail15normal_iteratorINS8_10device_ptrIiEEEESD_jNS1_19radix_merge_compareILb0ELb1EiNS0_19identity_decomposerEEEEE10hipError_tT0_T1_T2_jT3_P12ihipStream_tbPNSt15iterator_traitsISI_E10value_typeEPNSO_ISJ_E10value_typeEPSK_NS1_7vsmem_tEENKUlT_SI_SJ_SK_E_clIPiSD_S10_SD_EESH_SX_SI_SJ_SK_EUlSX_E_NS1_11comp_targetILNS1_3genE3ELNS1_11target_archE908ELNS1_3gpuE7ELNS1_3repE0EEENS1_48merge_mergepath_partition_config_static_selectorELNS0_4arch9wavefront6targetE0EEEvSJ_.uses_flat_scratch, 0
	.set _ZN7rocprim17ROCPRIM_400000_NS6detail17trampoline_kernelINS0_14default_configENS1_38merge_sort_block_merge_config_selectorIiiEEZZNS1_27merge_sort_block_merge_implIS3_N6thrust23THRUST_200600_302600_NS6detail15normal_iteratorINS8_10device_ptrIiEEEESD_jNS1_19radix_merge_compareILb0ELb1EiNS0_19identity_decomposerEEEEE10hipError_tT0_T1_T2_jT3_P12ihipStream_tbPNSt15iterator_traitsISI_E10value_typeEPNSO_ISJ_E10value_typeEPSK_NS1_7vsmem_tEENKUlT_SI_SJ_SK_E_clIPiSD_S10_SD_EESH_SX_SI_SJ_SK_EUlSX_E_NS1_11comp_targetILNS1_3genE3ELNS1_11target_archE908ELNS1_3gpuE7ELNS1_3repE0EEENS1_48merge_mergepath_partition_config_static_selectorELNS0_4arch9wavefront6targetE0EEEvSJ_.has_dyn_sized_stack, 0
	.set _ZN7rocprim17ROCPRIM_400000_NS6detail17trampoline_kernelINS0_14default_configENS1_38merge_sort_block_merge_config_selectorIiiEEZZNS1_27merge_sort_block_merge_implIS3_N6thrust23THRUST_200600_302600_NS6detail15normal_iteratorINS8_10device_ptrIiEEEESD_jNS1_19radix_merge_compareILb0ELb1EiNS0_19identity_decomposerEEEEE10hipError_tT0_T1_T2_jT3_P12ihipStream_tbPNSt15iterator_traitsISI_E10value_typeEPNSO_ISJ_E10value_typeEPSK_NS1_7vsmem_tEENKUlT_SI_SJ_SK_E_clIPiSD_S10_SD_EESH_SX_SI_SJ_SK_EUlSX_E_NS1_11comp_targetILNS1_3genE3ELNS1_11target_archE908ELNS1_3gpuE7ELNS1_3repE0EEENS1_48merge_mergepath_partition_config_static_selectorELNS0_4arch9wavefront6targetE0EEEvSJ_.has_recursion, 0
	.set _ZN7rocprim17ROCPRIM_400000_NS6detail17trampoline_kernelINS0_14default_configENS1_38merge_sort_block_merge_config_selectorIiiEEZZNS1_27merge_sort_block_merge_implIS3_N6thrust23THRUST_200600_302600_NS6detail15normal_iteratorINS8_10device_ptrIiEEEESD_jNS1_19radix_merge_compareILb0ELb1EiNS0_19identity_decomposerEEEEE10hipError_tT0_T1_T2_jT3_P12ihipStream_tbPNSt15iterator_traitsISI_E10value_typeEPNSO_ISJ_E10value_typeEPSK_NS1_7vsmem_tEENKUlT_SI_SJ_SK_E_clIPiSD_S10_SD_EESH_SX_SI_SJ_SK_EUlSX_E_NS1_11comp_targetILNS1_3genE3ELNS1_11target_archE908ELNS1_3gpuE7ELNS1_3repE0EEENS1_48merge_mergepath_partition_config_static_selectorELNS0_4arch9wavefront6targetE0EEEvSJ_.has_indirect_call, 0
	.section	.AMDGPU.csdata,"",@progbits
; Kernel info:
; codeLenInByte = 0
; TotalNumSgprs: 0
; NumVgprs: 0
; ScratchSize: 0
; MemoryBound: 0
; FloatMode: 240
; IeeeMode: 1
; LDSByteSize: 0 bytes/workgroup (compile time only)
; SGPRBlocks: 0
; VGPRBlocks: 0
; NumSGPRsForWavesPerEU: 1
; NumVGPRsForWavesPerEU: 1
; Occupancy: 16
; WaveLimiterHint : 0
; COMPUTE_PGM_RSRC2:SCRATCH_EN: 0
; COMPUTE_PGM_RSRC2:USER_SGPR: 6
; COMPUTE_PGM_RSRC2:TRAP_HANDLER: 0
; COMPUTE_PGM_RSRC2:TGID_X_EN: 1
; COMPUTE_PGM_RSRC2:TGID_Y_EN: 0
; COMPUTE_PGM_RSRC2:TGID_Z_EN: 0
; COMPUTE_PGM_RSRC2:TIDIG_COMP_CNT: 0
	.section	.text._ZN7rocprim17ROCPRIM_400000_NS6detail17trampoline_kernelINS0_14default_configENS1_38merge_sort_block_merge_config_selectorIiiEEZZNS1_27merge_sort_block_merge_implIS3_N6thrust23THRUST_200600_302600_NS6detail15normal_iteratorINS8_10device_ptrIiEEEESD_jNS1_19radix_merge_compareILb0ELb1EiNS0_19identity_decomposerEEEEE10hipError_tT0_T1_T2_jT3_P12ihipStream_tbPNSt15iterator_traitsISI_E10value_typeEPNSO_ISJ_E10value_typeEPSK_NS1_7vsmem_tEENKUlT_SI_SJ_SK_E_clIPiSD_S10_SD_EESH_SX_SI_SJ_SK_EUlSX_E_NS1_11comp_targetILNS1_3genE2ELNS1_11target_archE906ELNS1_3gpuE6ELNS1_3repE0EEENS1_48merge_mergepath_partition_config_static_selectorELNS0_4arch9wavefront6targetE0EEEvSJ_,"axG",@progbits,_ZN7rocprim17ROCPRIM_400000_NS6detail17trampoline_kernelINS0_14default_configENS1_38merge_sort_block_merge_config_selectorIiiEEZZNS1_27merge_sort_block_merge_implIS3_N6thrust23THRUST_200600_302600_NS6detail15normal_iteratorINS8_10device_ptrIiEEEESD_jNS1_19radix_merge_compareILb0ELb1EiNS0_19identity_decomposerEEEEE10hipError_tT0_T1_T2_jT3_P12ihipStream_tbPNSt15iterator_traitsISI_E10value_typeEPNSO_ISJ_E10value_typeEPSK_NS1_7vsmem_tEENKUlT_SI_SJ_SK_E_clIPiSD_S10_SD_EESH_SX_SI_SJ_SK_EUlSX_E_NS1_11comp_targetILNS1_3genE2ELNS1_11target_archE906ELNS1_3gpuE6ELNS1_3repE0EEENS1_48merge_mergepath_partition_config_static_selectorELNS0_4arch9wavefront6targetE0EEEvSJ_,comdat
	.protected	_ZN7rocprim17ROCPRIM_400000_NS6detail17trampoline_kernelINS0_14default_configENS1_38merge_sort_block_merge_config_selectorIiiEEZZNS1_27merge_sort_block_merge_implIS3_N6thrust23THRUST_200600_302600_NS6detail15normal_iteratorINS8_10device_ptrIiEEEESD_jNS1_19radix_merge_compareILb0ELb1EiNS0_19identity_decomposerEEEEE10hipError_tT0_T1_T2_jT3_P12ihipStream_tbPNSt15iterator_traitsISI_E10value_typeEPNSO_ISJ_E10value_typeEPSK_NS1_7vsmem_tEENKUlT_SI_SJ_SK_E_clIPiSD_S10_SD_EESH_SX_SI_SJ_SK_EUlSX_E_NS1_11comp_targetILNS1_3genE2ELNS1_11target_archE906ELNS1_3gpuE6ELNS1_3repE0EEENS1_48merge_mergepath_partition_config_static_selectorELNS0_4arch9wavefront6targetE0EEEvSJ_ ; -- Begin function _ZN7rocprim17ROCPRIM_400000_NS6detail17trampoline_kernelINS0_14default_configENS1_38merge_sort_block_merge_config_selectorIiiEEZZNS1_27merge_sort_block_merge_implIS3_N6thrust23THRUST_200600_302600_NS6detail15normal_iteratorINS8_10device_ptrIiEEEESD_jNS1_19radix_merge_compareILb0ELb1EiNS0_19identity_decomposerEEEEE10hipError_tT0_T1_T2_jT3_P12ihipStream_tbPNSt15iterator_traitsISI_E10value_typeEPNSO_ISJ_E10value_typeEPSK_NS1_7vsmem_tEENKUlT_SI_SJ_SK_E_clIPiSD_S10_SD_EESH_SX_SI_SJ_SK_EUlSX_E_NS1_11comp_targetILNS1_3genE2ELNS1_11target_archE906ELNS1_3gpuE6ELNS1_3repE0EEENS1_48merge_mergepath_partition_config_static_selectorELNS0_4arch9wavefront6targetE0EEEvSJ_
	.globl	_ZN7rocprim17ROCPRIM_400000_NS6detail17trampoline_kernelINS0_14default_configENS1_38merge_sort_block_merge_config_selectorIiiEEZZNS1_27merge_sort_block_merge_implIS3_N6thrust23THRUST_200600_302600_NS6detail15normal_iteratorINS8_10device_ptrIiEEEESD_jNS1_19radix_merge_compareILb0ELb1EiNS0_19identity_decomposerEEEEE10hipError_tT0_T1_T2_jT3_P12ihipStream_tbPNSt15iterator_traitsISI_E10value_typeEPNSO_ISJ_E10value_typeEPSK_NS1_7vsmem_tEENKUlT_SI_SJ_SK_E_clIPiSD_S10_SD_EESH_SX_SI_SJ_SK_EUlSX_E_NS1_11comp_targetILNS1_3genE2ELNS1_11target_archE906ELNS1_3gpuE6ELNS1_3repE0EEENS1_48merge_mergepath_partition_config_static_selectorELNS0_4arch9wavefront6targetE0EEEvSJ_
	.p2align	8
	.type	_ZN7rocprim17ROCPRIM_400000_NS6detail17trampoline_kernelINS0_14default_configENS1_38merge_sort_block_merge_config_selectorIiiEEZZNS1_27merge_sort_block_merge_implIS3_N6thrust23THRUST_200600_302600_NS6detail15normal_iteratorINS8_10device_ptrIiEEEESD_jNS1_19radix_merge_compareILb0ELb1EiNS0_19identity_decomposerEEEEE10hipError_tT0_T1_T2_jT3_P12ihipStream_tbPNSt15iterator_traitsISI_E10value_typeEPNSO_ISJ_E10value_typeEPSK_NS1_7vsmem_tEENKUlT_SI_SJ_SK_E_clIPiSD_S10_SD_EESH_SX_SI_SJ_SK_EUlSX_E_NS1_11comp_targetILNS1_3genE2ELNS1_11target_archE906ELNS1_3gpuE6ELNS1_3repE0EEENS1_48merge_mergepath_partition_config_static_selectorELNS0_4arch9wavefront6targetE0EEEvSJ_,@function
_ZN7rocprim17ROCPRIM_400000_NS6detail17trampoline_kernelINS0_14default_configENS1_38merge_sort_block_merge_config_selectorIiiEEZZNS1_27merge_sort_block_merge_implIS3_N6thrust23THRUST_200600_302600_NS6detail15normal_iteratorINS8_10device_ptrIiEEEESD_jNS1_19radix_merge_compareILb0ELb1EiNS0_19identity_decomposerEEEEE10hipError_tT0_T1_T2_jT3_P12ihipStream_tbPNSt15iterator_traitsISI_E10value_typeEPNSO_ISJ_E10value_typeEPSK_NS1_7vsmem_tEENKUlT_SI_SJ_SK_E_clIPiSD_S10_SD_EESH_SX_SI_SJ_SK_EUlSX_E_NS1_11comp_targetILNS1_3genE2ELNS1_11target_archE906ELNS1_3gpuE6ELNS1_3repE0EEENS1_48merge_mergepath_partition_config_static_selectorELNS0_4arch9wavefront6targetE0EEEvSJ_: ; @_ZN7rocprim17ROCPRIM_400000_NS6detail17trampoline_kernelINS0_14default_configENS1_38merge_sort_block_merge_config_selectorIiiEEZZNS1_27merge_sort_block_merge_implIS3_N6thrust23THRUST_200600_302600_NS6detail15normal_iteratorINS8_10device_ptrIiEEEESD_jNS1_19radix_merge_compareILb0ELb1EiNS0_19identity_decomposerEEEEE10hipError_tT0_T1_T2_jT3_P12ihipStream_tbPNSt15iterator_traitsISI_E10value_typeEPNSO_ISJ_E10value_typeEPSK_NS1_7vsmem_tEENKUlT_SI_SJ_SK_E_clIPiSD_S10_SD_EESH_SX_SI_SJ_SK_EUlSX_E_NS1_11comp_targetILNS1_3genE2ELNS1_11target_archE906ELNS1_3gpuE6ELNS1_3repE0EEENS1_48merge_mergepath_partition_config_static_selectorELNS0_4arch9wavefront6targetE0EEEvSJ_
; %bb.0:
	.section	.rodata,"a",@progbits
	.p2align	6, 0x0
	.amdhsa_kernel _ZN7rocprim17ROCPRIM_400000_NS6detail17trampoline_kernelINS0_14default_configENS1_38merge_sort_block_merge_config_selectorIiiEEZZNS1_27merge_sort_block_merge_implIS3_N6thrust23THRUST_200600_302600_NS6detail15normal_iteratorINS8_10device_ptrIiEEEESD_jNS1_19radix_merge_compareILb0ELb1EiNS0_19identity_decomposerEEEEE10hipError_tT0_T1_T2_jT3_P12ihipStream_tbPNSt15iterator_traitsISI_E10value_typeEPNSO_ISJ_E10value_typeEPSK_NS1_7vsmem_tEENKUlT_SI_SJ_SK_E_clIPiSD_S10_SD_EESH_SX_SI_SJ_SK_EUlSX_E_NS1_11comp_targetILNS1_3genE2ELNS1_11target_archE906ELNS1_3gpuE6ELNS1_3repE0EEENS1_48merge_mergepath_partition_config_static_selectorELNS0_4arch9wavefront6targetE0EEEvSJ_
		.amdhsa_group_segment_fixed_size 0
		.amdhsa_private_segment_fixed_size 0
		.amdhsa_kernarg_size 40
		.amdhsa_user_sgpr_count 6
		.amdhsa_user_sgpr_private_segment_buffer 1
		.amdhsa_user_sgpr_dispatch_ptr 0
		.amdhsa_user_sgpr_queue_ptr 0
		.amdhsa_user_sgpr_kernarg_segment_ptr 1
		.amdhsa_user_sgpr_dispatch_id 0
		.amdhsa_user_sgpr_flat_scratch_init 0
		.amdhsa_user_sgpr_private_segment_size 0
		.amdhsa_wavefront_size32 1
		.amdhsa_uses_dynamic_stack 0
		.amdhsa_system_sgpr_private_segment_wavefront_offset 0
		.amdhsa_system_sgpr_workgroup_id_x 1
		.amdhsa_system_sgpr_workgroup_id_y 0
		.amdhsa_system_sgpr_workgroup_id_z 0
		.amdhsa_system_sgpr_workgroup_info 0
		.amdhsa_system_vgpr_workitem_id 0
		.amdhsa_next_free_vgpr 1
		.amdhsa_next_free_sgpr 1
		.amdhsa_reserve_vcc 0
		.amdhsa_reserve_flat_scratch 0
		.amdhsa_float_round_mode_32 0
		.amdhsa_float_round_mode_16_64 0
		.amdhsa_float_denorm_mode_32 3
		.amdhsa_float_denorm_mode_16_64 3
		.amdhsa_dx10_clamp 1
		.amdhsa_ieee_mode 1
		.amdhsa_fp16_overflow 0
		.amdhsa_workgroup_processor_mode 1
		.amdhsa_memory_ordered 1
		.amdhsa_forward_progress 1
		.amdhsa_shared_vgpr_count 0
		.amdhsa_exception_fp_ieee_invalid_op 0
		.amdhsa_exception_fp_denorm_src 0
		.amdhsa_exception_fp_ieee_div_zero 0
		.amdhsa_exception_fp_ieee_overflow 0
		.amdhsa_exception_fp_ieee_underflow 0
		.amdhsa_exception_fp_ieee_inexact 0
		.amdhsa_exception_int_div_zero 0
	.end_amdhsa_kernel
	.section	.text._ZN7rocprim17ROCPRIM_400000_NS6detail17trampoline_kernelINS0_14default_configENS1_38merge_sort_block_merge_config_selectorIiiEEZZNS1_27merge_sort_block_merge_implIS3_N6thrust23THRUST_200600_302600_NS6detail15normal_iteratorINS8_10device_ptrIiEEEESD_jNS1_19radix_merge_compareILb0ELb1EiNS0_19identity_decomposerEEEEE10hipError_tT0_T1_T2_jT3_P12ihipStream_tbPNSt15iterator_traitsISI_E10value_typeEPNSO_ISJ_E10value_typeEPSK_NS1_7vsmem_tEENKUlT_SI_SJ_SK_E_clIPiSD_S10_SD_EESH_SX_SI_SJ_SK_EUlSX_E_NS1_11comp_targetILNS1_3genE2ELNS1_11target_archE906ELNS1_3gpuE6ELNS1_3repE0EEENS1_48merge_mergepath_partition_config_static_selectorELNS0_4arch9wavefront6targetE0EEEvSJ_,"axG",@progbits,_ZN7rocprim17ROCPRIM_400000_NS6detail17trampoline_kernelINS0_14default_configENS1_38merge_sort_block_merge_config_selectorIiiEEZZNS1_27merge_sort_block_merge_implIS3_N6thrust23THRUST_200600_302600_NS6detail15normal_iteratorINS8_10device_ptrIiEEEESD_jNS1_19radix_merge_compareILb0ELb1EiNS0_19identity_decomposerEEEEE10hipError_tT0_T1_T2_jT3_P12ihipStream_tbPNSt15iterator_traitsISI_E10value_typeEPNSO_ISJ_E10value_typeEPSK_NS1_7vsmem_tEENKUlT_SI_SJ_SK_E_clIPiSD_S10_SD_EESH_SX_SI_SJ_SK_EUlSX_E_NS1_11comp_targetILNS1_3genE2ELNS1_11target_archE906ELNS1_3gpuE6ELNS1_3repE0EEENS1_48merge_mergepath_partition_config_static_selectorELNS0_4arch9wavefront6targetE0EEEvSJ_,comdat
.Lfunc_end761:
	.size	_ZN7rocprim17ROCPRIM_400000_NS6detail17trampoline_kernelINS0_14default_configENS1_38merge_sort_block_merge_config_selectorIiiEEZZNS1_27merge_sort_block_merge_implIS3_N6thrust23THRUST_200600_302600_NS6detail15normal_iteratorINS8_10device_ptrIiEEEESD_jNS1_19radix_merge_compareILb0ELb1EiNS0_19identity_decomposerEEEEE10hipError_tT0_T1_T2_jT3_P12ihipStream_tbPNSt15iterator_traitsISI_E10value_typeEPNSO_ISJ_E10value_typeEPSK_NS1_7vsmem_tEENKUlT_SI_SJ_SK_E_clIPiSD_S10_SD_EESH_SX_SI_SJ_SK_EUlSX_E_NS1_11comp_targetILNS1_3genE2ELNS1_11target_archE906ELNS1_3gpuE6ELNS1_3repE0EEENS1_48merge_mergepath_partition_config_static_selectorELNS0_4arch9wavefront6targetE0EEEvSJ_, .Lfunc_end761-_ZN7rocprim17ROCPRIM_400000_NS6detail17trampoline_kernelINS0_14default_configENS1_38merge_sort_block_merge_config_selectorIiiEEZZNS1_27merge_sort_block_merge_implIS3_N6thrust23THRUST_200600_302600_NS6detail15normal_iteratorINS8_10device_ptrIiEEEESD_jNS1_19radix_merge_compareILb0ELb1EiNS0_19identity_decomposerEEEEE10hipError_tT0_T1_T2_jT3_P12ihipStream_tbPNSt15iterator_traitsISI_E10value_typeEPNSO_ISJ_E10value_typeEPSK_NS1_7vsmem_tEENKUlT_SI_SJ_SK_E_clIPiSD_S10_SD_EESH_SX_SI_SJ_SK_EUlSX_E_NS1_11comp_targetILNS1_3genE2ELNS1_11target_archE906ELNS1_3gpuE6ELNS1_3repE0EEENS1_48merge_mergepath_partition_config_static_selectorELNS0_4arch9wavefront6targetE0EEEvSJ_
                                        ; -- End function
	.set _ZN7rocprim17ROCPRIM_400000_NS6detail17trampoline_kernelINS0_14default_configENS1_38merge_sort_block_merge_config_selectorIiiEEZZNS1_27merge_sort_block_merge_implIS3_N6thrust23THRUST_200600_302600_NS6detail15normal_iteratorINS8_10device_ptrIiEEEESD_jNS1_19radix_merge_compareILb0ELb1EiNS0_19identity_decomposerEEEEE10hipError_tT0_T1_T2_jT3_P12ihipStream_tbPNSt15iterator_traitsISI_E10value_typeEPNSO_ISJ_E10value_typeEPSK_NS1_7vsmem_tEENKUlT_SI_SJ_SK_E_clIPiSD_S10_SD_EESH_SX_SI_SJ_SK_EUlSX_E_NS1_11comp_targetILNS1_3genE2ELNS1_11target_archE906ELNS1_3gpuE6ELNS1_3repE0EEENS1_48merge_mergepath_partition_config_static_selectorELNS0_4arch9wavefront6targetE0EEEvSJ_.num_vgpr, 0
	.set _ZN7rocprim17ROCPRIM_400000_NS6detail17trampoline_kernelINS0_14default_configENS1_38merge_sort_block_merge_config_selectorIiiEEZZNS1_27merge_sort_block_merge_implIS3_N6thrust23THRUST_200600_302600_NS6detail15normal_iteratorINS8_10device_ptrIiEEEESD_jNS1_19radix_merge_compareILb0ELb1EiNS0_19identity_decomposerEEEEE10hipError_tT0_T1_T2_jT3_P12ihipStream_tbPNSt15iterator_traitsISI_E10value_typeEPNSO_ISJ_E10value_typeEPSK_NS1_7vsmem_tEENKUlT_SI_SJ_SK_E_clIPiSD_S10_SD_EESH_SX_SI_SJ_SK_EUlSX_E_NS1_11comp_targetILNS1_3genE2ELNS1_11target_archE906ELNS1_3gpuE6ELNS1_3repE0EEENS1_48merge_mergepath_partition_config_static_selectorELNS0_4arch9wavefront6targetE0EEEvSJ_.num_agpr, 0
	.set _ZN7rocprim17ROCPRIM_400000_NS6detail17trampoline_kernelINS0_14default_configENS1_38merge_sort_block_merge_config_selectorIiiEEZZNS1_27merge_sort_block_merge_implIS3_N6thrust23THRUST_200600_302600_NS6detail15normal_iteratorINS8_10device_ptrIiEEEESD_jNS1_19radix_merge_compareILb0ELb1EiNS0_19identity_decomposerEEEEE10hipError_tT0_T1_T2_jT3_P12ihipStream_tbPNSt15iterator_traitsISI_E10value_typeEPNSO_ISJ_E10value_typeEPSK_NS1_7vsmem_tEENKUlT_SI_SJ_SK_E_clIPiSD_S10_SD_EESH_SX_SI_SJ_SK_EUlSX_E_NS1_11comp_targetILNS1_3genE2ELNS1_11target_archE906ELNS1_3gpuE6ELNS1_3repE0EEENS1_48merge_mergepath_partition_config_static_selectorELNS0_4arch9wavefront6targetE0EEEvSJ_.numbered_sgpr, 0
	.set _ZN7rocprim17ROCPRIM_400000_NS6detail17trampoline_kernelINS0_14default_configENS1_38merge_sort_block_merge_config_selectorIiiEEZZNS1_27merge_sort_block_merge_implIS3_N6thrust23THRUST_200600_302600_NS6detail15normal_iteratorINS8_10device_ptrIiEEEESD_jNS1_19radix_merge_compareILb0ELb1EiNS0_19identity_decomposerEEEEE10hipError_tT0_T1_T2_jT3_P12ihipStream_tbPNSt15iterator_traitsISI_E10value_typeEPNSO_ISJ_E10value_typeEPSK_NS1_7vsmem_tEENKUlT_SI_SJ_SK_E_clIPiSD_S10_SD_EESH_SX_SI_SJ_SK_EUlSX_E_NS1_11comp_targetILNS1_3genE2ELNS1_11target_archE906ELNS1_3gpuE6ELNS1_3repE0EEENS1_48merge_mergepath_partition_config_static_selectorELNS0_4arch9wavefront6targetE0EEEvSJ_.num_named_barrier, 0
	.set _ZN7rocprim17ROCPRIM_400000_NS6detail17trampoline_kernelINS0_14default_configENS1_38merge_sort_block_merge_config_selectorIiiEEZZNS1_27merge_sort_block_merge_implIS3_N6thrust23THRUST_200600_302600_NS6detail15normal_iteratorINS8_10device_ptrIiEEEESD_jNS1_19radix_merge_compareILb0ELb1EiNS0_19identity_decomposerEEEEE10hipError_tT0_T1_T2_jT3_P12ihipStream_tbPNSt15iterator_traitsISI_E10value_typeEPNSO_ISJ_E10value_typeEPSK_NS1_7vsmem_tEENKUlT_SI_SJ_SK_E_clIPiSD_S10_SD_EESH_SX_SI_SJ_SK_EUlSX_E_NS1_11comp_targetILNS1_3genE2ELNS1_11target_archE906ELNS1_3gpuE6ELNS1_3repE0EEENS1_48merge_mergepath_partition_config_static_selectorELNS0_4arch9wavefront6targetE0EEEvSJ_.private_seg_size, 0
	.set _ZN7rocprim17ROCPRIM_400000_NS6detail17trampoline_kernelINS0_14default_configENS1_38merge_sort_block_merge_config_selectorIiiEEZZNS1_27merge_sort_block_merge_implIS3_N6thrust23THRUST_200600_302600_NS6detail15normal_iteratorINS8_10device_ptrIiEEEESD_jNS1_19radix_merge_compareILb0ELb1EiNS0_19identity_decomposerEEEEE10hipError_tT0_T1_T2_jT3_P12ihipStream_tbPNSt15iterator_traitsISI_E10value_typeEPNSO_ISJ_E10value_typeEPSK_NS1_7vsmem_tEENKUlT_SI_SJ_SK_E_clIPiSD_S10_SD_EESH_SX_SI_SJ_SK_EUlSX_E_NS1_11comp_targetILNS1_3genE2ELNS1_11target_archE906ELNS1_3gpuE6ELNS1_3repE0EEENS1_48merge_mergepath_partition_config_static_selectorELNS0_4arch9wavefront6targetE0EEEvSJ_.uses_vcc, 0
	.set _ZN7rocprim17ROCPRIM_400000_NS6detail17trampoline_kernelINS0_14default_configENS1_38merge_sort_block_merge_config_selectorIiiEEZZNS1_27merge_sort_block_merge_implIS3_N6thrust23THRUST_200600_302600_NS6detail15normal_iteratorINS8_10device_ptrIiEEEESD_jNS1_19radix_merge_compareILb0ELb1EiNS0_19identity_decomposerEEEEE10hipError_tT0_T1_T2_jT3_P12ihipStream_tbPNSt15iterator_traitsISI_E10value_typeEPNSO_ISJ_E10value_typeEPSK_NS1_7vsmem_tEENKUlT_SI_SJ_SK_E_clIPiSD_S10_SD_EESH_SX_SI_SJ_SK_EUlSX_E_NS1_11comp_targetILNS1_3genE2ELNS1_11target_archE906ELNS1_3gpuE6ELNS1_3repE0EEENS1_48merge_mergepath_partition_config_static_selectorELNS0_4arch9wavefront6targetE0EEEvSJ_.uses_flat_scratch, 0
	.set _ZN7rocprim17ROCPRIM_400000_NS6detail17trampoline_kernelINS0_14default_configENS1_38merge_sort_block_merge_config_selectorIiiEEZZNS1_27merge_sort_block_merge_implIS3_N6thrust23THRUST_200600_302600_NS6detail15normal_iteratorINS8_10device_ptrIiEEEESD_jNS1_19radix_merge_compareILb0ELb1EiNS0_19identity_decomposerEEEEE10hipError_tT0_T1_T2_jT3_P12ihipStream_tbPNSt15iterator_traitsISI_E10value_typeEPNSO_ISJ_E10value_typeEPSK_NS1_7vsmem_tEENKUlT_SI_SJ_SK_E_clIPiSD_S10_SD_EESH_SX_SI_SJ_SK_EUlSX_E_NS1_11comp_targetILNS1_3genE2ELNS1_11target_archE906ELNS1_3gpuE6ELNS1_3repE0EEENS1_48merge_mergepath_partition_config_static_selectorELNS0_4arch9wavefront6targetE0EEEvSJ_.has_dyn_sized_stack, 0
	.set _ZN7rocprim17ROCPRIM_400000_NS6detail17trampoline_kernelINS0_14default_configENS1_38merge_sort_block_merge_config_selectorIiiEEZZNS1_27merge_sort_block_merge_implIS3_N6thrust23THRUST_200600_302600_NS6detail15normal_iteratorINS8_10device_ptrIiEEEESD_jNS1_19radix_merge_compareILb0ELb1EiNS0_19identity_decomposerEEEEE10hipError_tT0_T1_T2_jT3_P12ihipStream_tbPNSt15iterator_traitsISI_E10value_typeEPNSO_ISJ_E10value_typeEPSK_NS1_7vsmem_tEENKUlT_SI_SJ_SK_E_clIPiSD_S10_SD_EESH_SX_SI_SJ_SK_EUlSX_E_NS1_11comp_targetILNS1_3genE2ELNS1_11target_archE906ELNS1_3gpuE6ELNS1_3repE0EEENS1_48merge_mergepath_partition_config_static_selectorELNS0_4arch9wavefront6targetE0EEEvSJ_.has_recursion, 0
	.set _ZN7rocprim17ROCPRIM_400000_NS6detail17trampoline_kernelINS0_14default_configENS1_38merge_sort_block_merge_config_selectorIiiEEZZNS1_27merge_sort_block_merge_implIS3_N6thrust23THRUST_200600_302600_NS6detail15normal_iteratorINS8_10device_ptrIiEEEESD_jNS1_19radix_merge_compareILb0ELb1EiNS0_19identity_decomposerEEEEE10hipError_tT0_T1_T2_jT3_P12ihipStream_tbPNSt15iterator_traitsISI_E10value_typeEPNSO_ISJ_E10value_typeEPSK_NS1_7vsmem_tEENKUlT_SI_SJ_SK_E_clIPiSD_S10_SD_EESH_SX_SI_SJ_SK_EUlSX_E_NS1_11comp_targetILNS1_3genE2ELNS1_11target_archE906ELNS1_3gpuE6ELNS1_3repE0EEENS1_48merge_mergepath_partition_config_static_selectorELNS0_4arch9wavefront6targetE0EEEvSJ_.has_indirect_call, 0
	.section	.AMDGPU.csdata,"",@progbits
; Kernel info:
; codeLenInByte = 0
; TotalNumSgprs: 0
; NumVgprs: 0
; ScratchSize: 0
; MemoryBound: 0
; FloatMode: 240
; IeeeMode: 1
; LDSByteSize: 0 bytes/workgroup (compile time only)
; SGPRBlocks: 0
; VGPRBlocks: 0
; NumSGPRsForWavesPerEU: 1
; NumVGPRsForWavesPerEU: 1
; Occupancy: 16
; WaveLimiterHint : 0
; COMPUTE_PGM_RSRC2:SCRATCH_EN: 0
; COMPUTE_PGM_RSRC2:USER_SGPR: 6
; COMPUTE_PGM_RSRC2:TRAP_HANDLER: 0
; COMPUTE_PGM_RSRC2:TGID_X_EN: 1
; COMPUTE_PGM_RSRC2:TGID_Y_EN: 0
; COMPUTE_PGM_RSRC2:TGID_Z_EN: 0
; COMPUTE_PGM_RSRC2:TIDIG_COMP_CNT: 0
	.section	.text._ZN7rocprim17ROCPRIM_400000_NS6detail17trampoline_kernelINS0_14default_configENS1_38merge_sort_block_merge_config_selectorIiiEEZZNS1_27merge_sort_block_merge_implIS3_N6thrust23THRUST_200600_302600_NS6detail15normal_iteratorINS8_10device_ptrIiEEEESD_jNS1_19radix_merge_compareILb0ELb1EiNS0_19identity_decomposerEEEEE10hipError_tT0_T1_T2_jT3_P12ihipStream_tbPNSt15iterator_traitsISI_E10value_typeEPNSO_ISJ_E10value_typeEPSK_NS1_7vsmem_tEENKUlT_SI_SJ_SK_E_clIPiSD_S10_SD_EESH_SX_SI_SJ_SK_EUlSX_E_NS1_11comp_targetILNS1_3genE9ELNS1_11target_archE1100ELNS1_3gpuE3ELNS1_3repE0EEENS1_48merge_mergepath_partition_config_static_selectorELNS0_4arch9wavefront6targetE0EEEvSJ_,"axG",@progbits,_ZN7rocprim17ROCPRIM_400000_NS6detail17trampoline_kernelINS0_14default_configENS1_38merge_sort_block_merge_config_selectorIiiEEZZNS1_27merge_sort_block_merge_implIS3_N6thrust23THRUST_200600_302600_NS6detail15normal_iteratorINS8_10device_ptrIiEEEESD_jNS1_19radix_merge_compareILb0ELb1EiNS0_19identity_decomposerEEEEE10hipError_tT0_T1_T2_jT3_P12ihipStream_tbPNSt15iterator_traitsISI_E10value_typeEPNSO_ISJ_E10value_typeEPSK_NS1_7vsmem_tEENKUlT_SI_SJ_SK_E_clIPiSD_S10_SD_EESH_SX_SI_SJ_SK_EUlSX_E_NS1_11comp_targetILNS1_3genE9ELNS1_11target_archE1100ELNS1_3gpuE3ELNS1_3repE0EEENS1_48merge_mergepath_partition_config_static_selectorELNS0_4arch9wavefront6targetE0EEEvSJ_,comdat
	.protected	_ZN7rocprim17ROCPRIM_400000_NS6detail17trampoline_kernelINS0_14default_configENS1_38merge_sort_block_merge_config_selectorIiiEEZZNS1_27merge_sort_block_merge_implIS3_N6thrust23THRUST_200600_302600_NS6detail15normal_iteratorINS8_10device_ptrIiEEEESD_jNS1_19radix_merge_compareILb0ELb1EiNS0_19identity_decomposerEEEEE10hipError_tT0_T1_T2_jT3_P12ihipStream_tbPNSt15iterator_traitsISI_E10value_typeEPNSO_ISJ_E10value_typeEPSK_NS1_7vsmem_tEENKUlT_SI_SJ_SK_E_clIPiSD_S10_SD_EESH_SX_SI_SJ_SK_EUlSX_E_NS1_11comp_targetILNS1_3genE9ELNS1_11target_archE1100ELNS1_3gpuE3ELNS1_3repE0EEENS1_48merge_mergepath_partition_config_static_selectorELNS0_4arch9wavefront6targetE0EEEvSJ_ ; -- Begin function _ZN7rocprim17ROCPRIM_400000_NS6detail17trampoline_kernelINS0_14default_configENS1_38merge_sort_block_merge_config_selectorIiiEEZZNS1_27merge_sort_block_merge_implIS3_N6thrust23THRUST_200600_302600_NS6detail15normal_iteratorINS8_10device_ptrIiEEEESD_jNS1_19radix_merge_compareILb0ELb1EiNS0_19identity_decomposerEEEEE10hipError_tT0_T1_T2_jT3_P12ihipStream_tbPNSt15iterator_traitsISI_E10value_typeEPNSO_ISJ_E10value_typeEPSK_NS1_7vsmem_tEENKUlT_SI_SJ_SK_E_clIPiSD_S10_SD_EESH_SX_SI_SJ_SK_EUlSX_E_NS1_11comp_targetILNS1_3genE9ELNS1_11target_archE1100ELNS1_3gpuE3ELNS1_3repE0EEENS1_48merge_mergepath_partition_config_static_selectorELNS0_4arch9wavefront6targetE0EEEvSJ_
	.globl	_ZN7rocprim17ROCPRIM_400000_NS6detail17trampoline_kernelINS0_14default_configENS1_38merge_sort_block_merge_config_selectorIiiEEZZNS1_27merge_sort_block_merge_implIS3_N6thrust23THRUST_200600_302600_NS6detail15normal_iteratorINS8_10device_ptrIiEEEESD_jNS1_19radix_merge_compareILb0ELb1EiNS0_19identity_decomposerEEEEE10hipError_tT0_T1_T2_jT3_P12ihipStream_tbPNSt15iterator_traitsISI_E10value_typeEPNSO_ISJ_E10value_typeEPSK_NS1_7vsmem_tEENKUlT_SI_SJ_SK_E_clIPiSD_S10_SD_EESH_SX_SI_SJ_SK_EUlSX_E_NS1_11comp_targetILNS1_3genE9ELNS1_11target_archE1100ELNS1_3gpuE3ELNS1_3repE0EEENS1_48merge_mergepath_partition_config_static_selectorELNS0_4arch9wavefront6targetE0EEEvSJ_
	.p2align	8
	.type	_ZN7rocprim17ROCPRIM_400000_NS6detail17trampoline_kernelINS0_14default_configENS1_38merge_sort_block_merge_config_selectorIiiEEZZNS1_27merge_sort_block_merge_implIS3_N6thrust23THRUST_200600_302600_NS6detail15normal_iteratorINS8_10device_ptrIiEEEESD_jNS1_19radix_merge_compareILb0ELb1EiNS0_19identity_decomposerEEEEE10hipError_tT0_T1_T2_jT3_P12ihipStream_tbPNSt15iterator_traitsISI_E10value_typeEPNSO_ISJ_E10value_typeEPSK_NS1_7vsmem_tEENKUlT_SI_SJ_SK_E_clIPiSD_S10_SD_EESH_SX_SI_SJ_SK_EUlSX_E_NS1_11comp_targetILNS1_3genE9ELNS1_11target_archE1100ELNS1_3gpuE3ELNS1_3repE0EEENS1_48merge_mergepath_partition_config_static_selectorELNS0_4arch9wavefront6targetE0EEEvSJ_,@function
_ZN7rocprim17ROCPRIM_400000_NS6detail17trampoline_kernelINS0_14default_configENS1_38merge_sort_block_merge_config_selectorIiiEEZZNS1_27merge_sort_block_merge_implIS3_N6thrust23THRUST_200600_302600_NS6detail15normal_iteratorINS8_10device_ptrIiEEEESD_jNS1_19radix_merge_compareILb0ELb1EiNS0_19identity_decomposerEEEEE10hipError_tT0_T1_T2_jT3_P12ihipStream_tbPNSt15iterator_traitsISI_E10value_typeEPNSO_ISJ_E10value_typeEPSK_NS1_7vsmem_tEENKUlT_SI_SJ_SK_E_clIPiSD_S10_SD_EESH_SX_SI_SJ_SK_EUlSX_E_NS1_11comp_targetILNS1_3genE9ELNS1_11target_archE1100ELNS1_3gpuE3ELNS1_3repE0EEENS1_48merge_mergepath_partition_config_static_selectorELNS0_4arch9wavefront6targetE0EEEvSJ_: ; @_ZN7rocprim17ROCPRIM_400000_NS6detail17trampoline_kernelINS0_14default_configENS1_38merge_sort_block_merge_config_selectorIiiEEZZNS1_27merge_sort_block_merge_implIS3_N6thrust23THRUST_200600_302600_NS6detail15normal_iteratorINS8_10device_ptrIiEEEESD_jNS1_19radix_merge_compareILb0ELb1EiNS0_19identity_decomposerEEEEE10hipError_tT0_T1_T2_jT3_P12ihipStream_tbPNSt15iterator_traitsISI_E10value_typeEPNSO_ISJ_E10value_typeEPSK_NS1_7vsmem_tEENKUlT_SI_SJ_SK_E_clIPiSD_S10_SD_EESH_SX_SI_SJ_SK_EUlSX_E_NS1_11comp_targetILNS1_3genE9ELNS1_11target_archE1100ELNS1_3gpuE3ELNS1_3repE0EEENS1_48merge_mergepath_partition_config_static_selectorELNS0_4arch9wavefront6targetE0EEEvSJ_
; %bb.0:
	.section	.rodata,"a",@progbits
	.p2align	6, 0x0
	.amdhsa_kernel _ZN7rocprim17ROCPRIM_400000_NS6detail17trampoline_kernelINS0_14default_configENS1_38merge_sort_block_merge_config_selectorIiiEEZZNS1_27merge_sort_block_merge_implIS3_N6thrust23THRUST_200600_302600_NS6detail15normal_iteratorINS8_10device_ptrIiEEEESD_jNS1_19radix_merge_compareILb0ELb1EiNS0_19identity_decomposerEEEEE10hipError_tT0_T1_T2_jT3_P12ihipStream_tbPNSt15iterator_traitsISI_E10value_typeEPNSO_ISJ_E10value_typeEPSK_NS1_7vsmem_tEENKUlT_SI_SJ_SK_E_clIPiSD_S10_SD_EESH_SX_SI_SJ_SK_EUlSX_E_NS1_11comp_targetILNS1_3genE9ELNS1_11target_archE1100ELNS1_3gpuE3ELNS1_3repE0EEENS1_48merge_mergepath_partition_config_static_selectorELNS0_4arch9wavefront6targetE0EEEvSJ_
		.amdhsa_group_segment_fixed_size 0
		.amdhsa_private_segment_fixed_size 0
		.amdhsa_kernarg_size 40
		.amdhsa_user_sgpr_count 6
		.amdhsa_user_sgpr_private_segment_buffer 1
		.amdhsa_user_sgpr_dispatch_ptr 0
		.amdhsa_user_sgpr_queue_ptr 0
		.amdhsa_user_sgpr_kernarg_segment_ptr 1
		.amdhsa_user_sgpr_dispatch_id 0
		.amdhsa_user_sgpr_flat_scratch_init 0
		.amdhsa_user_sgpr_private_segment_size 0
		.amdhsa_wavefront_size32 1
		.amdhsa_uses_dynamic_stack 0
		.amdhsa_system_sgpr_private_segment_wavefront_offset 0
		.amdhsa_system_sgpr_workgroup_id_x 1
		.amdhsa_system_sgpr_workgroup_id_y 0
		.amdhsa_system_sgpr_workgroup_id_z 0
		.amdhsa_system_sgpr_workgroup_info 0
		.amdhsa_system_vgpr_workitem_id 0
		.amdhsa_next_free_vgpr 1
		.amdhsa_next_free_sgpr 1
		.amdhsa_reserve_vcc 0
		.amdhsa_reserve_flat_scratch 0
		.amdhsa_float_round_mode_32 0
		.amdhsa_float_round_mode_16_64 0
		.amdhsa_float_denorm_mode_32 3
		.amdhsa_float_denorm_mode_16_64 3
		.amdhsa_dx10_clamp 1
		.amdhsa_ieee_mode 1
		.amdhsa_fp16_overflow 0
		.amdhsa_workgroup_processor_mode 1
		.amdhsa_memory_ordered 1
		.amdhsa_forward_progress 1
		.amdhsa_shared_vgpr_count 0
		.amdhsa_exception_fp_ieee_invalid_op 0
		.amdhsa_exception_fp_denorm_src 0
		.amdhsa_exception_fp_ieee_div_zero 0
		.amdhsa_exception_fp_ieee_overflow 0
		.amdhsa_exception_fp_ieee_underflow 0
		.amdhsa_exception_fp_ieee_inexact 0
		.amdhsa_exception_int_div_zero 0
	.end_amdhsa_kernel
	.section	.text._ZN7rocprim17ROCPRIM_400000_NS6detail17trampoline_kernelINS0_14default_configENS1_38merge_sort_block_merge_config_selectorIiiEEZZNS1_27merge_sort_block_merge_implIS3_N6thrust23THRUST_200600_302600_NS6detail15normal_iteratorINS8_10device_ptrIiEEEESD_jNS1_19radix_merge_compareILb0ELb1EiNS0_19identity_decomposerEEEEE10hipError_tT0_T1_T2_jT3_P12ihipStream_tbPNSt15iterator_traitsISI_E10value_typeEPNSO_ISJ_E10value_typeEPSK_NS1_7vsmem_tEENKUlT_SI_SJ_SK_E_clIPiSD_S10_SD_EESH_SX_SI_SJ_SK_EUlSX_E_NS1_11comp_targetILNS1_3genE9ELNS1_11target_archE1100ELNS1_3gpuE3ELNS1_3repE0EEENS1_48merge_mergepath_partition_config_static_selectorELNS0_4arch9wavefront6targetE0EEEvSJ_,"axG",@progbits,_ZN7rocprim17ROCPRIM_400000_NS6detail17trampoline_kernelINS0_14default_configENS1_38merge_sort_block_merge_config_selectorIiiEEZZNS1_27merge_sort_block_merge_implIS3_N6thrust23THRUST_200600_302600_NS6detail15normal_iteratorINS8_10device_ptrIiEEEESD_jNS1_19radix_merge_compareILb0ELb1EiNS0_19identity_decomposerEEEEE10hipError_tT0_T1_T2_jT3_P12ihipStream_tbPNSt15iterator_traitsISI_E10value_typeEPNSO_ISJ_E10value_typeEPSK_NS1_7vsmem_tEENKUlT_SI_SJ_SK_E_clIPiSD_S10_SD_EESH_SX_SI_SJ_SK_EUlSX_E_NS1_11comp_targetILNS1_3genE9ELNS1_11target_archE1100ELNS1_3gpuE3ELNS1_3repE0EEENS1_48merge_mergepath_partition_config_static_selectorELNS0_4arch9wavefront6targetE0EEEvSJ_,comdat
.Lfunc_end762:
	.size	_ZN7rocprim17ROCPRIM_400000_NS6detail17trampoline_kernelINS0_14default_configENS1_38merge_sort_block_merge_config_selectorIiiEEZZNS1_27merge_sort_block_merge_implIS3_N6thrust23THRUST_200600_302600_NS6detail15normal_iteratorINS8_10device_ptrIiEEEESD_jNS1_19radix_merge_compareILb0ELb1EiNS0_19identity_decomposerEEEEE10hipError_tT0_T1_T2_jT3_P12ihipStream_tbPNSt15iterator_traitsISI_E10value_typeEPNSO_ISJ_E10value_typeEPSK_NS1_7vsmem_tEENKUlT_SI_SJ_SK_E_clIPiSD_S10_SD_EESH_SX_SI_SJ_SK_EUlSX_E_NS1_11comp_targetILNS1_3genE9ELNS1_11target_archE1100ELNS1_3gpuE3ELNS1_3repE0EEENS1_48merge_mergepath_partition_config_static_selectorELNS0_4arch9wavefront6targetE0EEEvSJ_, .Lfunc_end762-_ZN7rocprim17ROCPRIM_400000_NS6detail17trampoline_kernelINS0_14default_configENS1_38merge_sort_block_merge_config_selectorIiiEEZZNS1_27merge_sort_block_merge_implIS3_N6thrust23THRUST_200600_302600_NS6detail15normal_iteratorINS8_10device_ptrIiEEEESD_jNS1_19radix_merge_compareILb0ELb1EiNS0_19identity_decomposerEEEEE10hipError_tT0_T1_T2_jT3_P12ihipStream_tbPNSt15iterator_traitsISI_E10value_typeEPNSO_ISJ_E10value_typeEPSK_NS1_7vsmem_tEENKUlT_SI_SJ_SK_E_clIPiSD_S10_SD_EESH_SX_SI_SJ_SK_EUlSX_E_NS1_11comp_targetILNS1_3genE9ELNS1_11target_archE1100ELNS1_3gpuE3ELNS1_3repE0EEENS1_48merge_mergepath_partition_config_static_selectorELNS0_4arch9wavefront6targetE0EEEvSJ_
                                        ; -- End function
	.set _ZN7rocprim17ROCPRIM_400000_NS6detail17trampoline_kernelINS0_14default_configENS1_38merge_sort_block_merge_config_selectorIiiEEZZNS1_27merge_sort_block_merge_implIS3_N6thrust23THRUST_200600_302600_NS6detail15normal_iteratorINS8_10device_ptrIiEEEESD_jNS1_19radix_merge_compareILb0ELb1EiNS0_19identity_decomposerEEEEE10hipError_tT0_T1_T2_jT3_P12ihipStream_tbPNSt15iterator_traitsISI_E10value_typeEPNSO_ISJ_E10value_typeEPSK_NS1_7vsmem_tEENKUlT_SI_SJ_SK_E_clIPiSD_S10_SD_EESH_SX_SI_SJ_SK_EUlSX_E_NS1_11comp_targetILNS1_3genE9ELNS1_11target_archE1100ELNS1_3gpuE3ELNS1_3repE0EEENS1_48merge_mergepath_partition_config_static_selectorELNS0_4arch9wavefront6targetE0EEEvSJ_.num_vgpr, 0
	.set _ZN7rocprim17ROCPRIM_400000_NS6detail17trampoline_kernelINS0_14default_configENS1_38merge_sort_block_merge_config_selectorIiiEEZZNS1_27merge_sort_block_merge_implIS3_N6thrust23THRUST_200600_302600_NS6detail15normal_iteratorINS8_10device_ptrIiEEEESD_jNS1_19radix_merge_compareILb0ELb1EiNS0_19identity_decomposerEEEEE10hipError_tT0_T1_T2_jT3_P12ihipStream_tbPNSt15iterator_traitsISI_E10value_typeEPNSO_ISJ_E10value_typeEPSK_NS1_7vsmem_tEENKUlT_SI_SJ_SK_E_clIPiSD_S10_SD_EESH_SX_SI_SJ_SK_EUlSX_E_NS1_11comp_targetILNS1_3genE9ELNS1_11target_archE1100ELNS1_3gpuE3ELNS1_3repE0EEENS1_48merge_mergepath_partition_config_static_selectorELNS0_4arch9wavefront6targetE0EEEvSJ_.num_agpr, 0
	.set _ZN7rocprim17ROCPRIM_400000_NS6detail17trampoline_kernelINS0_14default_configENS1_38merge_sort_block_merge_config_selectorIiiEEZZNS1_27merge_sort_block_merge_implIS3_N6thrust23THRUST_200600_302600_NS6detail15normal_iteratorINS8_10device_ptrIiEEEESD_jNS1_19radix_merge_compareILb0ELb1EiNS0_19identity_decomposerEEEEE10hipError_tT0_T1_T2_jT3_P12ihipStream_tbPNSt15iterator_traitsISI_E10value_typeEPNSO_ISJ_E10value_typeEPSK_NS1_7vsmem_tEENKUlT_SI_SJ_SK_E_clIPiSD_S10_SD_EESH_SX_SI_SJ_SK_EUlSX_E_NS1_11comp_targetILNS1_3genE9ELNS1_11target_archE1100ELNS1_3gpuE3ELNS1_3repE0EEENS1_48merge_mergepath_partition_config_static_selectorELNS0_4arch9wavefront6targetE0EEEvSJ_.numbered_sgpr, 0
	.set _ZN7rocprim17ROCPRIM_400000_NS6detail17trampoline_kernelINS0_14default_configENS1_38merge_sort_block_merge_config_selectorIiiEEZZNS1_27merge_sort_block_merge_implIS3_N6thrust23THRUST_200600_302600_NS6detail15normal_iteratorINS8_10device_ptrIiEEEESD_jNS1_19radix_merge_compareILb0ELb1EiNS0_19identity_decomposerEEEEE10hipError_tT0_T1_T2_jT3_P12ihipStream_tbPNSt15iterator_traitsISI_E10value_typeEPNSO_ISJ_E10value_typeEPSK_NS1_7vsmem_tEENKUlT_SI_SJ_SK_E_clIPiSD_S10_SD_EESH_SX_SI_SJ_SK_EUlSX_E_NS1_11comp_targetILNS1_3genE9ELNS1_11target_archE1100ELNS1_3gpuE3ELNS1_3repE0EEENS1_48merge_mergepath_partition_config_static_selectorELNS0_4arch9wavefront6targetE0EEEvSJ_.num_named_barrier, 0
	.set _ZN7rocprim17ROCPRIM_400000_NS6detail17trampoline_kernelINS0_14default_configENS1_38merge_sort_block_merge_config_selectorIiiEEZZNS1_27merge_sort_block_merge_implIS3_N6thrust23THRUST_200600_302600_NS6detail15normal_iteratorINS8_10device_ptrIiEEEESD_jNS1_19radix_merge_compareILb0ELb1EiNS0_19identity_decomposerEEEEE10hipError_tT0_T1_T2_jT3_P12ihipStream_tbPNSt15iterator_traitsISI_E10value_typeEPNSO_ISJ_E10value_typeEPSK_NS1_7vsmem_tEENKUlT_SI_SJ_SK_E_clIPiSD_S10_SD_EESH_SX_SI_SJ_SK_EUlSX_E_NS1_11comp_targetILNS1_3genE9ELNS1_11target_archE1100ELNS1_3gpuE3ELNS1_3repE0EEENS1_48merge_mergepath_partition_config_static_selectorELNS0_4arch9wavefront6targetE0EEEvSJ_.private_seg_size, 0
	.set _ZN7rocprim17ROCPRIM_400000_NS6detail17trampoline_kernelINS0_14default_configENS1_38merge_sort_block_merge_config_selectorIiiEEZZNS1_27merge_sort_block_merge_implIS3_N6thrust23THRUST_200600_302600_NS6detail15normal_iteratorINS8_10device_ptrIiEEEESD_jNS1_19radix_merge_compareILb0ELb1EiNS0_19identity_decomposerEEEEE10hipError_tT0_T1_T2_jT3_P12ihipStream_tbPNSt15iterator_traitsISI_E10value_typeEPNSO_ISJ_E10value_typeEPSK_NS1_7vsmem_tEENKUlT_SI_SJ_SK_E_clIPiSD_S10_SD_EESH_SX_SI_SJ_SK_EUlSX_E_NS1_11comp_targetILNS1_3genE9ELNS1_11target_archE1100ELNS1_3gpuE3ELNS1_3repE0EEENS1_48merge_mergepath_partition_config_static_selectorELNS0_4arch9wavefront6targetE0EEEvSJ_.uses_vcc, 0
	.set _ZN7rocprim17ROCPRIM_400000_NS6detail17trampoline_kernelINS0_14default_configENS1_38merge_sort_block_merge_config_selectorIiiEEZZNS1_27merge_sort_block_merge_implIS3_N6thrust23THRUST_200600_302600_NS6detail15normal_iteratorINS8_10device_ptrIiEEEESD_jNS1_19radix_merge_compareILb0ELb1EiNS0_19identity_decomposerEEEEE10hipError_tT0_T1_T2_jT3_P12ihipStream_tbPNSt15iterator_traitsISI_E10value_typeEPNSO_ISJ_E10value_typeEPSK_NS1_7vsmem_tEENKUlT_SI_SJ_SK_E_clIPiSD_S10_SD_EESH_SX_SI_SJ_SK_EUlSX_E_NS1_11comp_targetILNS1_3genE9ELNS1_11target_archE1100ELNS1_3gpuE3ELNS1_3repE0EEENS1_48merge_mergepath_partition_config_static_selectorELNS0_4arch9wavefront6targetE0EEEvSJ_.uses_flat_scratch, 0
	.set _ZN7rocprim17ROCPRIM_400000_NS6detail17trampoline_kernelINS0_14default_configENS1_38merge_sort_block_merge_config_selectorIiiEEZZNS1_27merge_sort_block_merge_implIS3_N6thrust23THRUST_200600_302600_NS6detail15normal_iteratorINS8_10device_ptrIiEEEESD_jNS1_19radix_merge_compareILb0ELb1EiNS0_19identity_decomposerEEEEE10hipError_tT0_T1_T2_jT3_P12ihipStream_tbPNSt15iterator_traitsISI_E10value_typeEPNSO_ISJ_E10value_typeEPSK_NS1_7vsmem_tEENKUlT_SI_SJ_SK_E_clIPiSD_S10_SD_EESH_SX_SI_SJ_SK_EUlSX_E_NS1_11comp_targetILNS1_3genE9ELNS1_11target_archE1100ELNS1_3gpuE3ELNS1_3repE0EEENS1_48merge_mergepath_partition_config_static_selectorELNS0_4arch9wavefront6targetE0EEEvSJ_.has_dyn_sized_stack, 0
	.set _ZN7rocprim17ROCPRIM_400000_NS6detail17trampoline_kernelINS0_14default_configENS1_38merge_sort_block_merge_config_selectorIiiEEZZNS1_27merge_sort_block_merge_implIS3_N6thrust23THRUST_200600_302600_NS6detail15normal_iteratorINS8_10device_ptrIiEEEESD_jNS1_19radix_merge_compareILb0ELb1EiNS0_19identity_decomposerEEEEE10hipError_tT0_T1_T2_jT3_P12ihipStream_tbPNSt15iterator_traitsISI_E10value_typeEPNSO_ISJ_E10value_typeEPSK_NS1_7vsmem_tEENKUlT_SI_SJ_SK_E_clIPiSD_S10_SD_EESH_SX_SI_SJ_SK_EUlSX_E_NS1_11comp_targetILNS1_3genE9ELNS1_11target_archE1100ELNS1_3gpuE3ELNS1_3repE0EEENS1_48merge_mergepath_partition_config_static_selectorELNS0_4arch9wavefront6targetE0EEEvSJ_.has_recursion, 0
	.set _ZN7rocprim17ROCPRIM_400000_NS6detail17trampoline_kernelINS0_14default_configENS1_38merge_sort_block_merge_config_selectorIiiEEZZNS1_27merge_sort_block_merge_implIS3_N6thrust23THRUST_200600_302600_NS6detail15normal_iteratorINS8_10device_ptrIiEEEESD_jNS1_19radix_merge_compareILb0ELb1EiNS0_19identity_decomposerEEEEE10hipError_tT0_T1_T2_jT3_P12ihipStream_tbPNSt15iterator_traitsISI_E10value_typeEPNSO_ISJ_E10value_typeEPSK_NS1_7vsmem_tEENKUlT_SI_SJ_SK_E_clIPiSD_S10_SD_EESH_SX_SI_SJ_SK_EUlSX_E_NS1_11comp_targetILNS1_3genE9ELNS1_11target_archE1100ELNS1_3gpuE3ELNS1_3repE0EEENS1_48merge_mergepath_partition_config_static_selectorELNS0_4arch9wavefront6targetE0EEEvSJ_.has_indirect_call, 0
	.section	.AMDGPU.csdata,"",@progbits
; Kernel info:
; codeLenInByte = 0
; TotalNumSgprs: 0
; NumVgprs: 0
; ScratchSize: 0
; MemoryBound: 0
; FloatMode: 240
; IeeeMode: 1
; LDSByteSize: 0 bytes/workgroup (compile time only)
; SGPRBlocks: 0
; VGPRBlocks: 0
; NumSGPRsForWavesPerEU: 1
; NumVGPRsForWavesPerEU: 1
; Occupancy: 16
; WaveLimiterHint : 0
; COMPUTE_PGM_RSRC2:SCRATCH_EN: 0
; COMPUTE_PGM_RSRC2:USER_SGPR: 6
; COMPUTE_PGM_RSRC2:TRAP_HANDLER: 0
; COMPUTE_PGM_RSRC2:TGID_X_EN: 1
; COMPUTE_PGM_RSRC2:TGID_Y_EN: 0
; COMPUTE_PGM_RSRC2:TGID_Z_EN: 0
; COMPUTE_PGM_RSRC2:TIDIG_COMP_CNT: 0
	.section	.text._ZN7rocprim17ROCPRIM_400000_NS6detail17trampoline_kernelINS0_14default_configENS1_38merge_sort_block_merge_config_selectorIiiEEZZNS1_27merge_sort_block_merge_implIS3_N6thrust23THRUST_200600_302600_NS6detail15normal_iteratorINS8_10device_ptrIiEEEESD_jNS1_19radix_merge_compareILb0ELb1EiNS0_19identity_decomposerEEEEE10hipError_tT0_T1_T2_jT3_P12ihipStream_tbPNSt15iterator_traitsISI_E10value_typeEPNSO_ISJ_E10value_typeEPSK_NS1_7vsmem_tEENKUlT_SI_SJ_SK_E_clIPiSD_S10_SD_EESH_SX_SI_SJ_SK_EUlSX_E_NS1_11comp_targetILNS1_3genE8ELNS1_11target_archE1030ELNS1_3gpuE2ELNS1_3repE0EEENS1_48merge_mergepath_partition_config_static_selectorELNS0_4arch9wavefront6targetE0EEEvSJ_,"axG",@progbits,_ZN7rocprim17ROCPRIM_400000_NS6detail17trampoline_kernelINS0_14default_configENS1_38merge_sort_block_merge_config_selectorIiiEEZZNS1_27merge_sort_block_merge_implIS3_N6thrust23THRUST_200600_302600_NS6detail15normal_iteratorINS8_10device_ptrIiEEEESD_jNS1_19radix_merge_compareILb0ELb1EiNS0_19identity_decomposerEEEEE10hipError_tT0_T1_T2_jT3_P12ihipStream_tbPNSt15iterator_traitsISI_E10value_typeEPNSO_ISJ_E10value_typeEPSK_NS1_7vsmem_tEENKUlT_SI_SJ_SK_E_clIPiSD_S10_SD_EESH_SX_SI_SJ_SK_EUlSX_E_NS1_11comp_targetILNS1_3genE8ELNS1_11target_archE1030ELNS1_3gpuE2ELNS1_3repE0EEENS1_48merge_mergepath_partition_config_static_selectorELNS0_4arch9wavefront6targetE0EEEvSJ_,comdat
	.protected	_ZN7rocprim17ROCPRIM_400000_NS6detail17trampoline_kernelINS0_14default_configENS1_38merge_sort_block_merge_config_selectorIiiEEZZNS1_27merge_sort_block_merge_implIS3_N6thrust23THRUST_200600_302600_NS6detail15normal_iteratorINS8_10device_ptrIiEEEESD_jNS1_19radix_merge_compareILb0ELb1EiNS0_19identity_decomposerEEEEE10hipError_tT0_T1_T2_jT3_P12ihipStream_tbPNSt15iterator_traitsISI_E10value_typeEPNSO_ISJ_E10value_typeEPSK_NS1_7vsmem_tEENKUlT_SI_SJ_SK_E_clIPiSD_S10_SD_EESH_SX_SI_SJ_SK_EUlSX_E_NS1_11comp_targetILNS1_3genE8ELNS1_11target_archE1030ELNS1_3gpuE2ELNS1_3repE0EEENS1_48merge_mergepath_partition_config_static_selectorELNS0_4arch9wavefront6targetE0EEEvSJ_ ; -- Begin function _ZN7rocprim17ROCPRIM_400000_NS6detail17trampoline_kernelINS0_14default_configENS1_38merge_sort_block_merge_config_selectorIiiEEZZNS1_27merge_sort_block_merge_implIS3_N6thrust23THRUST_200600_302600_NS6detail15normal_iteratorINS8_10device_ptrIiEEEESD_jNS1_19radix_merge_compareILb0ELb1EiNS0_19identity_decomposerEEEEE10hipError_tT0_T1_T2_jT3_P12ihipStream_tbPNSt15iterator_traitsISI_E10value_typeEPNSO_ISJ_E10value_typeEPSK_NS1_7vsmem_tEENKUlT_SI_SJ_SK_E_clIPiSD_S10_SD_EESH_SX_SI_SJ_SK_EUlSX_E_NS1_11comp_targetILNS1_3genE8ELNS1_11target_archE1030ELNS1_3gpuE2ELNS1_3repE0EEENS1_48merge_mergepath_partition_config_static_selectorELNS0_4arch9wavefront6targetE0EEEvSJ_
	.globl	_ZN7rocprim17ROCPRIM_400000_NS6detail17trampoline_kernelINS0_14default_configENS1_38merge_sort_block_merge_config_selectorIiiEEZZNS1_27merge_sort_block_merge_implIS3_N6thrust23THRUST_200600_302600_NS6detail15normal_iteratorINS8_10device_ptrIiEEEESD_jNS1_19radix_merge_compareILb0ELb1EiNS0_19identity_decomposerEEEEE10hipError_tT0_T1_T2_jT3_P12ihipStream_tbPNSt15iterator_traitsISI_E10value_typeEPNSO_ISJ_E10value_typeEPSK_NS1_7vsmem_tEENKUlT_SI_SJ_SK_E_clIPiSD_S10_SD_EESH_SX_SI_SJ_SK_EUlSX_E_NS1_11comp_targetILNS1_3genE8ELNS1_11target_archE1030ELNS1_3gpuE2ELNS1_3repE0EEENS1_48merge_mergepath_partition_config_static_selectorELNS0_4arch9wavefront6targetE0EEEvSJ_
	.p2align	8
	.type	_ZN7rocprim17ROCPRIM_400000_NS6detail17trampoline_kernelINS0_14default_configENS1_38merge_sort_block_merge_config_selectorIiiEEZZNS1_27merge_sort_block_merge_implIS3_N6thrust23THRUST_200600_302600_NS6detail15normal_iteratorINS8_10device_ptrIiEEEESD_jNS1_19radix_merge_compareILb0ELb1EiNS0_19identity_decomposerEEEEE10hipError_tT0_T1_T2_jT3_P12ihipStream_tbPNSt15iterator_traitsISI_E10value_typeEPNSO_ISJ_E10value_typeEPSK_NS1_7vsmem_tEENKUlT_SI_SJ_SK_E_clIPiSD_S10_SD_EESH_SX_SI_SJ_SK_EUlSX_E_NS1_11comp_targetILNS1_3genE8ELNS1_11target_archE1030ELNS1_3gpuE2ELNS1_3repE0EEENS1_48merge_mergepath_partition_config_static_selectorELNS0_4arch9wavefront6targetE0EEEvSJ_,@function
_ZN7rocprim17ROCPRIM_400000_NS6detail17trampoline_kernelINS0_14default_configENS1_38merge_sort_block_merge_config_selectorIiiEEZZNS1_27merge_sort_block_merge_implIS3_N6thrust23THRUST_200600_302600_NS6detail15normal_iteratorINS8_10device_ptrIiEEEESD_jNS1_19radix_merge_compareILb0ELb1EiNS0_19identity_decomposerEEEEE10hipError_tT0_T1_T2_jT3_P12ihipStream_tbPNSt15iterator_traitsISI_E10value_typeEPNSO_ISJ_E10value_typeEPSK_NS1_7vsmem_tEENKUlT_SI_SJ_SK_E_clIPiSD_S10_SD_EESH_SX_SI_SJ_SK_EUlSX_E_NS1_11comp_targetILNS1_3genE8ELNS1_11target_archE1030ELNS1_3gpuE2ELNS1_3repE0EEENS1_48merge_mergepath_partition_config_static_selectorELNS0_4arch9wavefront6targetE0EEEvSJ_: ; @_ZN7rocprim17ROCPRIM_400000_NS6detail17trampoline_kernelINS0_14default_configENS1_38merge_sort_block_merge_config_selectorIiiEEZZNS1_27merge_sort_block_merge_implIS3_N6thrust23THRUST_200600_302600_NS6detail15normal_iteratorINS8_10device_ptrIiEEEESD_jNS1_19radix_merge_compareILb0ELb1EiNS0_19identity_decomposerEEEEE10hipError_tT0_T1_T2_jT3_P12ihipStream_tbPNSt15iterator_traitsISI_E10value_typeEPNSO_ISJ_E10value_typeEPSK_NS1_7vsmem_tEENKUlT_SI_SJ_SK_E_clIPiSD_S10_SD_EESH_SX_SI_SJ_SK_EUlSX_E_NS1_11comp_targetILNS1_3genE8ELNS1_11target_archE1030ELNS1_3gpuE2ELNS1_3repE0EEENS1_48merge_mergepath_partition_config_static_selectorELNS0_4arch9wavefront6targetE0EEEvSJ_
; %bb.0:
	s_load_dword s0, s[4:5], 0x0
	v_lshl_or_b32 v0, s6, 7, v0
	s_waitcnt lgkmcnt(0)
	v_cmp_gt_u32_e32 vcc_lo, s0, v0
	s_and_saveexec_b32 s0, vcc_lo
	s_cbranch_execz .LBB763_6
; %bb.1:
	s_load_dwordx2 s[0:1], s[4:5], 0x4
	s_waitcnt lgkmcnt(0)
	s_lshr_b32 s2, s0, 9
	s_and_b32 s2, s2, 0x7ffffe
	s_sub_i32 s3, 0, s2
	s_add_i32 s2, s2, -1
	v_and_b32_e32 v1, s3, v0
	v_and_b32_e32 v5, s2, v0
	s_mov_b32 s3, 0
	s_mov_b32 s2, exec_lo
	v_lshlrev_b32_e32 v1, 10, v1
	v_add_nc_u32_e32 v2, s0, v1
	v_min_u32_e32 v4, s1, v2
	v_min_u32_e32 v2, s1, v1
	v_add_nc_u32_e32 v3, s0, v4
	v_min_u32_e32 v1, s1, v3
	s_load_dwordx2 s[0:1], s[4:5], 0x20
	v_lshlrev_b32_e32 v3, 10, v5
	v_sub_nc_u32_e32 v5, v1, v2
	v_sub_nc_u32_e32 v6, v1, v4
	v_min_u32_e32 v1, v5, v3
	v_sub_nc_u32_e32 v3, v4, v2
	v_sub_nc_u32_e64 v6, v1, v6 clamp
	v_min_u32_e32 v7, v1, v3
	v_cmpx_lt_u32_e64 v6, v7
	s_cbranch_execz .LBB763_5
; %bb.2:
	s_load_dwordx2 s[6:7], s[4:5], 0x10
	v_mov_b32_e32 v5, 0
	s_load_dword s4, s[4:5], 0x18
	v_mov_b32_e32 v3, v5
	v_lshlrev_b64 v[10:11], 2, v[4:5]
	v_lshlrev_b64 v[8:9], 2, v[2:3]
	s_waitcnt lgkmcnt(0)
	v_add_co_u32 v3, vcc_lo, s6, v8
	v_add_co_ci_u32_e64 v8, null, s7, v9, vcc_lo
	v_add_co_u32 v9, vcc_lo, s6, v10
	v_add_co_ci_u32_e64 v10, null, s7, v11, vcc_lo
	.p2align	6
.LBB763_3:                              ; =>This Inner Loop Header: Depth=1
	v_add_nc_u32_e32 v4, v7, v6
	v_mov_b32_e32 v12, v5
	v_lshrrev_b32_e32 v4, 1, v4
	v_xad_u32 v11, v4, -1, v1
	v_lshlrev_b64 v[13:14], 2, v[4:5]
	v_lshlrev_b64 v[11:12], 2, v[11:12]
	v_add_co_u32 v13, vcc_lo, v3, v13
	v_add_co_ci_u32_e64 v14, null, v8, v14, vcc_lo
	v_add_co_u32 v11, vcc_lo, v9, v11
	v_add_co_ci_u32_e64 v12, null, v10, v12, vcc_lo
	s_clause 0x1
	global_load_dword v13, v[13:14], off
	global_load_dword v11, v[11:12], off
	s_waitcnt vmcnt(1)
	v_and_b32_e32 v12, s4, v13
	s_waitcnt vmcnt(0)
	v_and_b32_e32 v11, s4, v11
	v_add_nc_u32_e32 v13, 1, v4
	v_cmp_gt_i32_e32 vcc_lo, v12, v11
	v_cndmask_b32_e32 v7, v7, v4, vcc_lo
	v_cndmask_b32_e32 v6, v13, v6, vcc_lo
	v_cmp_ge_u32_e32 vcc_lo, v6, v7
	s_or_b32 s3, vcc_lo, s3
	s_andn2_b32 exec_lo, exec_lo, s3
	s_cbranch_execnz .LBB763_3
; %bb.4:
	s_or_b32 exec_lo, exec_lo, s3
.LBB763_5:
	s_or_b32 exec_lo, exec_lo, s2
	v_mov_b32_e32 v1, 0
	v_add_nc_u32_e32 v2, v6, v2
	v_lshlrev_b64 v[0:1], 2, v[0:1]
	s_waitcnt lgkmcnt(0)
	v_add_co_u32 v0, vcc_lo, s0, v0
	v_add_co_ci_u32_e64 v1, null, s1, v1, vcc_lo
	global_store_dword v[0:1], v2, off
.LBB763_6:
	s_endpgm
	.section	.rodata,"a",@progbits
	.p2align	6, 0x0
	.amdhsa_kernel _ZN7rocprim17ROCPRIM_400000_NS6detail17trampoline_kernelINS0_14default_configENS1_38merge_sort_block_merge_config_selectorIiiEEZZNS1_27merge_sort_block_merge_implIS3_N6thrust23THRUST_200600_302600_NS6detail15normal_iteratorINS8_10device_ptrIiEEEESD_jNS1_19radix_merge_compareILb0ELb1EiNS0_19identity_decomposerEEEEE10hipError_tT0_T1_T2_jT3_P12ihipStream_tbPNSt15iterator_traitsISI_E10value_typeEPNSO_ISJ_E10value_typeEPSK_NS1_7vsmem_tEENKUlT_SI_SJ_SK_E_clIPiSD_S10_SD_EESH_SX_SI_SJ_SK_EUlSX_E_NS1_11comp_targetILNS1_3genE8ELNS1_11target_archE1030ELNS1_3gpuE2ELNS1_3repE0EEENS1_48merge_mergepath_partition_config_static_selectorELNS0_4arch9wavefront6targetE0EEEvSJ_
		.amdhsa_group_segment_fixed_size 0
		.amdhsa_private_segment_fixed_size 0
		.amdhsa_kernarg_size 40
		.amdhsa_user_sgpr_count 6
		.amdhsa_user_sgpr_private_segment_buffer 1
		.amdhsa_user_sgpr_dispatch_ptr 0
		.amdhsa_user_sgpr_queue_ptr 0
		.amdhsa_user_sgpr_kernarg_segment_ptr 1
		.amdhsa_user_sgpr_dispatch_id 0
		.amdhsa_user_sgpr_flat_scratch_init 0
		.amdhsa_user_sgpr_private_segment_size 0
		.amdhsa_wavefront_size32 1
		.amdhsa_uses_dynamic_stack 0
		.amdhsa_system_sgpr_private_segment_wavefront_offset 0
		.amdhsa_system_sgpr_workgroup_id_x 1
		.amdhsa_system_sgpr_workgroup_id_y 0
		.amdhsa_system_sgpr_workgroup_id_z 0
		.amdhsa_system_sgpr_workgroup_info 0
		.amdhsa_system_vgpr_workitem_id 0
		.amdhsa_next_free_vgpr 15
		.amdhsa_next_free_sgpr 8
		.amdhsa_reserve_vcc 1
		.amdhsa_reserve_flat_scratch 0
		.amdhsa_float_round_mode_32 0
		.amdhsa_float_round_mode_16_64 0
		.amdhsa_float_denorm_mode_32 3
		.amdhsa_float_denorm_mode_16_64 3
		.amdhsa_dx10_clamp 1
		.amdhsa_ieee_mode 1
		.amdhsa_fp16_overflow 0
		.amdhsa_workgroup_processor_mode 1
		.amdhsa_memory_ordered 1
		.amdhsa_forward_progress 1
		.amdhsa_shared_vgpr_count 0
		.amdhsa_exception_fp_ieee_invalid_op 0
		.amdhsa_exception_fp_denorm_src 0
		.amdhsa_exception_fp_ieee_div_zero 0
		.amdhsa_exception_fp_ieee_overflow 0
		.amdhsa_exception_fp_ieee_underflow 0
		.amdhsa_exception_fp_ieee_inexact 0
		.amdhsa_exception_int_div_zero 0
	.end_amdhsa_kernel
	.section	.text._ZN7rocprim17ROCPRIM_400000_NS6detail17trampoline_kernelINS0_14default_configENS1_38merge_sort_block_merge_config_selectorIiiEEZZNS1_27merge_sort_block_merge_implIS3_N6thrust23THRUST_200600_302600_NS6detail15normal_iteratorINS8_10device_ptrIiEEEESD_jNS1_19radix_merge_compareILb0ELb1EiNS0_19identity_decomposerEEEEE10hipError_tT0_T1_T2_jT3_P12ihipStream_tbPNSt15iterator_traitsISI_E10value_typeEPNSO_ISJ_E10value_typeEPSK_NS1_7vsmem_tEENKUlT_SI_SJ_SK_E_clIPiSD_S10_SD_EESH_SX_SI_SJ_SK_EUlSX_E_NS1_11comp_targetILNS1_3genE8ELNS1_11target_archE1030ELNS1_3gpuE2ELNS1_3repE0EEENS1_48merge_mergepath_partition_config_static_selectorELNS0_4arch9wavefront6targetE0EEEvSJ_,"axG",@progbits,_ZN7rocprim17ROCPRIM_400000_NS6detail17trampoline_kernelINS0_14default_configENS1_38merge_sort_block_merge_config_selectorIiiEEZZNS1_27merge_sort_block_merge_implIS3_N6thrust23THRUST_200600_302600_NS6detail15normal_iteratorINS8_10device_ptrIiEEEESD_jNS1_19radix_merge_compareILb0ELb1EiNS0_19identity_decomposerEEEEE10hipError_tT0_T1_T2_jT3_P12ihipStream_tbPNSt15iterator_traitsISI_E10value_typeEPNSO_ISJ_E10value_typeEPSK_NS1_7vsmem_tEENKUlT_SI_SJ_SK_E_clIPiSD_S10_SD_EESH_SX_SI_SJ_SK_EUlSX_E_NS1_11comp_targetILNS1_3genE8ELNS1_11target_archE1030ELNS1_3gpuE2ELNS1_3repE0EEENS1_48merge_mergepath_partition_config_static_selectorELNS0_4arch9wavefront6targetE0EEEvSJ_,comdat
.Lfunc_end763:
	.size	_ZN7rocprim17ROCPRIM_400000_NS6detail17trampoline_kernelINS0_14default_configENS1_38merge_sort_block_merge_config_selectorIiiEEZZNS1_27merge_sort_block_merge_implIS3_N6thrust23THRUST_200600_302600_NS6detail15normal_iteratorINS8_10device_ptrIiEEEESD_jNS1_19radix_merge_compareILb0ELb1EiNS0_19identity_decomposerEEEEE10hipError_tT0_T1_T2_jT3_P12ihipStream_tbPNSt15iterator_traitsISI_E10value_typeEPNSO_ISJ_E10value_typeEPSK_NS1_7vsmem_tEENKUlT_SI_SJ_SK_E_clIPiSD_S10_SD_EESH_SX_SI_SJ_SK_EUlSX_E_NS1_11comp_targetILNS1_3genE8ELNS1_11target_archE1030ELNS1_3gpuE2ELNS1_3repE0EEENS1_48merge_mergepath_partition_config_static_selectorELNS0_4arch9wavefront6targetE0EEEvSJ_, .Lfunc_end763-_ZN7rocprim17ROCPRIM_400000_NS6detail17trampoline_kernelINS0_14default_configENS1_38merge_sort_block_merge_config_selectorIiiEEZZNS1_27merge_sort_block_merge_implIS3_N6thrust23THRUST_200600_302600_NS6detail15normal_iteratorINS8_10device_ptrIiEEEESD_jNS1_19radix_merge_compareILb0ELb1EiNS0_19identity_decomposerEEEEE10hipError_tT0_T1_T2_jT3_P12ihipStream_tbPNSt15iterator_traitsISI_E10value_typeEPNSO_ISJ_E10value_typeEPSK_NS1_7vsmem_tEENKUlT_SI_SJ_SK_E_clIPiSD_S10_SD_EESH_SX_SI_SJ_SK_EUlSX_E_NS1_11comp_targetILNS1_3genE8ELNS1_11target_archE1030ELNS1_3gpuE2ELNS1_3repE0EEENS1_48merge_mergepath_partition_config_static_selectorELNS0_4arch9wavefront6targetE0EEEvSJ_
                                        ; -- End function
	.set _ZN7rocprim17ROCPRIM_400000_NS6detail17trampoline_kernelINS0_14default_configENS1_38merge_sort_block_merge_config_selectorIiiEEZZNS1_27merge_sort_block_merge_implIS3_N6thrust23THRUST_200600_302600_NS6detail15normal_iteratorINS8_10device_ptrIiEEEESD_jNS1_19radix_merge_compareILb0ELb1EiNS0_19identity_decomposerEEEEE10hipError_tT0_T1_T2_jT3_P12ihipStream_tbPNSt15iterator_traitsISI_E10value_typeEPNSO_ISJ_E10value_typeEPSK_NS1_7vsmem_tEENKUlT_SI_SJ_SK_E_clIPiSD_S10_SD_EESH_SX_SI_SJ_SK_EUlSX_E_NS1_11comp_targetILNS1_3genE8ELNS1_11target_archE1030ELNS1_3gpuE2ELNS1_3repE0EEENS1_48merge_mergepath_partition_config_static_selectorELNS0_4arch9wavefront6targetE0EEEvSJ_.num_vgpr, 15
	.set _ZN7rocprim17ROCPRIM_400000_NS6detail17trampoline_kernelINS0_14default_configENS1_38merge_sort_block_merge_config_selectorIiiEEZZNS1_27merge_sort_block_merge_implIS3_N6thrust23THRUST_200600_302600_NS6detail15normal_iteratorINS8_10device_ptrIiEEEESD_jNS1_19radix_merge_compareILb0ELb1EiNS0_19identity_decomposerEEEEE10hipError_tT0_T1_T2_jT3_P12ihipStream_tbPNSt15iterator_traitsISI_E10value_typeEPNSO_ISJ_E10value_typeEPSK_NS1_7vsmem_tEENKUlT_SI_SJ_SK_E_clIPiSD_S10_SD_EESH_SX_SI_SJ_SK_EUlSX_E_NS1_11comp_targetILNS1_3genE8ELNS1_11target_archE1030ELNS1_3gpuE2ELNS1_3repE0EEENS1_48merge_mergepath_partition_config_static_selectorELNS0_4arch9wavefront6targetE0EEEvSJ_.num_agpr, 0
	.set _ZN7rocprim17ROCPRIM_400000_NS6detail17trampoline_kernelINS0_14default_configENS1_38merge_sort_block_merge_config_selectorIiiEEZZNS1_27merge_sort_block_merge_implIS3_N6thrust23THRUST_200600_302600_NS6detail15normal_iteratorINS8_10device_ptrIiEEEESD_jNS1_19radix_merge_compareILb0ELb1EiNS0_19identity_decomposerEEEEE10hipError_tT0_T1_T2_jT3_P12ihipStream_tbPNSt15iterator_traitsISI_E10value_typeEPNSO_ISJ_E10value_typeEPSK_NS1_7vsmem_tEENKUlT_SI_SJ_SK_E_clIPiSD_S10_SD_EESH_SX_SI_SJ_SK_EUlSX_E_NS1_11comp_targetILNS1_3genE8ELNS1_11target_archE1030ELNS1_3gpuE2ELNS1_3repE0EEENS1_48merge_mergepath_partition_config_static_selectorELNS0_4arch9wavefront6targetE0EEEvSJ_.numbered_sgpr, 8
	.set _ZN7rocprim17ROCPRIM_400000_NS6detail17trampoline_kernelINS0_14default_configENS1_38merge_sort_block_merge_config_selectorIiiEEZZNS1_27merge_sort_block_merge_implIS3_N6thrust23THRUST_200600_302600_NS6detail15normal_iteratorINS8_10device_ptrIiEEEESD_jNS1_19radix_merge_compareILb0ELb1EiNS0_19identity_decomposerEEEEE10hipError_tT0_T1_T2_jT3_P12ihipStream_tbPNSt15iterator_traitsISI_E10value_typeEPNSO_ISJ_E10value_typeEPSK_NS1_7vsmem_tEENKUlT_SI_SJ_SK_E_clIPiSD_S10_SD_EESH_SX_SI_SJ_SK_EUlSX_E_NS1_11comp_targetILNS1_3genE8ELNS1_11target_archE1030ELNS1_3gpuE2ELNS1_3repE0EEENS1_48merge_mergepath_partition_config_static_selectorELNS0_4arch9wavefront6targetE0EEEvSJ_.num_named_barrier, 0
	.set _ZN7rocprim17ROCPRIM_400000_NS6detail17trampoline_kernelINS0_14default_configENS1_38merge_sort_block_merge_config_selectorIiiEEZZNS1_27merge_sort_block_merge_implIS3_N6thrust23THRUST_200600_302600_NS6detail15normal_iteratorINS8_10device_ptrIiEEEESD_jNS1_19radix_merge_compareILb0ELb1EiNS0_19identity_decomposerEEEEE10hipError_tT0_T1_T2_jT3_P12ihipStream_tbPNSt15iterator_traitsISI_E10value_typeEPNSO_ISJ_E10value_typeEPSK_NS1_7vsmem_tEENKUlT_SI_SJ_SK_E_clIPiSD_S10_SD_EESH_SX_SI_SJ_SK_EUlSX_E_NS1_11comp_targetILNS1_3genE8ELNS1_11target_archE1030ELNS1_3gpuE2ELNS1_3repE0EEENS1_48merge_mergepath_partition_config_static_selectorELNS0_4arch9wavefront6targetE0EEEvSJ_.private_seg_size, 0
	.set _ZN7rocprim17ROCPRIM_400000_NS6detail17trampoline_kernelINS0_14default_configENS1_38merge_sort_block_merge_config_selectorIiiEEZZNS1_27merge_sort_block_merge_implIS3_N6thrust23THRUST_200600_302600_NS6detail15normal_iteratorINS8_10device_ptrIiEEEESD_jNS1_19radix_merge_compareILb0ELb1EiNS0_19identity_decomposerEEEEE10hipError_tT0_T1_T2_jT3_P12ihipStream_tbPNSt15iterator_traitsISI_E10value_typeEPNSO_ISJ_E10value_typeEPSK_NS1_7vsmem_tEENKUlT_SI_SJ_SK_E_clIPiSD_S10_SD_EESH_SX_SI_SJ_SK_EUlSX_E_NS1_11comp_targetILNS1_3genE8ELNS1_11target_archE1030ELNS1_3gpuE2ELNS1_3repE0EEENS1_48merge_mergepath_partition_config_static_selectorELNS0_4arch9wavefront6targetE0EEEvSJ_.uses_vcc, 1
	.set _ZN7rocprim17ROCPRIM_400000_NS6detail17trampoline_kernelINS0_14default_configENS1_38merge_sort_block_merge_config_selectorIiiEEZZNS1_27merge_sort_block_merge_implIS3_N6thrust23THRUST_200600_302600_NS6detail15normal_iteratorINS8_10device_ptrIiEEEESD_jNS1_19radix_merge_compareILb0ELb1EiNS0_19identity_decomposerEEEEE10hipError_tT0_T1_T2_jT3_P12ihipStream_tbPNSt15iterator_traitsISI_E10value_typeEPNSO_ISJ_E10value_typeEPSK_NS1_7vsmem_tEENKUlT_SI_SJ_SK_E_clIPiSD_S10_SD_EESH_SX_SI_SJ_SK_EUlSX_E_NS1_11comp_targetILNS1_3genE8ELNS1_11target_archE1030ELNS1_3gpuE2ELNS1_3repE0EEENS1_48merge_mergepath_partition_config_static_selectorELNS0_4arch9wavefront6targetE0EEEvSJ_.uses_flat_scratch, 0
	.set _ZN7rocprim17ROCPRIM_400000_NS6detail17trampoline_kernelINS0_14default_configENS1_38merge_sort_block_merge_config_selectorIiiEEZZNS1_27merge_sort_block_merge_implIS3_N6thrust23THRUST_200600_302600_NS6detail15normal_iteratorINS8_10device_ptrIiEEEESD_jNS1_19radix_merge_compareILb0ELb1EiNS0_19identity_decomposerEEEEE10hipError_tT0_T1_T2_jT3_P12ihipStream_tbPNSt15iterator_traitsISI_E10value_typeEPNSO_ISJ_E10value_typeEPSK_NS1_7vsmem_tEENKUlT_SI_SJ_SK_E_clIPiSD_S10_SD_EESH_SX_SI_SJ_SK_EUlSX_E_NS1_11comp_targetILNS1_3genE8ELNS1_11target_archE1030ELNS1_3gpuE2ELNS1_3repE0EEENS1_48merge_mergepath_partition_config_static_selectorELNS0_4arch9wavefront6targetE0EEEvSJ_.has_dyn_sized_stack, 0
	.set _ZN7rocprim17ROCPRIM_400000_NS6detail17trampoline_kernelINS0_14default_configENS1_38merge_sort_block_merge_config_selectorIiiEEZZNS1_27merge_sort_block_merge_implIS3_N6thrust23THRUST_200600_302600_NS6detail15normal_iteratorINS8_10device_ptrIiEEEESD_jNS1_19radix_merge_compareILb0ELb1EiNS0_19identity_decomposerEEEEE10hipError_tT0_T1_T2_jT3_P12ihipStream_tbPNSt15iterator_traitsISI_E10value_typeEPNSO_ISJ_E10value_typeEPSK_NS1_7vsmem_tEENKUlT_SI_SJ_SK_E_clIPiSD_S10_SD_EESH_SX_SI_SJ_SK_EUlSX_E_NS1_11comp_targetILNS1_3genE8ELNS1_11target_archE1030ELNS1_3gpuE2ELNS1_3repE0EEENS1_48merge_mergepath_partition_config_static_selectorELNS0_4arch9wavefront6targetE0EEEvSJ_.has_recursion, 0
	.set _ZN7rocprim17ROCPRIM_400000_NS6detail17trampoline_kernelINS0_14default_configENS1_38merge_sort_block_merge_config_selectorIiiEEZZNS1_27merge_sort_block_merge_implIS3_N6thrust23THRUST_200600_302600_NS6detail15normal_iteratorINS8_10device_ptrIiEEEESD_jNS1_19radix_merge_compareILb0ELb1EiNS0_19identity_decomposerEEEEE10hipError_tT0_T1_T2_jT3_P12ihipStream_tbPNSt15iterator_traitsISI_E10value_typeEPNSO_ISJ_E10value_typeEPSK_NS1_7vsmem_tEENKUlT_SI_SJ_SK_E_clIPiSD_S10_SD_EESH_SX_SI_SJ_SK_EUlSX_E_NS1_11comp_targetILNS1_3genE8ELNS1_11target_archE1030ELNS1_3gpuE2ELNS1_3repE0EEENS1_48merge_mergepath_partition_config_static_selectorELNS0_4arch9wavefront6targetE0EEEvSJ_.has_indirect_call, 0
	.section	.AMDGPU.csdata,"",@progbits
; Kernel info:
; codeLenInByte = 448
; TotalNumSgprs: 10
; NumVgprs: 15
; ScratchSize: 0
; MemoryBound: 0
; FloatMode: 240
; IeeeMode: 1
; LDSByteSize: 0 bytes/workgroup (compile time only)
; SGPRBlocks: 0
; VGPRBlocks: 1
; NumSGPRsForWavesPerEU: 10
; NumVGPRsForWavesPerEU: 15
; Occupancy: 16
; WaveLimiterHint : 0
; COMPUTE_PGM_RSRC2:SCRATCH_EN: 0
; COMPUTE_PGM_RSRC2:USER_SGPR: 6
; COMPUTE_PGM_RSRC2:TRAP_HANDLER: 0
; COMPUTE_PGM_RSRC2:TGID_X_EN: 1
; COMPUTE_PGM_RSRC2:TGID_Y_EN: 0
; COMPUTE_PGM_RSRC2:TGID_Z_EN: 0
; COMPUTE_PGM_RSRC2:TIDIG_COMP_CNT: 0
	.section	.text._ZN7rocprim17ROCPRIM_400000_NS6detail17trampoline_kernelINS0_14default_configENS1_38merge_sort_block_merge_config_selectorIiiEEZZNS1_27merge_sort_block_merge_implIS3_N6thrust23THRUST_200600_302600_NS6detail15normal_iteratorINS8_10device_ptrIiEEEESD_jNS1_19radix_merge_compareILb0ELb1EiNS0_19identity_decomposerEEEEE10hipError_tT0_T1_T2_jT3_P12ihipStream_tbPNSt15iterator_traitsISI_E10value_typeEPNSO_ISJ_E10value_typeEPSK_NS1_7vsmem_tEENKUlT_SI_SJ_SK_E_clIPiSD_S10_SD_EESH_SX_SI_SJ_SK_EUlSX_E0_NS1_11comp_targetILNS1_3genE0ELNS1_11target_archE4294967295ELNS1_3gpuE0ELNS1_3repE0EEENS1_38merge_mergepath_config_static_selectorELNS0_4arch9wavefront6targetE0EEEvSJ_,"axG",@progbits,_ZN7rocprim17ROCPRIM_400000_NS6detail17trampoline_kernelINS0_14default_configENS1_38merge_sort_block_merge_config_selectorIiiEEZZNS1_27merge_sort_block_merge_implIS3_N6thrust23THRUST_200600_302600_NS6detail15normal_iteratorINS8_10device_ptrIiEEEESD_jNS1_19radix_merge_compareILb0ELb1EiNS0_19identity_decomposerEEEEE10hipError_tT0_T1_T2_jT3_P12ihipStream_tbPNSt15iterator_traitsISI_E10value_typeEPNSO_ISJ_E10value_typeEPSK_NS1_7vsmem_tEENKUlT_SI_SJ_SK_E_clIPiSD_S10_SD_EESH_SX_SI_SJ_SK_EUlSX_E0_NS1_11comp_targetILNS1_3genE0ELNS1_11target_archE4294967295ELNS1_3gpuE0ELNS1_3repE0EEENS1_38merge_mergepath_config_static_selectorELNS0_4arch9wavefront6targetE0EEEvSJ_,comdat
	.protected	_ZN7rocprim17ROCPRIM_400000_NS6detail17trampoline_kernelINS0_14default_configENS1_38merge_sort_block_merge_config_selectorIiiEEZZNS1_27merge_sort_block_merge_implIS3_N6thrust23THRUST_200600_302600_NS6detail15normal_iteratorINS8_10device_ptrIiEEEESD_jNS1_19radix_merge_compareILb0ELb1EiNS0_19identity_decomposerEEEEE10hipError_tT0_T1_T2_jT3_P12ihipStream_tbPNSt15iterator_traitsISI_E10value_typeEPNSO_ISJ_E10value_typeEPSK_NS1_7vsmem_tEENKUlT_SI_SJ_SK_E_clIPiSD_S10_SD_EESH_SX_SI_SJ_SK_EUlSX_E0_NS1_11comp_targetILNS1_3genE0ELNS1_11target_archE4294967295ELNS1_3gpuE0ELNS1_3repE0EEENS1_38merge_mergepath_config_static_selectorELNS0_4arch9wavefront6targetE0EEEvSJ_ ; -- Begin function _ZN7rocprim17ROCPRIM_400000_NS6detail17trampoline_kernelINS0_14default_configENS1_38merge_sort_block_merge_config_selectorIiiEEZZNS1_27merge_sort_block_merge_implIS3_N6thrust23THRUST_200600_302600_NS6detail15normal_iteratorINS8_10device_ptrIiEEEESD_jNS1_19radix_merge_compareILb0ELb1EiNS0_19identity_decomposerEEEEE10hipError_tT0_T1_T2_jT3_P12ihipStream_tbPNSt15iterator_traitsISI_E10value_typeEPNSO_ISJ_E10value_typeEPSK_NS1_7vsmem_tEENKUlT_SI_SJ_SK_E_clIPiSD_S10_SD_EESH_SX_SI_SJ_SK_EUlSX_E0_NS1_11comp_targetILNS1_3genE0ELNS1_11target_archE4294967295ELNS1_3gpuE0ELNS1_3repE0EEENS1_38merge_mergepath_config_static_selectorELNS0_4arch9wavefront6targetE0EEEvSJ_
	.globl	_ZN7rocprim17ROCPRIM_400000_NS6detail17trampoline_kernelINS0_14default_configENS1_38merge_sort_block_merge_config_selectorIiiEEZZNS1_27merge_sort_block_merge_implIS3_N6thrust23THRUST_200600_302600_NS6detail15normal_iteratorINS8_10device_ptrIiEEEESD_jNS1_19radix_merge_compareILb0ELb1EiNS0_19identity_decomposerEEEEE10hipError_tT0_T1_T2_jT3_P12ihipStream_tbPNSt15iterator_traitsISI_E10value_typeEPNSO_ISJ_E10value_typeEPSK_NS1_7vsmem_tEENKUlT_SI_SJ_SK_E_clIPiSD_S10_SD_EESH_SX_SI_SJ_SK_EUlSX_E0_NS1_11comp_targetILNS1_3genE0ELNS1_11target_archE4294967295ELNS1_3gpuE0ELNS1_3repE0EEENS1_38merge_mergepath_config_static_selectorELNS0_4arch9wavefront6targetE0EEEvSJ_
	.p2align	8
	.type	_ZN7rocprim17ROCPRIM_400000_NS6detail17trampoline_kernelINS0_14default_configENS1_38merge_sort_block_merge_config_selectorIiiEEZZNS1_27merge_sort_block_merge_implIS3_N6thrust23THRUST_200600_302600_NS6detail15normal_iteratorINS8_10device_ptrIiEEEESD_jNS1_19radix_merge_compareILb0ELb1EiNS0_19identity_decomposerEEEEE10hipError_tT0_T1_T2_jT3_P12ihipStream_tbPNSt15iterator_traitsISI_E10value_typeEPNSO_ISJ_E10value_typeEPSK_NS1_7vsmem_tEENKUlT_SI_SJ_SK_E_clIPiSD_S10_SD_EESH_SX_SI_SJ_SK_EUlSX_E0_NS1_11comp_targetILNS1_3genE0ELNS1_11target_archE4294967295ELNS1_3gpuE0ELNS1_3repE0EEENS1_38merge_mergepath_config_static_selectorELNS0_4arch9wavefront6targetE0EEEvSJ_,@function
_ZN7rocprim17ROCPRIM_400000_NS6detail17trampoline_kernelINS0_14default_configENS1_38merge_sort_block_merge_config_selectorIiiEEZZNS1_27merge_sort_block_merge_implIS3_N6thrust23THRUST_200600_302600_NS6detail15normal_iteratorINS8_10device_ptrIiEEEESD_jNS1_19radix_merge_compareILb0ELb1EiNS0_19identity_decomposerEEEEE10hipError_tT0_T1_T2_jT3_P12ihipStream_tbPNSt15iterator_traitsISI_E10value_typeEPNSO_ISJ_E10value_typeEPSK_NS1_7vsmem_tEENKUlT_SI_SJ_SK_E_clIPiSD_S10_SD_EESH_SX_SI_SJ_SK_EUlSX_E0_NS1_11comp_targetILNS1_3genE0ELNS1_11target_archE4294967295ELNS1_3gpuE0ELNS1_3repE0EEENS1_38merge_mergepath_config_static_selectorELNS0_4arch9wavefront6targetE0EEEvSJ_: ; @_ZN7rocprim17ROCPRIM_400000_NS6detail17trampoline_kernelINS0_14default_configENS1_38merge_sort_block_merge_config_selectorIiiEEZZNS1_27merge_sort_block_merge_implIS3_N6thrust23THRUST_200600_302600_NS6detail15normal_iteratorINS8_10device_ptrIiEEEESD_jNS1_19radix_merge_compareILb0ELb1EiNS0_19identity_decomposerEEEEE10hipError_tT0_T1_T2_jT3_P12ihipStream_tbPNSt15iterator_traitsISI_E10value_typeEPNSO_ISJ_E10value_typeEPSK_NS1_7vsmem_tEENKUlT_SI_SJ_SK_E_clIPiSD_S10_SD_EESH_SX_SI_SJ_SK_EUlSX_E0_NS1_11comp_targetILNS1_3genE0ELNS1_11target_archE4294967295ELNS1_3gpuE0ELNS1_3repE0EEENS1_38merge_mergepath_config_static_selectorELNS0_4arch9wavefront6targetE0EEEvSJ_
; %bb.0:
	.section	.rodata,"a",@progbits
	.p2align	6, 0x0
	.amdhsa_kernel _ZN7rocprim17ROCPRIM_400000_NS6detail17trampoline_kernelINS0_14default_configENS1_38merge_sort_block_merge_config_selectorIiiEEZZNS1_27merge_sort_block_merge_implIS3_N6thrust23THRUST_200600_302600_NS6detail15normal_iteratorINS8_10device_ptrIiEEEESD_jNS1_19radix_merge_compareILb0ELb1EiNS0_19identity_decomposerEEEEE10hipError_tT0_T1_T2_jT3_P12ihipStream_tbPNSt15iterator_traitsISI_E10value_typeEPNSO_ISJ_E10value_typeEPSK_NS1_7vsmem_tEENKUlT_SI_SJ_SK_E_clIPiSD_S10_SD_EESH_SX_SI_SJ_SK_EUlSX_E0_NS1_11comp_targetILNS1_3genE0ELNS1_11target_archE4294967295ELNS1_3gpuE0ELNS1_3repE0EEENS1_38merge_mergepath_config_static_selectorELNS0_4arch9wavefront6targetE0EEEvSJ_
		.amdhsa_group_segment_fixed_size 0
		.amdhsa_private_segment_fixed_size 0
		.amdhsa_kernarg_size 64
		.amdhsa_user_sgpr_count 6
		.amdhsa_user_sgpr_private_segment_buffer 1
		.amdhsa_user_sgpr_dispatch_ptr 0
		.amdhsa_user_sgpr_queue_ptr 0
		.amdhsa_user_sgpr_kernarg_segment_ptr 1
		.amdhsa_user_sgpr_dispatch_id 0
		.amdhsa_user_sgpr_flat_scratch_init 0
		.amdhsa_user_sgpr_private_segment_size 0
		.amdhsa_wavefront_size32 1
		.amdhsa_uses_dynamic_stack 0
		.amdhsa_system_sgpr_private_segment_wavefront_offset 0
		.amdhsa_system_sgpr_workgroup_id_x 1
		.amdhsa_system_sgpr_workgroup_id_y 0
		.amdhsa_system_sgpr_workgroup_id_z 0
		.amdhsa_system_sgpr_workgroup_info 0
		.amdhsa_system_vgpr_workitem_id 0
		.amdhsa_next_free_vgpr 1
		.amdhsa_next_free_sgpr 1
		.amdhsa_reserve_vcc 0
		.amdhsa_reserve_flat_scratch 0
		.amdhsa_float_round_mode_32 0
		.amdhsa_float_round_mode_16_64 0
		.amdhsa_float_denorm_mode_32 3
		.amdhsa_float_denorm_mode_16_64 3
		.amdhsa_dx10_clamp 1
		.amdhsa_ieee_mode 1
		.amdhsa_fp16_overflow 0
		.amdhsa_workgroup_processor_mode 1
		.amdhsa_memory_ordered 1
		.amdhsa_forward_progress 1
		.amdhsa_shared_vgpr_count 0
		.amdhsa_exception_fp_ieee_invalid_op 0
		.amdhsa_exception_fp_denorm_src 0
		.amdhsa_exception_fp_ieee_div_zero 0
		.amdhsa_exception_fp_ieee_overflow 0
		.amdhsa_exception_fp_ieee_underflow 0
		.amdhsa_exception_fp_ieee_inexact 0
		.amdhsa_exception_int_div_zero 0
	.end_amdhsa_kernel
	.section	.text._ZN7rocprim17ROCPRIM_400000_NS6detail17trampoline_kernelINS0_14default_configENS1_38merge_sort_block_merge_config_selectorIiiEEZZNS1_27merge_sort_block_merge_implIS3_N6thrust23THRUST_200600_302600_NS6detail15normal_iteratorINS8_10device_ptrIiEEEESD_jNS1_19radix_merge_compareILb0ELb1EiNS0_19identity_decomposerEEEEE10hipError_tT0_T1_T2_jT3_P12ihipStream_tbPNSt15iterator_traitsISI_E10value_typeEPNSO_ISJ_E10value_typeEPSK_NS1_7vsmem_tEENKUlT_SI_SJ_SK_E_clIPiSD_S10_SD_EESH_SX_SI_SJ_SK_EUlSX_E0_NS1_11comp_targetILNS1_3genE0ELNS1_11target_archE4294967295ELNS1_3gpuE0ELNS1_3repE0EEENS1_38merge_mergepath_config_static_selectorELNS0_4arch9wavefront6targetE0EEEvSJ_,"axG",@progbits,_ZN7rocprim17ROCPRIM_400000_NS6detail17trampoline_kernelINS0_14default_configENS1_38merge_sort_block_merge_config_selectorIiiEEZZNS1_27merge_sort_block_merge_implIS3_N6thrust23THRUST_200600_302600_NS6detail15normal_iteratorINS8_10device_ptrIiEEEESD_jNS1_19radix_merge_compareILb0ELb1EiNS0_19identity_decomposerEEEEE10hipError_tT0_T1_T2_jT3_P12ihipStream_tbPNSt15iterator_traitsISI_E10value_typeEPNSO_ISJ_E10value_typeEPSK_NS1_7vsmem_tEENKUlT_SI_SJ_SK_E_clIPiSD_S10_SD_EESH_SX_SI_SJ_SK_EUlSX_E0_NS1_11comp_targetILNS1_3genE0ELNS1_11target_archE4294967295ELNS1_3gpuE0ELNS1_3repE0EEENS1_38merge_mergepath_config_static_selectorELNS0_4arch9wavefront6targetE0EEEvSJ_,comdat
.Lfunc_end764:
	.size	_ZN7rocprim17ROCPRIM_400000_NS6detail17trampoline_kernelINS0_14default_configENS1_38merge_sort_block_merge_config_selectorIiiEEZZNS1_27merge_sort_block_merge_implIS3_N6thrust23THRUST_200600_302600_NS6detail15normal_iteratorINS8_10device_ptrIiEEEESD_jNS1_19radix_merge_compareILb0ELb1EiNS0_19identity_decomposerEEEEE10hipError_tT0_T1_T2_jT3_P12ihipStream_tbPNSt15iterator_traitsISI_E10value_typeEPNSO_ISJ_E10value_typeEPSK_NS1_7vsmem_tEENKUlT_SI_SJ_SK_E_clIPiSD_S10_SD_EESH_SX_SI_SJ_SK_EUlSX_E0_NS1_11comp_targetILNS1_3genE0ELNS1_11target_archE4294967295ELNS1_3gpuE0ELNS1_3repE0EEENS1_38merge_mergepath_config_static_selectorELNS0_4arch9wavefront6targetE0EEEvSJ_, .Lfunc_end764-_ZN7rocprim17ROCPRIM_400000_NS6detail17trampoline_kernelINS0_14default_configENS1_38merge_sort_block_merge_config_selectorIiiEEZZNS1_27merge_sort_block_merge_implIS3_N6thrust23THRUST_200600_302600_NS6detail15normal_iteratorINS8_10device_ptrIiEEEESD_jNS1_19radix_merge_compareILb0ELb1EiNS0_19identity_decomposerEEEEE10hipError_tT0_T1_T2_jT3_P12ihipStream_tbPNSt15iterator_traitsISI_E10value_typeEPNSO_ISJ_E10value_typeEPSK_NS1_7vsmem_tEENKUlT_SI_SJ_SK_E_clIPiSD_S10_SD_EESH_SX_SI_SJ_SK_EUlSX_E0_NS1_11comp_targetILNS1_3genE0ELNS1_11target_archE4294967295ELNS1_3gpuE0ELNS1_3repE0EEENS1_38merge_mergepath_config_static_selectorELNS0_4arch9wavefront6targetE0EEEvSJ_
                                        ; -- End function
	.set _ZN7rocprim17ROCPRIM_400000_NS6detail17trampoline_kernelINS0_14default_configENS1_38merge_sort_block_merge_config_selectorIiiEEZZNS1_27merge_sort_block_merge_implIS3_N6thrust23THRUST_200600_302600_NS6detail15normal_iteratorINS8_10device_ptrIiEEEESD_jNS1_19radix_merge_compareILb0ELb1EiNS0_19identity_decomposerEEEEE10hipError_tT0_T1_T2_jT3_P12ihipStream_tbPNSt15iterator_traitsISI_E10value_typeEPNSO_ISJ_E10value_typeEPSK_NS1_7vsmem_tEENKUlT_SI_SJ_SK_E_clIPiSD_S10_SD_EESH_SX_SI_SJ_SK_EUlSX_E0_NS1_11comp_targetILNS1_3genE0ELNS1_11target_archE4294967295ELNS1_3gpuE0ELNS1_3repE0EEENS1_38merge_mergepath_config_static_selectorELNS0_4arch9wavefront6targetE0EEEvSJ_.num_vgpr, 0
	.set _ZN7rocprim17ROCPRIM_400000_NS6detail17trampoline_kernelINS0_14default_configENS1_38merge_sort_block_merge_config_selectorIiiEEZZNS1_27merge_sort_block_merge_implIS3_N6thrust23THRUST_200600_302600_NS6detail15normal_iteratorINS8_10device_ptrIiEEEESD_jNS1_19radix_merge_compareILb0ELb1EiNS0_19identity_decomposerEEEEE10hipError_tT0_T1_T2_jT3_P12ihipStream_tbPNSt15iterator_traitsISI_E10value_typeEPNSO_ISJ_E10value_typeEPSK_NS1_7vsmem_tEENKUlT_SI_SJ_SK_E_clIPiSD_S10_SD_EESH_SX_SI_SJ_SK_EUlSX_E0_NS1_11comp_targetILNS1_3genE0ELNS1_11target_archE4294967295ELNS1_3gpuE0ELNS1_3repE0EEENS1_38merge_mergepath_config_static_selectorELNS0_4arch9wavefront6targetE0EEEvSJ_.num_agpr, 0
	.set _ZN7rocprim17ROCPRIM_400000_NS6detail17trampoline_kernelINS0_14default_configENS1_38merge_sort_block_merge_config_selectorIiiEEZZNS1_27merge_sort_block_merge_implIS3_N6thrust23THRUST_200600_302600_NS6detail15normal_iteratorINS8_10device_ptrIiEEEESD_jNS1_19radix_merge_compareILb0ELb1EiNS0_19identity_decomposerEEEEE10hipError_tT0_T1_T2_jT3_P12ihipStream_tbPNSt15iterator_traitsISI_E10value_typeEPNSO_ISJ_E10value_typeEPSK_NS1_7vsmem_tEENKUlT_SI_SJ_SK_E_clIPiSD_S10_SD_EESH_SX_SI_SJ_SK_EUlSX_E0_NS1_11comp_targetILNS1_3genE0ELNS1_11target_archE4294967295ELNS1_3gpuE0ELNS1_3repE0EEENS1_38merge_mergepath_config_static_selectorELNS0_4arch9wavefront6targetE0EEEvSJ_.numbered_sgpr, 0
	.set _ZN7rocprim17ROCPRIM_400000_NS6detail17trampoline_kernelINS0_14default_configENS1_38merge_sort_block_merge_config_selectorIiiEEZZNS1_27merge_sort_block_merge_implIS3_N6thrust23THRUST_200600_302600_NS6detail15normal_iteratorINS8_10device_ptrIiEEEESD_jNS1_19radix_merge_compareILb0ELb1EiNS0_19identity_decomposerEEEEE10hipError_tT0_T1_T2_jT3_P12ihipStream_tbPNSt15iterator_traitsISI_E10value_typeEPNSO_ISJ_E10value_typeEPSK_NS1_7vsmem_tEENKUlT_SI_SJ_SK_E_clIPiSD_S10_SD_EESH_SX_SI_SJ_SK_EUlSX_E0_NS1_11comp_targetILNS1_3genE0ELNS1_11target_archE4294967295ELNS1_3gpuE0ELNS1_3repE0EEENS1_38merge_mergepath_config_static_selectorELNS0_4arch9wavefront6targetE0EEEvSJ_.num_named_barrier, 0
	.set _ZN7rocprim17ROCPRIM_400000_NS6detail17trampoline_kernelINS0_14default_configENS1_38merge_sort_block_merge_config_selectorIiiEEZZNS1_27merge_sort_block_merge_implIS3_N6thrust23THRUST_200600_302600_NS6detail15normal_iteratorINS8_10device_ptrIiEEEESD_jNS1_19radix_merge_compareILb0ELb1EiNS0_19identity_decomposerEEEEE10hipError_tT0_T1_T2_jT3_P12ihipStream_tbPNSt15iterator_traitsISI_E10value_typeEPNSO_ISJ_E10value_typeEPSK_NS1_7vsmem_tEENKUlT_SI_SJ_SK_E_clIPiSD_S10_SD_EESH_SX_SI_SJ_SK_EUlSX_E0_NS1_11comp_targetILNS1_3genE0ELNS1_11target_archE4294967295ELNS1_3gpuE0ELNS1_3repE0EEENS1_38merge_mergepath_config_static_selectorELNS0_4arch9wavefront6targetE0EEEvSJ_.private_seg_size, 0
	.set _ZN7rocprim17ROCPRIM_400000_NS6detail17trampoline_kernelINS0_14default_configENS1_38merge_sort_block_merge_config_selectorIiiEEZZNS1_27merge_sort_block_merge_implIS3_N6thrust23THRUST_200600_302600_NS6detail15normal_iteratorINS8_10device_ptrIiEEEESD_jNS1_19radix_merge_compareILb0ELb1EiNS0_19identity_decomposerEEEEE10hipError_tT0_T1_T2_jT3_P12ihipStream_tbPNSt15iterator_traitsISI_E10value_typeEPNSO_ISJ_E10value_typeEPSK_NS1_7vsmem_tEENKUlT_SI_SJ_SK_E_clIPiSD_S10_SD_EESH_SX_SI_SJ_SK_EUlSX_E0_NS1_11comp_targetILNS1_3genE0ELNS1_11target_archE4294967295ELNS1_3gpuE0ELNS1_3repE0EEENS1_38merge_mergepath_config_static_selectorELNS0_4arch9wavefront6targetE0EEEvSJ_.uses_vcc, 0
	.set _ZN7rocprim17ROCPRIM_400000_NS6detail17trampoline_kernelINS0_14default_configENS1_38merge_sort_block_merge_config_selectorIiiEEZZNS1_27merge_sort_block_merge_implIS3_N6thrust23THRUST_200600_302600_NS6detail15normal_iteratorINS8_10device_ptrIiEEEESD_jNS1_19radix_merge_compareILb0ELb1EiNS0_19identity_decomposerEEEEE10hipError_tT0_T1_T2_jT3_P12ihipStream_tbPNSt15iterator_traitsISI_E10value_typeEPNSO_ISJ_E10value_typeEPSK_NS1_7vsmem_tEENKUlT_SI_SJ_SK_E_clIPiSD_S10_SD_EESH_SX_SI_SJ_SK_EUlSX_E0_NS1_11comp_targetILNS1_3genE0ELNS1_11target_archE4294967295ELNS1_3gpuE0ELNS1_3repE0EEENS1_38merge_mergepath_config_static_selectorELNS0_4arch9wavefront6targetE0EEEvSJ_.uses_flat_scratch, 0
	.set _ZN7rocprim17ROCPRIM_400000_NS6detail17trampoline_kernelINS0_14default_configENS1_38merge_sort_block_merge_config_selectorIiiEEZZNS1_27merge_sort_block_merge_implIS3_N6thrust23THRUST_200600_302600_NS6detail15normal_iteratorINS8_10device_ptrIiEEEESD_jNS1_19radix_merge_compareILb0ELb1EiNS0_19identity_decomposerEEEEE10hipError_tT0_T1_T2_jT3_P12ihipStream_tbPNSt15iterator_traitsISI_E10value_typeEPNSO_ISJ_E10value_typeEPSK_NS1_7vsmem_tEENKUlT_SI_SJ_SK_E_clIPiSD_S10_SD_EESH_SX_SI_SJ_SK_EUlSX_E0_NS1_11comp_targetILNS1_3genE0ELNS1_11target_archE4294967295ELNS1_3gpuE0ELNS1_3repE0EEENS1_38merge_mergepath_config_static_selectorELNS0_4arch9wavefront6targetE0EEEvSJ_.has_dyn_sized_stack, 0
	.set _ZN7rocprim17ROCPRIM_400000_NS6detail17trampoline_kernelINS0_14default_configENS1_38merge_sort_block_merge_config_selectorIiiEEZZNS1_27merge_sort_block_merge_implIS3_N6thrust23THRUST_200600_302600_NS6detail15normal_iteratorINS8_10device_ptrIiEEEESD_jNS1_19radix_merge_compareILb0ELb1EiNS0_19identity_decomposerEEEEE10hipError_tT0_T1_T2_jT3_P12ihipStream_tbPNSt15iterator_traitsISI_E10value_typeEPNSO_ISJ_E10value_typeEPSK_NS1_7vsmem_tEENKUlT_SI_SJ_SK_E_clIPiSD_S10_SD_EESH_SX_SI_SJ_SK_EUlSX_E0_NS1_11comp_targetILNS1_3genE0ELNS1_11target_archE4294967295ELNS1_3gpuE0ELNS1_3repE0EEENS1_38merge_mergepath_config_static_selectorELNS0_4arch9wavefront6targetE0EEEvSJ_.has_recursion, 0
	.set _ZN7rocprim17ROCPRIM_400000_NS6detail17trampoline_kernelINS0_14default_configENS1_38merge_sort_block_merge_config_selectorIiiEEZZNS1_27merge_sort_block_merge_implIS3_N6thrust23THRUST_200600_302600_NS6detail15normal_iteratorINS8_10device_ptrIiEEEESD_jNS1_19radix_merge_compareILb0ELb1EiNS0_19identity_decomposerEEEEE10hipError_tT0_T1_T2_jT3_P12ihipStream_tbPNSt15iterator_traitsISI_E10value_typeEPNSO_ISJ_E10value_typeEPSK_NS1_7vsmem_tEENKUlT_SI_SJ_SK_E_clIPiSD_S10_SD_EESH_SX_SI_SJ_SK_EUlSX_E0_NS1_11comp_targetILNS1_3genE0ELNS1_11target_archE4294967295ELNS1_3gpuE0ELNS1_3repE0EEENS1_38merge_mergepath_config_static_selectorELNS0_4arch9wavefront6targetE0EEEvSJ_.has_indirect_call, 0
	.section	.AMDGPU.csdata,"",@progbits
; Kernel info:
; codeLenInByte = 0
; TotalNumSgprs: 0
; NumVgprs: 0
; ScratchSize: 0
; MemoryBound: 0
; FloatMode: 240
; IeeeMode: 1
; LDSByteSize: 0 bytes/workgroup (compile time only)
; SGPRBlocks: 0
; VGPRBlocks: 0
; NumSGPRsForWavesPerEU: 1
; NumVGPRsForWavesPerEU: 1
; Occupancy: 16
; WaveLimiterHint : 0
; COMPUTE_PGM_RSRC2:SCRATCH_EN: 0
; COMPUTE_PGM_RSRC2:USER_SGPR: 6
; COMPUTE_PGM_RSRC2:TRAP_HANDLER: 0
; COMPUTE_PGM_RSRC2:TGID_X_EN: 1
; COMPUTE_PGM_RSRC2:TGID_Y_EN: 0
; COMPUTE_PGM_RSRC2:TGID_Z_EN: 0
; COMPUTE_PGM_RSRC2:TIDIG_COMP_CNT: 0
	.section	.text._ZN7rocprim17ROCPRIM_400000_NS6detail17trampoline_kernelINS0_14default_configENS1_38merge_sort_block_merge_config_selectorIiiEEZZNS1_27merge_sort_block_merge_implIS3_N6thrust23THRUST_200600_302600_NS6detail15normal_iteratorINS8_10device_ptrIiEEEESD_jNS1_19radix_merge_compareILb0ELb1EiNS0_19identity_decomposerEEEEE10hipError_tT0_T1_T2_jT3_P12ihipStream_tbPNSt15iterator_traitsISI_E10value_typeEPNSO_ISJ_E10value_typeEPSK_NS1_7vsmem_tEENKUlT_SI_SJ_SK_E_clIPiSD_S10_SD_EESH_SX_SI_SJ_SK_EUlSX_E0_NS1_11comp_targetILNS1_3genE10ELNS1_11target_archE1201ELNS1_3gpuE5ELNS1_3repE0EEENS1_38merge_mergepath_config_static_selectorELNS0_4arch9wavefront6targetE0EEEvSJ_,"axG",@progbits,_ZN7rocprim17ROCPRIM_400000_NS6detail17trampoline_kernelINS0_14default_configENS1_38merge_sort_block_merge_config_selectorIiiEEZZNS1_27merge_sort_block_merge_implIS3_N6thrust23THRUST_200600_302600_NS6detail15normal_iteratorINS8_10device_ptrIiEEEESD_jNS1_19radix_merge_compareILb0ELb1EiNS0_19identity_decomposerEEEEE10hipError_tT0_T1_T2_jT3_P12ihipStream_tbPNSt15iterator_traitsISI_E10value_typeEPNSO_ISJ_E10value_typeEPSK_NS1_7vsmem_tEENKUlT_SI_SJ_SK_E_clIPiSD_S10_SD_EESH_SX_SI_SJ_SK_EUlSX_E0_NS1_11comp_targetILNS1_3genE10ELNS1_11target_archE1201ELNS1_3gpuE5ELNS1_3repE0EEENS1_38merge_mergepath_config_static_selectorELNS0_4arch9wavefront6targetE0EEEvSJ_,comdat
	.protected	_ZN7rocprim17ROCPRIM_400000_NS6detail17trampoline_kernelINS0_14default_configENS1_38merge_sort_block_merge_config_selectorIiiEEZZNS1_27merge_sort_block_merge_implIS3_N6thrust23THRUST_200600_302600_NS6detail15normal_iteratorINS8_10device_ptrIiEEEESD_jNS1_19radix_merge_compareILb0ELb1EiNS0_19identity_decomposerEEEEE10hipError_tT0_T1_T2_jT3_P12ihipStream_tbPNSt15iterator_traitsISI_E10value_typeEPNSO_ISJ_E10value_typeEPSK_NS1_7vsmem_tEENKUlT_SI_SJ_SK_E_clIPiSD_S10_SD_EESH_SX_SI_SJ_SK_EUlSX_E0_NS1_11comp_targetILNS1_3genE10ELNS1_11target_archE1201ELNS1_3gpuE5ELNS1_3repE0EEENS1_38merge_mergepath_config_static_selectorELNS0_4arch9wavefront6targetE0EEEvSJ_ ; -- Begin function _ZN7rocprim17ROCPRIM_400000_NS6detail17trampoline_kernelINS0_14default_configENS1_38merge_sort_block_merge_config_selectorIiiEEZZNS1_27merge_sort_block_merge_implIS3_N6thrust23THRUST_200600_302600_NS6detail15normal_iteratorINS8_10device_ptrIiEEEESD_jNS1_19radix_merge_compareILb0ELb1EiNS0_19identity_decomposerEEEEE10hipError_tT0_T1_T2_jT3_P12ihipStream_tbPNSt15iterator_traitsISI_E10value_typeEPNSO_ISJ_E10value_typeEPSK_NS1_7vsmem_tEENKUlT_SI_SJ_SK_E_clIPiSD_S10_SD_EESH_SX_SI_SJ_SK_EUlSX_E0_NS1_11comp_targetILNS1_3genE10ELNS1_11target_archE1201ELNS1_3gpuE5ELNS1_3repE0EEENS1_38merge_mergepath_config_static_selectorELNS0_4arch9wavefront6targetE0EEEvSJ_
	.globl	_ZN7rocprim17ROCPRIM_400000_NS6detail17trampoline_kernelINS0_14default_configENS1_38merge_sort_block_merge_config_selectorIiiEEZZNS1_27merge_sort_block_merge_implIS3_N6thrust23THRUST_200600_302600_NS6detail15normal_iteratorINS8_10device_ptrIiEEEESD_jNS1_19radix_merge_compareILb0ELb1EiNS0_19identity_decomposerEEEEE10hipError_tT0_T1_T2_jT3_P12ihipStream_tbPNSt15iterator_traitsISI_E10value_typeEPNSO_ISJ_E10value_typeEPSK_NS1_7vsmem_tEENKUlT_SI_SJ_SK_E_clIPiSD_S10_SD_EESH_SX_SI_SJ_SK_EUlSX_E0_NS1_11comp_targetILNS1_3genE10ELNS1_11target_archE1201ELNS1_3gpuE5ELNS1_3repE0EEENS1_38merge_mergepath_config_static_selectorELNS0_4arch9wavefront6targetE0EEEvSJ_
	.p2align	8
	.type	_ZN7rocprim17ROCPRIM_400000_NS6detail17trampoline_kernelINS0_14default_configENS1_38merge_sort_block_merge_config_selectorIiiEEZZNS1_27merge_sort_block_merge_implIS3_N6thrust23THRUST_200600_302600_NS6detail15normal_iteratorINS8_10device_ptrIiEEEESD_jNS1_19radix_merge_compareILb0ELb1EiNS0_19identity_decomposerEEEEE10hipError_tT0_T1_T2_jT3_P12ihipStream_tbPNSt15iterator_traitsISI_E10value_typeEPNSO_ISJ_E10value_typeEPSK_NS1_7vsmem_tEENKUlT_SI_SJ_SK_E_clIPiSD_S10_SD_EESH_SX_SI_SJ_SK_EUlSX_E0_NS1_11comp_targetILNS1_3genE10ELNS1_11target_archE1201ELNS1_3gpuE5ELNS1_3repE0EEENS1_38merge_mergepath_config_static_selectorELNS0_4arch9wavefront6targetE0EEEvSJ_,@function
_ZN7rocprim17ROCPRIM_400000_NS6detail17trampoline_kernelINS0_14default_configENS1_38merge_sort_block_merge_config_selectorIiiEEZZNS1_27merge_sort_block_merge_implIS3_N6thrust23THRUST_200600_302600_NS6detail15normal_iteratorINS8_10device_ptrIiEEEESD_jNS1_19radix_merge_compareILb0ELb1EiNS0_19identity_decomposerEEEEE10hipError_tT0_T1_T2_jT3_P12ihipStream_tbPNSt15iterator_traitsISI_E10value_typeEPNSO_ISJ_E10value_typeEPSK_NS1_7vsmem_tEENKUlT_SI_SJ_SK_E_clIPiSD_S10_SD_EESH_SX_SI_SJ_SK_EUlSX_E0_NS1_11comp_targetILNS1_3genE10ELNS1_11target_archE1201ELNS1_3gpuE5ELNS1_3repE0EEENS1_38merge_mergepath_config_static_selectorELNS0_4arch9wavefront6targetE0EEEvSJ_: ; @_ZN7rocprim17ROCPRIM_400000_NS6detail17trampoline_kernelINS0_14default_configENS1_38merge_sort_block_merge_config_selectorIiiEEZZNS1_27merge_sort_block_merge_implIS3_N6thrust23THRUST_200600_302600_NS6detail15normal_iteratorINS8_10device_ptrIiEEEESD_jNS1_19radix_merge_compareILb0ELb1EiNS0_19identity_decomposerEEEEE10hipError_tT0_T1_T2_jT3_P12ihipStream_tbPNSt15iterator_traitsISI_E10value_typeEPNSO_ISJ_E10value_typeEPSK_NS1_7vsmem_tEENKUlT_SI_SJ_SK_E_clIPiSD_S10_SD_EESH_SX_SI_SJ_SK_EUlSX_E0_NS1_11comp_targetILNS1_3genE10ELNS1_11target_archE1201ELNS1_3gpuE5ELNS1_3repE0EEENS1_38merge_mergepath_config_static_selectorELNS0_4arch9wavefront6targetE0EEEvSJ_
; %bb.0:
	.section	.rodata,"a",@progbits
	.p2align	6, 0x0
	.amdhsa_kernel _ZN7rocprim17ROCPRIM_400000_NS6detail17trampoline_kernelINS0_14default_configENS1_38merge_sort_block_merge_config_selectorIiiEEZZNS1_27merge_sort_block_merge_implIS3_N6thrust23THRUST_200600_302600_NS6detail15normal_iteratorINS8_10device_ptrIiEEEESD_jNS1_19radix_merge_compareILb0ELb1EiNS0_19identity_decomposerEEEEE10hipError_tT0_T1_T2_jT3_P12ihipStream_tbPNSt15iterator_traitsISI_E10value_typeEPNSO_ISJ_E10value_typeEPSK_NS1_7vsmem_tEENKUlT_SI_SJ_SK_E_clIPiSD_S10_SD_EESH_SX_SI_SJ_SK_EUlSX_E0_NS1_11comp_targetILNS1_3genE10ELNS1_11target_archE1201ELNS1_3gpuE5ELNS1_3repE0EEENS1_38merge_mergepath_config_static_selectorELNS0_4arch9wavefront6targetE0EEEvSJ_
		.amdhsa_group_segment_fixed_size 0
		.amdhsa_private_segment_fixed_size 0
		.amdhsa_kernarg_size 64
		.amdhsa_user_sgpr_count 6
		.amdhsa_user_sgpr_private_segment_buffer 1
		.amdhsa_user_sgpr_dispatch_ptr 0
		.amdhsa_user_sgpr_queue_ptr 0
		.amdhsa_user_sgpr_kernarg_segment_ptr 1
		.amdhsa_user_sgpr_dispatch_id 0
		.amdhsa_user_sgpr_flat_scratch_init 0
		.amdhsa_user_sgpr_private_segment_size 0
		.amdhsa_wavefront_size32 1
		.amdhsa_uses_dynamic_stack 0
		.amdhsa_system_sgpr_private_segment_wavefront_offset 0
		.amdhsa_system_sgpr_workgroup_id_x 1
		.amdhsa_system_sgpr_workgroup_id_y 0
		.amdhsa_system_sgpr_workgroup_id_z 0
		.amdhsa_system_sgpr_workgroup_info 0
		.amdhsa_system_vgpr_workitem_id 0
		.amdhsa_next_free_vgpr 1
		.amdhsa_next_free_sgpr 1
		.amdhsa_reserve_vcc 0
		.amdhsa_reserve_flat_scratch 0
		.amdhsa_float_round_mode_32 0
		.amdhsa_float_round_mode_16_64 0
		.amdhsa_float_denorm_mode_32 3
		.amdhsa_float_denorm_mode_16_64 3
		.amdhsa_dx10_clamp 1
		.amdhsa_ieee_mode 1
		.amdhsa_fp16_overflow 0
		.amdhsa_workgroup_processor_mode 1
		.amdhsa_memory_ordered 1
		.amdhsa_forward_progress 1
		.amdhsa_shared_vgpr_count 0
		.amdhsa_exception_fp_ieee_invalid_op 0
		.amdhsa_exception_fp_denorm_src 0
		.amdhsa_exception_fp_ieee_div_zero 0
		.amdhsa_exception_fp_ieee_overflow 0
		.amdhsa_exception_fp_ieee_underflow 0
		.amdhsa_exception_fp_ieee_inexact 0
		.amdhsa_exception_int_div_zero 0
	.end_amdhsa_kernel
	.section	.text._ZN7rocprim17ROCPRIM_400000_NS6detail17trampoline_kernelINS0_14default_configENS1_38merge_sort_block_merge_config_selectorIiiEEZZNS1_27merge_sort_block_merge_implIS3_N6thrust23THRUST_200600_302600_NS6detail15normal_iteratorINS8_10device_ptrIiEEEESD_jNS1_19radix_merge_compareILb0ELb1EiNS0_19identity_decomposerEEEEE10hipError_tT0_T1_T2_jT3_P12ihipStream_tbPNSt15iterator_traitsISI_E10value_typeEPNSO_ISJ_E10value_typeEPSK_NS1_7vsmem_tEENKUlT_SI_SJ_SK_E_clIPiSD_S10_SD_EESH_SX_SI_SJ_SK_EUlSX_E0_NS1_11comp_targetILNS1_3genE10ELNS1_11target_archE1201ELNS1_3gpuE5ELNS1_3repE0EEENS1_38merge_mergepath_config_static_selectorELNS0_4arch9wavefront6targetE0EEEvSJ_,"axG",@progbits,_ZN7rocprim17ROCPRIM_400000_NS6detail17trampoline_kernelINS0_14default_configENS1_38merge_sort_block_merge_config_selectorIiiEEZZNS1_27merge_sort_block_merge_implIS3_N6thrust23THRUST_200600_302600_NS6detail15normal_iteratorINS8_10device_ptrIiEEEESD_jNS1_19radix_merge_compareILb0ELb1EiNS0_19identity_decomposerEEEEE10hipError_tT0_T1_T2_jT3_P12ihipStream_tbPNSt15iterator_traitsISI_E10value_typeEPNSO_ISJ_E10value_typeEPSK_NS1_7vsmem_tEENKUlT_SI_SJ_SK_E_clIPiSD_S10_SD_EESH_SX_SI_SJ_SK_EUlSX_E0_NS1_11comp_targetILNS1_3genE10ELNS1_11target_archE1201ELNS1_3gpuE5ELNS1_3repE0EEENS1_38merge_mergepath_config_static_selectorELNS0_4arch9wavefront6targetE0EEEvSJ_,comdat
.Lfunc_end765:
	.size	_ZN7rocprim17ROCPRIM_400000_NS6detail17trampoline_kernelINS0_14default_configENS1_38merge_sort_block_merge_config_selectorIiiEEZZNS1_27merge_sort_block_merge_implIS3_N6thrust23THRUST_200600_302600_NS6detail15normal_iteratorINS8_10device_ptrIiEEEESD_jNS1_19radix_merge_compareILb0ELb1EiNS0_19identity_decomposerEEEEE10hipError_tT0_T1_T2_jT3_P12ihipStream_tbPNSt15iterator_traitsISI_E10value_typeEPNSO_ISJ_E10value_typeEPSK_NS1_7vsmem_tEENKUlT_SI_SJ_SK_E_clIPiSD_S10_SD_EESH_SX_SI_SJ_SK_EUlSX_E0_NS1_11comp_targetILNS1_3genE10ELNS1_11target_archE1201ELNS1_3gpuE5ELNS1_3repE0EEENS1_38merge_mergepath_config_static_selectorELNS0_4arch9wavefront6targetE0EEEvSJ_, .Lfunc_end765-_ZN7rocprim17ROCPRIM_400000_NS6detail17trampoline_kernelINS0_14default_configENS1_38merge_sort_block_merge_config_selectorIiiEEZZNS1_27merge_sort_block_merge_implIS3_N6thrust23THRUST_200600_302600_NS6detail15normal_iteratorINS8_10device_ptrIiEEEESD_jNS1_19radix_merge_compareILb0ELb1EiNS0_19identity_decomposerEEEEE10hipError_tT0_T1_T2_jT3_P12ihipStream_tbPNSt15iterator_traitsISI_E10value_typeEPNSO_ISJ_E10value_typeEPSK_NS1_7vsmem_tEENKUlT_SI_SJ_SK_E_clIPiSD_S10_SD_EESH_SX_SI_SJ_SK_EUlSX_E0_NS1_11comp_targetILNS1_3genE10ELNS1_11target_archE1201ELNS1_3gpuE5ELNS1_3repE0EEENS1_38merge_mergepath_config_static_selectorELNS0_4arch9wavefront6targetE0EEEvSJ_
                                        ; -- End function
	.set _ZN7rocprim17ROCPRIM_400000_NS6detail17trampoline_kernelINS0_14default_configENS1_38merge_sort_block_merge_config_selectorIiiEEZZNS1_27merge_sort_block_merge_implIS3_N6thrust23THRUST_200600_302600_NS6detail15normal_iteratorINS8_10device_ptrIiEEEESD_jNS1_19radix_merge_compareILb0ELb1EiNS0_19identity_decomposerEEEEE10hipError_tT0_T1_T2_jT3_P12ihipStream_tbPNSt15iterator_traitsISI_E10value_typeEPNSO_ISJ_E10value_typeEPSK_NS1_7vsmem_tEENKUlT_SI_SJ_SK_E_clIPiSD_S10_SD_EESH_SX_SI_SJ_SK_EUlSX_E0_NS1_11comp_targetILNS1_3genE10ELNS1_11target_archE1201ELNS1_3gpuE5ELNS1_3repE0EEENS1_38merge_mergepath_config_static_selectorELNS0_4arch9wavefront6targetE0EEEvSJ_.num_vgpr, 0
	.set _ZN7rocprim17ROCPRIM_400000_NS6detail17trampoline_kernelINS0_14default_configENS1_38merge_sort_block_merge_config_selectorIiiEEZZNS1_27merge_sort_block_merge_implIS3_N6thrust23THRUST_200600_302600_NS6detail15normal_iteratorINS8_10device_ptrIiEEEESD_jNS1_19radix_merge_compareILb0ELb1EiNS0_19identity_decomposerEEEEE10hipError_tT0_T1_T2_jT3_P12ihipStream_tbPNSt15iterator_traitsISI_E10value_typeEPNSO_ISJ_E10value_typeEPSK_NS1_7vsmem_tEENKUlT_SI_SJ_SK_E_clIPiSD_S10_SD_EESH_SX_SI_SJ_SK_EUlSX_E0_NS1_11comp_targetILNS1_3genE10ELNS1_11target_archE1201ELNS1_3gpuE5ELNS1_3repE0EEENS1_38merge_mergepath_config_static_selectorELNS0_4arch9wavefront6targetE0EEEvSJ_.num_agpr, 0
	.set _ZN7rocprim17ROCPRIM_400000_NS6detail17trampoline_kernelINS0_14default_configENS1_38merge_sort_block_merge_config_selectorIiiEEZZNS1_27merge_sort_block_merge_implIS3_N6thrust23THRUST_200600_302600_NS6detail15normal_iteratorINS8_10device_ptrIiEEEESD_jNS1_19radix_merge_compareILb0ELb1EiNS0_19identity_decomposerEEEEE10hipError_tT0_T1_T2_jT3_P12ihipStream_tbPNSt15iterator_traitsISI_E10value_typeEPNSO_ISJ_E10value_typeEPSK_NS1_7vsmem_tEENKUlT_SI_SJ_SK_E_clIPiSD_S10_SD_EESH_SX_SI_SJ_SK_EUlSX_E0_NS1_11comp_targetILNS1_3genE10ELNS1_11target_archE1201ELNS1_3gpuE5ELNS1_3repE0EEENS1_38merge_mergepath_config_static_selectorELNS0_4arch9wavefront6targetE0EEEvSJ_.numbered_sgpr, 0
	.set _ZN7rocprim17ROCPRIM_400000_NS6detail17trampoline_kernelINS0_14default_configENS1_38merge_sort_block_merge_config_selectorIiiEEZZNS1_27merge_sort_block_merge_implIS3_N6thrust23THRUST_200600_302600_NS6detail15normal_iteratorINS8_10device_ptrIiEEEESD_jNS1_19radix_merge_compareILb0ELb1EiNS0_19identity_decomposerEEEEE10hipError_tT0_T1_T2_jT3_P12ihipStream_tbPNSt15iterator_traitsISI_E10value_typeEPNSO_ISJ_E10value_typeEPSK_NS1_7vsmem_tEENKUlT_SI_SJ_SK_E_clIPiSD_S10_SD_EESH_SX_SI_SJ_SK_EUlSX_E0_NS1_11comp_targetILNS1_3genE10ELNS1_11target_archE1201ELNS1_3gpuE5ELNS1_3repE0EEENS1_38merge_mergepath_config_static_selectorELNS0_4arch9wavefront6targetE0EEEvSJ_.num_named_barrier, 0
	.set _ZN7rocprim17ROCPRIM_400000_NS6detail17trampoline_kernelINS0_14default_configENS1_38merge_sort_block_merge_config_selectorIiiEEZZNS1_27merge_sort_block_merge_implIS3_N6thrust23THRUST_200600_302600_NS6detail15normal_iteratorINS8_10device_ptrIiEEEESD_jNS1_19radix_merge_compareILb0ELb1EiNS0_19identity_decomposerEEEEE10hipError_tT0_T1_T2_jT3_P12ihipStream_tbPNSt15iterator_traitsISI_E10value_typeEPNSO_ISJ_E10value_typeEPSK_NS1_7vsmem_tEENKUlT_SI_SJ_SK_E_clIPiSD_S10_SD_EESH_SX_SI_SJ_SK_EUlSX_E0_NS1_11comp_targetILNS1_3genE10ELNS1_11target_archE1201ELNS1_3gpuE5ELNS1_3repE0EEENS1_38merge_mergepath_config_static_selectorELNS0_4arch9wavefront6targetE0EEEvSJ_.private_seg_size, 0
	.set _ZN7rocprim17ROCPRIM_400000_NS6detail17trampoline_kernelINS0_14default_configENS1_38merge_sort_block_merge_config_selectorIiiEEZZNS1_27merge_sort_block_merge_implIS3_N6thrust23THRUST_200600_302600_NS6detail15normal_iteratorINS8_10device_ptrIiEEEESD_jNS1_19radix_merge_compareILb0ELb1EiNS0_19identity_decomposerEEEEE10hipError_tT0_T1_T2_jT3_P12ihipStream_tbPNSt15iterator_traitsISI_E10value_typeEPNSO_ISJ_E10value_typeEPSK_NS1_7vsmem_tEENKUlT_SI_SJ_SK_E_clIPiSD_S10_SD_EESH_SX_SI_SJ_SK_EUlSX_E0_NS1_11comp_targetILNS1_3genE10ELNS1_11target_archE1201ELNS1_3gpuE5ELNS1_3repE0EEENS1_38merge_mergepath_config_static_selectorELNS0_4arch9wavefront6targetE0EEEvSJ_.uses_vcc, 0
	.set _ZN7rocprim17ROCPRIM_400000_NS6detail17trampoline_kernelINS0_14default_configENS1_38merge_sort_block_merge_config_selectorIiiEEZZNS1_27merge_sort_block_merge_implIS3_N6thrust23THRUST_200600_302600_NS6detail15normal_iteratorINS8_10device_ptrIiEEEESD_jNS1_19radix_merge_compareILb0ELb1EiNS0_19identity_decomposerEEEEE10hipError_tT0_T1_T2_jT3_P12ihipStream_tbPNSt15iterator_traitsISI_E10value_typeEPNSO_ISJ_E10value_typeEPSK_NS1_7vsmem_tEENKUlT_SI_SJ_SK_E_clIPiSD_S10_SD_EESH_SX_SI_SJ_SK_EUlSX_E0_NS1_11comp_targetILNS1_3genE10ELNS1_11target_archE1201ELNS1_3gpuE5ELNS1_3repE0EEENS1_38merge_mergepath_config_static_selectorELNS0_4arch9wavefront6targetE0EEEvSJ_.uses_flat_scratch, 0
	.set _ZN7rocprim17ROCPRIM_400000_NS6detail17trampoline_kernelINS0_14default_configENS1_38merge_sort_block_merge_config_selectorIiiEEZZNS1_27merge_sort_block_merge_implIS3_N6thrust23THRUST_200600_302600_NS6detail15normal_iteratorINS8_10device_ptrIiEEEESD_jNS1_19radix_merge_compareILb0ELb1EiNS0_19identity_decomposerEEEEE10hipError_tT0_T1_T2_jT3_P12ihipStream_tbPNSt15iterator_traitsISI_E10value_typeEPNSO_ISJ_E10value_typeEPSK_NS1_7vsmem_tEENKUlT_SI_SJ_SK_E_clIPiSD_S10_SD_EESH_SX_SI_SJ_SK_EUlSX_E0_NS1_11comp_targetILNS1_3genE10ELNS1_11target_archE1201ELNS1_3gpuE5ELNS1_3repE0EEENS1_38merge_mergepath_config_static_selectorELNS0_4arch9wavefront6targetE0EEEvSJ_.has_dyn_sized_stack, 0
	.set _ZN7rocprim17ROCPRIM_400000_NS6detail17trampoline_kernelINS0_14default_configENS1_38merge_sort_block_merge_config_selectorIiiEEZZNS1_27merge_sort_block_merge_implIS3_N6thrust23THRUST_200600_302600_NS6detail15normal_iteratorINS8_10device_ptrIiEEEESD_jNS1_19radix_merge_compareILb0ELb1EiNS0_19identity_decomposerEEEEE10hipError_tT0_T1_T2_jT3_P12ihipStream_tbPNSt15iterator_traitsISI_E10value_typeEPNSO_ISJ_E10value_typeEPSK_NS1_7vsmem_tEENKUlT_SI_SJ_SK_E_clIPiSD_S10_SD_EESH_SX_SI_SJ_SK_EUlSX_E0_NS1_11comp_targetILNS1_3genE10ELNS1_11target_archE1201ELNS1_3gpuE5ELNS1_3repE0EEENS1_38merge_mergepath_config_static_selectorELNS0_4arch9wavefront6targetE0EEEvSJ_.has_recursion, 0
	.set _ZN7rocprim17ROCPRIM_400000_NS6detail17trampoline_kernelINS0_14default_configENS1_38merge_sort_block_merge_config_selectorIiiEEZZNS1_27merge_sort_block_merge_implIS3_N6thrust23THRUST_200600_302600_NS6detail15normal_iteratorINS8_10device_ptrIiEEEESD_jNS1_19radix_merge_compareILb0ELb1EiNS0_19identity_decomposerEEEEE10hipError_tT0_T1_T2_jT3_P12ihipStream_tbPNSt15iterator_traitsISI_E10value_typeEPNSO_ISJ_E10value_typeEPSK_NS1_7vsmem_tEENKUlT_SI_SJ_SK_E_clIPiSD_S10_SD_EESH_SX_SI_SJ_SK_EUlSX_E0_NS1_11comp_targetILNS1_3genE10ELNS1_11target_archE1201ELNS1_3gpuE5ELNS1_3repE0EEENS1_38merge_mergepath_config_static_selectorELNS0_4arch9wavefront6targetE0EEEvSJ_.has_indirect_call, 0
	.section	.AMDGPU.csdata,"",@progbits
; Kernel info:
; codeLenInByte = 0
; TotalNumSgprs: 0
; NumVgprs: 0
; ScratchSize: 0
; MemoryBound: 0
; FloatMode: 240
; IeeeMode: 1
; LDSByteSize: 0 bytes/workgroup (compile time only)
; SGPRBlocks: 0
; VGPRBlocks: 0
; NumSGPRsForWavesPerEU: 1
; NumVGPRsForWavesPerEU: 1
; Occupancy: 16
; WaveLimiterHint : 0
; COMPUTE_PGM_RSRC2:SCRATCH_EN: 0
; COMPUTE_PGM_RSRC2:USER_SGPR: 6
; COMPUTE_PGM_RSRC2:TRAP_HANDLER: 0
; COMPUTE_PGM_RSRC2:TGID_X_EN: 1
; COMPUTE_PGM_RSRC2:TGID_Y_EN: 0
; COMPUTE_PGM_RSRC2:TGID_Z_EN: 0
; COMPUTE_PGM_RSRC2:TIDIG_COMP_CNT: 0
	.section	.text._ZN7rocprim17ROCPRIM_400000_NS6detail17trampoline_kernelINS0_14default_configENS1_38merge_sort_block_merge_config_selectorIiiEEZZNS1_27merge_sort_block_merge_implIS3_N6thrust23THRUST_200600_302600_NS6detail15normal_iteratorINS8_10device_ptrIiEEEESD_jNS1_19radix_merge_compareILb0ELb1EiNS0_19identity_decomposerEEEEE10hipError_tT0_T1_T2_jT3_P12ihipStream_tbPNSt15iterator_traitsISI_E10value_typeEPNSO_ISJ_E10value_typeEPSK_NS1_7vsmem_tEENKUlT_SI_SJ_SK_E_clIPiSD_S10_SD_EESH_SX_SI_SJ_SK_EUlSX_E0_NS1_11comp_targetILNS1_3genE5ELNS1_11target_archE942ELNS1_3gpuE9ELNS1_3repE0EEENS1_38merge_mergepath_config_static_selectorELNS0_4arch9wavefront6targetE0EEEvSJ_,"axG",@progbits,_ZN7rocprim17ROCPRIM_400000_NS6detail17trampoline_kernelINS0_14default_configENS1_38merge_sort_block_merge_config_selectorIiiEEZZNS1_27merge_sort_block_merge_implIS3_N6thrust23THRUST_200600_302600_NS6detail15normal_iteratorINS8_10device_ptrIiEEEESD_jNS1_19radix_merge_compareILb0ELb1EiNS0_19identity_decomposerEEEEE10hipError_tT0_T1_T2_jT3_P12ihipStream_tbPNSt15iterator_traitsISI_E10value_typeEPNSO_ISJ_E10value_typeEPSK_NS1_7vsmem_tEENKUlT_SI_SJ_SK_E_clIPiSD_S10_SD_EESH_SX_SI_SJ_SK_EUlSX_E0_NS1_11comp_targetILNS1_3genE5ELNS1_11target_archE942ELNS1_3gpuE9ELNS1_3repE0EEENS1_38merge_mergepath_config_static_selectorELNS0_4arch9wavefront6targetE0EEEvSJ_,comdat
	.protected	_ZN7rocprim17ROCPRIM_400000_NS6detail17trampoline_kernelINS0_14default_configENS1_38merge_sort_block_merge_config_selectorIiiEEZZNS1_27merge_sort_block_merge_implIS3_N6thrust23THRUST_200600_302600_NS6detail15normal_iteratorINS8_10device_ptrIiEEEESD_jNS1_19radix_merge_compareILb0ELb1EiNS0_19identity_decomposerEEEEE10hipError_tT0_T1_T2_jT3_P12ihipStream_tbPNSt15iterator_traitsISI_E10value_typeEPNSO_ISJ_E10value_typeEPSK_NS1_7vsmem_tEENKUlT_SI_SJ_SK_E_clIPiSD_S10_SD_EESH_SX_SI_SJ_SK_EUlSX_E0_NS1_11comp_targetILNS1_3genE5ELNS1_11target_archE942ELNS1_3gpuE9ELNS1_3repE0EEENS1_38merge_mergepath_config_static_selectorELNS0_4arch9wavefront6targetE0EEEvSJ_ ; -- Begin function _ZN7rocprim17ROCPRIM_400000_NS6detail17trampoline_kernelINS0_14default_configENS1_38merge_sort_block_merge_config_selectorIiiEEZZNS1_27merge_sort_block_merge_implIS3_N6thrust23THRUST_200600_302600_NS6detail15normal_iteratorINS8_10device_ptrIiEEEESD_jNS1_19radix_merge_compareILb0ELb1EiNS0_19identity_decomposerEEEEE10hipError_tT0_T1_T2_jT3_P12ihipStream_tbPNSt15iterator_traitsISI_E10value_typeEPNSO_ISJ_E10value_typeEPSK_NS1_7vsmem_tEENKUlT_SI_SJ_SK_E_clIPiSD_S10_SD_EESH_SX_SI_SJ_SK_EUlSX_E0_NS1_11comp_targetILNS1_3genE5ELNS1_11target_archE942ELNS1_3gpuE9ELNS1_3repE0EEENS1_38merge_mergepath_config_static_selectorELNS0_4arch9wavefront6targetE0EEEvSJ_
	.globl	_ZN7rocprim17ROCPRIM_400000_NS6detail17trampoline_kernelINS0_14default_configENS1_38merge_sort_block_merge_config_selectorIiiEEZZNS1_27merge_sort_block_merge_implIS3_N6thrust23THRUST_200600_302600_NS6detail15normal_iteratorINS8_10device_ptrIiEEEESD_jNS1_19radix_merge_compareILb0ELb1EiNS0_19identity_decomposerEEEEE10hipError_tT0_T1_T2_jT3_P12ihipStream_tbPNSt15iterator_traitsISI_E10value_typeEPNSO_ISJ_E10value_typeEPSK_NS1_7vsmem_tEENKUlT_SI_SJ_SK_E_clIPiSD_S10_SD_EESH_SX_SI_SJ_SK_EUlSX_E0_NS1_11comp_targetILNS1_3genE5ELNS1_11target_archE942ELNS1_3gpuE9ELNS1_3repE0EEENS1_38merge_mergepath_config_static_selectorELNS0_4arch9wavefront6targetE0EEEvSJ_
	.p2align	8
	.type	_ZN7rocprim17ROCPRIM_400000_NS6detail17trampoline_kernelINS0_14default_configENS1_38merge_sort_block_merge_config_selectorIiiEEZZNS1_27merge_sort_block_merge_implIS3_N6thrust23THRUST_200600_302600_NS6detail15normal_iteratorINS8_10device_ptrIiEEEESD_jNS1_19radix_merge_compareILb0ELb1EiNS0_19identity_decomposerEEEEE10hipError_tT0_T1_T2_jT3_P12ihipStream_tbPNSt15iterator_traitsISI_E10value_typeEPNSO_ISJ_E10value_typeEPSK_NS1_7vsmem_tEENKUlT_SI_SJ_SK_E_clIPiSD_S10_SD_EESH_SX_SI_SJ_SK_EUlSX_E0_NS1_11comp_targetILNS1_3genE5ELNS1_11target_archE942ELNS1_3gpuE9ELNS1_3repE0EEENS1_38merge_mergepath_config_static_selectorELNS0_4arch9wavefront6targetE0EEEvSJ_,@function
_ZN7rocprim17ROCPRIM_400000_NS6detail17trampoline_kernelINS0_14default_configENS1_38merge_sort_block_merge_config_selectorIiiEEZZNS1_27merge_sort_block_merge_implIS3_N6thrust23THRUST_200600_302600_NS6detail15normal_iteratorINS8_10device_ptrIiEEEESD_jNS1_19radix_merge_compareILb0ELb1EiNS0_19identity_decomposerEEEEE10hipError_tT0_T1_T2_jT3_P12ihipStream_tbPNSt15iterator_traitsISI_E10value_typeEPNSO_ISJ_E10value_typeEPSK_NS1_7vsmem_tEENKUlT_SI_SJ_SK_E_clIPiSD_S10_SD_EESH_SX_SI_SJ_SK_EUlSX_E0_NS1_11comp_targetILNS1_3genE5ELNS1_11target_archE942ELNS1_3gpuE9ELNS1_3repE0EEENS1_38merge_mergepath_config_static_selectorELNS0_4arch9wavefront6targetE0EEEvSJ_: ; @_ZN7rocprim17ROCPRIM_400000_NS6detail17trampoline_kernelINS0_14default_configENS1_38merge_sort_block_merge_config_selectorIiiEEZZNS1_27merge_sort_block_merge_implIS3_N6thrust23THRUST_200600_302600_NS6detail15normal_iteratorINS8_10device_ptrIiEEEESD_jNS1_19radix_merge_compareILb0ELb1EiNS0_19identity_decomposerEEEEE10hipError_tT0_T1_T2_jT3_P12ihipStream_tbPNSt15iterator_traitsISI_E10value_typeEPNSO_ISJ_E10value_typeEPSK_NS1_7vsmem_tEENKUlT_SI_SJ_SK_E_clIPiSD_S10_SD_EESH_SX_SI_SJ_SK_EUlSX_E0_NS1_11comp_targetILNS1_3genE5ELNS1_11target_archE942ELNS1_3gpuE9ELNS1_3repE0EEENS1_38merge_mergepath_config_static_selectorELNS0_4arch9wavefront6targetE0EEEvSJ_
; %bb.0:
	.section	.rodata,"a",@progbits
	.p2align	6, 0x0
	.amdhsa_kernel _ZN7rocprim17ROCPRIM_400000_NS6detail17trampoline_kernelINS0_14default_configENS1_38merge_sort_block_merge_config_selectorIiiEEZZNS1_27merge_sort_block_merge_implIS3_N6thrust23THRUST_200600_302600_NS6detail15normal_iteratorINS8_10device_ptrIiEEEESD_jNS1_19radix_merge_compareILb0ELb1EiNS0_19identity_decomposerEEEEE10hipError_tT0_T1_T2_jT3_P12ihipStream_tbPNSt15iterator_traitsISI_E10value_typeEPNSO_ISJ_E10value_typeEPSK_NS1_7vsmem_tEENKUlT_SI_SJ_SK_E_clIPiSD_S10_SD_EESH_SX_SI_SJ_SK_EUlSX_E0_NS1_11comp_targetILNS1_3genE5ELNS1_11target_archE942ELNS1_3gpuE9ELNS1_3repE0EEENS1_38merge_mergepath_config_static_selectorELNS0_4arch9wavefront6targetE0EEEvSJ_
		.amdhsa_group_segment_fixed_size 0
		.amdhsa_private_segment_fixed_size 0
		.amdhsa_kernarg_size 64
		.amdhsa_user_sgpr_count 6
		.amdhsa_user_sgpr_private_segment_buffer 1
		.amdhsa_user_sgpr_dispatch_ptr 0
		.amdhsa_user_sgpr_queue_ptr 0
		.amdhsa_user_sgpr_kernarg_segment_ptr 1
		.amdhsa_user_sgpr_dispatch_id 0
		.amdhsa_user_sgpr_flat_scratch_init 0
		.amdhsa_user_sgpr_private_segment_size 0
		.amdhsa_wavefront_size32 1
		.amdhsa_uses_dynamic_stack 0
		.amdhsa_system_sgpr_private_segment_wavefront_offset 0
		.amdhsa_system_sgpr_workgroup_id_x 1
		.amdhsa_system_sgpr_workgroup_id_y 0
		.amdhsa_system_sgpr_workgroup_id_z 0
		.amdhsa_system_sgpr_workgroup_info 0
		.amdhsa_system_vgpr_workitem_id 0
		.amdhsa_next_free_vgpr 1
		.amdhsa_next_free_sgpr 1
		.amdhsa_reserve_vcc 0
		.amdhsa_reserve_flat_scratch 0
		.amdhsa_float_round_mode_32 0
		.amdhsa_float_round_mode_16_64 0
		.amdhsa_float_denorm_mode_32 3
		.amdhsa_float_denorm_mode_16_64 3
		.amdhsa_dx10_clamp 1
		.amdhsa_ieee_mode 1
		.amdhsa_fp16_overflow 0
		.amdhsa_workgroup_processor_mode 1
		.amdhsa_memory_ordered 1
		.amdhsa_forward_progress 1
		.amdhsa_shared_vgpr_count 0
		.amdhsa_exception_fp_ieee_invalid_op 0
		.amdhsa_exception_fp_denorm_src 0
		.amdhsa_exception_fp_ieee_div_zero 0
		.amdhsa_exception_fp_ieee_overflow 0
		.amdhsa_exception_fp_ieee_underflow 0
		.amdhsa_exception_fp_ieee_inexact 0
		.amdhsa_exception_int_div_zero 0
	.end_amdhsa_kernel
	.section	.text._ZN7rocprim17ROCPRIM_400000_NS6detail17trampoline_kernelINS0_14default_configENS1_38merge_sort_block_merge_config_selectorIiiEEZZNS1_27merge_sort_block_merge_implIS3_N6thrust23THRUST_200600_302600_NS6detail15normal_iteratorINS8_10device_ptrIiEEEESD_jNS1_19radix_merge_compareILb0ELb1EiNS0_19identity_decomposerEEEEE10hipError_tT0_T1_T2_jT3_P12ihipStream_tbPNSt15iterator_traitsISI_E10value_typeEPNSO_ISJ_E10value_typeEPSK_NS1_7vsmem_tEENKUlT_SI_SJ_SK_E_clIPiSD_S10_SD_EESH_SX_SI_SJ_SK_EUlSX_E0_NS1_11comp_targetILNS1_3genE5ELNS1_11target_archE942ELNS1_3gpuE9ELNS1_3repE0EEENS1_38merge_mergepath_config_static_selectorELNS0_4arch9wavefront6targetE0EEEvSJ_,"axG",@progbits,_ZN7rocprim17ROCPRIM_400000_NS6detail17trampoline_kernelINS0_14default_configENS1_38merge_sort_block_merge_config_selectorIiiEEZZNS1_27merge_sort_block_merge_implIS3_N6thrust23THRUST_200600_302600_NS6detail15normal_iteratorINS8_10device_ptrIiEEEESD_jNS1_19radix_merge_compareILb0ELb1EiNS0_19identity_decomposerEEEEE10hipError_tT0_T1_T2_jT3_P12ihipStream_tbPNSt15iterator_traitsISI_E10value_typeEPNSO_ISJ_E10value_typeEPSK_NS1_7vsmem_tEENKUlT_SI_SJ_SK_E_clIPiSD_S10_SD_EESH_SX_SI_SJ_SK_EUlSX_E0_NS1_11comp_targetILNS1_3genE5ELNS1_11target_archE942ELNS1_3gpuE9ELNS1_3repE0EEENS1_38merge_mergepath_config_static_selectorELNS0_4arch9wavefront6targetE0EEEvSJ_,comdat
.Lfunc_end766:
	.size	_ZN7rocprim17ROCPRIM_400000_NS6detail17trampoline_kernelINS0_14default_configENS1_38merge_sort_block_merge_config_selectorIiiEEZZNS1_27merge_sort_block_merge_implIS3_N6thrust23THRUST_200600_302600_NS6detail15normal_iteratorINS8_10device_ptrIiEEEESD_jNS1_19radix_merge_compareILb0ELb1EiNS0_19identity_decomposerEEEEE10hipError_tT0_T1_T2_jT3_P12ihipStream_tbPNSt15iterator_traitsISI_E10value_typeEPNSO_ISJ_E10value_typeEPSK_NS1_7vsmem_tEENKUlT_SI_SJ_SK_E_clIPiSD_S10_SD_EESH_SX_SI_SJ_SK_EUlSX_E0_NS1_11comp_targetILNS1_3genE5ELNS1_11target_archE942ELNS1_3gpuE9ELNS1_3repE0EEENS1_38merge_mergepath_config_static_selectorELNS0_4arch9wavefront6targetE0EEEvSJ_, .Lfunc_end766-_ZN7rocprim17ROCPRIM_400000_NS6detail17trampoline_kernelINS0_14default_configENS1_38merge_sort_block_merge_config_selectorIiiEEZZNS1_27merge_sort_block_merge_implIS3_N6thrust23THRUST_200600_302600_NS6detail15normal_iteratorINS8_10device_ptrIiEEEESD_jNS1_19radix_merge_compareILb0ELb1EiNS0_19identity_decomposerEEEEE10hipError_tT0_T1_T2_jT3_P12ihipStream_tbPNSt15iterator_traitsISI_E10value_typeEPNSO_ISJ_E10value_typeEPSK_NS1_7vsmem_tEENKUlT_SI_SJ_SK_E_clIPiSD_S10_SD_EESH_SX_SI_SJ_SK_EUlSX_E0_NS1_11comp_targetILNS1_3genE5ELNS1_11target_archE942ELNS1_3gpuE9ELNS1_3repE0EEENS1_38merge_mergepath_config_static_selectorELNS0_4arch9wavefront6targetE0EEEvSJ_
                                        ; -- End function
	.set _ZN7rocprim17ROCPRIM_400000_NS6detail17trampoline_kernelINS0_14default_configENS1_38merge_sort_block_merge_config_selectorIiiEEZZNS1_27merge_sort_block_merge_implIS3_N6thrust23THRUST_200600_302600_NS6detail15normal_iteratorINS8_10device_ptrIiEEEESD_jNS1_19radix_merge_compareILb0ELb1EiNS0_19identity_decomposerEEEEE10hipError_tT0_T1_T2_jT3_P12ihipStream_tbPNSt15iterator_traitsISI_E10value_typeEPNSO_ISJ_E10value_typeEPSK_NS1_7vsmem_tEENKUlT_SI_SJ_SK_E_clIPiSD_S10_SD_EESH_SX_SI_SJ_SK_EUlSX_E0_NS1_11comp_targetILNS1_3genE5ELNS1_11target_archE942ELNS1_3gpuE9ELNS1_3repE0EEENS1_38merge_mergepath_config_static_selectorELNS0_4arch9wavefront6targetE0EEEvSJ_.num_vgpr, 0
	.set _ZN7rocprim17ROCPRIM_400000_NS6detail17trampoline_kernelINS0_14default_configENS1_38merge_sort_block_merge_config_selectorIiiEEZZNS1_27merge_sort_block_merge_implIS3_N6thrust23THRUST_200600_302600_NS6detail15normal_iteratorINS8_10device_ptrIiEEEESD_jNS1_19radix_merge_compareILb0ELb1EiNS0_19identity_decomposerEEEEE10hipError_tT0_T1_T2_jT3_P12ihipStream_tbPNSt15iterator_traitsISI_E10value_typeEPNSO_ISJ_E10value_typeEPSK_NS1_7vsmem_tEENKUlT_SI_SJ_SK_E_clIPiSD_S10_SD_EESH_SX_SI_SJ_SK_EUlSX_E0_NS1_11comp_targetILNS1_3genE5ELNS1_11target_archE942ELNS1_3gpuE9ELNS1_3repE0EEENS1_38merge_mergepath_config_static_selectorELNS0_4arch9wavefront6targetE0EEEvSJ_.num_agpr, 0
	.set _ZN7rocprim17ROCPRIM_400000_NS6detail17trampoline_kernelINS0_14default_configENS1_38merge_sort_block_merge_config_selectorIiiEEZZNS1_27merge_sort_block_merge_implIS3_N6thrust23THRUST_200600_302600_NS6detail15normal_iteratorINS8_10device_ptrIiEEEESD_jNS1_19radix_merge_compareILb0ELb1EiNS0_19identity_decomposerEEEEE10hipError_tT0_T1_T2_jT3_P12ihipStream_tbPNSt15iterator_traitsISI_E10value_typeEPNSO_ISJ_E10value_typeEPSK_NS1_7vsmem_tEENKUlT_SI_SJ_SK_E_clIPiSD_S10_SD_EESH_SX_SI_SJ_SK_EUlSX_E0_NS1_11comp_targetILNS1_3genE5ELNS1_11target_archE942ELNS1_3gpuE9ELNS1_3repE0EEENS1_38merge_mergepath_config_static_selectorELNS0_4arch9wavefront6targetE0EEEvSJ_.numbered_sgpr, 0
	.set _ZN7rocprim17ROCPRIM_400000_NS6detail17trampoline_kernelINS0_14default_configENS1_38merge_sort_block_merge_config_selectorIiiEEZZNS1_27merge_sort_block_merge_implIS3_N6thrust23THRUST_200600_302600_NS6detail15normal_iteratorINS8_10device_ptrIiEEEESD_jNS1_19radix_merge_compareILb0ELb1EiNS0_19identity_decomposerEEEEE10hipError_tT0_T1_T2_jT3_P12ihipStream_tbPNSt15iterator_traitsISI_E10value_typeEPNSO_ISJ_E10value_typeEPSK_NS1_7vsmem_tEENKUlT_SI_SJ_SK_E_clIPiSD_S10_SD_EESH_SX_SI_SJ_SK_EUlSX_E0_NS1_11comp_targetILNS1_3genE5ELNS1_11target_archE942ELNS1_3gpuE9ELNS1_3repE0EEENS1_38merge_mergepath_config_static_selectorELNS0_4arch9wavefront6targetE0EEEvSJ_.num_named_barrier, 0
	.set _ZN7rocprim17ROCPRIM_400000_NS6detail17trampoline_kernelINS0_14default_configENS1_38merge_sort_block_merge_config_selectorIiiEEZZNS1_27merge_sort_block_merge_implIS3_N6thrust23THRUST_200600_302600_NS6detail15normal_iteratorINS8_10device_ptrIiEEEESD_jNS1_19radix_merge_compareILb0ELb1EiNS0_19identity_decomposerEEEEE10hipError_tT0_T1_T2_jT3_P12ihipStream_tbPNSt15iterator_traitsISI_E10value_typeEPNSO_ISJ_E10value_typeEPSK_NS1_7vsmem_tEENKUlT_SI_SJ_SK_E_clIPiSD_S10_SD_EESH_SX_SI_SJ_SK_EUlSX_E0_NS1_11comp_targetILNS1_3genE5ELNS1_11target_archE942ELNS1_3gpuE9ELNS1_3repE0EEENS1_38merge_mergepath_config_static_selectorELNS0_4arch9wavefront6targetE0EEEvSJ_.private_seg_size, 0
	.set _ZN7rocprim17ROCPRIM_400000_NS6detail17trampoline_kernelINS0_14default_configENS1_38merge_sort_block_merge_config_selectorIiiEEZZNS1_27merge_sort_block_merge_implIS3_N6thrust23THRUST_200600_302600_NS6detail15normal_iteratorINS8_10device_ptrIiEEEESD_jNS1_19radix_merge_compareILb0ELb1EiNS0_19identity_decomposerEEEEE10hipError_tT0_T1_T2_jT3_P12ihipStream_tbPNSt15iterator_traitsISI_E10value_typeEPNSO_ISJ_E10value_typeEPSK_NS1_7vsmem_tEENKUlT_SI_SJ_SK_E_clIPiSD_S10_SD_EESH_SX_SI_SJ_SK_EUlSX_E0_NS1_11comp_targetILNS1_3genE5ELNS1_11target_archE942ELNS1_3gpuE9ELNS1_3repE0EEENS1_38merge_mergepath_config_static_selectorELNS0_4arch9wavefront6targetE0EEEvSJ_.uses_vcc, 0
	.set _ZN7rocprim17ROCPRIM_400000_NS6detail17trampoline_kernelINS0_14default_configENS1_38merge_sort_block_merge_config_selectorIiiEEZZNS1_27merge_sort_block_merge_implIS3_N6thrust23THRUST_200600_302600_NS6detail15normal_iteratorINS8_10device_ptrIiEEEESD_jNS1_19radix_merge_compareILb0ELb1EiNS0_19identity_decomposerEEEEE10hipError_tT0_T1_T2_jT3_P12ihipStream_tbPNSt15iterator_traitsISI_E10value_typeEPNSO_ISJ_E10value_typeEPSK_NS1_7vsmem_tEENKUlT_SI_SJ_SK_E_clIPiSD_S10_SD_EESH_SX_SI_SJ_SK_EUlSX_E0_NS1_11comp_targetILNS1_3genE5ELNS1_11target_archE942ELNS1_3gpuE9ELNS1_3repE0EEENS1_38merge_mergepath_config_static_selectorELNS0_4arch9wavefront6targetE0EEEvSJ_.uses_flat_scratch, 0
	.set _ZN7rocprim17ROCPRIM_400000_NS6detail17trampoline_kernelINS0_14default_configENS1_38merge_sort_block_merge_config_selectorIiiEEZZNS1_27merge_sort_block_merge_implIS3_N6thrust23THRUST_200600_302600_NS6detail15normal_iteratorINS8_10device_ptrIiEEEESD_jNS1_19radix_merge_compareILb0ELb1EiNS0_19identity_decomposerEEEEE10hipError_tT0_T1_T2_jT3_P12ihipStream_tbPNSt15iterator_traitsISI_E10value_typeEPNSO_ISJ_E10value_typeEPSK_NS1_7vsmem_tEENKUlT_SI_SJ_SK_E_clIPiSD_S10_SD_EESH_SX_SI_SJ_SK_EUlSX_E0_NS1_11comp_targetILNS1_3genE5ELNS1_11target_archE942ELNS1_3gpuE9ELNS1_3repE0EEENS1_38merge_mergepath_config_static_selectorELNS0_4arch9wavefront6targetE0EEEvSJ_.has_dyn_sized_stack, 0
	.set _ZN7rocprim17ROCPRIM_400000_NS6detail17trampoline_kernelINS0_14default_configENS1_38merge_sort_block_merge_config_selectorIiiEEZZNS1_27merge_sort_block_merge_implIS3_N6thrust23THRUST_200600_302600_NS6detail15normal_iteratorINS8_10device_ptrIiEEEESD_jNS1_19radix_merge_compareILb0ELb1EiNS0_19identity_decomposerEEEEE10hipError_tT0_T1_T2_jT3_P12ihipStream_tbPNSt15iterator_traitsISI_E10value_typeEPNSO_ISJ_E10value_typeEPSK_NS1_7vsmem_tEENKUlT_SI_SJ_SK_E_clIPiSD_S10_SD_EESH_SX_SI_SJ_SK_EUlSX_E0_NS1_11comp_targetILNS1_3genE5ELNS1_11target_archE942ELNS1_3gpuE9ELNS1_3repE0EEENS1_38merge_mergepath_config_static_selectorELNS0_4arch9wavefront6targetE0EEEvSJ_.has_recursion, 0
	.set _ZN7rocprim17ROCPRIM_400000_NS6detail17trampoline_kernelINS0_14default_configENS1_38merge_sort_block_merge_config_selectorIiiEEZZNS1_27merge_sort_block_merge_implIS3_N6thrust23THRUST_200600_302600_NS6detail15normal_iteratorINS8_10device_ptrIiEEEESD_jNS1_19radix_merge_compareILb0ELb1EiNS0_19identity_decomposerEEEEE10hipError_tT0_T1_T2_jT3_P12ihipStream_tbPNSt15iterator_traitsISI_E10value_typeEPNSO_ISJ_E10value_typeEPSK_NS1_7vsmem_tEENKUlT_SI_SJ_SK_E_clIPiSD_S10_SD_EESH_SX_SI_SJ_SK_EUlSX_E0_NS1_11comp_targetILNS1_3genE5ELNS1_11target_archE942ELNS1_3gpuE9ELNS1_3repE0EEENS1_38merge_mergepath_config_static_selectorELNS0_4arch9wavefront6targetE0EEEvSJ_.has_indirect_call, 0
	.section	.AMDGPU.csdata,"",@progbits
; Kernel info:
; codeLenInByte = 0
; TotalNumSgprs: 0
; NumVgprs: 0
; ScratchSize: 0
; MemoryBound: 0
; FloatMode: 240
; IeeeMode: 1
; LDSByteSize: 0 bytes/workgroup (compile time only)
; SGPRBlocks: 0
; VGPRBlocks: 0
; NumSGPRsForWavesPerEU: 1
; NumVGPRsForWavesPerEU: 1
; Occupancy: 16
; WaveLimiterHint : 0
; COMPUTE_PGM_RSRC2:SCRATCH_EN: 0
; COMPUTE_PGM_RSRC2:USER_SGPR: 6
; COMPUTE_PGM_RSRC2:TRAP_HANDLER: 0
; COMPUTE_PGM_RSRC2:TGID_X_EN: 1
; COMPUTE_PGM_RSRC2:TGID_Y_EN: 0
; COMPUTE_PGM_RSRC2:TGID_Z_EN: 0
; COMPUTE_PGM_RSRC2:TIDIG_COMP_CNT: 0
	.section	.text._ZN7rocprim17ROCPRIM_400000_NS6detail17trampoline_kernelINS0_14default_configENS1_38merge_sort_block_merge_config_selectorIiiEEZZNS1_27merge_sort_block_merge_implIS3_N6thrust23THRUST_200600_302600_NS6detail15normal_iteratorINS8_10device_ptrIiEEEESD_jNS1_19radix_merge_compareILb0ELb1EiNS0_19identity_decomposerEEEEE10hipError_tT0_T1_T2_jT3_P12ihipStream_tbPNSt15iterator_traitsISI_E10value_typeEPNSO_ISJ_E10value_typeEPSK_NS1_7vsmem_tEENKUlT_SI_SJ_SK_E_clIPiSD_S10_SD_EESH_SX_SI_SJ_SK_EUlSX_E0_NS1_11comp_targetILNS1_3genE4ELNS1_11target_archE910ELNS1_3gpuE8ELNS1_3repE0EEENS1_38merge_mergepath_config_static_selectorELNS0_4arch9wavefront6targetE0EEEvSJ_,"axG",@progbits,_ZN7rocprim17ROCPRIM_400000_NS6detail17trampoline_kernelINS0_14default_configENS1_38merge_sort_block_merge_config_selectorIiiEEZZNS1_27merge_sort_block_merge_implIS3_N6thrust23THRUST_200600_302600_NS6detail15normal_iteratorINS8_10device_ptrIiEEEESD_jNS1_19radix_merge_compareILb0ELb1EiNS0_19identity_decomposerEEEEE10hipError_tT0_T1_T2_jT3_P12ihipStream_tbPNSt15iterator_traitsISI_E10value_typeEPNSO_ISJ_E10value_typeEPSK_NS1_7vsmem_tEENKUlT_SI_SJ_SK_E_clIPiSD_S10_SD_EESH_SX_SI_SJ_SK_EUlSX_E0_NS1_11comp_targetILNS1_3genE4ELNS1_11target_archE910ELNS1_3gpuE8ELNS1_3repE0EEENS1_38merge_mergepath_config_static_selectorELNS0_4arch9wavefront6targetE0EEEvSJ_,comdat
	.protected	_ZN7rocprim17ROCPRIM_400000_NS6detail17trampoline_kernelINS0_14default_configENS1_38merge_sort_block_merge_config_selectorIiiEEZZNS1_27merge_sort_block_merge_implIS3_N6thrust23THRUST_200600_302600_NS6detail15normal_iteratorINS8_10device_ptrIiEEEESD_jNS1_19radix_merge_compareILb0ELb1EiNS0_19identity_decomposerEEEEE10hipError_tT0_T1_T2_jT3_P12ihipStream_tbPNSt15iterator_traitsISI_E10value_typeEPNSO_ISJ_E10value_typeEPSK_NS1_7vsmem_tEENKUlT_SI_SJ_SK_E_clIPiSD_S10_SD_EESH_SX_SI_SJ_SK_EUlSX_E0_NS1_11comp_targetILNS1_3genE4ELNS1_11target_archE910ELNS1_3gpuE8ELNS1_3repE0EEENS1_38merge_mergepath_config_static_selectorELNS0_4arch9wavefront6targetE0EEEvSJ_ ; -- Begin function _ZN7rocprim17ROCPRIM_400000_NS6detail17trampoline_kernelINS0_14default_configENS1_38merge_sort_block_merge_config_selectorIiiEEZZNS1_27merge_sort_block_merge_implIS3_N6thrust23THRUST_200600_302600_NS6detail15normal_iteratorINS8_10device_ptrIiEEEESD_jNS1_19radix_merge_compareILb0ELb1EiNS0_19identity_decomposerEEEEE10hipError_tT0_T1_T2_jT3_P12ihipStream_tbPNSt15iterator_traitsISI_E10value_typeEPNSO_ISJ_E10value_typeEPSK_NS1_7vsmem_tEENKUlT_SI_SJ_SK_E_clIPiSD_S10_SD_EESH_SX_SI_SJ_SK_EUlSX_E0_NS1_11comp_targetILNS1_3genE4ELNS1_11target_archE910ELNS1_3gpuE8ELNS1_3repE0EEENS1_38merge_mergepath_config_static_selectorELNS0_4arch9wavefront6targetE0EEEvSJ_
	.globl	_ZN7rocprim17ROCPRIM_400000_NS6detail17trampoline_kernelINS0_14default_configENS1_38merge_sort_block_merge_config_selectorIiiEEZZNS1_27merge_sort_block_merge_implIS3_N6thrust23THRUST_200600_302600_NS6detail15normal_iteratorINS8_10device_ptrIiEEEESD_jNS1_19radix_merge_compareILb0ELb1EiNS0_19identity_decomposerEEEEE10hipError_tT0_T1_T2_jT3_P12ihipStream_tbPNSt15iterator_traitsISI_E10value_typeEPNSO_ISJ_E10value_typeEPSK_NS1_7vsmem_tEENKUlT_SI_SJ_SK_E_clIPiSD_S10_SD_EESH_SX_SI_SJ_SK_EUlSX_E0_NS1_11comp_targetILNS1_3genE4ELNS1_11target_archE910ELNS1_3gpuE8ELNS1_3repE0EEENS1_38merge_mergepath_config_static_selectorELNS0_4arch9wavefront6targetE0EEEvSJ_
	.p2align	8
	.type	_ZN7rocprim17ROCPRIM_400000_NS6detail17trampoline_kernelINS0_14default_configENS1_38merge_sort_block_merge_config_selectorIiiEEZZNS1_27merge_sort_block_merge_implIS3_N6thrust23THRUST_200600_302600_NS6detail15normal_iteratorINS8_10device_ptrIiEEEESD_jNS1_19radix_merge_compareILb0ELb1EiNS0_19identity_decomposerEEEEE10hipError_tT0_T1_T2_jT3_P12ihipStream_tbPNSt15iterator_traitsISI_E10value_typeEPNSO_ISJ_E10value_typeEPSK_NS1_7vsmem_tEENKUlT_SI_SJ_SK_E_clIPiSD_S10_SD_EESH_SX_SI_SJ_SK_EUlSX_E0_NS1_11comp_targetILNS1_3genE4ELNS1_11target_archE910ELNS1_3gpuE8ELNS1_3repE0EEENS1_38merge_mergepath_config_static_selectorELNS0_4arch9wavefront6targetE0EEEvSJ_,@function
_ZN7rocprim17ROCPRIM_400000_NS6detail17trampoline_kernelINS0_14default_configENS1_38merge_sort_block_merge_config_selectorIiiEEZZNS1_27merge_sort_block_merge_implIS3_N6thrust23THRUST_200600_302600_NS6detail15normal_iteratorINS8_10device_ptrIiEEEESD_jNS1_19radix_merge_compareILb0ELb1EiNS0_19identity_decomposerEEEEE10hipError_tT0_T1_T2_jT3_P12ihipStream_tbPNSt15iterator_traitsISI_E10value_typeEPNSO_ISJ_E10value_typeEPSK_NS1_7vsmem_tEENKUlT_SI_SJ_SK_E_clIPiSD_S10_SD_EESH_SX_SI_SJ_SK_EUlSX_E0_NS1_11comp_targetILNS1_3genE4ELNS1_11target_archE910ELNS1_3gpuE8ELNS1_3repE0EEENS1_38merge_mergepath_config_static_selectorELNS0_4arch9wavefront6targetE0EEEvSJ_: ; @_ZN7rocprim17ROCPRIM_400000_NS6detail17trampoline_kernelINS0_14default_configENS1_38merge_sort_block_merge_config_selectorIiiEEZZNS1_27merge_sort_block_merge_implIS3_N6thrust23THRUST_200600_302600_NS6detail15normal_iteratorINS8_10device_ptrIiEEEESD_jNS1_19radix_merge_compareILb0ELb1EiNS0_19identity_decomposerEEEEE10hipError_tT0_T1_T2_jT3_P12ihipStream_tbPNSt15iterator_traitsISI_E10value_typeEPNSO_ISJ_E10value_typeEPSK_NS1_7vsmem_tEENKUlT_SI_SJ_SK_E_clIPiSD_S10_SD_EESH_SX_SI_SJ_SK_EUlSX_E0_NS1_11comp_targetILNS1_3genE4ELNS1_11target_archE910ELNS1_3gpuE8ELNS1_3repE0EEENS1_38merge_mergepath_config_static_selectorELNS0_4arch9wavefront6targetE0EEEvSJ_
; %bb.0:
	.section	.rodata,"a",@progbits
	.p2align	6, 0x0
	.amdhsa_kernel _ZN7rocprim17ROCPRIM_400000_NS6detail17trampoline_kernelINS0_14default_configENS1_38merge_sort_block_merge_config_selectorIiiEEZZNS1_27merge_sort_block_merge_implIS3_N6thrust23THRUST_200600_302600_NS6detail15normal_iteratorINS8_10device_ptrIiEEEESD_jNS1_19radix_merge_compareILb0ELb1EiNS0_19identity_decomposerEEEEE10hipError_tT0_T1_T2_jT3_P12ihipStream_tbPNSt15iterator_traitsISI_E10value_typeEPNSO_ISJ_E10value_typeEPSK_NS1_7vsmem_tEENKUlT_SI_SJ_SK_E_clIPiSD_S10_SD_EESH_SX_SI_SJ_SK_EUlSX_E0_NS1_11comp_targetILNS1_3genE4ELNS1_11target_archE910ELNS1_3gpuE8ELNS1_3repE0EEENS1_38merge_mergepath_config_static_selectorELNS0_4arch9wavefront6targetE0EEEvSJ_
		.amdhsa_group_segment_fixed_size 0
		.amdhsa_private_segment_fixed_size 0
		.amdhsa_kernarg_size 64
		.amdhsa_user_sgpr_count 6
		.amdhsa_user_sgpr_private_segment_buffer 1
		.amdhsa_user_sgpr_dispatch_ptr 0
		.amdhsa_user_sgpr_queue_ptr 0
		.amdhsa_user_sgpr_kernarg_segment_ptr 1
		.amdhsa_user_sgpr_dispatch_id 0
		.amdhsa_user_sgpr_flat_scratch_init 0
		.amdhsa_user_sgpr_private_segment_size 0
		.amdhsa_wavefront_size32 1
		.amdhsa_uses_dynamic_stack 0
		.amdhsa_system_sgpr_private_segment_wavefront_offset 0
		.amdhsa_system_sgpr_workgroup_id_x 1
		.amdhsa_system_sgpr_workgroup_id_y 0
		.amdhsa_system_sgpr_workgroup_id_z 0
		.amdhsa_system_sgpr_workgroup_info 0
		.amdhsa_system_vgpr_workitem_id 0
		.amdhsa_next_free_vgpr 1
		.amdhsa_next_free_sgpr 1
		.amdhsa_reserve_vcc 0
		.amdhsa_reserve_flat_scratch 0
		.amdhsa_float_round_mode_32 0
		.amdhsa_float_round_mode_16_64 0
		.amdhsa_float_denorm_mode_32 3
		.amdhsa_float_denorm_mode_16_64 3
		.amdhsa_dx10_clamp 1
		.amdhsa_ieee_mode 1
		.amdhsa_fp16_overflow 0
		.amdhsa_workgroup_processor_mode 1
		.amdhsa_memory_ordered 1
		.amdhsa_forward_progress 1
		.amdhsa_shared_vgpr_count 0
		.amdhsa_exception_fp_ieee_invalid_op 0
		.amdhsa_exception_fp_denorm_src 0
		.amdhsa_exception_fp_ieee_div_zero 0
		.amdhsa_exception_fp_ieee_overflow 0
		.amdhsa_exception_fp_ieee_underflow 0
		.amdhsa_exception_fp_ieee_inexact 0
		.amdhsa_exception_int_div_zero 0
	.end_amdhsa_kernel
	.section	.text._ZN7rocprim17ROCPRIM_400000_NS6detail17trampoline_kernelINS0_14default_configENS1_38merge_sort_block_merge_config_selectorIiiEEZZNS1_27merge_sort_block_merge_implIS3_N6thrust23THRUST_200600_302600_NS6detail15normal_iteratorINS8_10device_ptrIiEEEESD_jNS1_19radix_merge_compareILb0ELb1EiNS0_19identity_decomposerEEEEE10hipError_tT0_T1_T2_jT3_P12ihipStream_tbPNSt15iterator_traitsISI_E10value_typeEPNSO_ISJ_E10value_typeEPSK_NS1_7vsmem_tEENKUlT_SI_SJ_SK_E_clIPiSD_S10_SD_EESH_SX_SI_SJ_SK_EUlSX_E0_NS1_11comp_targetILNS1_3genE4ELNS1_11target_archE910ELNS1_3gpuE8ELNS1_3repE0EEENS1_38merge_mergepath_config_static_selectorELNS0_4arch9wavefront6targetE0EEEvSJ_,"axG",@progbits,_ZN7rocprim17ROCPRIM_400000_NS6detail17trampoline_kernelINS0_14default_configENS1_38merge_sort_block_merge_config_selectorIiiEEZZNS1_27merge_sort_block_merge_implIS3_N6thrust23THRUST_200600_302600_NS6detail15normal_iteratorINS8_10device_ptrIiEEEESD_jNS1_19radix_merge_compareILb0ELb1EiNS0_19identity_decomposerEEEEE10hipError_tT0_T1_T2_jT3_P12ihipStream_tbPNSt15iterator_traitsISI_E10value_typeEPNSO_ISJ_E10value_typeEPSK_NS1_7vsmem_tEENKUlT_SI_SJ_SK_E_clIPiSD_S10_SD_EESH_SX_SI_SJ_SK_EUlSX_E0_NS1_11comp_targetILNS1_3genE4ELNS1_11target_archE910ELNS1_3gpuE8ELNS1_3repE0EEENS1_38merge_mergepath_config_static_selectorELNS0_4arch9wavefront6targetE0EEEvSJ_,comdat
.Lfunc_end767:
	.size	_ZN7rocprim17ROCPRIM_400000_NS6detail17trampoline_kernelINS0_14default_configENS1_38merge_sort_block_merge_config_selectorIiiEEZZNS1_27merge_sort_block_merge_implIS3_N6thrust23THRUST_200600_302600_NS6detail15normal_iteratorINS8_10device_ptrIiEEEESD_jNS1_19radix_merge_compareILb0ELb1EiNS0_19identity_decomposerEEEEE10hipError_tT0_T1_T2_jT3_P12ihipStream_tbPNSt15iterator_traitsISI_E10value_typeEPNSO_ISJ_E10value_typeEPSK_NS1_7vsmem_tEENKUlT_SI_SJ_SK_E_clIPiSD_S10_SD_EESH_SX_SI_SJ_SK_EUlSX_E0_NS1_11comp_targetILNS1_3genE4ELNS1_11target_archE910ELNS1_3gpuE8ELNS1_3repE0EEENS1_38merge_mergepath_config_static_selectorELNS0_4arch9wavefront6targetE0EEEvSJ_, .Lfunc_end767-_ZN7rocprim17ROCPRIM_400000_NS6detail17trampoline_kernelINS0_14default_configENS1_38merge_sort_block_merge_config_selectorIiiEEZZNS1_27merge_sort_block_merge_implIS3_N6thrust23THRUST_200600_302600_NS6detail15normal_iteratorINS8_10device_ptrIiEEEESD_jNS1_19radix_merge_compareILb0ELb1EiNS0_19identity_decomposerEEEEE10hipError_tT0_T1_T2_jT3_P12ihipStream_tbPNSt15iterator_traitsISI_E10value_typeEPNSO_ISJ_E10value_typeEPSK_NS1_7vsmem_tEENKUlT_SI_SJ_SK_E_clIPiSD_S10_SD_EESH_SX_SI_SJ_SK_EUlSX_E0_NS1_11comp_targetILNS1_3genE4ELNS1_11target_archE910ELNS1_3gpuE8ELNS1_3repE0EEENS1_38merge_mergepath_config_static_selectorELNS0_4arch9wavefront6targetE0EEEvSJ_
                                        ; -- End function
	.set _ZN7rocprim17ROCPRIM_400000_NS6detail17trampoline_kernelINS0_14default_configENS1_38merge_sort_block_merge_config_selectorIiiEEZZNS1_27merge_sort_block_merge_implIS3_N6thrust23THRUST_200600_302600_NS6detail15normal_iteratorINS8_10device_ptrIiEEEESD_jNS1_19radix_merge_compareILb0ELb1EiNS0_19identity_decomposerEEEEE10hipError_tT0_T1_T2_jT3_P12ihipStream_tbPNSt15iterator_traitsISI_E10value_typeEPNSO_ISJ_E10value_typeEPSK_NS1_7vsmem_tEENKUlT_SI_SJ_SK_E_clIPiSD_S10_SD_EESH_SX_SI_SJ_SK_EUlSX_E0_NS1_11comp_targetILNS1_3genE4ELNS1_11target_archE910ELNS1_3gpuE8ELNS1_3repE0EEENS1_38merge_mergepath_config_static_selectorELNS0_4arch9wavefront6targetE0EEEvSJ_.num_vgpr, 0
	.set _ZN7rocprim17ROCPRIM_400000_NS6detail17trampoline_kernelINS0_14default_configENS1_38merge_sort_block_merge_config_selectorIiiEEZZNS1_27merge_sort_block_merge_implIS3_N6thrust23THRUST_200600_302600_NS6detail15normal_iteratorINS8_10device_ptrIiEEEESD_jNS1_19radix_merge_compareILb0ELb1EiNS0_19identity_decomposerEEEEE10hipError_tT0_T1_T2_jT3_P12ihipStream_tbPNSt15iterator_traitsISI_E10value_typeEPNSO_ISJ_E10value_typeEPSK_NS1_7vsmem_tEENKUlT_SI_SJ_SK_E_clIPiSD_S10_SD_EESH_SX_SI_SJ_SK_EUlSX_E0_NS1_11comp_targetILNS1_3genE4ELNS1_11target_archE910ELNS1_3gpuE8ELNS1_3repE0EEENS1_38merge_mergepath_config_static_selectorELNS0_4arch9wavefront6targetE0EEEvSJ_.num_agpr, 0
	.set _ZN7rocprim17ROCPRIM_400000_NS6detail17trampoline_kernelINS0_14default_configENS1_38merge_sort_block_merge_config_selectorIiiEEZZNS1_27merge_sort_block_merge_implIS3_N6thrust23THRUST_200600_302600_NS6detail15normal_iteratorINS8_10device_ptrIiEEEESD_jNS1_19radix_merge_compareILb0ELb1EiNS0_19identity_decomposerEEEEE10hipError_tT0_T1_T2_jT3_P12ihipStream_tbPNSt15iterator_traitsISI_E10value_typeEPNSO_ISJ_E10value_typeEPSK_NS1_7vsmem_tEENKUlT_SI_SJ_SK_E_clIPiSD_S10_SD_EESH_SX_SI_SJ_SK_EUlSX_E0_NS1_11comp_targetILNS1_3genE4ELNS1_11target_archE910ELNS1_3gpuE8ELNS1_3repE0EEENS1_38merge_mergepath_config_static_selectorELNS0_4arch9wavefront6targetE0EEEvSJ_.numbered_sgpr, 0
	.set _ZN7rocprim17ROCPRIM_400000_NS6detail17trampoline_kernelINS0_14default_configENS1_38merge_sort_block_merge_config_selectorIiiEEZZNS1_27merge_sort_block_merge_implIS3_N6thrust23THRUST_200600_302600_NS6detail15normal_iteratorINS8_10device_ptrIiEEEESD_jNS1_19radix_merge_compareILb0ELb1EiNS0_19identity_decomposerEEEEE10hipError_tT0_T1_T2_jT3_P12ihipStream_tbPNSt15iterator_traitsISI_E10value_typeEPNSO_ISJ_E10value_typeEPSK_NS1_7vsmem_tEENKUlT_SI_SJ_SK_E_clIPiSD_S10_SD_EESH_SX_SI_SJ_SK_EUlSX_E0_NS1_11comp_targetILNS1_3genE4ELNS1_11target_archE910ELNS1_3gpuE8ELNS1_3repE0EEENS1_38merge_mergepath_config_static_selectorELNS0_4arch9wavefront6targetE0EEEvSJ_.num_named_barrier, 0
	.set _ZN7rocprim17ROCPRIM_400000_NS6detail17trampoline_kernelINS0_14default_configENS1_38merge_sort_block_merge_config_selectorIiiEEZZNS1_27merge_sort_block_merge_implIS3_N6thrust23THRUST_200600_302600_NS6detail15normal_iteratorINS8_10device_ptrIiEEEESD_jNS1_19radix_merge_compareILb0ELb1EiNS0_19identity_decomposerEEEEE10hipError_tT0_T1_T2_jT3_P12ihipStream_tbPNSt15iterator_traitsISI_E10value_typeEPNSO_ISJ_E10value_typeEPSK_NS1_7vsmem_tEENKUlT_SI_SJ_SK_E_clIPiSD_S10_SD_EESH_SX_SI_SJ_SK_EUlSX_E0_NS1_11comp_targetILNS1_3genE4ELNS1_11target_archE910ELNS1_3gpuE8ELNS1_3repE0EEENS1_38merge_mergepath_config_static_selectorELNS0_4arch9wavefront6targetE0EEEvSJ_.private_seg_size, 0
	.set _ZN7rocprim17ROCPRIM_400000_NS6detail17trampoline_kernelINS0_14default_configENS1_38merge_sort_block_merge_config_selectorIiiEEZZNS1_27merge_sort_block_merge_implIS3_N6thrust23THRUST_200600_302600_NS6detail15normal_iteratorINS8_10device_ptrIiEEEESD_jNS1_19radix_merge_compareILb0ELb1EiNS0_19identity_decomposerEEEEE10hipError_tT0_T1_T2_jT3_P12ihipStream_tbPNSt15iterator_traitsISI_E10value_typeEPNSO_ISJ_E10value_typeEPSK_NS1_7vsmem_tEENKUlT_SI_SJ_SK_E_clIPiSD_S10_SD_EESH_SX_SI_SJ_SK_EUlSX_E0_NS1_11comp_targetILNS1_3genE4ELNS1_11target_archE910ELNS1_3gpuE8ELNS1_3repE0EEENS1_38merge_mergepath_config_static_selectorELNS0_4arch9wavefront6targetE0EEEvSJ_.uses_vcc, 0
	.set _ZN7rocprim17ROCPRIM_400000_NS6detail17trampoline_kernelINS0_14default_configENS1_38merge_sort_block_merge_config_selectorIiiEEZZNS1_27merge_sort_block_merge_implIS3_N6thrust23THRUST_200600_302600_NS6detail15normal_iteratorINS8_10device_ptrIiEEEESD_jNS1_19radix_merge_compareILb0ELb1EiNS0_19identity_decomposerEEEEE10hipError_tT0_T1_T2_jT3_P12ihipStream_tbPNSt15iterator_traitsISI_E10value_typeEPNSO_ISJ_E10value_typeEPSK_NS1_7vsmem_tEENKUlT_SI_SJ_SK_E_clIPiSD_S10_SD_EESH_SX_SI_SJ_SK_EUlSX_E0_NS1_11comp_targetILNS1_3genE4ELNS1_11target_archE910ELNS1_3gpuE8ELNS1_3repE0EEENS1_38merge_mergepath_config_static_selectorELNS0_4arch9wavefront6targetE0EEEvSJ_.uses_flat_scratch, 0
	.set _ZN7rocprim17ROCPRIM_400000_NS6detail17trampoline_kernelINS0_14default_configENS1_38merge_sort_block_merge_config_selectorIiiEEZZNS1_27merge_sort_block_merge_implIS3_N6thrust23THRUST_200600_302600_NS6detail15normal_iteratorINS8_10device_ptrIiEEEESD_jNS1_19radix_merge_compareILb0ELb1EiNS0_19identity_decomposerEEEEE10hipError_tT0_T1_T2_jT3_P12ihipStream_tbPNSt15iterator_traitsISI_E10value_typeEPNSO_ISJ_E10value_typeEPSK_NS1_7vsmem_tEENKUlT_SI_SJ_SK_E_clIPiSD_S10_SD_EESH_SX_SI_SJ_SK_EUlSX_E0_NS1_11comp_targetILNS1_3genE4ELNS1_11target_archE910ELNS1_3gpuE8ELNS1_3repE0EEENS1_38merge_mergepath_config_static_selectorELNS0_4arch9wavefront6targetE0EEEvSJ_.has_dyn_sized_stack, 0
	.set _ZN7rocprim17ROCPRIM_400000_NS6detail17trampoline_kernelINS0_14default_configENS1_38merge_sort_block_merge_config_selectorIiiEEZZNS1_27merge_sort_block_merge_implIS3_N6thrust23THRUST_200600_302600_NS6detail15normal_iteratorINS8_10device_ptrIiEEEESD_jNS1_19radix_merge_compareILb0ELb1EiNS0_19identity_decomposerEEEEE10hipError_tT0_T1_T2_jT3_P12ihipStream_tbPNSt15iterator_traitsISI_E10value_typeEPNSO_ISJ_E10value_typeEPSK_NS1_7vsmem_tEENKUlT_SI_SJ_SK_E_clIPiSD_S10_SD_EESH_SX_SI_SJ_SK_EUlSX_E0_NS1_11comp_targetILNS1_3genE4ELNS1_11target_archE910ELNS1_3gpuE8ELNS1_3repE0EEENS1_38merge_mergepath_config_static_selectorELNS0_4arch9wavefront6targetE0EEEvSJ_.has_recursion, 0
	.set _ZN7rocprim17ROCPRIM_400000_NS6detail17trampoline_kernelINS0_14default_configENS1_38merge_sort_block_merge_config_selectorIiiEEZZNS1_27merge_sort_block_merge_implIS3_N6thrust23THRUST_200600_302600_NS6detail15normal_iteratorINS8_10device_ptrIiEEEESD_jNS1_19radix_merge_compareILb0ELb1EiNS0_19identity_decomposerEEEEE10hipError_tT0_T1_T2_jT3_P12ihipStream_tbPNSt15iterator_traitsISI_E10value_typeEPNSO_ISJ_E10value_typeEPSK_NS1_7vsmem_tEENKUlT_SI_SJ_SK_E_clIPiSD_S10_SD_EESH_SX_SI_SJ_SK_EUlSX_E0_NS1_11comp_targetILNS1_3genE4ELNS1_11target_archE910ELNS1_3gpuE8ELNS1_3repE0EEENS1_38merge_mergepath_config_static_selectorELNS0_4arch9wavefront6targetE0EEEvSJ_.has_indirect_call, 0
	.section	.AMDGPU.csdata,"",@progbits
; Kernel info:
; codeLenInByte = 0
; TotalNumSgprs: 0
; NumVgprs: 0
; ScratchSize: 0
; MemoryBound: 0
; FloatMode: 240
; IeeeMode: 1
; LDSByteSize: 0 bytes/workgroup (compile time only)
; SGPRBlocks: 0
; VGPRBlocks: 0
; NumSGPRsForWavesPerEU: 1
; NumVGPRsForWavesPerEU: 1
; Occupancy: 16
; WaveLimiterHint : 0
; COMPUTE_PGM_RSRC2:SCRATCH_EN: 0
; COMPUTE_PGM_RSRC2:USER_SGPR: 6
; COMPUTE_PGM_RSRC2:TRAP_HANDLER: 0
; COMPUTE_PGM_RSRC2:TGID_X_EN: 1
; COMPUTE_PGM_RSRC2:TGID_Y_EN: 0
; COMPUTE_PGM_RSRC2:TGID_Z_EN: 0
; COMPUTE_PGM_RSRC2:TIDIG_COMP_CNT: 0
	.section	.text._ZN7rocprim17ROCPRIM_400000_NS6detail17trampoline_kernelINS0_14default_configENS1_38merge_sort_block_merge_config_selectorIiiEEZZNS1_27merge_sort_block_merge_implIS3_N6thrust23THRUST_200600_302600_NS6detail15normal_iteratorINS8_10device_ptrIiEEEESD_jNS1_19radix_merge_compareILb0ELb1EiNS0_19identity_decomposerEEEEE10hipError_tT0_T1_T2_jT3_P12ihipStream_tbPNSt15iterator_traitsISI_E10value_typeEPNSO_ISJ_E10value_typeEPSK_NS1_7vsmem_tEENKUlT_SI_SJ_SK_E_clIPiSD_S10_SD_EESH_SX_SI_SJ_SK_EUlSX_E0_NS1_11comp_targetILNS1_3genE3ELNS1_11target_archE908ELNS1_3gpuE7ELNS1_3repE0EEENS1_38merge_mergepath_config_static_selectorELNS0_4arch9wavefront6targetE0EEEvSJ_,"axG",@progbits,_ZN7rocprim17ROCPRIM_400000_NS6detail17trampoline_kernelINS0_14default_configENS1_38merge_sort_block_merge_config_selectorIiiEEZZNS1_27merge_sort_block_merge_implIS3_N6thrust23THRUST_200600_302600_NS6detail15normal_iteratorINS8_10device_ptrIiEEEESD_jNS1_19radix_merge_compareILb0ELb1EiNS0_19identity_decomposerEEEEE10hipError_tT0_T1_T2_jT3_P12ihipStream_tbPNSt15iterator_traitsISI_E10value_typeEPNSO_ISJ_E10value_typeEPSK_NS1_7vsmem_tEENKUlT_SI_SJ_SK_E_clIPiSD_S10_SD_EESH_SX_SI_SJ_SK_EUlSX_E0_NS1_11comp_targetILNS1_3genE3ELNS1_11target_archE908ELNS1_3gpuE7ELNS1_3repE0EEENS1_38merge_mergepath_config_static_selectorELNS0_4arch9wavefront6targetE0EEEvSJ_,comdat
	.protected	_ZN7rocprim17ROCPRIM_400000_NS6detail17trampoline_kernelINS0_14default_configENS1_38merge_sort_block_merge_config_selectorIiiEEZZNS1_27merge_sort_block_merge_implIS3_N6thrust23THRUST_200600_302600_NS6detail15normal_iteratorINS8_10device_ptrIiEEEESD_jNS1_19radix_merge_compareILb0ELb1EiNS0_19identity_decomposerEEEEE10hipError_tT0_T1_T2_jT3_P12ihipStream_tbPNSt15iterator_traitsISI_E10value_typeEPNSO_ISJ_E10value_typeEPSK_NS1_7vsmem_tEENKUlT_SI_SJ_SK_E_clIPiSD_S10_SD_EESH_SX_SI_SJ_SK_EUlSX_E0_NS1_11comp_targetILNS1_3genE3ELNS1_11target_archE908ELNS1_3gpuE7ELNS1_3repE0EEENS1_38merge_mergepath_config_static_selectorELNS0_4arch9wavefront6targetE0EEEvSJ_ ; -- Begin function _ZN7rocprim17ROCPRIM_400000_NS6detail17trampoline_kernelINS0_14default_configENS1_38merge_sort_block_merge_config_selectorIiiEEZZNS1_27merge_sort_block_merge_implIS3_N6thrust23THRUST_200600_302600_NS6detail15normal_iteratorINS8_10device_ptrIiEEEESD_jNS1_19radix_merge_compareILb0ELb1EiNS0_19identity_decomposerEEEEE10hipError_tT0_T1_T2_jT3_P12ihipStream_tbPNSt15iterator_traitsISI_E10value_typeEPNSO_ISJ_E10value_typeEPSK_NS1_7vsmem_tEENKUlT_SI_SJ_SK_E_clIPiSD_S10_SD_EESH_SX_SI_SJ_SK_EUlSX_E0_NS1_11comp_targetILNS1_3genE3ELNS1_11target_archE908ELNS1_3gpuE7ELNS1_3repE0EEENS1_38merge_mergepath_config_static_selectorELNS0_4arch9wavefront6targetE0EEEvSJ_
	.globl	_ZN7rocprim17ROCPRIM_400000_NS6detail17trampoline_kernelINS0_14default_configENS1_38merge_sort_block_merge_config_selectorIiiEEZZNS1_27merge_sort_block_merge_implIS3_N6thrust23THRUST_200600_302600_NS6detail15normal_iteratorINS8_10device_ptrIiEEEESD_jNS1_19radix_merge_compareILb0ELb1EiNS0_19identity_decomposerEEEEE10hipError_tT0_T1_T2_jT3_P12ihipStream_tbPNSt15iterator_traitsISI_E10value_typeEPNSO_ISJ_E10value_typeEPSK_NS1_7vsmem_tEENKUlT_SI_SJ_SK_E_clIPiSD_S10_SD_EESH_SX_SI_SJ_SK_EUlSX_E0_NS1_11comp_targetILNS1_3genE3ELNS1_11target_archE908ELNS1_3gpuE7ELNS1_3repE0EEENS1_38merge_mergepath_config_static_selectorELNS0_4arch9wavefront6targetE0EEEvSJ_
	.p2align	8
	.type	_ZN7rocprim17ROCPRIM_400000_NS6detail17trampoline_kernelINS0_14default_configENS1_38merge_sort_block_merge_config_selectorIiiEEZZNS1_27merge_sort_block_merge_implIS3_N6thrust23THRUST_200600_302600_NS6detail15normal_iteratorINS8_10device_ptrIiEEEESD_jNS1_19radix_merge_compareILb0ELb1EiNS0_19identity_decomposerEEEEE10hipError_tT0_T1_T2_jT3_P12ihipStream_tbPNSt15iterator_traitsISI_E10value_typeEPNSO_ISJ_E10value_typeEPSK_NS1_7vsmem_tEENKUlT_SI_SJ_SK_E_clIPiSD_S10_SD_EESH_SX_SI_SJ_SK_EUlSX_E0_NS1_11comp_targetILNS1_3genE3ELNS1_11target_archE908ELNS1_3gpuE7ELNS1_3repE0EEENS1_38merge_mergepath_config_static_selectorELNS0_4arch9wavefront6targetE0EEEvSJ_,@function
_ZN7rocprim17ROCPRIM_400000_NS6detail17trampoline_kernelINS0_14default_configENS1_38merge_sort_block_merge_config_selectorIiiEEZZNS1_27merge_sort_block_merge_implIS3_N6thrust23THRUST_200600_302600_NS6detail15normal_iteratorINS8_10device_ptrIiEEEESD_jNS1_19radix_merge_compareILb0ELb1EiNS0_19identity_decomposerEEEEE10hipError_tT0_T1_T2_jT3_P12ihipStream_tbPNSt15iterator_traitsISI_E10value_typeEPNSO_ISJ_E10value_typeEPSK_NS1_7vsmem_tEENKUlT_SI_SJ_SK_E_clIPiSD_S10_SD_EESH_SX_SI_SJ_SK_EUlSX_E0_NS1_11comp_targetILNS1_3genE3ELNS1_11target_archE908ELNS1_3gpuE7ELNS1_3repE0EEENS1_38merge_mergepath_config_static_selectorELNS0_4arch9wavefront6targetE0EEEvSJ_: ; @_ZN7rocprim17ROCPRIM_400000_NS6detail17trampoline_kernelINS0_14default_configENS1_38merge_sort_block_merge_config_selectorIiiEEZZNS1_27merge_sort_block_merge_implIS3_N6thrust23THRUST_200600_302600_NS6detail15normal_iteratorINS8_10device_ptrIiEEEESD_jNS1_19radix_merge_compareILb0ELb1EiNS0_19identity_decomposerEEEEE10hipError_tT0_T1_T2_jT3_P12ihipStream_tbPNSt15iterator_traitsISI_E10value_typeEPNSO_ISJ_E10value_typeEPSK_NS1_7vsmem_tEENKUlT_SI_SJ_SK_E_clIPiSD_S10_SD_EESH_SX_SI_SJ_SK_EUlSX_E0_NS1_11comp_targetILNS1_3genE3ELNS1_11target_archE908ELNS1_3gpuE7ELNS1_3repE0EEENS1_38merge_mergepath_config_static_selectorELNS0_4arch9wavefront6targetE0EEEvSJ_
; %bb.0:
	.section	.rodata,"a",@progbits
	.p2align	6, 0x0
	.amdhsa_kernel _ZN7rocprim17ROCPRIM_400000_NS6detail17trampoline_kernelINS0_14default_configENS1_38merge_sort_block_merge_config_selectorIiiEEZZNS1_27merge_sort_block_merge_implIS3_N6thrust23THRUST_200600_302600_NS6detail15normal_iteratorINS8_10device_ptrIiEEEESD_jNS1_19radix_merge_compareILb0ELb1EiNS0_19identity_decomposerEEEEE10hipError_tT0_T1_T2_jT3_P12ihipStream_tbPNSt15iterator_traitsISI_E10value_typeEPNSO_ISJ_E10value_typeEPSK_NS1_7vsmem_tEENKUlT_SI_SJ_SK_E_clIPiSD_S10_SD_EESH_SX_SI_SJ_SK_EUlSX_E0_NS1_11comp_targetILNS1_3genE3ELNS1_11target_archE908ELNS1_3gpuE7ELNS1_3repE0EEENS1_38merge_mergepath_config_static_selectorELNS0_4arch9wavefront6targetE0EEEvSJ_
		.amdhsa_group_segment_fixed_size 0
		.amdhsa_private_segment_fixed_size 0
		.amdhsa_kernarg_size 64
		.amdhsa_user_sgpr_count 6
		.amdhsa_user_sgpr_private_segment_buffer 1
		.amdhsa_user_sgpr_dispatch_ptr 0
		.amdhsa_user_sgpr_queue_ptr 0
		.amdhsa_user_sgpr_kernarg_segment_ptr 1
		.amdhsa_user_sgpr_dispatch_id 0
		.amdhsa_user_sgpr_flat_scratch_init 0
		.amdhsa_user_sgpr_private_segment_size 0
		.amdhsa_wavefront_size32 1
		.amdhsa_uses_dynamic_stack 0
		.amdhsa_system_sgpr_private_segment_wavefront_offset 0
		.amdhsa_system_sgpr_workgroup_id_x 1
		.amdhsa_system_sgpr_workgroup_id_y 0
		.amdhsa_system_sgpr_workgroup_id_z 0
		.amdhsa_system_sgpr_workgroup_info 0
		.amdhsa_system_vgpr_workitem_id 0
		.amdhsa_next_free_vgpr 1
		.amdhsa_next_free_sgpr 1
		.amdhsa_reserve_vcc 0
		.amdhsa_reserve_flat_scratch 0
		.amdhsa_float_round_mode_32 0
		.amdhsa_float_round_mode_16_64 0
		.amdhsa_float_denorm_mode_32 3
		.amdhsa_float_denorm_mode_16_64 3
		.amdhsa_dx10_clamp 1
		.amdhsa_ieee_mode 1
		.amdhsa_fp16_overflow 0
		.amdhsa_workgroup_processor_mode 1
		.amdhsa_memory_ordered 1
		.amdhsa_forward_progress 1
		.amdhsa_shared_vgpr_count 0
		.amdhsa_exception_fp_ieee_invalid_op 0
		.amdhsa_exception_fp_denorm_src 0
		.amdhsa_exception_fp_ieee_div_zero 0
		.amdhsa_exception_fp_ieee_overflow 0
		.amdhsa_exception_fp_ieee_underflow 0
		.amdhsa_exception_fp_ieee_inexact 0
		.amdhsa_exception_int_div_zero 0
	.end_amdhsa_kernel
	.section	.text._ZN7rocprim17ROCPRIM_400000_NS6detail17trampoline_kernelINS0_14default_configENS1_38merge_sort_block_merge_config_selectorIiiEEZZNS1_27merge_sort_block_merge_implIS3_N6thrust23THRUST_200600_302600_NS6detail15normal_iteratorINS8_10device_ptrIiEEEESD_jNS1_19radix_merge_compareILb0ELb1EiNS0_19identity_decomposerEEEEE10hipError_tT0_T1_T2_jT3_P12ihipStream_tbPNSt15iterator_traitsISI_E10value_typeEPNSO_ISJ_E10value_typeEPSK_NS1_7vsmem_tEENKUlT_SI_SJ_SK_E_clIPiSD_S10_SD_EESH_SX_SI_SJ_SK_EUlSX_E0_NS1_11comp_targetILNS1_3genE3ELNS1_11target_archE908ELNS1_3gpuE7ELNS1_3repE0EEENS1_38merge_mergepath_config_static_selectorELNS0_4arch9wavefront6targetE0EEEvSJ_,"axG",@progbits,_ZN7rocprim17ROCPRIM_400000_NS6detail17trampoline_kernelINS0_14default_configENS1_38merge_sort_block_merge_config_selectorIiiEEZZNS1_27merge_sort_block_merge_implIS3_N6thrust23THRUST_200600_302600_NS6detail15normal_iteratorINS8_10device_ptrIiEEEESD_jNS1_19radix_merge_compareILb0ELb1EiNS0_19identity_decomposerEEEEE10hipError_tT0_T1_T2_jT3_P12ihipStream_tbPNSt15iterator_traitsISI_E10value_typeEPNSO_ISJ_E10value_typeEPSK_NS1_7vsmem_tEENKUlT_SI_SJ_SK_E_clIPiSD_S10_SD_EESH_SX_SI_SJ_SK_EUlSX_E0_NS1_11comp_targetILNS1_3genE3ELNS1_11target_archE908ELNS1_3gpuE7ELNS1_3repE0EEENS1_38merge_mergepath_config_static_selectorELNS0_4arch9wavefront6targetE0EEEvSJ_,comdat
.Lfunc_end768:
	.size	_ZN7rocprim17ROCPRIM_400000_NS6detail17trampoline_kernelINS0_14default_configENS1_38merge_sort_block_merge_config_selectorIiiEEZZNS1_27merge_sort_block_merge_implIS3_N6thrust23THRUST_200600_302600_NS6detail15normal_iteratorINS8_10device_ptrIiEEEESD_jNS1_19radix_merge_compareILb0ELb1EiNS0_19identity_decomposerEEEEE10hipError_tT0_T1_T2_jT3_P12ihipStream_tbPNSt15iterator_traitsISI_E10value_typeEPNSO_ISJ_E10value_typeEPSK_NS1_7vsmem_tEENKUlT_SI_SJ_SK_E_clIPiSD_S10_SD_EESH_SX_SI_SJ_SK_EUlSX_E0_NS1_11comp_targetILNS1_3genE3ELNS1_11target_archE908ELNS1_3gpuE7ELNS1_3repE0EEENS1_38merge_mergepath_config_static_selectorELNS0_4arch9wavefront6targetE0EEEvSJ_, .Lfunc_end768-_ZN7rocprim17ROCPRIM_400000_NS6detail17trampoline_kernelINS0_14default_configENS1_38merge_sort_block_merge_config_selectorIiiEEZZNS1_27merge_sort_block_merge_implIS3_N6thrust23THRUST_200600_302600_NS6detail15normal_iteratorINS8_10device_ptrIiEEEESD_jNS1_19radix_merge_compareILb0ELb1EiNS0_19identity_decomposerEEEEE10hipError_tT0_T1_T2_jT3_P12ihipStream_tbPNSt15iterator_traitsISI_E10value_typeEPNSO_ISJ_E10value_typeEPSK_NS1_7vsmem_tEENKUlT_SI_SJ_SK_E_clIPiSD_S10_SD_EESH_SX_SI_SJ_SK_EUlSX_E0_NS1_11comp_targetILNS1_3genE3ELNS1_11target_archE908ELNS1_3gpuE7ELNS1_3repE0EEENS1_38merge_mergepath_config_static_selectorELNS0_4arch9wavefront6targetE0EEEvSJ_
                                        ; -- End function
	.set _ZN7rocprim17ROCPRIM_400000_NS6detail17trampoline_kernelINS0_14default_configENS1_38merge_sort_block_merge_config_selectorIiiEEZZNS1_27merge_sort_block_merge_implIS3_N6thrust23THRUST_200600_302600_NS6detail15normal_iteratorINS8_10device_ptrIiEEEESD_jNS1_19radix_merge_compareILb0ELb1EiNS0_19identity_decomposerEEEEE10hipError_tT0_T1_T2_jT3_P12ihipStream_tbPNSt15iterator_traitsISI_E10value_typeEPNSO_ISJ_E10value_typeEPSK_NS1_7vsmem_tEENKUlT_SI_SJ_SK_E_clIPiSD_S10_SD_EESH_SX_SI_SJ_SK_EUlSX_E0_NS1_11comp_targetILNS1_3genE3ELNS1_11target_archE908ELNS1_3gpuE7ELNS1_3repE0EEENS1_38merge_mergepath_config_static_selectorELNS0_4arch9wavefront6targetE0EEEvSJ_.num_vgpr, 0
	.set _ZN7rocprim17ROCPRIM_400000_NS6detail17trampoline_kernelINS0_14default_configENS1_38merge_sort_block_merge_config_selectorIiiEEZZNS1_27merge_sort_block_merge_implIS3_N6thrust23THRUST_200600_302600_NS6detail15normal_iteratorINS8_10device_ptrIiEEEESD_jNS1_19radix_merge_compareILb0ELb1EiNS0_19identity_decomposerEEEEE10hipError_tT0_T1_T2_jT3_P12ihipStream_tbPNSt15iterator_traitsISI_E10value_typeEPNSO_ISJ_E10value_typeEPSK_NS1_7vsmem_tEENKUlT_SI_SJ_SK_E_clIPiSD_S10_SD_EESH_SX_SI_SJ_SK_EUlSX_E0_NS1_11comp_targetILNS1_3genE3ELNS1_11target_archE908ELNS1_3gpuE7ELNS1_3repE0EEENS1_38merge_mergepath_config_static_selectorELNS0_4arch9wavefront6targetE0EEEvSJ_.num_agpr, 0
	.set _ZN7rocprim17ROCPRIM_400000_NS6detail17trampoline_kernelINS0_14default_configENS1_38merge_sort_block_merge_config_selectorIiiEEZZNS1_27merge_sort_block_merge_implIS3_N6thrust23THRUST_200600_302600_NS6detail15normal_iteratorINS8_10device_ptrIiEEEESD_jNS1_19radix_merge_compareILb0ELb1EiNS0_19identity_decomposerEEEEE10hipError_tT0_T1_T2_jT3_P12ihipStream_tbPNSt15iterator_traitsISI_E10value_typeEPNSO_ISJ_E10value_typeEPSK_NS1_7vsmem_tEENKUlT_SI_SJ_SK_E_clIPiSD_S10_SD_EESH_SX_SI_SJ_SK_EUlSX_E0_NS1_11comp_targetILNS1_3genE3ELNS1_11target_archE908ELNS1_3gpuE7ELNS1_3repE0EEENS1_38merge_mergepath_config_static_selectorELNS0_4arch9wavefront6targetE0EEEvSJ_.numbered_sgpr, 0
	.set _ZN7rocprim17ROCPRIM_400000_NS6detail17trampoline_kernelINS0_14default_configENS1_38merge_sort_block_merge_config_selectorIiiEEZZNS1_27merge_sort_block_merge_implIS3_N6thrust23THRUST_200600_302600_NS6detail15normal_iteratorINS8_10device_ptrIiEEEESD_jNS1_19radix_merge_compareILb0ELb1EiNS0_19identity_decomposerEEEEE10hipError_tT0_T1_T2_jT3_P12ihipStream_tbPNSt15iterator_traitsISI_E10value_typeEPNSO_ISJ_E10value_typeEPSK_NS1_7vsmem_tEENKUlT_SI_SJ_SK_E_clIPiSD_S10_SD_EESH_SX_SI_SJ_SK_EUlSX_E0_NS1_11comp_targetILNS1_3genE3ELNS1_11target_archE908ELNS1_3gpuE7ELNS1_3repE0EEENS1_38merge_mergepath_config_static_selectorELNS0_4arch9wavefront6targetE0EEEvSJ_.num_named_barrier, 0
	.set _ZN7rocprim17ROCPRIM_400000_NS6detail17trampoline_kernelINS0_14default_configENS1_38merge_sort_block_merge_config_selectorIiiEEZZNS1_27merge_sort_block_merge_implIS3_N6thrust23THRUST_200600_302600_NS6detail15normal_iteratorINS8_10device_ptrIiEEEESD_jNS1_19radix_merge_compareILb0ELb1EiNS0_19identity_decomposerEEEEE10hipError_tT0_T1_T2_jT3_P12ihipStream_tbPNSt15iterator_traitsISI_E10value_typeEPNSO_ISJ_E10value_typeEPSK_NS1_7vsmem_tEENKUlT_SI_SJ_SK_E_clIPiSD_S10_SD_EESH_SX_SI_SJ_SK_EUlSX_E0_NS1_11comp_targetILNS1_3genE3ELNS1_11target_archE908ELNS1_3gpuE7ELNS1_3repE0EEENS1_38merge_mergepath_config_static_selectorELNS0_4arch9wavefront6targetE0EEEvSJ_.private_seg_size, 0
	.set _ZN7rocprim17ROCPRIM_400000_NS6detail17trampoline_kernelINS0_14default_configENS1_38merge_sort_block_merge_config_selectorIiiEEZZNS1_27merge_sort_block_merge_implIS3_N6thrust23THRUST_200600_302600_NS6detail15normal_iteratorINS8_10device_ptrIiEEEESD_jNS1_19radix_merge_compareILb0ELb1EiNS0_19identity_decomposerEEEEE10hipError_tT0_T1_T2_jT3_P12ihipStream_tbPNSt15iterator_traitsISI_E10value_typeEPNSO_ISJ_E10value_typeEPSK_NS1_7vsmem_tEENKUlT_SI_SJ_SK_E_clIPiSD_S10_SD_EESH_SX_SI_SJ_SK_EUlSX_E0_NS1_11comp_targetILNS1_3genE3ELNS1_11target_archE908ELNS1_3gpuE7ELNS1_3repE0EEENS1_38merge_mergepath_config_static_selectorELNS0_4arch9wavefront6targetE0EEEvSJ_.uses_vcc, 0
	.set _ZN7rocprim17ROCPRIM_400000_NS6detail17trampoline_kernelINS0_14default_configENS1_38merge_sort_block_merge_config_selectorIiiEEZZNS1_27merge_sort_block_merge_implIS3_N6thrust23THRUST_200600_302600_NS6detail15normal_iteratorINS8_10device_ptrIiEEEESD_jNS1_19radix_merge_compareILb0ELb1EiNS0_19identity_decomposerEEEEE10hipError_tT0_T1_T2_jT3_P12ihipStream_tbPNSt15iterator_traitsISI_E10value_typeEPNSO_ISJ_E10value_typeEPSK_NS1_7vsmem_tEENKUlT_SI_SJ_SK_E_clIPiSD_S10_SD_EESH_SX_SI_SJ_SK_EUlSX_E0_NS1_11comp_targetILNS1_3genE3ELNS1_11target_archE908ELNS1_3gpuE7ELNS1_3repE0EEENS1_38merge_mergepath_config_static_selectorELNS0_4arch9wavefront6targetE0EEEvSJ_.uses_flat_scratch, 0
	.set _ZN7rocprim17ROCPRIM_400000_NS6detail17trampoline_kernelINS0_14default_configENS1_38merge_sort_block_merge_config_selectorIiiEEZZNS1_27merge_sort_block_merge_implIS3_N6thrust23THRUST_200600_302600_NS6detail15normal_iteratorINS8_10device_ptrIiEEEESD_jNS1_19radix_merge_compareILb0ELb1EiNS0_19identity_decomposerEEEEE10hipError_tT0_T1_T2_jT3_P12ihipStream_tbPNSt15iterator_traitsISI_E10value_typeEPNSO_ISJ_E10value_typeEPSK_NS1_7vsmem_tEENKUlT_SI_SJ_SK_E_clIPiSD_S10_SD_EESH_SX_SI_SJ_SK_EUlSX_E0_NS1_11comp_targetILNS1_3genE3ELNS1_11target_archE908ELNS1_3gpuE7ELNS1_3repE0EEENS1_38merge_mergepath_config_static_selectorELNS0_4arch9wavefront6targetE0EEEvSJ_.has_dyn_sized_stack, 0
	.set _ZN7rocprim17ROCPRIM_400000_NS6detail17trampoline_kernelINS0_14default_configENS1_38merge_sort_block_merge_config_selectorIiiEEZZNS1_27merge_sort_block_merge_implIS3_N6thrust23THRUST_200600_302600_NS6detail15normal_iteratorINS8_10device_ptrIiEEEESD_jNS1_19radix_merge_compareILb0ELb1EiNS0_19identity_decomposerEEEEE10hipError_tT0_T1_T2_jT3_P12ihipStream_tbPNSt15iterator_traitsISI_E10value_typeEPNSO_ISJ_E10value_typeEPSK_NS1_7vsmem_tEENKUlT_SI_SJ_SK_E_clIPiSD_S10_SD_EESH_SX_SI_SJ_SK_EUlSX_E0_NS1_11comp_targetILNS1_3genE3ELNS1_11target_archE908ELNS1_3gpuE7ELNS1_3repE0EEENS1_38merge_mergepath_config_static_selectorELNS0_4arch9wavefront6targetE0EEEvSJ_.has_recursion, 0
	.set _ZN7rocprim17ROCPRIM_400000_NS6detail17trampoline_kernelINS0_14default_configENS1_38merge_sort_block_merge_config_selectorIiiEEZZNS1_27merge_sort_block_merge_implIS3_N6thrust23THRUST_200600_302600_NS6detail15normal_iteratorINS8_10device_ptrIiEEEESD_jNS1_19radix_merge_compareILb0ELb1EiNS0_19identity_decomposerEEEEE10hipError_tT0_T1_T2_jT3_P12ihipStream_tbPNSt15iterator_traitsISI_E10value_typeEPNSO_ISJ_E10value_typeEPSK_NS1_7vsmem_tEENKUlT_SI_SJ_SK_E_clIPiSD_S10_SD_EESH_SX_SI_SJ_SK_EUlSX_E0_NS1_11comp_targetILNS1_3genE3ELNS1_11target_archE908ELNS1_3gpuE7ELNS1_3repE0EEENS1_38merge_mergepath_config_static_selectorELNS0_4arch9wavefront6targetE0EEEvSJ_.has_indirect_call, 0
	.section	.AMDGPU.csdata,"",@progbits
; Kernel info:
; codeLenInByte = 0
; TotalNumSgprs: 0
; NumVgprs: 0
; ScratchSize: 0
; MemoryBound: 0
; FloatMode: 240
; IeeeMode: 1
; LDSByteSize: 0 bytes/workgroup (compile time only)
; SGPRBlocks: 0
; VGPRBlocks: 0
; NumSGPRsForWavesPerEU: 1
; NumVGPRsForWavesPerEU: 1
; Occupancy: 16
; WaveLimiterHint : 0
; COMPUTE_PGM_RSRC2:SCRATCH_EN: 0
; COMPUTE_PGM_RSRC2:USER_SGPR: 6
; COMPUTE_PGM_RSRC2:TRAP_HANDLER: 0
; COMPUTE_PGM_RSRC2:TGID_X_EN: 1
; COMPUTE_PGM_RSRC2:TGID_Y_EN: 0
; COMPUTE_PGM_RSRC2:TGID_Z_EN: 0
; COMPUTE_PGM_RSRC2:TIDIG_COMP_CNT: 0
	.section	.text._ZN7rocprim17ROCPRIM_400000_NS6detail17trampoline_kernelINS0_14default_configENS1_38merge_sort_block_merge_config_selectorIiiEEZZNS1_27merge_sort_block_merge_implIS3_N6thrust23THRUST_200600_302600_NS6detail15normal_iteratorINS8_10device_ptrIiEEEESD_jNS1_19radix_merge_compareILb0ELb1EiNS0_19identity_decomposerEEEEE10hipError_tT0_T1_T2_jT3_P12ihipStream_tbPNSt15iterator_traitsISI_E10value_typeEPNSO_ISJ_E10value_typeEPSK_NS1_7vsmem_tEENKUlT_SI_SJ_SK_E_clIPiSD_S10_SD_EESH_SX_SI_SJ_SK_EUlSX_E0_NS1_11comp_targetILNS1_3genE2ELNS1_11target_archE906ELNS1_3gpuE6ELNS1_3repE0EEENS1_38merge_mergepath_config_static_selectorELNS0_4arch9wavefront6targetE0EEEvSJ_,"axG",@progbits,_ZN7rocprim17ROCPRIM_400000_NS6detail17trampoline_kernelINS0_14default_configENS1_38merge_sort_block_merge_config_selectorIiiEEZZNS1_27merge_sort_block_merge_implIS3_N6thrust23THRUST_200600_302600_NS6detail15normal_iteratorINS8_10device_ptrIiEEEESD_jNS1_19radix_merge_compareILb0ELb1EiNS0_19identity_decomposerEEEEE10hipError_tT0_T1_T2_jT3_P12ihipStream_tbPNSt15iterator_traitsISI_E10value_typeEPNSO_ISJ_E10value_typeEPSK_NS1_7vsmem_tEENKUlT_SI_SJ_SK_E_clIPiSD_S10_SD_EESH_SX_SI_SJ_SK_EUlSX_E0_NS1_11comp_targetILNS1_3genE2ELNS1_11target_archE906ELNS1_3gpuE6ELNS1_3repE0EEENS1_38merge_mergepath_config_static_selectorELNS0_4arch9wavefront6targetE0EEEvSJ_,comdat
	.protected	_ZN7rocprim17ROCPRIM_400000_NS6detail17trampoline_kernelINS0_14default_configENS1_38merge_sort_block_merge_config_selectorIiiEEZZNS1_27merge_sort_block_merge_implIS3_N6thrust23THRUST_200600_302600_NS6detail15normal_iteratorINS8_10device_ptrIiEEEESD_jNS1_19radix_merge_compareILb0ELb1EiNS0_19identity_decomposerEEEEE10hipError_tT0_T1_T2_jT3_P12ihipStream_tbPNSt15iterator_traitsISI_E10value_typeEPNSO_ISJ_E10value_typeEPSK_NS1_7vsmem_tEENKUlT_SI_SJ_SK_E_clIPiSD_S10_SD_EESH_SX_SI_SJ_SK_EUlSX_E0_NS1_11comp_targetILNS1_3genE2ELNS1_11target_archE906ELNS1_3gpuE6ELNS1_3repE0EEENS1_38merge_mergepath_config_static_selectorELNS0_4arch9wavefront6targetE0EEEvSJ_ ; -- Begin function _ZN7rocprim17ROCPRIM_400000_NS6detail17trampoline_kernelINS0_14default_configENS1_38merge_sort_block_merge_config_selectorIiiEEZZNS1_27merge_sort_block_merge_implIS3_N6thrust23THRUST_200600_302600_NS6detail15normal_iteratorINS8_10device_ptrIiEEEESD_jNS1_19radix_merge_compareILb0ELb1EiNS0_19identity_decomposerEEEEE10hipError_tT0_T1_T2_jT3_P12ihipStream_tbPNSt15iterator_traitsISI_E10value_typeEPNSO_ISJ_E10value_typeEPSK_NS1_7vsmem_tEENKUlT_SI_SJ_SK_E_clIPiSD_S10_SD_EESH_SX_SI_SJ_SK_EUlSX_E0_NS1_11comp_targetILNS1_3genE2ELNS1_11target_archE906ELNS1_3gpuE6ELNS1_3repE0EEENS1_38merge_mergepath_config_static_selectorELNS0_4arch9wavefront6targetE0EEEvSJ_
	.globl	_ZN7rocprim17ROCPRIM_400000_NS6detail17trampoline_kernelINS0_14default_configENS1_38merge_sort_block_merge_config_selectorIiiEEZZNS1_27merge_sort_block_merge_implIS3_N6thrust23THRUST_200600_302600_NS6detail15normal_iteratorINS8_10device_ptrIiEEEESD_jNS1_19radix_merge_compareILb0ELb1EiNS0_19identity_decomposerEEEEE10hipError_tT0_T1_T2_jT3_P12ihipStream_tbPNSt15iterator_traitsISI_E10value_typeEPNSO_ISJ_E10value_typeEPSK_NS1_7vsmem_tEENKUlT_SI_SJ_SK_E_clIPiSD_S10_SD_EESH_SX_SI_SJ_SK_EUlSX_E0_NS1_11comp_targetILNS1_3genE2ELNS1_11target_archE906ELNS1_3gpuE6ELNS1_3repE0EEENS1_38merge_mergepath_config_static_selectorELNS0_4arch9wavefront6targetE0EEEvSJ_
	.p2align	8
	.type	_ZN7rocprim17ROCPRIM_400000_NS6detail17trampoline_kernelINS0_14default_configENS1_38merge_sort_block_merge_config_selectorIiiEEZZNS1_27merge_sort_block_merge_implIS3_N6thrust23THRUST_200600_302600_NS6detail15normal_iteratorINS8_10device_ptrIiEEEESD_jNS1_19radix_merge_compareILb0ELb1EiNS0_19identity_decomposerEEEEE10hipError_tT0_T1_T2_jT3_P12ihipStream_tbPNSt15iterator_traitsISI_E10value_typeEPNSO_ISJ_E10value_typeEPSK_NS1_7vsmem_tEENKUlT_SI_SJ_SK_E_clIPiSD_S10_SD_EESH_SX_SI_SJ_SK_EUlSX_E0_NS1_11comp_targetILNS1_3genE2ELNS1_11target_archE906ELNS1_3gpuE6ELNS1_3repE0EEENS1_38merge_mergepath_config_static_selectorELNS0_4arch9wavefront6targetE0EEEvSJ_,@function
_ZN7rocprim17ROCPRIM_400000_NS6detail17trampoline_kernelINS0_14default_configENS1_38merge_sort_block_merge_config_selectorIiiEEZZNS1_27merge_sort_block_merge_implIS3_N6thrust23THRUST_200600_302600_NS6detail15normal_iteratorINS8_10device_ptrIiEEEESD_jNS1_19radix_merge_compareILb0ELb1EiNS0_19identity_decomposerEEEEE10hipError_tT0_T1_T2_jT3_P12ihipStream_tbPNSt15iterator_traitsISI_E10value_typeEPNSO_ISJ_E10value_typeEPSK_NS1_7vsmem_tEENKUlT_SI_SJ_SK_E_clIPiSD_S10_SD_EESH_SX_SI_SJ_SK_EUlSX_E0_NS1_11comp_targetILNS1_3genE2ELNS1_11target_archE906ELNS1_3gpuE6ELNS1_3repE0EEENS1_38merge_mergepath_config_static_selectorELNS0_4arch9wavefront6targetE0EEEvSJ_: ; @_ZN7rocprim17ROCPRIM_400000_NS6detail17trampoline_kernelINS0_14default_configENS1_38merge_sort_block_merge_config_selectorIiiEEZZNS1_27merge_sort_block_merge_implIS3_N6thrust23THRUST_200600_302600_NS6detail15normal_iteratorINS8_10device_ptrIiEEEESD_jNS1_19radix_merge_compareILb0ELb1EiNS0_19identity_decomposerEEEEE10hipError_tT0_T1_T2_jT3_P12ihipStream_tbPNSt15iterator_traitsISI_E10value_typeEPNSO_ISJ_E10value_typeEPSK_NS1_7vsmem_tEENKUlT_SI_SJ_SK_E_clIPiSD_S10_SD_EESH_SX_SI_SJ_SK_EUlSX_E0_NS1_11comp_targetILNS1_3genE2ELNS1_11target_archE906ELNS1_3gpuE6ELNS1_3repE0EEENS1_38merge_mergepath_config_static_selectorELNS0_4arch9wavefront6targetE0EEEvSJ_
; %bb.0:
	.section	.rodata,"a",@progbits
	.p2align	6, 0x0
	.amdhsa_kernel _ZN7rocprim17ROCPRIM_400000_NS6detail17trampoline_kernelINS0_14default_configENS1_38merge_sort_block_merge_config_selectorIiiEEZZNS1_27merge_sort_block_merge_implIS3_N6thrust23THRUST_200600_302600_NS6detail15normal_iteratorINS8_10device_ptrIiEEEESD_jNS1_19radix_merge_compareILb0ELb1EiNS0_19identity_decomposerEEEEE10hipError_tT0_T1_T2_jT3_P12ihipStream_tbPNSt15iterator_traitsISI_E10value_typeEPNSO_ISJ_E10value_typeEPSK_NS1_7vsmem_tEENKUlT_SI_SJ_SK_E_clIPiSD_S10_SD_EESH_SX_SI_SJ_SK_EUlSX_E0_NS1_11comp_targetILNS1_3genE2ELNS1_11target_archE906ELNS1_3gpuE6ELNS1_3repE0EEENS1_38merge_mergepath_config_static_selectorELNS0_4arch9wavefront6targetE0EEEvSJ_
		.amdhsa_group_segment_fixed_size 0
		.amdhsa_private_segment_fixed_size 0
		.amdhsa_kernarg_size 64
		.amdhsa_user_sgpr_count 6
		.amdhsa_user_sgpr_private_segment_buffer 1
		.amdhsa_user_sgpr_dispatch_ptr 0
		.amdhsa_user_sgpr_queue_ptr 0
		.amdhsa_user_sgpr_kernarg_segment_ptr 1
		.amdhsa_user_sgpr_dispatch_id 0
		.amdhsa_user_sgpr_flat_scratch_init 0
		.amdhsa_user_sgpr_private_segment_size 0
		.amdhsa_wavefront_size32 1
		.amdhsa_uses_dynamic_stack 0
		.amdhsa_system_sgpr_private_segment_wavefront_offset 0
		.amdhsa_system_sgpr_workgroup_id_x 1
		.amdhsa_system_sgpr_workgroup_id_y 0
		.amdhsa_system_sgpr_workgroup_id_z 0
		.amdhsa_system_sgpr_workgroup_info 0
		.amdhsa_system_vgpr_workitem_id 0
		.amdhsa_next_free_vgpr 1
		.amdhsa_next_free_sgpr 1
		.amdhsa_reserve_vcc 0
		.amdhsa_reserve_flat_scratch 0
		.amdhsa_float_round_mode_32 0
		.amdhsa_float_round_mode_16_64 0
		.amdhsa_float_denorm_mode_32 3
		.amdhsa_float_denorm_mode_16_64 3
		.amdhsa_dx10_clamp 1
		.amdhsa_ieee_mode 1
		.amdhsa_fp16_overflow 0
		.amdhsa_workgroup_processor_mode 1
		.amdhsa_memory_ordered 1
		.amdhsa_forward_progress 1
		.amdhsa_shared_vgpr_count 0
		.amdhsa_exception_fp_ieee_invalid_op 0
		.amdhsa_exception_fp_denorm_src 0
		.amdhsa_exception_fp_ieee_div_zero 0
		.amdhsa_exception_fp_ieee_overflow 0
		.amdhsa_exception_fp_ieee_underflow 0
		.amdhsa_exception_fp_ieee_inexact 0
		.amdhsa_exception_int_div_zero 0
	.end_amdhsa_kernel
	.section	.text._ZN7rocprim17ROCPRIM_400000_NS6detail17trampoline_kernelINS0_14default_configENS1_38merge_sort_block_merge_config_selectorIiiEEZZNS1_27merge_sort_block_merge_implIS3_N6thrust23THRUST_200600_302600_NS6detail15normal_iteratorINS8_10device_ptrIiEEEESD_jNS1_19radix_merge_compareILb0ELb1EiNS0_19identity_decomposerEEEEE10hipError_tT0_T1_T2_jT3_P12ihipStream_tbPNSt15iterator_traitsISI_E10value_typeEPNSO_ISJ_E10value_typeEPSK_NS1_7vsmem_tEENKUlT_SI_SJ_SK_E_clIPiSD_S10_SD_EESH_SX_SI_SJ_SK_EUlSX_E0_NS1_11comp_targetILNS1_3genE2ELNS1_11target_archE906ELNS1_3gpuE6ELNS1_3repE0EEENS1_38merge_mergepath_config_static_selectorELNS0_4arch9wavefront6targetE0EEEvSJ_,"axG",@progbits,_ZN7rocprim17ROCPRIM_400000_NS6detail17trampoline_kernelINS0_14default_configENS1_38merge_sort_block_merge_config_selectorIiiEEZZNS1_27merge_sort_block_merge_implIS3_N6thrust23THRUST_200600_302600_NS6detail15normal_iteratorINS8_10device_ptrIiEEEESD_jNS1_19radix_merge_compareILb0ELb1EiNS0_19identity_decomposerEEEEE10hipError_tT0_T1_T2_jT3_P12ihipStream_tbPNSt15iterator_traitsISI_E10value_typeEPNSO_ISJ_E10value_typeEPSK_NS1_7vsmem_tEENKUlT_SI_SJ_SK_E_clIPiSD_S10_SD_EESH_SX_SI_SJ_SK_EUlSX_E0_NS1_11comp_targetILNS1_3genE2ELNS1_11target_archE906ELNS1_3gpuE6ELNS1_3repE0EEENS1_38merge_mergepath_config_static_selectorELNS0_4arch9wavefront6targetE0EEEvSJ_,comdat
.Lfunc_end769:
	.size	_ZN7rocprim17ROCPRIM_400000_NS6detail17trampoline_kernelINS0_14default_configENS1_38merge_sort_block_merge_config_selectorIiiEEZZNS1_27merge_sort_block_merge_implIS3_N6thrust23THRUST_200600_302600_NS6detail15normal_iteratorINS8_10device_ptrIiEEEESD_jNS1_19radix_merge_compareILb0ELb1EiNS0_19identity_decomposerEEEEE10hipError_tT0_T1_T2_jT3_P12ihipStream_tbPNSt15iterator_traitsISI_E10value_typeEPNSO_ISJ_E10value_typeEPSK_NS1_7vsmem_tEENKUlT_SI_SJ_SK_E_clIPiSD_S10_SD_EESH_SX_SI_SJ_SK_EUlSX_E0_NS1_11comp_targetILNS1_3genE2ELNS1_11target_archE906ELNS1_3gpuE6ELNS1_3repE0EEENS1_38merge_mergepath_config_static_selectorELNS0_4arch9wavefront6targetE0EEEvSJ_, .Lfunc_end769-_ZN7rocprim17ROCPRIM_400000_NS6detail17trampoline_kernelINS0_14default_configENS1_38merge_sort_block_merge_config_selectorIiiEEZZNS1_27merge_sort_block_merge_implIS3_N6thrust23THRUST_200600_302600_NS6detail15normal_iteratorINS8_10device_ptrIiEEEESD_jNS1_19radix_merge_compareILb0ELb1EiNS0_19identity_decomposerEEEEE10hipError_tT0_T1_T2_jT3_P12ihipStream_tbPNSt15iterator_traitsISI_E10value_typeEPNSO_ISJ_E10value_typeEPSK_NS1_7vsmem_tEENKUlT_SI_SJ_SK_E_clIPiSD_S10_SD_EESH_SX_SI_SJ_SK_EUlSX_E0_NS1_11comp_targetILNS1_3genE2ELNS1_11target_archE906ELNS1_3gpuE6ELNS1_3repE0EEENS1_38merge_mergepath_config_static_selectorELNS0_4arch9wavefront6targetE0EEEvSJ_
                                        ; -- End function
	.set _ZN7rocprim17ROCPRIM_400000_NS6detail17trampoline_kernelINS0_14default_configENS1_38merge_sort_block_merge_config_selectorIiiEEZZNS1_27merge_sort_block_merge_implIS3_N6thrust23THRUST_200600_302600_NS6detail15normal_iteratorINS8_10device_ptrIiEEEESD_jNS1_19radix_merge_compareILb0ELb1EiNS0_19identity_decomposerEEEEE10hipError_tT0_T1_T2_jT3_P12ihipStream_tbPNSt15iterator_traitsISI_E10value_typeEPNSO_ISJ_E10value_typeEPSK_NS1_7vsmem_tEENKUlT_SI_SJ_SK_E_clIPiSD_S10_SD_EESH_SX_SI_SJ_SK_EUlSX_E0_NS1_11comp_targetILNS1_3genE2ELNS1_11target_archE906ELNS1_3gpuE6ELNS1_3repE0EEENS1_38merge_mergepath_config_static_selectorELNS0_4arch9wavefront6targetE0EEEvSJ_.num_vgpr, 0
	.set _ZN7rocprim17ROCPRIM_400000_NS6detail17trampoline_kernelINS0_14default_configENS1_38merge_sort_block_merge_config_selectorIiiEEZZNS1_27merge_sort_block_merge_implIS3_N6thrust23THRUST_200600_302600_NS6detail15normal_iteratorINS8_10device_ptrIiEEEESD_jNS1_19radix_merge_compareILb0ELb1EiNS0_19identity_decomposerEEEEE10hipError_tT0_T1_T2_jT3_P12ihipStream_tbPNSt15iterator_traitsISI_E10value_typeEPNSO_ISJ_E10value_typeEPSK_NS1_7vsmem_tEENKUlT_SI_SJ_SK_E_clIPiSD_S10_SD_EESH_SX_SI_SJ_SK_EUlSX_E0_NS1_11comp_targetILNS1_3genE2ELNS1_11target_archE906ELNS1_3gpuE6ELNS1_3repE0EEENS1_38merge_mergepath_config_static_selectorELNS0_4arch9wavefront6targetE0EEEvSJ_.num_agpr, 0
	.set _ZN7rocprim17ROCPRIM_400000_NS6detail17trampoline_kernelINS0_14default_configENS1_38merge_sort_block_merge_config_selectorIiiEEZZNS1_27merge_sort_block_merge_implIS3_N6thrust23THRUST_200600_302600_NS6detail15normal_iteratorINS8_10device_ptrIiEEEESD_jNS1_19radix_merge_compareILb0ELb1EiNS0_19identity_decomposerEEEEE10hipError_tT0_T1_T2_jT3_P12ihipStream_tbPNSt15iterator_traitsISI_E10value_typeEPNSO_ISJ_E10value_typeEPSK_NS1_7vsmem_tEENKUlT_SI_SJ_SK_E_clIPiSD_S10_SD_EESH_SX_SI_SJ_SK_EUlSX_E0_NS1_11comp_targetILNS1_3genE2ELNS1_11target_archE906ELNS1_3gpuE6ELNS1_3repE0EEENS1_38merge_mergepath_config_static_selectorELNS0_4arch9wavefront6targetE0EEEvSJ_.numbered_sgpr, 0
	.set _ZN7rocprim17ROCPRIM_400000_NS6detail17trampoline_kernelINS0_14default_configENS1_38merge_sort_block_merge_config_selectorIiiEEZZNS1_27merge_sort_block_merge_implIS3_N6thrust23THRUST_200600_302600_NS6detail15normal_iteratorINS8_10device_ptrIiEEEESD_jNS1_19radix_merge_compareILb0ELb1EiNS0_19identity_decomposerEEEEE10hipError_tT0_T1_T2_jT3_P12ihipStream_tbPNSt15iterator_traitsISI_E10value_typeEPNSO_ISJ_E10value_typeEPSK_NS1_7vsmem_tEENKUlT_SI_SJ_SK_E_clIPiSD_S10_SD_EESH_SX_SI_SJ_SK_EUlSX_E0_NS1_11comp_targetILNS1_3genE2ELNS1_11target_archE906ELNS1_3gpuE6ELNS1_3repE0EEENS1_38merge_mergepath_config_static_selectorELNS0_4arch9wavefront6targetE0EEEvSJ_.num_named_barrier, 0
	.set _ZN7rocprim17ROCPRIM_400000_NS6detail17trampoline_kernelINS0_14default_configENS1_38merge_sort_block_merge_config_selectorIiiEEZZNS1_27merge_sort_block_merge_implIS3_N6thrust23THRUST_200600_302600_NS6detail15normal_iteratorINS8_10device_ptrIiEEEESD_jNS1_19radix_merge_compareILb0ELb1EiNS0_19identity_decomposerEEEEE10hipError_tT0_T1_T2_jT3_P12ihipStream_tbPNSt15iterator_traitsISI_E10value_typeEPNSO_ISJ_E10value_typeEPSK_NS1_7vsmem_tEENKUlT_SI_SJ_SK_E_clIPiSD_S10_SD_EESH_SX_SI_SJ_SK_EUlSX_E0_NS1_11comp_targetILNS1_3genE2ELNS1_11target_archE906ELNS1_3gpuE6ELNS1_3repE0EEENS1_38merge_mergepath_config_static_selectorELNS0_4arch9wavefront6targetE0EEEvSJ_.private_seg_size, 0
	.set _ZN7rocprim17ROCPRIM_400000_NS6detail17trampoline_kernelINS0_14default_configENS1_38merge_sort_block_merge_config_selectorIiiEEZZNS1_27merge_sort_block_merge_implIS3_N6thrust23THRUST_200600_302600_NS6detail15normal_iteratorINS8_10device_ptrIiEEEESD_jNS1_19radix_merge_compareILb0ELb1EiNS0_19identity_decomposerEEEEE10hipError_tT0_T1_T2_jT3_P12ihipStream_tbPNSt15iterator_traitsISI_E10value_typeEPNSO_ISJ_E10value_typeEPSK_NS1_7vsmem_tEENKUlT_SI_SJ_SK_E_clIPiSD_S10_SD_EESH_SX_SI_SJ_SK_EUlSX_E0_NS1_11comp_targetILNS1_3genE2ELNS1_11target_archE906ELNS1_3gpuE6ELNS1_3repE0EEENS1_38merge_mergepath_config_static_selectorELNS0_4arch9wavefront6targetE0EEEvSJ_.uses_vcc, 0
	.set _ZN7rocprim17ROCPRIM_400000_NS6detail17trampoline_kernelINS0_14default_configENS1_38merge_sort_block_merge_config_selectorIiiEEZZNS1_27merge_sort_block_merge_implIS3_N6thrust23THRUST_200600_302600_NS6detail15normal_iteratorINS8_10device_ptrIiEEEESD_jNS1_19radix_merge_compareILb0ELb1EiNS0_19identity_decomposerEEEEE10hipError_tT0_T1_T2_jT3_P12ihipStream_tbPNSt15iterator_traitsISI_E10value_typeEPNSO_ISJ_E10value_typeEPSK_NS1_7vsmem_tEENKUlT_SI_SJ_SK_E_clIPiSD_S10_SD_EESH_SX_SI_SJ_SK_EUlSX_E0_NS1_11comp_targetILNS1_3genE2ELNS1_11target_archE906ELNS1_3gpuE6ELNS1_3repE0EEENS1_38merge_mergepath_config_static_selectorELNS0_4arch9wavefront6targetE0EEEvSJ_.uses_flat_scratch, 0
	.set _ZN7rocprim17ROCPRIM_400000_NS6detail17trampoline_kernelINS0_14default_configENS1_38merge_sort_block_merge_config_selectorIiiEEZZNS1_27merge_sort_block_merge_implIS3_N6thrust23THRUST_200600_302600_NS6detail15normal_iteratorINS8_10device_ptrIiEEEESD_jNS1_19radix_merge_compareILb0ELb1EiNS0_19identity_decomposerEEEEE10hipError_tT0_T1_T2_jT3_P12ihipStream_tbPNSt15iterator_traitsISI_E10value_typeEPNSO_ISJ_E10value_typeEPSK_NS1_7vsmem_tEENKUlT_SI_SJ_SK_E_clIPiSD_S10_SD_EESH_SX_SI_SJ_SK_EUlSX_E0_NS1_11comp_targetILNS1_3genE2ELNS1_11target_archE906ELNS1_3gpuE6ELNS1_3repE0EEENS1_38merge_mergepath_config_static_selectorELNS0_4arch9wavefront6targetE0EEEvSJ_.has_dyn_sized_stack, 0
	.set _ZN7rocprim17ROCPRIM_400000_NS6detail17trampoline_kernelINS0_14default_configENS1_38merge_sort_block_merge_config_selectorIiiEEZZNS1_27merge_sort_block_merge_implIS3_N6thrust23THRUST_200600_302600_NS6detail15normal_iteratorINS8_10device_ptrIiEEEESD_jNS1_19radix_merge_compareILb0ELb1EiNS0_19identity_decomposerEEEEE10hipError_tT0_T1_T2_jT3_P12ihipStream_tbPNSt15iterator_traitsISI_E10value_typeEPNSO_ISJ_E10value_typeEPSK_NS1_7vsmem_tEENKUlT_SI_SJ_SK_E_clIPiSD_S10_SD_EESH_SX_SI_SJ_SK_EUlSX_E0_NS1_11comp_targetILNS1_3genE2ELNS1_11target_archE906ELNS1_3gpuE6ELNS1_3repE0EEENS1_38merge_mergepath_config_static_selectorELNS0_4arch9wavefront6targetE0EEEvSJ_.has_recursion, 0
	.set _ZN7rocprim17ROCPRIM_400000_NS6detail17trampoline_kernelINS0_14default_configENS1_38merge_sort_block_merge_config_selectorIiiEEZZNS1_27merge_sort_block_merge_implIS3_N6thrust23THRUST_200600_302600_NS6detail15normal_iteratorINS8_10device_ptrIiEEEESD_jNS1_19radix_merge_compareILb0ELb1EiNS0_19identity_decomposerEEEEE10hipError_tT0_T1_T2_jT3_P12ihipStream_tbPNSt15iterator_traitsISI_E10value_typeEPNSO_ISJ_E10value_typeEPSK_NS1_7vsmem_tEENKUlT_SI_SJ_SK_E_clIPiSD_S10_SD_EESH_SX_SI_SJ_SK_EUlSX_E0_NS1_11comp_targetILNS1_3genE2ELNS1_11target_archE906ELNS1_3gpuE6ELNS1_3repE0EEENS1_38merge_mergepath_config_static_selectorELNS0_4arch9wavefront6targetE0EEEvSJ_.has_indirect_call, 0
	.section	.AMDGPU.csdata,"",@progbits
; Kernel info:
; codeLenInByte = 0
; TotalNumSgprs: 0
; NumVgprs: 0
; ScratchSize: 0
; MemoryBound: 0
; FloatMode: 240
; IeeeMode: 1
; LDSByteSize: 0 bytes/workgroup (compile time only)
; SGPRBlocks: 0
; VGPRBlocks: 0
; NumSGPRsForWavesPerEU: 1
; NumVGPRsForWavesPerEU: 1
; Occupancy: 16
; WaveLimiterHint : 0
; COMPUTE_PGM_RSRC2:SCRATCH_EN: 0
; COMPUTE_PGM_RSRC2:USER_SGPR: 6
; COMPUTE_PGM_RSRC2:TRAP_HANDLER: 0
; COMPUTE_PGM_RSRC2:TGID_X_EN: 1
; COMPUTE_PGM_RSRC2:TGID_Y_EN: 0
; COMPUTE_PGM_RSRC2:TGID_Z_EN: 0
; COMPUTE_PGM_RSRC2:TIDIG_COMP_CNT: 0
	.section	.text._ZN7rocprim17ROCPRIM_400000_NS6detail17trampoline_kernelINS0_14default_configENS1_38merge_sort_block_merge_config_selectorIiiEEZZNS1_27merge_sort_block_merge_implIS3_N6thrust23THRUST_200600_302600_NS6detail15normal_iteratorINS8_10device_ptrIiEEEESD_jNS1_19radix_merge_compareILb0ELb1EiNS0_19identity_decomposerEEEEE10hipError_tT0_T1_T2_jT3_P12ihipStream_tbPNSt15iterator_traitsISI_E10value_typeEPNSO_ISJ_E10value_typeEPSK_NS1_7vsmem_tEENKUlT_SI_SJ_SK_E_clIPiSD_S10_SD_EESH_SX_SI_SJ_SK_EUlSX_E0_NS1_11comp_targetILNS1_3genE9ELNS1_11target_archE1100ELNS1_3gpuE3ELNS1_3repE0EEENS1_38merge_mergepath_config_static_selectorELNS0_4arch9wavefront6targetE0EEEvSJ_,"axG",@progbits,_ZN7rocprim17ROCPRIM_400000_NS6detail17trampoline_kernelINS0_14default_configENS1_38merge_sort_block_merge_config_selectorIiiEEZZNS1_27merge_sort_block_merge_implIS3_N6thrust23THRUST_200600_302600_NS6detail15normal_iteratorINS8_10device_ptrIiEEEESD_jNS1_19radix_merge_compareILb0ELb1EiNS0_19identity_decomposerEEEEE10hipError_tT0_T1_T2_jT3_P12ihipStream_tbPNSt15iterator_traitsISI_E10value_typeEPNSO_ISJ_E10value_typeEPSK_NS1_7vsmem_tEENKUlT_SI_SJ_SK_E_clIPiSD_S10_SD_EESH_SX_SI_SJ_SK_EUlSX_E0_NS1_11comp_targetILNS1_3genE9ELNS1_11target_archE1100ELNS1_3gpuE3ELNS1_3repE0EEENS1_38merge_mergepath_config_static_selectorELNS0_4arch9wavefront6targetE0EEEvSJ_,comdat
	.protected	_ZN7rocprim17ROCPRIM_400000_NS6detail17trampoline_kernelINS0_14default_configENS1_38merge_sort_block_merge_config_selectorIiiEEZZNS1_27merge_sort_block_merge_implIS3_N6thrust23THRUST_200600_302600_NS6detail15normal_iteratorINS8_10device_ptrIiEEEESD_jNS1_19radix_merge_compareILb0ELb1EiNS0_19identity_decomposerEEEEE10hipError_tT0_T1_T2_jT3_P12ihipStream_tbPNSt15iterator_traitsISI_E10value_typeEPNSO_ISJ_E10value_typeEPSK_NS1_7vsmem_tEENKUlT_SI_SJ_SK_E_clIPiSD_S10_SD_EESH_SX_SI_SJ_SK_EUlSX_E0_NS1_11comp_targetILNS1_3genE9ELNS1_11target_archE1100ELNS1_3gpuE3ELNS1_3repE0EEENS1_38merge_mergepath_config_static_selectorELNS0_4arch9wavefront6targetE0EEEvSJ_ ; -- Begin function _ZN7rocprim17ROCPRIM_400000_NS6detail17trampoline_kernelINS0_14default_configENS1_38merge_sort_block_merge_config_selectorIiiEEZZNS1_27merge_sort_block_merge_implIS3_N6thrust23THRUST_200600_302600_NS6detail15normal_iteratorINS8_10device_ptrIiEEEESD_jNS1_19radix_merge_compareILb0ELb1EiNS0_19identity_decomposerEEEEE10hipError_tT0_T1_T2_jT3_P12ihipStream_tbPNSt15iterator_traitsISI_E10value_typeEPNSO_ISJ_E10value_typeEPSK_NS1_7vsmem_tEENKUlT_SI_SJ_SK_E_clIPiSD_S10_SD_EESH_SX_SI_SJ_SK_EUlSX_E0_NS1_11comp_targetILNS1_3genE9ELNS1_11target_archE1100ELNS1_3gpuE3ELNS1_3repE0EEENS1_38merge_mergepath_config_static_selectorELNS0_4arch9wavefront6targetE0EEEvSJ_
	.globl	_ZN7rocprim17ROCPRIM_400000_NS6detail17trampoline_kernelINS0_14default_configENS1_38merge_sort_block_merge_config_selectorIiiEEZZNS1_27merge_sort_block_merge_implIS3_N6thrust23THRUST_200600_302600_NS6detail15normal_iteratorINS8_10device_ptrIiEEEESD_jNS1_19radix_merge_compareILb0ELb1EiNS0_19identity_decomposerEEEEE10hipError_tT0_T1_T2_jT3_P12ihipStream_tbPNSt15iterator_traitsISI_E10value_typeEPNSO_ISJ_E10value_typeEPSK_NS1_7vsmem_tEENKUlT_SI_SJ_SK_E_clIPiSD_S10_SD_EESH_SX_SI_SJ_SK_EUlSX_E0_NS1_11comp_targetILNS1_3genE9ELNS1_11target_archE1100ELNS1_3gpuE3ELNS1_3repE0EEENS1_38merge_mergepath_config_static_selectorELNS0_4arch9wavefront6targetE0EEEvSJ_
	.p2align	8
	.type	_ZN7rocprim17ROCPRIM_400000_NS6detail17trampoline_kernelINS0_14default_configENS1_38merge_sort_block_merge_config_selectorIiiEEZZNS1_27merge_sort_block_merge_implIS3_N6thrust23THRUST_200600_302600_NS6detail15normal_iteratorINS8_10device_ptrIiEEEESD_jNS1_19radix_merge_compareILb0ELb1EiNS0_19identity_decomposerEEEEE10hipError_tT0_T1_T2_jT3_P12ihipStream_tbPNSt15iterator_traitsISI_E10value_typeEPNSO_ISJ_E10value_typeEPSK_NS1_7vsmem_tEENKUlT_SI_SJ_SK_E_clIPiSD_S10_SD_EESH_SX_SI_SJ_SK_EUlSX_E0_NS1_11comp_targetILNS1_3genE9ELNS1_11target_archE1100ELNS1_3gpuE3ELNS1_3repE0EEENS1_38merge_mergepath_config_static_selectorELNS0_4arch9wavefront6targetE0EEEvSJ_,@function
_ZN7rocprim17ROCPRIM_400000_NS6detail17trampoline_kernelINS0_14default_configENS1_38merge_sort_block_merge_config_selectorIiiEEZZNS1_27merge_sort_block_merge_implIS3_N6thrust23THRUST_200600_302600_NS6detail15normal_iteratorINS8_10device_ptrIiEEEESD_jNS1_19radix_merge_compareILb0ELb1EiNS0_19identity_decomposerEEEEE10hipError_tT0_T1_T2_jT3_P12ihipStream_tbPNSt15iterator_traitsISI_E10value_typeEPNSO_ISJ_E10value_typeEPSK_NS1_7vsmem_tEENKUlT_SI_SJ_SK_E_clIPiSD_S10_SD_EESH_SX_SI_SJ_SK_EUlSX_E0_NS1_11comp_targetILNS1_3genE9ELNS1_11target_archE1100ELNS1_3gpuE3ELNS1_3repE0EEENS1_38merge_mergepath_config_static_selectorELNS0_4arch9wavefront6targetE0EEEvSJ_: ; @_ZN7rocprim17ROCPRIM_400000_NS6detail17trampoline_kernelINS0_14default_configENS1_38merge_sort_block_merge_config_selectorIiiEEZZNS1_27merge_sort_block_merge_implIS3_N6thrust23THRUST_200600_302600_NS6detail15normal_iteratorINS8_10device_ptrIiEEEESD_jNS1_19radix_merge_compareILb0ELb1EiNS0_19identity_decomposerEEEEE10hipError_tT0_T1_T2_jT3_P12ihipStream_tbPNSt15iterator_traitsISI_E10value_typeEPNSO_ISJ_E10value_typeEPSK_NS1_7vsmem_tEENKUlT_SI_SJ_SK_E_clIPiSD_S10_SD_EESH_SX_SI_SJ_SK_EUlSX_E0_NS1_11comp_targetILNS1_3genE9ELNS1_11target_archE1100ELNS1_3gpuE3ELNS1_3repE0EEENS1_38merge_mergepath_config_static_selectorELNS0_4arch9wavefront6targetE0EEEvSJ_
; %bb.0:
	.section	.rodata,"a",@progbits
	.p2align	6, 0x0
	.amdhsa_kernel _ZN7rocprim17ROCPRIM_400000_NS6detail17trampoline_kernelINS0_14default_configENS1_38merge_sort_block_merge_config_selectorIiiEEZZNS1_27merge_sort_block_merge_implIS3_N6thrust23THRUST_200600_302600_NS6detail15normal_iteratorINS8_10device_ptrIiEEEESD_jNS1_19radix_merge_compareILb0ELb1EiNS0_19identity_decomposerEEEEE10hipError_tT0_T1_T2_jT3_P12ihipStream_tbPNSt15iterator_traitsISI_E10value_typeEPNSO_ISJ_E10value_typeEPSK_NS1_7vsmem_tEENKUlT_SI_SJ_SK_E_clIPiSD_S10_SD_EESH_SX_SI_SJ_SK_EUlSX_E0_NS1_11comp_targetILNS1_3genE9ELNS1_11target_archE1100ELNS1_3gpuE3ELNS1_3repE0EEENS1_38merge_mergepath_config_static_selectorELNS0_4arch9wavefront6targetE0EEEvSJ_
		.amdhsa_group_segment_fixed_size 0
		.amdhsa_private_segment_fixed_size 0
		.amdhsa_kernarg_size 64
		.amdhsa_user_sgpr_count 6
		.amdhsa_user_sgpr_private_segment_buffer 1
		.amdhsa_user_sgpr_dispatch_ptr 0
		.amdhsa_user_sgpr_queue_ptr 0
		.amdhsa_user_sgpr_kernarg_segment_ptr 1
		.amdhsa_user_sgpr_dispatch_id 0
		.amdhsa_user_sgpr_flat_scratch_init 0
		.amdhsa_user_sgpr_private_segment_size 0
		.amdhsa_wavefront_size32 1
		.amdhsa_uses_dynamic_stack 0
		.amdhsa_system_sgpr_private_segment_wavefront_offset 0
		.amdhsa_system_sgpr_workgroup_id_x 1
		.amdhsa_system_sgpr_workgroup_id_y 0
		.amdhsa_system_sgpr_workgroup_id_z 0
		.amdhsa_system_sgpr_workgroup_info 0
		.amdhsa_system_vgpr_workitem_id 0
		.amdhsa_next_free_vgpr 1
		.amdhsa_next_free_sgpr 1
		.amdhsa_reserve_vcc 0
		.amdhsa_reserve_flat_scratch 0
		.amdhsa_float_round_mode_32 0
		.amdhsa_float_round_mode_16_64 0
		.amdhsa_float_denorm_mode_32 3
		.amdhsa_float_denorm_mode_16_64 3
		.amdhsa_dx10_clamp 1
		.amdhsa_ieee_mode 1
		.amdhsa_fp16_overflow 0
		.amdhsa_workgroup_processor_mode 1
		.amdhsa_memory_ordered 1
		.amdhsa_forward_progress 1
		.amdhsa_shared_vgpr_count 0
		.amdhsa_exception_fp_ieee_invalid_op 0
		.amdhsa_exception_fp_denorm_src 0
		.amdhsa_exception_fp_ieee_div_zero 0
		.amdhsa_exception_fp_ieee_overflow 0
		.amdhsa_exception_fp_ieee_underflow 0
		.amdhsa_exception_fp_ieee_inexact 0
		.amdhsa_exception_int_div_zero 0
	.end_amdhsa_kernel
	.section	.text._ZN7rocprim17ROCPRIM_400000_NS6detail17trampoline_kernelINS0_14default_configENS1_38merge_sort_block_merge_config_selectorIiiEEZZNS1_27merge_sort_block_merge_implIS3_N6thrust23THRUST_200600_302600_NS6detail15normal_iteratorINS8_10device_ptrIiEEEESD_jNS1_19radix_merge_compareILb0ELb1EiNS0_19identity_decomposerEEEEE10hipError_tT0_T1_T2_jT3_P12ihipStream_tbPNSt15iterator_traitsISI_E10value_typeEPNSO_ISJ_E10value_typeEPSK_NS1_7vsmem_tEENKUlT_SI_SJ_SK_E_clIPiSD_S10_SD_EESH_SX_SI_SJ_SK_EUlSX_E0_NS1_11comp_targetILNS1_3genE9ELNS1_11target_archE1100ELNS1_3gpuE3ELNS1_3repE0EEENS1_38merge_mergepath_config_static_selectorELNS0_4arch9wavefront6targetE0EEEvSJ_,"axG",@progbits,_ZN7rocprim17ROCPRIM_400000_NS6detail17trampoline_kernelINS0_14default_configENS1_38merge_sort_block_merge_config_selectorIiiEEZZNS1_27merge_sort_block_merge_implIS3_N6thrust23THRUST_200600_302600_NS6detail15normal_iteratorINS8_10device_ptrIiEEEESD_jNS1_19radix_merge_compareILb0ELb1EiNS0_19identity_decomposerEEEEE10hipError_tT0_T1_T2_jT3_P12ihipStream_tbPNSt15iterator_traitsISI_E10value_typeEPNSO_ISJ_E10value_typeEPSK_NS1_7vsmem_tEENKUlT_SI_SJ_SK_E_clIPiSD_S10_SD_EESH_SX_SI_SJ_SK_EUlSX_E0_NS1_11comp_targetILNS1_3genE9ELNS1_11target_archE1100ELNS1_3gpuE3ELNS1_3repE0EEENS1_38merge_mergepath_config_static_selectorELNS0_4arch9wavefront6targetE0EEEvSJ_,comdat
.Lfunc_end770:
	.size	_ZN7rocprim17ROCPRIM_400000_NS6detail17trampoline_kernelINS0_14default_configENS1_38merge_sort_block_merge_config_selectorIiiEEZZNS1_27merge_sort_block_merge_implIS3_N6thrust23THRUST_200600_302600_NS6detail15normal_iteratorINS8_10device_ptrIiEEEESD_jNS1_19radix_merge_compareILb0ELb1EiNS0_19identity_decomposerEEEEE10hipError_tT0_T1_T2_jT3_P12ihipStream_tbPNSt15iterator_traitsISI_E10value_typeEPNSO_ISJ_E10value_typeEPSK_NS1_7vsmem_tEENKUlT_SI_SJ_SK_E_clIPiSD_S10_SD_EESH_SX_SI_SJ_SK_EUlSX_E0_NS1_11comp_targetILNS1_3genE9ELNS1_11target_archE1100ELNS1_3gpuE3ELNS1_3repE0EEENS1_38merge_mergepath_config_static_selectorELNS0_4arch9wavefront6targetE0EEEvSJ_, .Lfunc_end770-_ZN7rocprim17ROCPRIM_400000_NS6detail17trampoline_kernelINS0_14default_configENS1_38merge_sort_block_merge_config_selectorIiiEEZZNS1_27merge_sort_block_merge_implIS3_N6thrust23THRUST_200600_302600_NS6detail15normal_iteratorINS8_10device_ptrIiEEEESD_jNS1_19radix_merge_compareILb0ELb1EiNS0_19identity_decomposerEEEEE10hipError_tT0_T1_T2_jT3_P12ihipStream_tbPNSt15iterator_traitsISI_E10value_typeEPNSO_ISJ_E10value_typeEPSK_NS1_7vsmem_tEENKUlT_SI_SJ_SK_E_clIPiSD_S10_SD_EESH_SX_SI_SJ_SK_EUlSX_E0_NS1_11comp_targetILNS1_3genE9ELNS1_11target_archE1100ELNS1_3gpuE3ELNS1_3repE0EEENS1_38merge_mergepath_config_static_selectorELNS0_4arch9wavefront6targetE0EEEvSJ_
                                        ; -- End function
	.set _ZN7rocprim17ROCPRIM_400000_NS6detail17trampoline_kernelINS0_14default_configENS1_38merge_sort_block_merge_config_selectorIiiEEZZNS1_27merge_sort_block_merge_implIS3_N6thrust23THRUST_200600_302600_NS6detail15normal_iteratorINS8_10device_ptrIiEEEESD_jNS1_19radix_merge_compareILb0ELb1EiNS0_19identity_decomposerEEEEE10hipError_tT0_T1_T2_jT3_P12ihipStream_tbPNSt15iterator_traitsISI_E10value_typeEPNSO_ISJ_E10value_typeEPSK_NS1_7vsmem_tEENKUlT_SI_SJ_SK_E_clIPiSD_S10_SD_EESH_SX_SI_SJ_SK_EUlSX_E0_NS1_11comp_targetILNS1_3genE9ELNS1_11target_archE1100ELNS1_3gpuE3ELNS1_3repE0EEENS1_38merge_mergepath_config_static_selectorELNS0_4arch9wavefront6targetE0EEEvSJ_.num_vgpr, 0
	.set _ZN7rocprim17ROCPRIM_400000_NS6detail17trampoline_kernelINS0_14default_configENS1_38merge_sort_block_merge_config_selectorIiiEEZZNS1_27merge_sort_block_merge_implIS3_N6thrust23THRUST_200600_302600_NS6detail15normal_iteratorINS8_10device_ptrIiEEEESD_jNS1_19radix_merge_compareILb0ELb1EiNS0_19identity_decomposerEEEEE10hipError_tT0_T1_T2_jT3_P12ihipStream_tbPNSt15iterator_traitsISI_E10value_typeEPNSO_ISJ_E10value_typeEPSK_NS1_7vsmem_tEENKUlT_SI_SJ_SK_E_clIPiSD_S10_SD_EESH_SX_SI_SJ_SK_EUlSX_E0_NS1_11comp_targetILNS1_3genE9ELNS1_11target_archE1100ELNS1_3gpuE3ELNS1_3repE0EEENS1_38merge_mergepath_config_static_selectorELNS0_4arch9wavefront6targetE0EEEvSJ_.num_agpr, 0
	.set _ZN7rocprim17ROCPRIM_400000_NS6detail17trampoline_kernelINS0_14default_configENS1_38merge_sort_block_merge_config_selectorIiiEEZZNS1_27merge_sort_block_merge_implIS3_N6thrust23THRUST_200600_302600_NS6detail15normal_iteratorINS8_10device_ptrIiEEEESD_jNS1_19radix_merge_compareILb0ELb1EiNS0_19identity_decomposerEEEEE10hipError_tT0_T1_T2_jT3_P12ihipStream_tbPNSt15iterator_traitsISI_E10value_typeEPNSO_ISJ_E10value_typeEPSK_NS1_7vsmem_tEENKUlT_SI_SJ_SK_E_clIPiSD_S10_SD_EESH_SX_SI_SJ_SK_EUlSX_E0_NS1_11comp_targetILNS1_3genE9ELNS1_11target_archE1100ELNS1_3gpuE3ELNS1_3repE0EEENS1_38merge_mergepath_config_static_selectorELNS0_4arch9wavefront6targetE0EEEvSJ_.numbered_sgpr, 0
	.set _ZN7rocprim17ROCPRIM_400000_NS6detail17trampoline_kernelINS0_14default_configENS1_38merge_sort_block_merge_config_selectorIiiEEZZNS1_27merge_sort_block_merge_implIS3_N6thrust23THRUST_200600_302600_NS6detail15normal_iteratorINS8_10device_ptrIiEEEESD_jNS1_19radix_merge_compareILb0ELb1EiNS0_19identity_decomposerEEEEE10hipError_tT0_T1_T2_jT3_P12ihipStream_tbPNSt15iterator_traitsISI_E10value_typeEPNSO_ISJ_E10value_typeEPSK_NS1_7vsmem_tEENKUlT_SI_SJ_SK_E_clIPiSD_S10_SD_EESH_SX_SI_SJ_SK_EUlSX_E0_NS1_11comp_targetILNS1_3genE9ELNS1_11target_archE1100ELNS1_3gpuE3ELNS1_3repE0EEENS1_38merge_mergepath_config_static_selectorELNS0_4arch9wavefront6targetE0EEEvSJ_.num_named_barrier, 0
	.set _ZN7rocprim17ROCPRIM_400000_NS6detail17trampoline_kernelINS0_14default_configENS1_38merge_sort_block_merge_config_selectorIiiEEZZNS1_27merge_sort_block_merge_implIS3_N6thrust23THRUST_200600_302600_NS6detail15normal_iteratorINS8_10device_ptrIiEEEESD_jNS1_19radix_merge_compareILb0ELb1EiNS0_19identity_decomposerEEEEE10hipError_tT0_T1_T2_jT3_P12ihipStream_tbPNSt15iterator_traitsISI_E10value_typeEPNSO_ISJ_E10value_typeEPSK_NS1_7vsmem_tEENKUlT_SI_SJ_SK_E_clIPiSD_S10_SD_EESH_SX_SI_SJ_SK_EUlSX_E0_NS1_11comp_targetILNS1_3genE9ELNS1_11target_archE1100ELNS1_3gpuE3ELNS1_3repE0EEENS1_38merge_mergepath_config_static_selectorELNS0_4arch9wavefront6targetE0EEEvSJ_.private_seg_size, 0
	.set _ZN7rocprim17ROCPRIM_400000_NS6detail17trampoline_kernelINS0_14default_configENS1_38merge_sort_block_merge_config_selectorIiiEEZZNS1_27merge_sort_block_merge_implIS3_N6thrust23THRUST_200600_302600_NS6detail15normal_iteratorINS8_10device_ptrIiEEEESD_jNS1_19radix_merge_compareILb0ELb1EiNS0_19identity_decomposerEEEEE10hipError_tT0_T1_T2_jT3_P12ihipStream_tbPNSt15iterator_traitsISI_E10value_typeEPNSO_ISJ_E10value_typeEPSK_NS1_7vsmem_tEENKUlT_SI_SJ_SK_E_clIPiSD_S10_SD_EESH_SX_SI_SJ_SK_EUlSX_E0_NS1_11comp_targetILNS1_3genE9ELNS1_11target_archE1100ELNS1_3gpuE3ELNS1_3repE0EEENS1_38merge_mergepath_config_static_selectorELNS0_4arch9wavefront6targetE0EEEvSJ_.uses_vcc, 0
	.set _ZN7rocprim17ROCPRIM_400000_NS6detail17trampoline_kernelINS0_14default_configENS1_38merge_sort_block_merge_config_selectorIiiEEZZNS1_27merge_sort_block_merge_implIS3_N6thrust23THRUST_200600_302600_NS6detail15normal_iteratorINS8_10device_ptrIiEEEESD_jNS1_19radix_merge_compareILb0ELb1EiNS0_19identity_decomposerEEEEE10hipError_tT0_T1_T2_jT3_P12ihipStream_tbPNSt15iterator_traitsISI_E10value_typeEPNSO_ISJ_E10value_typeEPSK_NS1_7vsmem_tEENKUlT_SI_SJ_SK_E_clIPiSD_S10_SD_EESH_SX_SI_SJ_SK_EUlSX_E0_NS1_11comp_targetILNS1_3genE9ELNS1_11target_archE1100ELNS1_3gpuE3ELNS1_3repE0EEENS1_38merge_mergepath_config_static_selectorELNS0_4arch9wavefront6targetE0EEEvSJ_.uses_flat_scratch, 0
	.set _ZN7rocprim17ROCPRIM_400000_NS6detail17trampoline_kernelINS0_14default_configENS1_38merge_sort_block_merge_config_selectorIiiEEZZNS1_27merge_sort_block_merge_implIS3_N6thrust23THRUST_200600_302600_NS6detail15normal_iteratorINS8_10device_ptrIiEEEESD_jNS1_19radix_merge_compareILb0ELb1EiNS0_19identity_decomposerEEEEE10hipError_tT0_T1_T2_jT3_P12ihipStream_tbPNSt15iterator_traitsISI_E10value_typeEPNSO_ISJ_E10value_typeEPSK_NS1_7vsmem_tEENKUlT_SI_SJ_SK_E_clIPiSD_S10_SD_EESH_SX_SI_SJ_SK_EUlSX_E0_NS1_11comp_targetILNS1_3genE9ELNS1_11target_archE1100ELNS1_3gpuE3ELNS1_3repE0EEENS1_38merge_mergepath_config_static_selectorELNS0_4arch9wavefront6targetE0EEEvSJ_.has_dyn_sized_stack, 0
	.set _ZN7rocprim17ROCPRIM_400000_NS6detail17trampoline_kernelINS0_14default_configENS1_38merge_sort_block_merge_config_selectorIiiEEZZNS1_27merge_sort_block_merge_implIS3_N6thrust23THRUST_200600_302600_NS6detail15normal_iteratorINS8_10device_ptrIiEEEESD_jNS1_19radix_merge_compareILb0ELb1EiNS0_19identity_decomposerEEEEE10hipError_tT0_T1_T2_jT3_P12ihipStream_tbPNSt15iterator_traitsISI_E10value_typeEPNSO_ISJ_E10value_typeEPSK_NS1_7vsmem_tEENKUlT_SI_SJ_SK_E_clIPiSD_S10_SD_EESH_SX_SI_SJ_SK_EUlSX_E0_NS1_11comp_targetILNS1_3genE9ELNS1_11target_archE1100ELNS1_3gpuE3ELNS1_3repE0EEENS1_38merge_mergepath_config_static_selectorELNS0_4arch9wavefront6targetE0EEEvSJ_.has_recursion, 0
	.set _ZN7rocprim17ROCPRIM_400000_NS6detail17trampoline_kernelINS0_14default_configENS1_38merge_sort_block_merge_config_selectorIiiEEZZNS1_27merge_sort_block_merge_implIS3_N6thrust23THRUST_200600_302600_NS6detail15normal_iteratorINS8_10device_ptrIiEEEESD_jNS1_19radix_merge_compareILb0ELb1EiNS0_19identity_decomposerEEEEE10hipError_tT0_T1_T2_jT3_P12ihipStream_tbPNSt15iterator_traitsISI_E10value_typeEPNSO_ISJ_E10value_typeEPSK_NS1_7vsmem_tEENKUlT_SI_SJ_SK_E_clIPiSD_S10_SD_EESH_SX_SI_SJ_SK_EUlSX_E0_NS1_11comp_targetILNS1_3genE9ELNS1_11target_archE1100ELNS1_3gpuE3ELNS1_3repE0EEENS1_38merge_mergepath_config_static_selectorELNS0_4arch9wavefront6targetE0EEEvSJ_.has_indirect_call, 0
	.section	.AMDGPU.csdata,"",@progbits
; Kernel info:
; codeLenInByte = 0
; TotalNumSgprs: 0
; NumVgprs: 0
; ScratchSize: 0
; MemoryBound: 0
; FloatMode: 240
; IeeeMode: 1
; LDSByteSize: 0 bytes/workgroup (compile time only)
; SGPRBlocks: 0
; VGPRBlocks: 0
; NumSGPRsForWavesPerEU: 1
; NumVGPRsForWavesPerEU: 1
; Occupancy: 16
; WaveLimiterHint : 0
; COMPUTE_PGM_RSRC2:SCRATCH_EN: 0
; COMPUTE_PGM_RSRC2:USER_SGPR: 6
; COMPUTE_PGM_RSRC2:TRAP_HANDLER: 0
; COMPUTE_PGM_RSRC2:TGID_X_EN: 1
; COMPUTE_PGM_RSRC2:TGID_Y_EN: 0
; COMPUTE_PGM_RSRC2:TGID_Z_EN: 0
; COMPUTE_PGM_RSRC2:TIDIG_COMP_CNT: 0
	.section	.text._ZN7rocprim17ROCPRIM_400000_NS6detail17trampoline_kernelINS0_14default_configENS1_38merge_sort_block_merge_config_selectorIiiEEZZNS1_27merge_sort_block_merge_implIS3_N6thrust23THRUST_200600_302600_NS6detail15normal_iteratorINS8_10device_ptrIiEEEESD_jNS1_19radix_merge_compareILb0ELb1EiNS0_19identity_decomposerEEEEE10hipError_tT0_T1_T2_jT3_P12ihipStream_tbPNSt15iterator_traitsISI_E10value_typeEPNSO_ISJ_E10value_typeEPSK_NS1_7vsmem_tEENKUlT_SI_SJ_SK_E_clIPiSD_S10_SD_EESH_SX_SI_SJ_SK_EUlSX_E0_NS1_11comp_targetILNS1_3genE8ELNS1_11target_archE1030ELNS1_3gpuE2ELNS1_3repE0EEENS1_38merge_mergepath_config_static_selectorELNS0_4arch9wavefront6targetE0EEEvSJ_,"axG",@progbits,_ZN7rocprim17ROCPRIM_400000_NS6detail17trampoline_kernelINS0_14default_configENS1_38merge_sort_block_merge_config_selectorIiiEEZZNS1_27merge_sort_block_merge_implIS3_N6thrust23THRUST_200600_302600_NS6detail15normal_iteratorINS8_10device_ptrIiEEEESD_jNS1_19radix_merge_compareILb0ELb1EiNS0_19identity_decomposerEEEEE10hipError_tT0_T1_T2_jT3_P12ihipStream_tbPNSt15iterator_traitsISI_E10value_typeEPNSO_ISJ_E10value_typeEPSK_NS1_7vsmem_tEENKUlT_SI_SJ_SK_E_clIPiSD_S10_SD_EESH_SX_SI_SJ_SK_EUlSX_E0_NS1_11comp_targetILNS1_3genE8ELNS1_11target_archE1030ELNS1_3gpuE2ELNS1_3repE0EEENS1_38merge_mergepath_config_static_selectorELNS0_4arch9wavefront6targetE0EEEvSJ_,comdat
	.protected	_ZN7rocprim17ROCPRIM_400000_NS6detail17trampoline_kernelINS0_14default_configENS1_38merge_sort_block_merge_config_selectorIiiEEZZNS1_27merge_sort_block_merge_implIS3_N6thrust23THRUST_200600_302600_NS6detail15normal_iteratorINS8_10device_ptrIiEEEESD_jNS1_19radix_merge_compareILb0ELb1EiNS0_19identity_decomposerEEEEE10hipError_tT0_T1_T2_jT3_P12ihipStream_tbPNSt15iterator_traitsISI_E10value_typeEPNSO_ISJ_E10value_typeEPSK_NS1_7vsmem_tEENKUlT_SI_SJ_SK_E_clIPiSD_S10_SD_EESH_SX_SI_SJ_SK_EUlSX_E0_NS1_11comp_targetILNS1_3genE8ELNS1_11target_archE1030ELNS1_3gpuE2ELNS1_3repE0EEENS1_38merge_mergepath_config_static_selectorELNS0_4arch9wavefront6targetE0EEEvSJ_ ; -- Begin function _ZN7rocprim17ROCPRIM_400000_NS6detail17trampoline_kernelINS0_14default_configENS1_38merge_sort_block_merge_config_selectorIiiEEZZNS1_27merge_sort_block_merge_implIS3_N6thrust23THRUST_200600_302600_NS6detail15normal_iteratorINS8_10device_ptrIiEEEESD_jNS1_19radix_merge_compareILb0ELb1EiNS0_19identity_decomposerEEEEE10hipError_tT0_T1_T2_jT3_P12ihipStream_tbPNSt15iterator_traitsISI_E10value_typeEPNSO_ISJ_E10value_typeEPSK_NS1_7vsmem_tEENKUlT_SI_SJ_SK_E_clIPiSD_S10_SD_EESH_SX_SI_SJ_SK_EUlSX_E0_NS1_11comp_targetILNS1_3genE8ELNS1_11target_archE1030ELNS1_3gpuE2ELNS1_3repE0EEENS1_38merge_mergepath_config_static_selectorELNS0_4arch9wavefront6targetE0EEEvSJ_
	.globl	_ZN7rocprim17ROCPRIM_400000_NS6detail17trampoline_kernelINS0_14default_configENS1_38merge_sort_block_merge_config_selectorIiiEEZZNS1_27merge_sort_block_merge_implIS3_N6thrust23THRUST_200600_302600_NS6detail15normal_iteratorINS8_10device_ptrIiEEEESD_jNS1_19radix_merge_compareILb0ELb1EiNS0_19identity_decomposerEEEEE10hipError_tT0_T1_T2_jT3_P12ihipStream_tbPNSt15iterator_traitsISI_E10value_typeEPNSO_ISJ_E10value_typeEPSK_NS1_7vsmem_tEENKUlT_SI_SJ_SK_E_clIPiSD_S10_SD_EESH_SX_SI_SJ_SK_EUlSX_E0_NS1_11comp_targetILNS1_3genE8ELNS1_11target_archE1030ELNS1_3gpuE2ELNS1_3repE0EEENS1_38merge_mergepath_config_static_selectorELNS0_4arch9wavefront6targetE0EEEvSJ_
	.p2align	8
	.type	_ZN7rocprim17ROCPRIM_400000_NS6detail17trampoline_kernelINS0_14default_configENS1_38merge_sort_block_merge_config_selectorIiiEEZZNS1_27merge_sort_block_merge_implIS3_N6thrust23THRUST_200600_302600_NS6detail15normal_iteratorINS8_10device_ptrIiEEEESD_jNS1_19radix_merge_compareILb0ELb1EiNS0_19identity_decomposerEEEEE10hipError_tT0_T1_T2_jT3_P12ihipStream_tbPNSt15iterator_traitsISI_E10value_typeEPNSO_ISJ_E10value_typeEPSK_NS1_7vsmem_tEENKUlT_SI_SJ_SK_E_clIPiSD_S10_SD_EESH_SX_SI_SJ_SK_EUlSX_E0_NS1_11comp_targetILNS1_3genE8ELNS1_11target_archE1030ELNS1_3gpuE2ELNS1_3repE0EEENS1_38merge_mergepath_config_static_selectorELNS0_4arch9wavefront6targetE0EEEvSJ_,@function
_ZN7rocprim17ROCPRIM_400000_NS6detail17trampoline_kernelINS0_14default_configENS1_38merge_sort_block_merge_config_selectorIiiEEZZNS1_27merge_sort_block_merge_implIS3_N6thrust23THRUST_200600_302600_NS6detail15normal_iteratorINS8_10device_ptrIiEEEESD_jNS1_19radix_merge_compareILb0ELb1EiNS0_19identity_decomposerEEEEE10hipError_tT0_T1_T2_jT3_P12ihipStream_tbPNSt15iterator_traitsISI_E10value_typeEPNSO_ISJ_E10value_typeEPSK_NS1_7vsmem_tEENKUlT_SI_SJ_SK_E_clIPiSD_S10_SD_EESH_SX_SI_SJ_SK_EUlSX_E0_NS1_11comp_targetILNS1_3genE8ELNS1_11target_archE1030ELNS1_3gpuE2ELNS1_3repE0EEENS1_38merge_mergepath_config_static_selectorELNS0_4arch9wavefront6targetE0EEEvSJ_: ; @_ZN7rocprim17ROCPRIM_400000_NS6detail17trampoline_kernelINS0_14default_configENS1_38merge_sort_block_merge_config_selectorIiiEEZZNS1_27merge_sort_block_merge_implIS3_N6thrust23THRUST_200600_302600_NS6detail15normal_iteratorINS8_10device_ptrIiEEEESD_jNS1_19radix_merge_compareILb0ELb1EiNS0_19identity_decomposerEEEEE10hipError_tT0_T1_T2_jT3_P12ihipStream_tbPNSt15iterator_traitsISI_E10value_typeEPNSO_ISJ_E10value_typeEPSK_NS1_7vsmem_tEENKUlT_SI_SJ_SK_E_clIPiSD_S10_SD_EESH_SX_SI_SJ_SK_EUlSX_E0_NS1_11comp_targetILNS1_3genE8ELNS1_11target_archE1030ELNS1_3gpuE2ELNS1_3repE0EEENS1_38merge_mergepath_config_static_selectorELNS0_4arch9wavefront6targetE0EEEvSJ_
; %bb.0:
	s_clause 0x1
	s_load_dwordx2 s[0:1], s[4:5], 0x40
	s_load_dwordx2 s[12:13], s[4:5], 0x30
	s_waitcnt lgkmcnt(0)
	s_mul_i32 s1, s1, s8
	s_add_i32 s1, s1, s7
	s_mul_i32 s0, s1, s0
	s_add_i32 s16, s0, s6
	s_cmp_ge_u32 s16, s12
	s_cbranch_scc1 .LBB771_24
; %bb.1:
	s_clause 0x1
	s_load_dwordx2 s[10:11], s[4:5], 0x28
	s_load_dwordx2 s[0:1], s[4:5], 0x38
	s_mov_b32 s17, 0
	v_mov_b32_e32 v2, 0
                                        ; implicit-def: $vgpr3
	s_waitcnt lgkmcnt(0)
	s_lshr_b32 s2, s10, 10
	s_cmp_lg_u32 s16, s2
	s_cselect_b32 s12, -1, 0
	s_lshl_b64 s[2:3], s[16:17], 2
	s_add_u32 s0, s0, s2
	s_addc_u32 s1, s1, s3
	s_load_dwordx2 s[14:15], s[0:1], 0x0
	s_lshr_b32 s0, s11, 9
	s_and_b32 s8, s0, 0x7ffffe
	s_load_dwordx8 s[0:7], s[4:5], 0x8
	s_sub_i32 s9, 0, s8
	s_lshl_b32 s8, s16, 10
	s_and_b32 s18, s16, s9
	s_or_b32 s9, s16, s9
	s_lshl_b32 s16, s18, 11
	s_lshl_b32 s18, s18, 10
	s_add_i32 s16, s16, s11
	s_sub_i32 s19, s8, s18
	s_sub_i32 s18, s16, s18
	s_add_i32 s16, s16, s19
	s_min_u32 s19, s10, s18
	s_add_i32 s18, s18, s11
	s_waitcnt lgkmcnt(0)
	s_sub_i32 s20, s16, s14
	s_sub_i32 s21, s16, s15
	s_min_u32 s16, s10, s20
	s_addk_i32 s21, 0x400
	s_cmp_eq_u32 s9, -1
	s_cselect_b32 s9, s18, s21
	s_cselect_b32 s11, s19, s15
	s_min_u32 s9, s9, s10
	s_sub_i32 s11, s11, s14
	s_sub_i32 s18, s9, s16
	s_mov_b32 s15, s17
	s_add_i32 s9, s18, s11
	v_cmp_gt_u32_e32 vcc_lo, s9, v0
	s_or_b32 s19, s12, vcc_lo
	s_and_saveexec_b32 s20, s19
	s_xor_b32 s20, exec_lo, s20
	s_cbranch_execz .LBB771_3
; %bb.2:
	v_lshlrev_b32_e32 v1, 2, v0
	s_lshl_b64 s[22:23], s[14:15], 2
	s_add_u32 s21, s0, s22
	s_addc_u32 s22, s1, s23
	v_add_co_u32 v3, s21, s21, v1
	v_sub_co_u32 v1, vcc_lo, v0, s11
	v_add_co_ci_u32_e64 v4, null, s22, 0, s21
	s_lshl_b64 s[22:23], s[16:17], 2
	v_lshlrev_b64 v[1:2], 2, v[1:2]
	s_add_u32 s0, s0, s22
	s_addc_u32 s1, s1, s23
	v_add_co_u32 v1, s0, s0, v1
	v_add_co_ci_u32_e64 v2, null, s1, v2, s0
	v_cndmask_b32_e32 v1, v1, v3, vcc_lo
	v_cndmask_b32_e32 v2, v2, v4, vcc_lo
	global_load_dword v3, v[1:2], off
.LBB771_3:
	s_andn2_saveexec_b32 s0, s20
; %bb.4:
                                        ; implicit-def: $vgpr3
; %bb.5:
	s_or_b32 exec_lo, exec_lo, s0
	v_lshlrev_b32_e32 v1, 2, v0
                                        ; implicit-def: $vgpr2
	s_waitcnt vmcnt(0)
	ds_write_b32 v1, v3
	s_and_saveexec_b32 s1, s19
	s_cbranch_execz .LBB771_7
; %bb.6:
	v_mov_b32_e32 v5, 0
	v_sub_co_u32 v4, vcc_lo, v0, s11
	s_lshl_b64 s[14:15], s[14:15], 2
	s_add_u32 s0, s4, s14
	s_addc_u32 s14, s5, s15
	v_add_co_u32 v2, s0, s0, v1
	v_lshlrev_b64 v[4:5], 2, v[4:5]
	v_add_co_ci_u32_e64 v6, null, s14, 0, s0
	s_lshl_b64 s[14:15], s[16:17], 2
	s_add_u32 s0, s4, s14
	s_addc_u32 s4, s5, s15
	v_add_co_u32 v4, s0, s0, v4
	v_add_co_ci_u32_e64 v5, null, s4, v5, s0
	v_cndmask_b32_e32 v4, v4, v2, vcc_lo
	v_cndmask_b32_e32 v5, v5, v6, vcc_lo
	global_load_dword v2, v[4:5], off
.LBB771_7:
	s_or_b32 exec_lo, exec_lo, s1
	v_min_u32_e32 v5, s9, v0
	s_mov_b32 s0, exec_lo
	s_waitcnt vmcnt(0) lgkmcnt(0)
	s_barrier
	buffer_gl0_inv
	v_sub_nc_u32_e64 v4, v5, s18 clamp
	v_min_u32_e32 v6, s11, v5
	v_cmpx_lt_u32_e64 v4, v6
	s_cbranch_execz .LBB771_11
; %bb.8:
	v_lshlrev_b32_e32 v7, 2, v5
	s_mov_b32 s1, 0
	v_lshl_add_u32 v7, s11, 2, v7
	.p2align	6
.LBB771_9:                              ; =>This Inner Loop Header: Depth=1
	v_add_nc_u32_e32 v8, v6, v4
	v_lshrrev_b32_e32 v8, 1, v8
	v_not_b32_e32 v9, v8
	v_lshlrev_b32_e32 v10, 2, v8
	v_add_nc_u32_e32 v11, 1, v8
	v_lshl_add_u32 v9, v9, 2, v7
	ds_read_b32 v10, v10
	ds_read_b32 v9, v9
	s_waitcnt lgkmcnt(1)
	v_and_b32_e32 v10, s13, v10
	s_waitcnt lgkmcnt(0)
	v_and_b32_e32 v9, s13, v9
	v_cmp_gt_i32_e32 vcc_lo, v10, v9
	v_cndmask_b32_e32 v6, v6, v8, vcc_lo
	v_cndmask_b32_e32 v4, v11, v4, vcc_lo
	v_cmp_ge_u32_e32 vcc_lo, v4, v6
	s_or_b32 s1, vcc_lo, s1
	s_andn2_b32 exec_lo, exec_lo, s1
	s_cbranch_execnz .LBB771_9
; %bb.10:
	s_or_b32 exec_lo, exec_lo, s1
.LBB771_11:
	s_or_b32 exec_lo, exec_lo, s0
	v_sub_nc_u32_e32 v5, v5, v4
	v_cmp_ge_u32_e32 vcc_lo, s11, v4
	v_mov_b32_e32 v6, 0
	v_add_nc_u32_e32 v5, s11, v5
	v_cmp_ge_u32_e64 s0, s9, v5
	s_or_b32 s0, vcc_lo, s0
	s_and_saveexec_b32 s4, s0
	s_cbranch_execz .LBB771_17
; %bb.12:
	v_cmp_gt_u32_e32 vcc_lo, s11, v4
                                        ; implicit-def: $vgpr3
	s_and_saveexec_b32 s0, vcc_lo
; %bb.13:
	v_lshlrev_b32_e32 v3, 2, v4
	ds_read_b32 v3, v3
; %bb.14:
	s_or_b32 exec_lo, exec_lo, s0
	v_cmp_le_u32_e64 s0, s9, v5
	s_mov_b32 s5, exec_lo
                                        ; implicit-def: $vgpr7
	v_cmpx_gt_u32_e64 s9, v5
; %bb.15:
	v_lshlrev_b32_e32 v6, 2, v5
	ds_read_b32 v7, v6
; %bb.16:
	s_or_b32 exec_lo, exec_lo, s5
	s_waitcnt lgkmcnt(0)
	v_and_b32_e32 v6, s13, v7
	v_and_b32_e32 v8, s13, v3
	v_cmp_le_i32_e64 s1, v8, v6
	s_and_b32 s1, vcc_lo, s1
	s_or_b32 vcc_lo, s0, s1
	v_cndmask_b32_e32 v6, v5, v4, vcc_lo
	v_cndmask_b32_e32 v3, v7, v3, vcc_lo
.LBB771_17:
	s_or_b32 exec_lo, exec_lo, s4
	v_lshlrev_b32_e32 v4, 2, v6
	s_barrier
	buffer_gl0_inv
	ds_write_b32 v1, v2
	s_waitcnt lgkmcnt(0)
	s_barrier
	buffer_gl0_inv
	ds_read_b32 v2, v4
	s_mov_b32 s9, 0
	s_and_b32 vcc_lo, exec_lo, s12
	s_mov_b32 s0, -1
	s_waitcnt lgkmcnt(0)
	s_barrier
	buffer_gl0_inv
	s_barrier
	buffer_gl0_inv
	ds_write_b32 v1, v3
	s_waitcnt lgkmcnt(0)
	s_cbranch_vccz .LBB771_19
; %bb.18:
	s_barrier
	buffer_gl0_inv
	ds_read_b32 v3, v1
	s_lshl_b64 s[0:1], s[8:9], 2
	s_add_u32 s4, s2, s0
	s_addc_u32 s5, s3, s1
	s_waitcnt lgkmcnt(0)
	global_store_dword v1, v3, s[4:5]
	s_waitcnt_vscnt null, 0x0
	s_barrier
	buffer_gl0_inv
	ds_write_b32 v1, v2
	s_waitcnt lgkmcnt(0)
	s_barrier
	buffer_gl0_inv
	ds_read_b32 v3, v1
	s_add_u32 s4, s6, s0
	s_addc_u32 s5, s7, s1
	s_mov_b32 s0, s9
	s_waitcnt lgkmcnt(0)
	global_store_dword v1, v3, s[4:5]
.LBB771_19:
	s_andn2_b32 vcc_lo, exec_lo, s0
	s_cbranch_vccnz .LBB771_24
; %bb.20:
	s_sub_i32 s0, s10, s8
	s_barrier
	v_cmp_gt_u32_e32 vcc_lo, s0, v0
	s_waitcnt_vscnt null, 0x0
	buffer_gl0_inv
	s_and_saveexec_b32 s0, vcc_lo
	s_cbranch_execz .LBB771_22
; %bb.21:
	ds_read_b32 v0, v1
	s_lshl_b64 s[4:5], s[8:9], 2
	s_add_u32 s2, s2, s4
	s_addc_u32 s3, s3, s5
	s_waitcnt lgkmcnt(0)
	global_store_dword v1, v0, s[2:3]
.LBB771_22:
	s_or_b32 exec_lo, exec_lo, s0
	s_waitcnt_vscnt null, 0x0
	s_barrier
	buffer_gl0_inv
	ds_write_b32 v1, v2
	s_waitcnt lgkmcnt(0)
	s_barrier
	buffer_gl0_inv
	s_and_saveexec_b32 s0, vcc_lo
	s_cbranch_execz .LBB771_24
; %bb.23:
	ds_read_b32 v0, v1
	s_lshl_b64 s[0:1], s[8:9], 2
	s_add_u32 s0, s6, s0
	s_addc_u32 s1, s7, s1
	s_waitcnt lgkmcnt(0)
	global_store_dword v1, v0, s[0:1]
.LBB771_24:
	s_endpgm
	.section	.rodata,"a",@progbits
	.p2align	6, 0x0
	.amdhsa_kernel _ZN7rocprim17ROCPRIM_400000_NS6detail17trampoline_kernelINS0_14default_configENS1_38merge_sort_block_merge_config_selectorIiiEEZZNS1_27merge_sort_block_merge_implIS3_N6thrust23THRUST_200600_302600_NS6detail15normal_iteratorINS8_10device_ptrIiEEEESD_jNS1_19radix_merge_compareILb0ELb1EiNS0_19identity_decomposerEEEEE10hipError_tT0_T1_T2_jT3_P12ihipStream_tbPNSt15iterator_traitsISI_E10value_typeEPNSO_ISJ_E10value_typeEPSK_NS1_7vsmem_tEENKUlT_SI_SJ_SK_E_clIPiSD_S10_SD_EESH_SX_SI_SJ_SK_EUlSX_E0_NS1_11comp_targetILNS1_3genE8ELNS1_11target_archE1030ELNS1_3gpuE2ELNS1_3repE0EEENS1_38merge_mergepath_config_static_selectorELNS0_4arch9wavefront6targetE0EEEvSJ_
		.amdhsa_group_segment_fixed_size 4112
		.amdhsa_private_segment_fixed_size 0
		.amdhsa_kernarg_size 320
		.amdhsa_user_sgpr_count 6
		.amdhsa_user_sgpr_private_segment_buffer 1
		.amdhsa_user_sgpr_dispatch_ptr 0
		.amdhsa_user_sgpr_queue_ptr 0
		.amdhsa_user_sgpr_kernarg_segment_ptr 1
		.amdhsa_user_sgpr_dispatch_id 0
		.amdhsa_user_sgpr_flat_scratch_init 0
		.amdhsa_user_sgpr_private_segment_size 0
		.amdhsa_wavefront_size32 1
		.amdhsa_uses_dynamic_stack 0
		.amdhsa_system_sgpr_private_segment_wavefront_offset 0
		.amdhsa_system_sgpr_workgroup_id_x 1
		.amdhsa_system_sgpr_workgroup_id_y 1
		.amdhsa_system_sgpr_workgroup_id_z 1
		.amdhsa_system_sgpr_workgroup_info 0
		.amdhsa_system_vgpr_workitem_id 0
		.amdhsa_next_free_vgpr 12
		.amdhsa_next_free_sgpr 24
		.amdhsa_reserve_vcc 1
		.amdhsa_reserve_flat_scratch 0
		.amdhsa_float_round_mode_32 0
		.amdhsa_float_round_mode_16_64 0
		.amdhsa_float_denorm_mode_32 3
		.amdhsa_float_denorm_mode_16_64 3
		.amdhsa_dx10_clamp 1
		.amdhsa_ieee_mode 1
		.amdhsa_fp16_overflow 0
		.amdhsa_workgroup_processor_mode 1
		.amdhsa_memory_ordered 1
		.amdhsa_forward_progress 1
		.amdhsa_shared_vgpr_count 0
		.amdhsa_exception_fp_ieee_invalid_op 0
		.amdhsa_exception_fp_denorm_src 0
		.amdhsa_exception_fp_ieee_div_zero 0
		.amdhsa_exception_fp_ieee_overflow 0
		.amdhsa_exception_fp_ieee_underflow 0
		.amdhsa_exception_fp_ieee_inexact 0
		.amdhsa_exception_int_div_zero 0
	.end_amdhsa_kernel
	.section	.text._ZN7rocprim17ROCPRIM_400000_NS6detail17trampoline_kernelINS0_14default_configENS1_38merge_sort_block_merge_config_selectorIiiEEZZNS1_27merge_sort_block_merge_implIS3_N6thrust23THRUST_200600_302600_NS6detail15normal_iteratorINS8_10device_ptrIiEEEESD_jNS1_19radix_merge_compareILb0ELb1EiNS0_19identity_decomposerEEEEE10hipError_tT0_T1_T2_jT3_P12ihipStream_tbPNSt15iterator_traitsISI_E10value_typeEPNSO_ISJ_E10value_typeEPSK_NS1_7vsmem_tEENKUlT_SI_SJ_SK_E_clIPiSD_S10_SD_EESH_SX_SI_SJ_SK_EUlSX_E0_NS1_11comp_targetILNS1_3genE8ELNS1_11target_archE1030ELNS1_3gpuE2ELNS1_3repE0EEENS1_38merge_mergepath_config_static_selectorELNS0_4arch9wavefront6targetE0EEEvSJ_,"axG",@progbits,_ZN7rocprim17ROCPRIM_400000_NS6detail17trampoline_kernelINS0_14default_configENS1_38merge_sort_block_merge_config_selectorIiiEEZZNS1_27merge_sort_block_merge_implIS3_N6thrust23THRUST_200600_302600_NS6detail15normal_iteratorINS8_10device_ptrIiEEEESD_jNS1_19radix_merge_compareILb0ELb1EiNS0_19identity_decomposerEEEEE10hipError_tT0_T1_T2_jT3_P12ihipStream_tbPNSt15iterator_traitsISI_E10value_typeEPNSO_ISJ_E10value_typeEPSK_NS1_7vsmem_tEENKUlT_SI_SJ_SK_E_clIPiSD_S10_SD_EESH_SX_SI_SJ_SK_EUlSX_E0_NS1_11comp_targetILNS1_3genE8ELNS1_11target_archE1030ELNS1_3gpuE2ELNS1_3repE0EEENS1_38merge_mergepath_config_static_selectorELNS0_4arch9wavefront6targetE0EEEvSJ_,comdat
.Lfunc_end771:
	.size	_ZN7rocprim17ROCPRIM_400000_NS6detail17trampoline_kernelINS0_14default_configENS1_38merge_sort_block_merge_config_selectorIiiEEZZNS1_27merge_sort_block_merge_implIS3_N6thrust23THRUST_200600_302600_NS6detail15normal_iteratorINS8_10device_ptrIiEEEESD_jNS1_19radix_merge_compareILb0ELb1EiNS0_19identity_decomposerEEEEE10hipError_tT0_T1_T2_jT3_P12ihipStream_tbPNSt15iterator_traitsISI_E10value_typeEPNSO_ISJ_E10value_typeEPSK_NS1_7vsmem_tEENKUlT_SI_SJ_SK_E_clIPiSD_S10_SD_EESH_SX_SI_SJ_SK_EUlSX_E0_NS1_11comp_targetILNS1_3genE8ELNS1_11target_archE1030ELNS1_3gpuE2ELNS1_3repE0EEENS1_38merge_mergepath_config_static_selectorELNS0_4arch9wavefront6targetE0EEEvSJ_, .Lfunc_end771-_ZN7rocprim17ROCPRIM_400000_NS6detail17trampoline_kernelINS0_14default_configENS1_38merge_sort_block_merge_config_selectorIiiEEZZNS1_27merge_sort_block_merge_implIS3_N6thrust23THRUST_200600_302600_NS6detail15normal_iteratorINS8_10device_ptrIiEEEESD_jNS1_19radix_merge_compareILb0ELb1EiNS0_19identity_decomposerEEEEE10hipError_tT0_T1_T2_jT3_P12ihipStream_tbPNSt15iterator_traitsISI_E10value_typeEPNSO_ISJ_E10value_typeEPSK_NS1_7vsmem_tEENKUlT_SI_SJ_SK_E_clIPiSD_S10_SD_EESH_SX_SI_SJ_SK_EUlSX_E0_NS1_11comp_targetILNS1_3genE8ELNS1_11target_archE1030ELNS1_3gpuE2ELNS1_3repE0EEENS1_38merge_mergepath_config_static_selectorELNS0_4arch9wavefront6targetE0EEEvSJ_
                                        ; -- End function
	.set _ZN7rocprim17ROCPRIM_400000_NS6detail17trampoline_kernelINS0_14default_configENS1_38merge_sort_block_merge_config_selectorIiiEEZZNS1_27merge_sort_block_merge_implIS3_N6thrust23THRUST_200600_302600_NS6detail15normal_iteratorINS8_10device_ptrIiEEEESD_jNS1_19radix_merge_compareILb0ELb1EiNS0_19identity_decomposerEEEEE10hipError_tT0_T1_T2_jT3_P12ihipStream_tbPNSt15iterator_traitsISI_E10value_typeEPNSO_ISJ_E10value_typeEPSK_NS1_7vsmem_tEENKUlT_SI_SJ_SK_E_clIPiSD_S10_SD_EESH_SX_SI_SJ_SK_EUlSX_E0_NS1_11comp_targetILNS1_3genE8ELNS1_11target_archE1030ELNS1_3gpuE2ELNS1_3repE0EEENS1_38merge_mergepath_config_static_selectorELNS0_4arch9wavefront6targetE0EEEvSJ_.num_vgpr, 12
	.set _ZN7rocprim17ROCPRIM_400000_NS6detail17trampoline_kernelINS0_14default_configENS1_38merge_sort_block_merge_config_selectorIiiEEZZNS1_27merge_sort_block_merge_implIS3_N6thrust23THRUST_200600_302600_NS6detail15normal_iteratorINS8_10device_ptrIiEEEESD_jNS1_19radix_merge_compareILb0ELb1EiNS0_19identity_decomposerEEEEE10hipError_tT0_T1_T2_jT3_P12ihipStream_tbPNSt15iterator_traitsISI_E10value_typeEPNSO_ISJ_E10value_typeEPSK_NS1_7vsmem_tEENKUlT_SI_SJ_SK_E_clIPiSD_S10_SD_EESH_SX_SI_SJ_SK_EUlSX_E0_NS1_11comp_targetILNS1_3genE8ELNS1_11target_archE1030ELNS1_3gpuE2ELNS1_3repE0EEENS1_38merge_mergepath_config_static_selectorELNS0_4arch9wavefront6targetE0EEEvSJ_.num_agpr, 0
	.set _ZN7rocprim17ROCPRIM_400000_NS6detail17trampoline_kernelINS0_14default_configENS1_38merge_sort_block_merge_config_selectorIiiEEZZNS1_27merge_sort_block_merge_implIS3_N6thrust23THRUST_200600_302600_NS6detail15normal_iteratorINS8_10device_ptrIiEEEESD_jNS1_19radix_merge_compareILb0ELb1EiNS0_19identity_decomposerEEEEE10hipError_tT0_T1_T2_jT3_P12ihipStream_tbPNSt15iterator_traitsISI_E10value_typeEPNSO_ISJ_E10value_typeEPSK_NS1_7vsmem_tEENKUlT_SI_SJ_SK_E_clIPiSD_S10_SD_EESH_SX_SI_SJ_SK_EUlSX_E0_NS1_11comp_targetILNS1_3genE8ELNS1_11target_archE1030ELNS1_3gpuE2ELNS1_3repE0EEENS1_38merge_mergepath_config_static_selectorELNS0_4arch9wavefront6targetE0EEEvSJ_.numbered_sgpr, 24
	.set _ZN7rocprim17ROCPRIM_400000_NS6detail17trampoline_kernelINS0_14default_configENS1_38merge_sort_block_merge_config_selectorIiiEEZZNS1_27merge_sort_block_merge_implIS3_N6thrust23THRUST_200600_302600_NS6detail15normal_iteratorINS8_10device_ptrIiEEEESD_jNS1_19radix_merge_compareILb0ELb1EiNS0_19identity_decomposerEEEEE10hipError_tT0_T1_T2_jT3_P12ihipStream_tbPNSt15iterator_traitsISI_E10value_typeEPNSO_ISJ_E10value_typeEPSK_NS1_7vsmem_tEENKUlT_SI_SJ_SK_E_clIPiSD_S10_SD_EESH_SX_SI_SJ_SK_EUlSX_E0_NS1_11comp_targetILNS1_3genE8ELNS1_11target_archE1030ELNS1_3gpuE2ELNS1_3repE0EEENS1_38merge_mergepath_config_static_selectorELNS0_4arch9wavefront6targetE0EEEvSJ_.num_named_barrier, 0
	.set _ZN7rocprim17ROCPRIM_400000_NS6detail17trampoline_kernelINS0_14default_configENS1_38merge_sort_block_merge_config_selectorIiiEEZZNS1_27merge_sort_block_merge_implIS3_N6thrust23THRUST_200600_302600_NS6detail15normal_iteratorINS8_10device_ptrIiEEEESD_jNS1_19radix_merge_compareILb0ELb1EiNS0_19identity_decomposerEEEEE10hipError_tT0_T1_T2_jT3_P12ihipStream_tbPNSt15iterator_traitsISI_E10value_typeEPNSO_ISJ_E10value_typeEPSK_NS1_7vsmem_tEENKUlT_SI_SJ_SK_E_clIPiSD_S10_SD_EESH_SX_SI_SJ_SK_EUlSX_E0_NS1_11comp_targetILNS1_3genE8ELNS1_11target_archE1030ELNS1_3gpuE2ELNS1_3repE0EEENS1_38merge_mergepath_config_static_selectorELNS0_4arch9wavefront6targetE0EEEvSJ_.private_seg_size, 0
	.set _ZN7rocprim17ROCPRIM_400000_NS6detail17trampoline_kernelINS0_14default_configENS1_38merge_sort_block_merge_config_selectorIiiEEZZNS1_27merge_sort_block_merge_implIS3_N6thrust23THRUST_200600_302600_NS6detail15normal_iteratorINS8_10device_ptrIiEEEESD_jNS1_19radix_merge_compareILb0ELb1EiNS0_19identity_decomposerEEEEE10hipError_tT0_T1_T2_jT3_P12ihipStream_tbPNSt15iterator_traitsISI_E10value_typeEPNSO_ISJ_E10value_typeEPSK_NS1_7vsmem_tEENKUlT_SI_SJ_SK_E_clIPiSD_S10_SD_EESH_SX_SI_SJ_SK_EUlSX_E0_NS1_11comp_targetILNS1_3genE8ELNS1_11target_archE1030ELNS1_3gpuE2ELNS1_3repE0EEENS1_38merge_mergepath_config_static_selectorELNS0_4arch9wavefront6targetE0EEEvSJ_.uses_vcc, 1
	.set _ZN7rocprim17ROCPRIM_400000_NS6detail17trampoline_kernelINS0_14default_configENS1_38merge_sort_block_merge_config_selectorIiiEEZZNS1_27merge_sort_block_merge_implIS3_N6thrust23THRUST_200600_302600_NS6detail15normal_iteratorINS8_10device_ptrIiEEEESD_jNS1_19radix_merge_compareILb0ELb1EiNS0_19identity_decomposerEEEEE10hipError_tT0_T1_T2_jT3_P12ihipStream_tbPNSt15iterator_traitsISI_E10value_typeEPNSO_ISJ_E10value_typeEPSK_NS1_7vsmem_tEENKUlT_SI_SJ_SK_E_clIPiSD_S10_SD_EESH_SX_SI_SJ_SK_EUlSX_E0_NS1_11comp_targetILNS1_3genE8ELNS1_11target_archE1030ELNS1_3gpuE2ELNS1_3repE0EEENS1_38merge_mergepath_config_static_selectorELNS0_4arch9wavefront6targetE0EEEvSJ_.uses_flat_scratch, 0
	.set _ZN7rocprim17ROCPRIM_400000_NS6detail17trampoline_kernelINS0_14default_configENS1_38merge_sort_block_merge_config_selectorIiiEEZZNS1_27merge_sort_block_merge_implIS3_N6thrust23THRUST_200600_302600_NS6detail15normal_iteratorINS8_10device_ptrIiEEEESD_jNS1_19radix_merge_compareILb0ELb1EiNS0_19identity_decomposerEEEEE10hipError_tT0_T1_T2_jT3_P12ihipStream_tbPNSt15iterator_traitsISI_E10value_typeEPNSO_ISJ_E10value_typeEPSK_NS1_7vsmem_tEENKUlT_SI_SJ_SK_E_clIPiSD_S10_SD_EESH_SX_SI_SJ_SK_EUlSX_E0_NS1_11comp_targetILNS1_3genE8ELNS1_11target_archE1030ELNS1_3gpuE2ELNS1_3repE0EEENS1_38merge_mergepath_config_static_selectorELNS0_4arch9wavefront6targetE0EEEvSJ_.has_dyn_sized_stack, 0
	.set _ZN7rocprim17ROCPRIM_400000_NS6detail17trampoline_kernelINS0_14default_configENS1_38merge_sort_block_merge_config_selectorIiiEEZZNS1_27merge_sort_block_merge_implIS3_N6thrust23THRUST_200600_302600_NS6detail15normal_iteratorINS8_10device_ptrIiEEEESD_jNS1_19radix_merge_compareILb0ELb1EiNS0_19identity_decomposerEEEEE10hipError_tT0_T1_T2_jT3_P12ihipStream_tbPNSt15iterator_traitsISI_E10value_typeEPNSO_ISJ_E10value_typeEPSK_NS1_7vsmem_tEENKUlT_SI_SJ_SK_E_clIPiSD_S10_SD_EESH_SX_SI_SJ_SK_EUlSX_E0_NS1_11comp_targetILNS1_3genE8ELNS1_11target_archE1030ELNS1_3gpuE2ELNS1_3repE0EEENS1_38merge_mergepath_config_static_selectorELNS0_4arch9wavefront6targetE0EEEvSJ_.has_recursion, 0
	.set _ZN7rocprim17ROCPRIM_400000_NS6detail17trampoline_kernelINS0_14default_configENS1_38merge_sort_block_merge_config_selectorIiiEEZZNS1_27merge_sort_block_merge_implIS3_N6thrust23THRUST_200600_302600_NS6detail15normal_iteratorINS8_10device_ptrIiEEEESD_jNS1_19radix_merge_compareILb0ELb1EiNS0_19identity_decomposerEEEEE10hipError_tT0_T1_T2_jT3_P12ihipStream_tbPNSt15iterator_traitsISI_E10value_typeEPNSO_ISJ_E10value_typeEPSK_NS1_7vsmem_tEENKUlT_SI_SJ_SK_E_clIPiSD_S10_SD_EESH_SX_SI_SJ_SK_EUlSX_E0_NS1_11comp_targetILNS1_3genE8ELNS1_11target_archE1030ELNS1_3gpuE2ELNS1_3repE0EEENS1_38merge_mergepath_config_static_selectorELNS0_4arch9wavefront6targetE0EEEvSJ_.has_indirect_call, 0
	.section	.AMDGPU.csdata,"",@progbits
; Kernel info:
; codeLenInByte = 1188
; TotalNumSgprs: 26
; NumVgprs: 12
; ScratchSize: 0
; MemoryBound: 0
; FloatMode: 240
; IeeeMode: 1
; LDSByteSize: 4112 bytes/workgroup (compile time only)
; SGPRBlocks: 0
; VGPRBlocks: 1
; NumSGPRsForWavesPerEU: 26
; NumVGPRsForWavesPerEU: 12
; Occupancy: 16
; WaveLimiterHint : 1
; COMPUTE_PGM_RSRC2:SCRATCH_EN: 0
; COMPUTE_PGM_RSRC2:USER_SGPR: 6
; COMPUTE_PGM_RSRC2:TRAP_HANDLER: 0
; COMPUTE_PGM_RSRC2:TGID_X_EN: 1
; COMPUTE_PGM_RSRC2:TGID_Y_EN: 1
; COMPUTE_PGM_RSRC2:TGID_Z_EN: 1
; COMPUTE_PGM_RSRC2:TIDIG_COMP_CNT: 0
	.section	.text._ZN7rocprim17ROCPRIM_400000_NS6detail17trampoline_kernelINS0_14default_configENS1_38merge_sort_block_merge_config_selectorIiiEEZZNS1_27merge_sort_block_merge_implIS3_N6thrust23THRUST_200600_302600_NS6detail15normal_iteratorINS8_10device_ptrIiEEEESD_jNS1_19radix_merge_compareILb0ELb1EiNS0_19identity_decomposerEEEEE10hipError_tT0_T1_T2_jT3_P12ihipStream_tbPNSt15iterator_traitsISI_E10value_typeEPNSO_ISJ_E10value_typeEPSK_NS1_7vsmem_tEENKUlT_SI_SJ_SK_E_clIPiSD_S10_SD_EESH_SX_SI_SJ_SK_EUlSX_E1_NS1_11comp_targetILNS1_3genE0ELNS1_11target_archE4294967295ELNS1_3gpuE0ELNS1_3repE0EEENS1_36merge_oddeven_config_static_selectorELNS0_4arch9wavefront6targetE0EEEvSJ_,"axG",@progbits,_ZN7rocprim17ROCPRIM_400000_NS6detail17trampoline_kernelINS0_14default_configENS1_38merge_sort_block_merge_config_selectorIiiEEZZNS1_27merge_sort_block_merge_implIS3_N6thrust23THRUST_200600_302600_NS6detail15normal_iteratorINS8_10device_ptrIiEEEESD_jNS1_19radix_merge_compareILb0ELb1EiNS0_19identity_decomposerEEEEE10hipError_tT0_T1_T2_jT3_P12ihipStream_tbPNSt15iterator_traitsISI_E10value_typeEPNSO_ISJ_E10value_typeEPSK_NS1_7vsmem_tEENKUlT_SI_SJ_SK_E_clIPiSD_S10_SD_EESH_SX_SI_SJ_SK_EUlSX_E1_NS1_11comp_targetILNS1_3genE0ELNS1_11target_archE4294967295ELNS1_3gpuE0ELNS1_3repE0EEENS1_36merge_oddeven_config_static_selectorELNS0_4arch9wavefront6targetE0EEEvSJ_,comdat
	.protected	_ZN7rocprim17ROCPRIM_400000_NS6detail17trampoline_kernelINS0_14default_configENS1_38merge_sort_block_merge_config_selectorIiiEEZZNS1_27merge_sort_block_merge_implIS3_N6thrust23THRUST_200600_302600_NS6detail15normal_iteratorINS8_10device_ptrIiEEEESD_jNS1_19radix_merge_compareILb0ELb1EiNS0_19identity_decomposerEEEEE10hipError_tT0_T1_T2_jT3_P12ihipStream_tbPNSt15iterator_traitsISI_E10value_typeEPNSO_ISJ_E10value_typeEPSK_NS1_7vsmem_tEENKUlT_SI_SJ_SK_E_clIPiSD_S10_SD_EESH_SX_SI_SJ_SK_EUlSX_E1_NS1_11comp_targetILNS1_3genE0ELNS1_11target_archE4294967295ELNS1_3gpuE0ELNS1_3repE0EEENS1_36merge_oddeven_config_static_selectorELNS0_4arch9wavefront6targetE0EEEvSJ_ ; -- Begin function _ZN7rocprim17ROCPRIM_400000_NS6detail17trampoline_kernelINS0_14default_configENS1_38merge_sort_block_merge_config_selectorIiiEEZZNS1_27merge_sort_block_merge_implIS3_N6thrust23THRUST_200600_302600_NS6detail15normal_iteratorINS8_10device_ptrIiEEEESD_jNS1_19radix_merge_compareILb0ELb1EiNS0_19identity_decomposerEEEEE10hipError_tT0_T1_T2_jT3_P12ihipStream_tbPNSt15iterator_traitsISI_E10value_typeEPNSO_ISJ_E10value_typeEPSK_NS1_7vsmem_tEENKUlT_SI_SJ_SK_E_clIPiSD_S10_SD_EESH_SX_SI_SJ_SK_EUlSX_E1_NS1_11comp_targetILNS1_3genE0ELNS1_11target_archE4294967295ELNS1_3gpuE0ELNS1_3repE0EEENS1_36merge_oddeven_config_static_selectorELNS0_4arch9wavefront6targetE0EEEvSJ_
	.globl	_ZN7rocprim17ROCPRIM_400000_NS6detail17trampoline_kernelINS0_14default_configENS1_38merge_sort_block_merge_config_selectorIiiEEZZNS1_27merge_sort_block_merge_implIS3_N6thrust23THRUST_200600_302600_NS6detail15normal_iteratorINS8_10device_ptrIiEEEESD_jNS1_19radix_merge_compareILb0ELb1EiNS0_19identity_decomposerEEEEE10hipError_tT0_T1_T2_jT3_P12ihipStream_tbPNSt15iterator_traitsISI_E10value_typeEPNSO_ISJ_E10value_typeEPSK_NS1_7vsmem_tEENKUlT_SI_SJ_SK_E_clIPiSD_S10_SD_EESH_SX_SI_SJ_SK_EUlSX_E1_NS1_11comp_targetILNS1_3genE0ELNS1_11target_archE4294967295ELNS1_3gpuE0ELNS1_3repE0EEENS1_36merge_oddeven_config_static_selectorELNS0_4arch9wavefront6targetE0EEEvSJ_
	.p2align	8
	.type	_ZN7rocprim17ROCPRIM_400000_NS6detail17trampoline_kernelINS0_14default_configENS1_38merge_sort_block_merge_config_selectorIiiEEZZNS1_27merge_sort_block_merge_implIS3_N6thrust23THRUST_200600_302600_NS6detail15normal_iteratorINS8_10device_ptrIiEEEESD_jNS1_19radix_merge_compareILb0ELb1EiNS0_19identity_decomposerEEEEE10hipError_tT0_T1_T2_jT3_P12ihipStream_tbPNSt15iterator_traitsISI_E10value_typeEPNSO_ISJ_E10value_typeEPSK_NS1_7vsmem_tEENKUlT_SI_SJ_SK_E_clIPiSD_S10_SD_EESH_SX_SI_SJ_SK_EUlSX_E1_NS1_11comp_targetILNS1_3genE0ELNS1_11target_archE4294967295ELNS1_3gpuE0ELNS1_3repE0EEENS1_36merge_oddeven_config_static_selectorELNS0_4arch9wavefront6targetE0EEEvSJ_,@function
_ZN7rocprim17ROCPRIM_400000_NS6detail17trampoline_kernelINS0_14default_configENS1_38merge_sort_block_merge_config_selectorIiiEEZZNS1_27merge_sort_block_merge_implIS3_N6thrust23THRUST_200600_302600_NS6detail15normal_iteratorINS8_10device_ptrIiEEEESD_jNS1_19radix_merge_compareILb0ELb1EiNS0_19identity_decomposerEEEEE10hipError_tT0_T1_T2_jT3_P12ihipStream_tbPNSt15iterator_traitsISI_E10value_typeEPNSO_ISJ_E10value_typeEPSK_NS1_7vsmem_tEENKUlT_SI_SJ_SK_E_clIPiSD_S10_SD_EESH_SX_SI_SJ_SK_EUlSX_E1_NS1_11comp_targetILNS1_3genE0ELNS1_11target_archE4294967295ELNS1_3gpuE0ELNS1_3repE0EEENS1_36merge_oddeven_config_static_selectorELNS0_4arch9wavefront6targetE0EEEvSJ_: ; @_ZN7rocprim17ROCPRIM_400000_NS6detail17trampoline_kernelINS0_14default_configENS1_38merge_sort_block_merge_config_selectorIiiEEZZNS1_27merge_sort_block_merge_implIS3_N6thrust23THRUST_200600_302600_NS6detail15normal_iteratorINS8_10device_ptrIiEEEESD_jNS1_19radix_merge_compareILb0ELb1EiNS0_19identity_decomposerEEEEE10hipError_tT0_T1_T2_jT3_P12ihipStream_tbPNSt15iterator_traitsISI_E10value_typeEPNSO_ISJ_E10value_typeEPSK_NS1_7vsmem_tEENKUlT_SI_SJ_SK_E_clIPiSD_S10_SD_EESH_SX_SI_SJ_SK_EUlSX_E1_NS1_11comp_targetILNS1_3genE0ELNS1_11target_archE4294967295ELNS1_3gpuE0ELNS1_3repE0EEENS1_36merge_oddeven_config_static_selectorELNS0_4arch9wavefront6targetE0EEEvSJ_
; %bb.0:
	.section	.rodata,"a",@progbits
	.p2align	6, 0x0
	.amdhsa_kernel _ZN7rocprim17ROCPRIM_400000_NS6detail17trampoline_kernelINS0_14default_configENS1_38merge_sort_block_merge_config_selectorIiiEEZZNS1_27merge_sort_block_merge_implIS3_N6thrust23THRUST_200600_302600_NS6detail15normal_iteratorINS8_10device_ptrIiEEEESD_jNS1_19radix_merge_compareILb0ELb1EiNS0_19identity_decomposerEEEEE10hipError_tT0_T1_T2_jT3_P12ihipStream_tbPNSt15iterator_traitsISI_E10value_typeEPNSO_ISJ_E10value_typeEPSK_NS1_7vsmem_tEENKUlT_SI_SJ_SK_E_clIPiSD_S10_SD_EESH_SX_SI_SJ_SK_EUlSX_E1_NS1_11comp_targetILNS1_3genE0ELNS1_11target_archE4294967295ELNS1_3gpuE0ELNS1_3repE0EEENS1_36merge_oddeven_config_static_selectorELNS0_4arch9wavefront6targetE0EEEvSJ_
		.amdhsa_group_segment_fixed_size 0
		.amdhsa_private_segment_fixed_size 0
		.amdhsa_kernarg_size 48
		.amdhsa_user_sgpr_count 6
		.amdhsa_user_sgpr_private_segment_buffer 1
		.amdhsa_user_sgpr_dispatch_ptr 0
		.amdhsa_user_sgpr_queue_ptr 0
		.amdhsa_user_sgpr_kernarg_segment_ptr 1
		.amdhsa_user_sgpr_dispatch_id 0
		.amdhsa_user_sgpr_flat_scratch_init 0
		.amdhsa_user_sgpr_private_segment_size 0
		.amdhsa_wavefront_size32 1
		.amdhsa_uses_dynamic_stack 0
		.amdhsa_system_sgpr_private_segment_wavefront_offset 0
		.amdhsa_system_sgpr_workgroup_id_x 1
		.amdhsa_system_sgpr_workgroup_id_y 0
		.amdhsa_system_sgpr_workgroup_id_z 0
		.amdhsa_system_sgpr_workgroup_info 0
		.amdhsa_system_vgpr_workitem_id 0
		.amdhsa_next_free_vgpr 1
		.amdhsa_next_free_sgpr 1
		.amdhsa_reserve_vcc 0
		.amdhsa_reserve_flat_scratch 0
		.amdhsa_float_round_mode_32 0
		.amdhsa_float_round_mode_16_64 0
		.amdhsa_float_denorm_mode_32 3
		.amdhsa_float_denorm_mode_16_64 3
		.amdhsa_dx10_clamp 1
		.amdhsa_ieee_mode 1
		.amdhsa_fp16_overflow 0
		.amdhsa_workgroup_processor_mode 1
		.amdhsa_memory_ordered 1
		.amdhsa_forward_progress 1
		.amdhsa_shared_vgpr_count 0
		.amdhsa_exception_fp_ieee_invalid_op 0
		.amdhsa_exception_fp_denorm_src 0
		.amdhsa_exception_fp_ieee_div_zero 0
		.amdhsa_exception_fp_ieee_overflow 0
		.amdhsa_exception_fp_ieee_underflow 0
		.amdhsa_exception_fp_ieee_inexact 0
		.amdhsa_exception_int_div_zero 0
	.end_amdhsa_kernel
	.section	.text._ZN7rocprim17ROCPRIM_400000_NS6detail17trampoline_kernelINS0_14default_configENS1_38merge_sort_block_merge_config_selectorIiiEEZZNS1_27merge_sort_block_merge_implIS3_N6thrust23THRUST_200600_302600_NS6detail15normal_iteratorINS8_10device_ptrIiEEEESD_jNS1_19radix_merge_compareILb0ELb1EiNS0_19identity_decomposerEEEEE10hipError_tT0_T1_T2_jT3_P12ihipStream_tbPNSt15iterator_traitsISI_E10value_typeEPNSO_ISJ_E10value_typeEPSK_NS1_7vsmem_tEENKUlT_SI_SJ_SK_E_clIPiSD_S10_SD_EESH_SX_SI_SJ_SK_EUlSX_E1_NS1_11comp_targetILNS1_3genE0ELNS1_11target_archE4294967295ELNS1_3gpuE0ELNS1_3repE0EEENS1_36merge_oddeven_config_static_selectorELNS0_4arch9wavefront6targetE0EEEvSJ_,"axG",@progbits,_ZN7rocprim17ROCPRIM_400000_NS6detail17trampoline_kernelINS0_14default_configENS1_38merge_sort_block_merge_config_selectorIiiEEZZNS1_27merge_sort_block_merge_implIS3_N6thrust23THRUST_200600_302600_NS6detail15normal_iteratorINS8_10device_ptrIiEEEESD_jNS1_19radix_merge_compareILb0ELb1EiNS0_19identity_decomposerEEEEE10hipError_tT0_T1_T2_jT3_P12ihipStream_tbPNSt15iterator_traitsISI_E10value_typeEPNSO_ISJ_E10value_typeEPSK_NS1_7vsmem_tEENKUlT_SI_SJ_SK_E_clIPiSD_S10_SD_EESH_SX_SI_SJ_SK_EUlSX_E1_NS1_11comp_targetILNS1_3genE0ELNS1_11target_archE4294967295ELNS1_3gpuE0ELNS1_3repE0EEENS1_36merge_oddeven_config_static_selectorELNS0_4arch9wavefront6targetE0EEEvSJ_,comdat
.Lfunc_end772:
	.size	_ZN7rocprim17ROCPRIM_400000_NS6detail17trampoline_kernelINS0_14default_configENS1_38merge_sort_block_merge_config_selectorIiiEEZZNS1_27merge_sort_block_merge_implIS3_N6thrust23THRUST_200600_302600_NS6detail15normal_iteratorINS8_10device_ptrIiEEEESD_jNS1_19radix_merge_compareILb0ELb1EiNS0_19identity_decomposerEEEEE10hipError_tT0_T1_T2_jT3_P12ihipStream_tbPNSt15iterator_traitsISI_E10value_typeEPNSO_ISJ_E10value_typeEPSK_NS1_7vsmem_tEENKUlT_SI_SJ_SK_E_clIPiSD_S10_SD_EESH_SX_SI_SJ_SK_EUlSX_E1_NS1_11comp_targetILNS1_3genE0ELNS1_11target_archE4294967295ELNS1_3gpuE0ELNS1_3repE0EEENS1_36merge_oddeven_config_static_selectorELNS0_4arch9wavefront6targetE0EEEvSJ_, .Lfunc_end772-_ZN7rocprim17ROCPRIM_400000_NS6detail17trampoline_kernelINS0_14default_configENS1_38merge_sort_block_merge_config_selectorIiiEEZZNS1_27merge_sort_block_merge_implIS3_N6thrust23THRUST_200600_302600_NS6detail15normal_iteratorINS8_10device_ptrIiEEEESD_jNS1_19radix_merge_compareILb0ELb1EiNS0_19identity_decomposerEEEEE10hipError_tT0_T1_T2_jT3_P12ihipStream_tbPNSt15iterator_traitsISI_E10value_typeEPNSO_ISJ_E10value_typeEPSK_NS1_7vsmem_tEENKUlT_SI_SJ_SK_E_clIPiSD_S10_SD_EESH_SX_SI_SJ_SK_EUlSX_E1_NS1_11comp_targetILNS1_3genE0ELNS1_11target_archE4294967295ELNS1_3gpuE0ELNS1_3repE0EEENS1_36merge_oddeven_config_static_selectorELNS0_4arch9wavefront6targetE0EEEvSJ_
                                        ; -- End function
	.set _ZN7rocprim17ROCPRIM_400000_NS6detail17trampoline_kernelINS0_14default_configENS1_38merge_sort_block_merge_config_selectorIiiEEZZNS1_27merge_sort_block_merge_implIS3_N6thrust23THRUST_200600_302600_NS6detail15normal_iteratorINS8_10device_ptrIiEEEESD_jNS1_19radix_merge_compareILb0ELb1EiNS0_19identity_decomposerEEEEE10hipError_tT0_T1_T2_jT3_P12ihipStream_tbPNSt15iterator_traitsISI_E10value_typeEPNSO_ISJ_E10value_typeEPSK_NS1_7vsmem_tEENKUlT_SI_SJ_SK_E_clIPiSD_S10_SD_EESH_SX_SI_SJ_SK_EUlSX_E1_NS1_11comp_targetILNS1_3genE0ELNS1_11target_archE4294967295ELNS1_3gpuE0ELNS1_3repE0EEENS1_36merge_oddeven_config_static_selectorELNS0_4arch9wavefront6targetE0EEEvSJ_.num_vgpr, 0
	.set _ZN7rocprim17ROCPRIM_400000_NS6detail17trampoline_kernelINS0_14default_configENS1_38merge_sort_block_merge_config_selectorIiiEEZZNS1_27merge_sort_block_merge_implIS3_N6thrust23THRUST_200600_302600_NS6detail15normal_iteratorINS8_10device_ptrIiEEEESD_jNS1_19radix_merge_compareILb0ELb1EiNS0_19identity_decomposerEEEEE10hipError_tT0_T1_T2_jT3_P12ihipStream_tbPNSt15iterator_traitsISI_E10value_typeEPNSO_ISJ_E10value_typeEPSK_NS1_7vsmem_tEENKUlT_SI_SJ_SK_E_clIPiSD_S10_SD_EESH_SX_SI_SJ_SK_EUlSX_E1_NS1_11comp_targetILNS1_3genE0ELNS1_11target_archE4294967295ELNS1_3gpuE0ELNS1_3repE0EEENS1_36merge_oddeven_config_static_selectorELNS0_4arch9wavefront6targetE0EEEvSJ_.num_agpr, 0
	.set _ZN7rocprim17ROCPRIM_400000_NS6detail17trampoline_kernelINS0_14default_configENS1_38merge_sort_block_merge_config_selectorIiiEEZZNS1_27merge_sort_block_merge_implIS3_N6thrust23THRUST_200600_302600_NS6detail15normal_iteratorINS8_10device_ptrIiEEEESD_jNS1_19radix_merge_compareILb0ELb1EiNS0_19identity_decomposerEEEEE10hipError_tT0_T1_T2_jT3_P12ihipStream_tbPNSt15iterator_traitsISI_E10value_typeEPNSO_ISJ_E10value_typeEPSK_NS1_7vsmem_tEENKUlT_SI_SJ_SK_E_clIPiSD_S10_SD_EESH_SX_SI_SJ_SK_EUlSX_E1_NS1_11comp_targetILNS1_3genE0ELNS1_11target_archE4294967295ELNS1_3gpuE0ELNS1_3repE0EEENS1_36merge_oddeven_config_static_selectorELNS0_4arch9wavefront6targetE0EEEvSJ_.numbered_sgpr, 0
	.set _ZN7rocprim17ROCPRIM_400000_NS6detail17trampoline_kernelINS0_14default_configENS1_38merge_sort_block_merge_config_selectorIiiEEZZNS1_27merge_sort_block_merge_implIS3_N6thrust23THRUST_200600_302600_NS6detail15normal_iteratorINS8_10device_ptrIiEEEESD_jNS1_19radix_merge_compareILb0ELb1EiNS0_19identity_decomposerEEEEE10hipError_tT0_T1_T2_jT3_P12ihipStream_tbPNSt15iterator_traitsISI_E10value_typeEPNSO_ISJ_E10value_typeEPSK_NS1_7vsmem_tEENKUlT_SI_SJ_SK_E_clIPiSD_S10_SD_EESH_SX_SI_SJ_SK_EUlSX_E1_NS1_11comp_targetILNS1_3genE0ELNS1_11target_archE4294967295ELNS1_3gpuE0ELNS1_3repE0EEENS1_36merge_oddeven_config_static_selectorELNS0_4arch9wavefront6targetE0EEEvSJ_.num_named_barrier, 0
	.set _ZN7rocprim17ROCPRIM_400000_NS6detail17trampoline_kernelINS0_14default_configENS1_38merge_sort_block_merge_config_selectorIiiEEZZNS1_27merge_sort_block_merge_implIS3_N6thrust23THRUST_200600_302600_NS6detail15normal_iteratorINS8_10device_ptrIiEEEESD_jNS1_19radix_merge_compareILb0ELb1EiNS0_19identity_decomposerEEEEE10hipError_tT0_T1_T2_jT3_P12ihipStream_tbPNSt15iterator_traitsISI_E10value_typeEPNSO_ISJ_E10value_typeEPSK_NS1_7vsmem_tEENKUlT_SI_SJ_SK_E_clIPiSD_S10_SD_EESH_SX_SI_SJ_SK_EUlSX_E1_NS1_11comp_targetILNS1_3genE0ELNS1_11target_archE4294967295ELNS1_3gpuE0ELNS1_3repE0EEENS1_36merge_oddeven_config_static_selectorELNS0_4arch9wavefront6targetE0EEEvSJ_.private_seg_size, 0
	.set _ZN7rocprim17ROCPRIM_400000_NS6detail17trampoline_kernelINS0_14default_configENS1_38merge_sort_block_merge_config_selectorIiiEEZZNS1_27merge_sort_block_merge_implIS3_N6thrust23THRUST_200600_302600_NS6detail15normal_iteratorINS8_10device_ptrIiEEEESD_jNS1_19radix_merge_compareILb0ELb1EiNS0_19identity_decomposerEEEEE10hipError_tT0_T1_T2_jT3_P12ihipStream_tbPNSt15iterator_traitsISI_E10value_typeEPNSO_ISJ_E10value_typeEPSK_NS1_7vsmem_tEENKUlT_SI_SJ_SK_E_clIPiSD_S10_SD_EESH_SX_SI_SJ_SK_EUlSX_E1_NS1_11comp_targetILNS1_3genE0ELNS1_11target_archE4294967295ELNS1_3gpuE0ELNS1_3repE0EEENS1_36merge_oddeven_config_static_selectorELNS0_4arch9wavefront6targetE0EEEvSJ_.uses_vcc, 0
	.set _ZN7rocprim17ROCPRIM_400000_NS6detail17trampoline_kernelINS0_14default_configENS1_38merge_sort_block_merge_config_selectorIiiEEZZNS1_27merge_sort_block_merge_implIS3_N6thrust23THRUST_200600_302600_NS6detail15normal_iteratorINS8_10device_ptrIiEEEESD_jNS1_19radix_merge_compareILb0ELb1EiNS0_19identity_decomposerEEEEE10hipError_tT0_T1_T2_jT3_P12ihipStream_tbPNSt15iterator_traitsISI_E10value_typeEPNSO_ISJ_E10value_typeEPSK_NS1_7vsmem_tEENKUlT_SI_SJ_SK_E_clIPiSD_S10_SD_EESH_SX_SI_SJ_SK_EUlSX_E1_NS1_11comp_targetILNS1_3genE0ELNS1_11target_archE4294967295ELNS1_3gpuE0ELNS1_3repE0EEENS1_36merge_oddeven_config_static_selectorELNS0_4arch9wavefront6targetE0EEEvSJ_.uses_flat_scratch, 0
	.set _ZN7rocprim17ROCPRIM_400000_NS6detail17trampoline_kernelINS0_14default_configENS1_38merge_sort_block_merge_config_selectorIiiEEZZNS1_27merge_sort_block_merge_implIS3_N6thrust23THRUST_200600_302600_NS6detail15normal_iteratorINS8_10device_ptrIiEEEESD_jNS1_19radix_merge_compareILb0ELb1EiNS0_19identity_decomposerEEEEE10hipError_tT0_T1_T2_jT3_P12ihipStream_tbPNSt15iterator_traitsISI_E10value_typeEPNSO_ISJ_E10value_typeEPSK_NS1_7vsmem_tEENKUlT_SI_SJ_SK_E_clIPiSD_S10_SD_EESH_SX_SI_SJ_SK_EUlSX_E1_NS1_11comp_targetILNS1_3genE0ELNS1_11target_archE4294967295ELNS1_3gpuE0ELNS1_3repE0EEENS1_36merge_oddeven_config_static_selectorELNS0_4arch9wavefront6targetE0EEEvSJ_.has_dyn_sized_stack, 0
	.set _ZN7rocprim17ROCPRIM_400000_NS6detail17trampoline_kernelINS0_14default_configENS1_38merge_sort_block_merge_config_selectorIiiEEZZNS1_27merge_sort_block_merge_implIS3_N6thrust23THRUST_200600_302600_NS6detail15normal_iteratorINS8_10device_ptrIiEEEESD_jNS1_19radix_merge_compareILb0ELb1EiNS0_19identity_decomposerEEEEE10hipError_tT0_T1_T2_jT3_P12ihipStream_tbPNSt15iterator_traitsISI_E10value_typeEPNSO_ISJ_E10value_typeEPSK_NS1_7vsmem_tEENKUlT_SI_SJ_SK_E_clIPiSD_S10_SD_EESH_SX_SI_SJ_SK_EUlSX_E1_NS1_11comp_targetILNS1_3genE0ELNS1_11target_archE4294967295ELNS1_3gpuE0ELNS1_3repE0EEENS1_36merge_oddeven_config_static_selectorELNS0_4arch9wavefront6targetE0EEEvSJ_.has_recursion, 0
	.set _ZN7rocprim17ROCPRIM_400000_NS6detail17trampoline_kernelINS0_14default_configENS1_38merge_sort_block_merge_config_selectorIiiEEZZNS1_27merge_sort_block_merge_implIS3_N6thrust23THRUST_200600_302600_NS6detail15normal_iteratorINS8_10device_ptrIiEEEESD_jNS1_19radix_merge_compareILb0ELb1EiNS0_19identity_decomposerEEEEE10hipError_tT0_T1_T2_jT3_P12ihipStream_tbPNSt15iterator_traitsISI_E10value_typeEPNSO_ISJ_E10value_typeEPSK_NS1_7vsmem_tEENKUlT_SI_SJ_SK_E_clIPiSD_S10_SD_EESH_SX_SI_SJ_SK_EUlSX_E1_NS1_11comp_targetILNS1_3genE0ELNS1_11target_archE4294967295ELNS1_3gpuE0ELNS1_3repE0EEENS1_36merge_oddeven_config_static_selectorELNS0_4arch9wavefront6targetE0EEEvSJ_.has_indirect_call, 0
	.section	.AMDGPU.csdata,"",@progbits
; Kernel info:
; codeLenInByte = 0
; TotalNumSgprs: 0
; NumVgprs: 0
; ScratchSize: 0
; MemoryBound: 0
; FloatMode: 240
; IeeeMode: 1
; LDSByteSize: 0 bytes/workgroup (compile time only)
; SGPRBlocks: 0
; VGPRBlocks: 0
; NumSGPRsForWavesPerEU: 1
; NumVGPRsForWavesPerEU: 1
; Occupancy: 16
; WaveLimiterHint : 0
; COMPUTE_PGM_RSRC2:SCRATCH_EN: 0
; COMPUTE_PGM_RSRC2:USER_SGPR: 6
; COMPUTE_PGM_RSRC2:TRAP_HANDLER: 0
; COMPUTE_PGM_RSRC2:TGID_X_EN: 1
; COMPUTE_PGM_RSRC2:TGID_Y_EN: 0
; COMPUTE_PGM_RSRC2:TGID_Z_EN: 0
; COMPUTE_PGM_RSRC2:TIDIG_COMP_CNT: 0
	.section	.text._ZN7rocprim17ROCPRIM_400000_NS6detail17trampoline_kernelINS0_14default_configENS1_38merge_sort_block_merge_config_selectorIiiEEZZNS1_27merge_sort_block_merge_implIS3_N6thrust23THRUST_200600_302600_NS6detail15normal_iteratorINS8_10device_ptrIiEEEESD_jNS1_19radix_merge_compareILb0ELb1EiNS0_19identity_decomposerEEEEE10hipError_tT0_T1_T2_jT3_P12ihipStream_tbPNSt15iterator_traitsISI_E10value_typeEPNSO_ISJ_E10value_typeEPSK_NS1_7vsmem_tEENKUlT_SI_SJ_SK_E_clIPiSD_S10_SD_EESH_SX_SI_SJ_SK_EUlSX_E1_NS1_11comp_targetILNS1_3genE10ELNS1_11target_archE1201ELNS1_3gpuE5ELNS1_3repE0EEENS1_36merge_oddeven_config_static_selectorELNS0_4arch9wavefront6targetE0EEEvSJ_,"axG",@progbits,_ZN7rocprim17ROCPRIM_400000_NS6detail17trampoline_kernelINS0_14default_configENS1_38merge_sort_block_merge_config_selectorIiiEEZZNS1_27merge_sort_block_merge_implIS3_N6thrust23THRUST_200600_302600_NS6detail15normal_iteratorINS8_10device_ptrIiEEEESD_jNS1_19radix_merge_compareILb0ELb1EiNS0_19identity_decomposerEEEEE10hipError_tT0_T1_T2_jT3_P12ihipStream_tbPNSt15iterator_traitsISI_E10value_typeEPNSO_ISJ_E10value_typeEPSK_NS1_7vsmem_tEENKUlT_SI_SJ_SK_E_clIPiSD_S10_SD_EESH_SX_SI_SJ_SK_EUlSX_E1_NS1_11comp_targetILNS1_3genE10ELNS1_11target_archE1201ELNS1_3gpuE5ELNS1_3repE0EEENS1_36merge_oddeven_config_static_selectorELNS0_4arch9wavefront6targetE0EEEvSJ_,comdat
	.protected	_ZN7rocprim17ROCPRIM_400000_NS6detail17trampoline_kernelINS0_14default_configENS1_38merge_sort_block_merge_config_selectorIiiEEZZNS1_27merge_sort_block_merge_implIS3_N6thrust23THRUST_200600_302600_NS6detail15normal_iteratorINS8_10device_ptrIiEEEESD_jNS1_19radix_merge_compareILb0ELb1EiNS0_19identity_decomposerEEEEE10hipError_tT0_T1_T2_jT3_P12ihipStream_tbPNSt15iterator_traitsISI_E10value_typeEPNSO_ISJ_E10value_typeEPSK_NS1_7vsmem_tEENKUlT_SI_SJ_SK_E_clIPiSD_S10_SD_EESH_SX_SI_SJ_SK_EUlSX_E1_NS1_11comp_targetILNS1_3genE10ELNS1_11target_archE1201ELNS1_3gpuE5ELNS1_3repE0EEENS1_36merge_oddeven_config_static_selectorELNS0_4arch9wavefront6targetE0EEEvSJ_ ; -- Begin function _ZN7rocprim17ROCPRIM_400000_NS6detail17trampoline_kernelINS0_14default_configENS1_38merge_sort_block_merge_config_selectorIiiEEZZNS1_27merge_sort_block_merge_implIS3_N6thrust23THRUST_200600_302600_NS6detail15normal_iteratorINS8_10device_ptrIiEEEESD_jNS1_19radix_merge_compareILb0ELb1EiNS0_19identity_decomposerEEEEE10hipError_tT0_T1_T2_jT3_P12ihipStream_tbPNSt15iterator_traitsISI_E10value_typeEPNSO_ISJ_E10value_typeEPSK_NS1_7vsmem_tEENKUlT_SI_SJ_SK_E_clIPiSD_S10_SD_EESH_SX_SI_SJ_SK_EUlSX_E1_NS1_11comp_targetILNS1_3genE10ELNS1_11target_archE1201ELNS1_3gpuE5ELNS1_3repE0EEENS1_36merge_oddeven_config_static_selectorELNS0_4arch9wavefront6targetE0EEEvSJ_
	.globl	_ZN7rocprim17ROCPRIM_400000_NS6detail17trampoline_kernelINS0_14default_configENS1_38merge_sort_block_merge_config_selectorIiiEEZZNS1_27merge_sort_block_merge_implIS3_N6thrust23THRUST_200600_302600_NS6detail15normal_iteratorINS8_10device_ptrIiEEEESD_jNS1_19radix_merge_compareILb0ELb1EiNS0_19identity_decomposerEEEEE10hipError_tT0_T1_T2_jT3_P12ihipStream_tbPNSt15iterator_traitsISI_E10value_typeEPNSO_ISJ_E10value_typeEPSK_NS1_7vsmem_tEENKUlT_SI_SJ_SK_E_clIPiSD_S10_SD_EESH_SX_SI_SJ_SK_EUlSX_E1_NS1_11comp_targetILNS1_3genE10ELNS1_11target_archE1201ELNS1_3gpuE5ELNS1_3repE0EEENS1_36merge_oddeven_config_static_selectorELNS0_4arch9wavefront6targetE0EEEvSJ_
	.p2align	8
	.type	_ZN7rocprim17ROCPRIM_400000_NS6detail17trampoline_kernelINS0_14default_configENS1_38merge_sort_block_merge_config_selectorIiiEEZZNS1_27merge_sort_block_merge_implIS3_N6thrust23THRUST_200600_302600_NS6detail15normal_iteratorINS8_10device_ptrIiEEEESD_jNS1_19radix_merge_compareILb0ELb1EiNS0_19identity_decomposerEEEEE10hipError_tT0_T1_T2_jT3_P12ihipStream_tbPNSt15iterator_traitsISI_E10value_typeEPNSO_ISJ_E10value_typeEPSK_NS1_7vsmem_tEENKUlT_SI_SJ_SK_E_clIPiSD_S10_SD_EESH_SX_SI_SJ_SK_EUlSX_E1_NS1_11comp_targetILNS1_3genE10ELNS1_11target_archE1201ELNS1_3gpuE5ELNS1_3repE0EEENS1_36merge_oddeven_config_static_selectorELNS0_4arch9wavefront6targetE0EEEvSJ_,@function
_ZN7rocprim17ROCPRIM_400000_NS6detail17trampoline_kernelINS0_14default_configENS1_38merge_sort_block_merge_config_selectorIiiEEZZNS1_27merge_sort_block_merge_implIS3_N6thrust23THRUST_200600_302600_NS6detail15normal_iteratorINS8_10device_ptrIiEEEESD_jNS1_19radix_merge_compareILb0ELb1EiNS0_19identity_decomposerEEEEE10hipError_tT0_T1_T2_jT3_P12ihipStream_tbPNSt15iterator_traitsISI_E10value_typeEPNSO_ISJ_E10value_typeEPSK_NS1_7vsmem_tEENKUlT_SI_SJ_SK_E_clIPiSD_S10_SD_EESH_SX_SI_SJ_SK_EUlSX_E1_NS1_11comp_targetILNS1_3genE10ELNS1_11target_archE1201ELNS1_3gpuE5ELNS1_3repE0EEENS1_36merge_oddeven_config_static_selectorELNS0_4arch9wavefront6targetE0EEEvSJ_: ; @_ZN7rocprim17ROCPRIM_400000_NS6detail17trampoline_kernelINS0_14default_configENS1_38merge_sort_block_merge_config_selectorIiiEEZZNS1_27merge_sort_block_merge_implIS3_N6thrust23THRUST_200600_302600_NS6detail15normal_iteratorINS8_10device_ptrIiEEEESD_jNS1_19radix_merge_compareILb0ELb1EiNS0_19identity_decomposerEEEEE10hipError_tT0_T1_T2_jT3_P12ihipStream_tbPNSt15iterator_traitsISI_E10value_typeEPNSO_ISJ_E10value_typeEPSK_NS1_7vsmem_tEENKUlT_SI_SJ_SK_E_clIPiSD_S10_SD_EESH_SX_SI_SJ_SK_EUlSX_E1_NS1_11comp_targetILNS1_3genE10ELNS1_11target_archE1201ELNS1_3gpuE5ELNS1_3repE0EEENS1_36merge_oddeven_config_static_selectorELNS0_4arch9wavefront6targetE0EEEvSJ_
; %bb.0:
	.section	.rodata,"a",@progbits
	.p2align	6, 0x0
	.amdhsa_kernel _ZN7rocprim17ROCPRIM_400000_NS6detail17trampoline_kernelINS0_14default_configENS1_38merge_sort_block_merge_config_selectorIiiEEZZNS1_27merge_sort_block_merge_implIS3_N6thrust23THRUST_200600_302600_NS6detail15normal_iteratorINS8_10device_ptrIiEEEESD_jNS1_19radix_merge_compareILb0ELb1EiNS0_19identity_decomposerEEEEE10hipError_tT0_T1_T2_jT3_P12ihipStream_tbPNSt15iterator_traitsISI_E10value_typeEPNSO_ISJ_E10value_typeEPSK_NS1_7vsmem_tEENKUlT_SI_SJ_SK_E_clIPiSD_S10_SD_EESH_SX_SI_SJ_SK_EUlSX_E1_NS1_11comp_targetILNS1_3genE10ELNS1_11target_archE1201ELNS1_3gpuE5ELNS1_3repE0EEENS1_36merge_oddeven_config_static_selectorELNS0_4arch9wavefront6targetE0EEEvSJ_
		.amdhsa_group_segment_fixed_size 0
		.amdhsa_private_segment_fixed_size 0
		.amdhsa_kernarg_size 48
		.amdhsa_user_sgpr_count 6
		.amdhsa_user_sgpr_private_segment_buffer 1
		.amdhsa_user_sgpr_dispatch_ptr 0
		.amdhsa_user_sgpr_queue_ptr 0
		.amdhsa_user_sgpr_kernarg_segment_ptr 1
		.amdhsa_user_sgpr_dispatch_id 0
		.amdhsa_user_sgpr_flat_scratch_init 0
		.amdhsa_user_sgpr_private_segment_size 0
		.amdhsa_wavefront_size32 1
		.amdhsa_uses_dynamic_stack 0
		.amdhsa_system_sgpr_private_segment_wavefront_offset 0
		.amdhsa_system_sgpr_workgroup_id_x 1
		.amdhsa_system_sgpr_workgroup_id_y 0
		.amdhsa_system_sgpr_workgroup_id_z 0
		.amdhsa_system_sgpr_workgroup_info 0
		.amdhsa_system_vgpr_workitem_id 0
		.amdhsa_next_free_vgpr 1
		.amdhsa_next_free_sgpr 1
		.amdhsa_reserve_vcc 0
		.amdhsa_reserve_flat_scratch 0
		.amdhsa_float_round_mode_32 0
		.amdhsa_float_round_mode_16_64 0
		.amdhsa_float_denorm_mode_32 3
		.amdhsa_float_denorm_mode_16_64 3
		.amdhsa_dx10_clamp 1
		.amdhsa_ieee_mode 1
		.amdhsa_fp16_overflow 0
		.amdhsa_workgroup_processor_mode 1
		.amdhsa_memory_ordered 1
		.amdhsa_forward_progress 1
		.amdhsa_shared_vgpr_count 0
		.amdhsa_exception_fp_ieee_invalid_op 0
		.amdhsa_exception_fp_denorm_src 0
		.amdhsa_exception_fp_ieee_div_zero 0
		.amdhsa_exception_fp_ieee_overflow 0
		.amdhsa_exception_fp_ieee_underflow 0
		.amdhsa_exception_fp_ieee_inexact 0
		.amdhsa_exception_int_div_zero 0
	.end_amdhsa_kernel
	.section	.text._ZN7rocprim17ROCPRIM_400000_NS6detail17trampoline_kernelINS0_14default_configENS1_38merge_sort_block_merge_config_selectorIiiEEZZNS1_27merge_sort_block_merge_implIS3_N6thrust23THRUST_200600_302600_NS6detail15normal_iteratorINS8_10device_ptrIiEEEESD_jNS1_19radix_merge_compareILb0ELb1EiNS0_19identity_decomposerEEEEE10hipError_tT0_T1_T2_jT3_P12ihipStream_tbPNSt15iterator_traitsISI_E10value_typeEPNSO_ISJ_E10value_typeEPSK_NS1_7vsmem_tEENKUlT_SI_SJ_SK_E_clIPiSD_S10_SD_EESH_SX_SI_SJ_SK_EUlSX_E1_NS1_11comp_targetILNS1_3genE10ELNS1_11target_archE1201ELNS1_3gpuE5ELNS1_3repE0EEENS1_36merge_oddeven_config_static_selectorELNS0_4arch9wavefront6targetE0EEEvSJ_,"axG",@progbits,_ZN7rocprim17ROCPRIM_400000_NS6detail17trampoline_kernelINS0_14default_configENS1_38merge_sort_block_merge_config_selectorIiiEEZZNS1_27merge_sort_block_merge_implIS3_N6thrust23THRUST_200600_302600_NS6detail15normal_iteratorINS8_10device_ptrIiEEEESD_jNS1_19radix_merge_compareILb0ELb1EiNS0_19identity_decomposerEEEEE10hipError_tT0_T1_T2_jT3_P12ihipStream_tbPNSt15iterator_traitsISI_E10value_typeEPNSO_ISJ_E10value_typeEPSK_NS1_7vsmem_tEENKUlT_SI_SJ_SK_E_clIPiSD_S10_SD_EESH_SX_SI_SJ_SK_EUlSX_E1_NS1_11comp_targetILNS1_3genE10ELNS1_11target_archE1201ELNS1_3gpuE5ELNS1_3repE0EEENS1_36merge_oddeven_config_static_selectorELNS0_4arch9wavefront6targetE0EEEvSJ_,comdat
.Lfunc_end773:
	.size	_ZN7rocprim17ROCPRIM_400000_NS6detail17trampoline_kernelINS0_14default_configENS1_38merge_sort_block_merge_config_selectorIiiEEZZNS1_27merge_sort_block_merge_implIS3_N6thrust23THRUST_200600_302600_NS6detail15normal_iteratorINS8_10device_ptrIiEEEESD_jNS1_19radix_merge_compareILb0ELb1EiNS0_19identity_decomposerEEEEE10hipError_tT0_T1_T2_jT3_P12ihipStream_tbPNSt15iterator_traitsISI_E10value_typeEPNSO_ISJ_E10value_typeEPSK_NS1_7vsmem_tEENKUlT_SI_SJ_SK_E_clIPiSD_S10_SD_EESH_SX_SI_SJ_SK_EUlSX_E1_NS1_11comp_targetILNS1_3genE10ELNS1_11target_archE1201ELNS1_3gpuE5ELNS1_3repE0EEENS1_36merge_oddeven_config_static_selectorELNS0_4arch9wavefront6targetE0EEEvSJ_, .Lfunc_end773-_ZN7rocprim17ROCPRIM_400000_NS6detail17trampoline_kernelINS0_14default_configENS1_38merge_sort_block_merge_config_selectorIiiEEZZNS1_27merge_sort_block_merge_implIS3_N6thrust23THRUST_200600_302600_NS6detail15normal_iteratorINS8_10device_ptrIiEEEESD_jNS1_19radix_merge_compareILb0ELb1EiNS0_19identity_decomposerEEEEE10hipError_tT0_T1_T2_jT3_P12ihipStream_tbPNSt15iterator_traitsISI_E10value_typeEPNSO_ISJ_E10value_typeEPSK_NS1_7vsmem_tEENKUlT_SI_SJ_SK_E_clIPiSD_S10_SD_EESH_SX_SI_SJ_SK_EUlSX_E1_NS1_11comp_targetILNS1_3genE10ELNS1_11target_archE1201ELNS1_3gpuE5ELNS1_3repE0EEENS1_36merge_oddeven_config_static_selectorELNS0_4arch9wavefront6targetE0EEEvSJ_
                                        ; -- End function
	.set _ZN7rocprim17ROCPRIM_400000_NS6detail17trampoline_kernelINS0_14default_configENS1_38merge_sort_block_merge_config_selectorIiiEEZZNS1_27merge_sort_block_merge_implIS3_N6thrust23THRUST_200600_302600_NS6detail15normal_iteratorINS8_10device_ptrIiEEEESD_jNS1_19radix_merge_compareILb0ELb1EiNS0_19identity_decomposerEEEEE10hipError_tT0_T1_T2_jT3_P12ihipStream_tbPNSt15iterator_traitsISI_E10value_typeEPNSO_ISJ_E10value_typeEPSK_NS1_7vsmem_tEENKUlT_SI_SJ_SK_E_clIPiSD_S10_SD_EESH_SX_SI_SJ_SK_EUlSX_E1_NS1_11comp_targetILNS1_3genE10ELNS1_11target_archE1201ELNS1_3gpuE5ELNS1_3repE0EEENS1_36merge_oddeven_config_static_selectorELNS0_4arch9wavefront6targetE0EEEvSJ_.num_vgpr, 0
	.set _ZN7rocprim17ROCPRIM_400000_NS6detail17trampoline_kernelINS0_14default_configENS1_38merge_sort_block_merge_config_selectorIiiEEZZNS1_27merge_sort_block_merge_implIS3_N6thrust23THRUST_200600_302600_NS6detail15normal_iteratorINS8_10device_ptrIiEEEESD_jNS1_19radix_merge_compareILb0ELb1EiNS0_19identity_decomposerEEEEE10hipError_tT0_T1_T2_jT3_P12ihipStream_tbPNSt15iterator_traitsISI_E10value_typeEPNSO_ISJ_E10value_typeEPSK_NS1_7vsmem_tEENKUlT_SI_SJ_SK_E_clIPiSD_S10_SD_EESH_SX_SI_SJ_SK_EUlSX_E1_NS1_11comp_targetILNS1_3genE10ELNS1_11target_archE1201ELNS1_3gpuE5ELNS1_3repE0EEENS1_36merge_oddeven_config_static_selectorELNS0_4arch9wavefront6targetE0EEEvSJ_.num_agpr, 0
	.set _ZN7rocprim17ROCPRIM_400000_NS6detail17trampoline_kernelINS0_14default_configENS1_38merge_sort_block_merge_config_selectorIiiEEZZNS1_27merge_sort_block_merge_implIS3_N6thrust23THRUST_200600_302600_NS6detail15normal_iteratorINS8_10device_ptrIiEEEESD_jNS1_19radix_merge_compareILb0ELb1EiNS0_19identity_decomposerEEEEE10hipError_tT0_T1_T2_jT3_P12ihipStream_tbPNSt15iterator_traitsISI_E10value_typeEPNSO_ISJ_E10value_typeEPSK_NS1_7vsmem_tEENKUlT_SI_SJ_SK_E_clIPiSD_S10_SD_EESH_SX_SI_SJ_SK_EUlSX_E1_NS1_11comp_targetILNS1_3genE10ELNS1_11target_archE1201ELNS1_3gpuE5ELNS1_3repE0EEENS1_36merge_oddeven_config_static_selectorELNS0_4arch9wavefront6targetE0EEEvSJ_.numbered_sgpr, 0
	.set _ZN7rocprim17ROCPRIM_400000_NS6detail17trampoline_kernelINS0_14default_configENS1_38merge_sort_block_merge_config_selectorIiiEEZZNS1_27merge_sort_block_merge_implIS3_N6thrust23THRUST_200600_302600_NS6detail15normal_iteratorINS8_10device_ptrIiEEEESD_jNS1_19radix_merge_compareILb0ELb1EiNS0_19identity_decomposerEEEEE10hipError_tT0_T1_T2_jT3_P12ihipStream_tbPNSt15iterator_traitsISI_E10value_typeEPNSO_ISJ_E10value_typeEPSK_NS1_7vsmem_tEENKUlT_SI_SJ_SK_E_clIPiSD_S10_SD_EESH_SX_SI_SJ_SK_EUlSX_E1_NS1_11comp_targetILNS1_3genE10ELNS1_11target_archE1201ELNS1_3gpuE5ELNS1_3repE0EEENS1_36merge_oddeven_config_static_selectorELNS0_4arch9wavefront6targetE0EEEvSJ_.num_named_barrier, 0
	.set _ZN7rocprim17ROCPRIM_400000_NS6detail17trampoline_kernelINS0_14default_configENS1_38merge_sort_block_merge_config_selectorIiiEEZZNS1_27merge_sort_block_merge_implIS3_N6thrust23THRUST_200600_302600_NS6detail15normal_iteratorINS8_10device_ptrIiEEEESD_jNS1_19radix_merge_compareILb0ELb1EiNS0_19identity_decomposerEEEEE10hipError_tT0_T1_T2_jT3_P12ihipStream_tbPNSt15iterator_traitsISI_E10value_typeEPNSO_ISJ_E10value_typeEPSK_NS1_7vsmem_tEENKUlT_SI_SJ_SK_E_clIPiSD_S10_SD_EESH_SX_SI_SJ_SK_EUlSX_E1_NS1_11comp_targetILNS1_3genE10ELNS1_11target_archE1201ELNS1_3gpuE5ELNS1_3repE0EEENS1_36merge_oddeven_config_static_selectorELNS0_4arch9wavefront6targetE0EEEvSJ_.private_seg_size, 0
	.set _ZN7rocprim17ROCPRIM_400000_NS6detail17trampoline_kernelINS0_14default_configENS1_38merge_sort_block_merge_config_selectorIiiEEZZNS1_27merge_sort_block_merge_implIS3_N6thrust23THRUST_200600_302600_NS6detail15normal_iteratorINS8_10device_ptrIiEEEESD_jNS1_19radix_merge_compareILb0ELb1EiNS0_19identity_decomposerEEEEE10hipError_tT0_T1_T2_jT3_P12ihipStream_tbPNSt15iterator_traitsISI_E10value_typeEPNSO_ISJ_E10value_typeEPSK_NS1_7vsmem_tEENKUlT_SI_SJ_SK_E_clIPiSD_S10_SD_EESH_SX_SI_SJ_SK_EUlSX_E1_NS1_11comp_targetILNS1_3genE10ELNS1_11target_archE1201ELNS1_3gpuE5ELNS1_3repE0EEENS1_36merge_oddeven_config_static_selectorELNS0_4arch9wavefront6targetE0EEEvSJ_.uses_vcc, 0
	.set _ZN7rocprim17ROCPRIM_400000_NS6detail17trampoline_kernelINS0_14default_configENS1_38merge_sort_block_merge_config_selectorIiiEEZZNS1_27merge_sort_block_merge_implIS3_N6thrust23THRUST_200600_302600_NS6detail15normal_iteratorINS8_10device_ptrIiEEEESD_jNS1_19radix_merge_compareILb0ELb1EiNS0_19identity_decomposerEEEEE10hipError_tT0_T1_T2_jT3_P12ihipStream_tbPNSt15iterator_traitsISI_E10value_typeEPNSO_ISJ_E10value_typeEPSK_NS1_7vsmem_tEENKUlT_SI_SJ_SK_E_clIPiSD_S10_SD_EESH_SX_SI_SJ_SK_EUlSX_E1_NS1_11comp_targetILNS1_3genE10ELNS1_11target_archE1201ELNS1_3gpuE5ELNS1_3repE0EEENS1_36merge_oddeven_config_static_selectorELNS0_4arch9wavefront6targetE0EEEvSJ_.uses_flat_scratch, 0
	.set _ZN7rocprim17ROCPRIM_400000_NS6detail17trampoline_kernelINS0_14default_configENS1_38merge_sort_block_merge_config_selectorIiiEEZZNS1_27merge_sort_block_merge_implIS3_N6thrust23THRUST_200600_302600_NS6detail15normal_iteratorINS8_10device_ptrIiEEEESD_jNS1_19radix_merge_compareILb0ELb1EiNS0_19identity_decomposerEEEEE10hipError_tT0_T1_T2_jT3_P12ihipStream_tbPNSt15iterator_traitsISI_E10value_typeEPNSO_ISJ_E10value_typeEPSK_NS1_7vsmem_tEENKUlT_SI_SJ_SK_E_clIPiSD_S10_SD_EESH_SX_SI_SJ_SK_EUlSX_E1_NS1_11comp_targetILNS1_3genE10ELNS1_11target_archE1201ELNS1_3gpuE5ELNS1_3repE0EEENS1_36merge_oddeven_config_static_selectorELNS0_4arch9wavefront6targetE0EEEvSJ_.has_dyn_sized_stack, 0
	.set _ZN7rocprim17ROCPRIM_400000_NS6detail17trampoline_kernelINS0_14default_configENS1_38merge_sort_block_merge_config_selectorIiiEEZZNS1_27merge_sort_block_merge_implIS3_N6thrust23THRUST_200600_302600_NS6detail15normal_iteratorINS8_10device_ptrIiEEEESD_jNS1_19radix_merge_compareILb0ELb1EiNS0_19identity_decomposerEEEEE10hipError_tT0_T1_T2_jT3_P12ihipStream_tbPNSt15iterator_traitsISI_E10value_typeEPNSO_ISJ_E10value_typeEPSK_NS1_7vsmem_tEENKUlT_SI_SJ_SK_E_clIPiSD_S10_SD_EESH_SX_SI_SJ_SK_EUlSX_E1_NS1_11comp_targetILNS1_3genE10ELNS1_11target_archE1201ELNS1_3gpuE5ELNS1_3repE0EEENS1_36merge_oddeven_config_static_selectorELNS0_4arch9wavefront6targetE0EEEvSJ_.has_recursion, 0
	.set _ZN7rocprim17ROCPRIM_400000_NS6detail17trampoline_kernelINS0_14default_configENS1_38merge_sort_block_merge_config_selectorIiiEEZZNS1_27merge_sort_block_merge_implIS3_N6thrust23THRUST_200600_302600_NS6detail15normal_iteratorINS8_10device_ptrIiEEEESD_jNS1_19radix_merge_compareILb0ELb1EiNS0_19identity_decomposerEEEEE10hipError_tT0_T1_T2_jT3_P12ihipStream_tbPNSt15iterator_traitsISI_E10value_typeEPNSO_ISJ_E10value_typeEPSK_NS1_7vsmem_tEENKUlT_SI_SJ_SK_E_clIPiSD_S10_SD_EESH_SX_SI_SJ_SK_EUlSX_E1_NS1_11comp_targetILNS1_3genE10ELNS1_11target_archE1201ELNS1_3gpuE5ELNS1_3repE0EEENS1_36merge_oddeven_config_static_selectorELNS0_4arch9wavefront6targetE0EEEvSJ_.has_indirect_call, 0
	.section	.AMDGPU.csdata,"",@progbits
; Kernel info:
; codeLenInByte = 0
; TotalNumSgprs: 0
; NumVgprs: 0
; ScratchSize: 0
; MemoryBound: 0
; FloatMode: 240
; IeeeMode: 1
; LDSByteSize: 0 bytes/workgroup (compile time only)
; SGPRBlocks: 0
; VGPRBlocks: 0
; NumSGPRsForWavesPerEU: 1
; NumVGPRsForWavesPerEU: 1
; Occupancy: 16
; WaveLimiterHint : 0
; COMPUTE_PGM_RSRC2:SCRATCH_EN: 0
; COMPUTE_PGM_RSRC2:USER_SGPR: 6
; COMPUTE_PGM_RSRC2:TRAP_HANDLER: 0
; COMPUTE_PGM_RSRC2:TGID_X_EN: 1
; COMPUTE_PGM_RSRC2:TGID_Y_EN: 0
; COMPUTE_PGM_RSRC2:TGID_Z_EN: 0
; COMPUTE_PGM_RSRC2:TIDIG_COMP_CNT: 0
	.section	.text._ZN7rocprim17ROCPRIM_400000_NS6detail17trampoline_kernelINS0_14default_configENS1_38merge_sort_block_merge_config_selectorIiiEEZZNS1_27merge_sort_block_merge_implIS3_N6thrust23THRUST_200600_302600_NS6detail15normal_iteratorINS8_10device_ptrIiEEEESD_jNS1_19radix_merge_compareILb0ELb1EiNS0_19identity_decomposerEEEEE10hipError_tT0_T1_T2_jT3_P12ihipStream_tbPNSt15iterator_traitsISI_E10value_typeEPNSO_ISJ_E10value_typeEPSK_NS1_7vsmem_tEENKUlT_SI_SJ_SK_E_clIPiSD_S10_SD_EESH_SX_SI_SJ_SK_EUlSX_E1_NS1_11comp_targetILNS1_3genE5ELNS1_11target_archE942ELNS1_3gpuE9ELNS1_3repE0EEENS1_36merge_oddeven_config_static_selectorELNS0_4arch9wavefront6targetE0EEEvSJ_,"axG",@progbits,_ZN7rocprim17ROCPRIM_400000_NS6detail17trampoline_kernelINS0_14default_configENS1_38merge_sort_block_merge_config_selectorIiiEEZZNS1_27merge_sort_block_merge_implIS3_N6thrust23THRUST_200600_302600_NS6detail15normal_iteratorINS8_10device_ptrIiEEEESD_jNS1_19radix_merge_compareILb0ELb1EiNS0_19identity_decomposerEEEEE10hipError_tT0_T1_T2_jT3_P12ihipStream_tbPNSt15iterator_traitsISI_E10value_typeEPNSO_ISJ_E10value_typeEPSK_NS1_7vsmem_tEENKUlT_SI_SJ_SK_E_clIPiSD_S10_SD_EESH_SX_SI_SJ_SK_EUlSX_E1_NS1_11comp_targetILNS1_3genE5ELNS1_11target_archE942ELNS1_3gpuE9ELNS1_3repE0EEENS1_36merge_oddeven_config_static_selectorELNS0_4arch9wavefront6targetE0EEEvSJ_,comdat
	.protected	_ZN7rocprim17ROCPRIM_400000_NS6detail17trampoline_kernelINS0_14default_configENS1_38merge_sort_block_merge_config_selectorIiiEEZZNS1_27merge_sort_block_merge_implIS3_N6thrust23THRUST_200600_302600_NS6detail15normal_iteratorINS8_10device_ptrIiEEEESD_jNS1_19radix_merge_compareILb0ELb1EiNS0_19identity_decomposerEEEEE10hipError_tT0_T1_T2_jT3_P12ihipStream_tbPNSt15iterator_traitsISI_E10value_typeEPNSO_ISJ_E10value_typeEPSK_NS1_7vsmem_tEENKUlT_SI_SJ_SK_E_clIPiSD_S10_SD_EESH_SX_SI_SJ_SK_EUlSX_E1_NS1_11comp_targetILNS1_3genE5ELNS1_11target_archE942ELNS1_3gpuE9ELNS1_3repE0EEENS1_36merge_oddeven_config_static_selectorELNS0_4arch9wavefront6targetE0EEEvSJ_ ; -- Begin function _ZN7rocprim17ROCPRIM_400000_NS6detail17trampoline_kernelINS0_14default_configENS1_38merge_sort_block_merge_config_selectorIiiEEZZNS1_27merge_sort_block_merge_implIS3_N6thrust23THRUST_200600_302600_NS6detail15normal_iteratorINS8_10device_ptrIiEEEESD_jNS1_19radix_merge_compareILb0ELb1EiNS0_19identity_decomposerEEEEE10hipError_tT0_T1_T2_jT3_P12ihipStream_tbPNSt15iterator_traitsISI_E10value_typeEPNSO_ISJ_E10value_typeEPSK_NS1_7vsmem_tEENKUlT_SI_SJ_SK_E_clIPiSD_S10_SD_EESH_SX_SI_SJ_SK_EUlSX_E1_NS1_11comp_targetILNS1_3genE5ELNS1_11target_archE942ELNS1_3gpuE9ELNS1_3repE0EEENS1_36merge_oddeven_config_static_selectorELNS0_4arch9wavefront6targetE0EEEvSJ_
	.globl	_ZN7rocprim17ROCPRIM_400000_NS6detail17trampoline_kernelINS0_14default_configENS1_38merge_sort_block_merge_config_selectorIiiEEZZNS1_27merge_sort_block_merge_implIS3_N6thrust23THRUST_200600_302600_NS6detail15normal_iteratorINS8_10device_ptrIiEEEESD_jNS1_19radix_merge_compareILb0ELb1EiNS0_19identity_decomposerEEEEE10hipError_tT0_T1_T2_jT3_P12ihipStream_tbPNSt15iterator_traitsISI_E10value_typeEPNSO_ISJ_E10value_typeEPSK_NS1_7vsmem_tEENKUlT_SI_SJ_SK_E_clIPiSD_S10_SD_EESH_SX_SI_SJ_SK_EUlSX_E1_NS1_11comp_targetILNS1_3genE5ELNS1_11target_archE942ELNS1_3gpuE9ELNS1_3repE0EEENS1_36merge_oddeven_config_static_selectorELNS0_4arch9wavefront6targetE0EEEvSJ_
	.p2align	8
	.type	_ZN7rocprim17ROCPRIM_400000_NS6detail17trampoline_kernelINS0_14default_configENS1_38merge_sort_block_merge_config_selectorIiiEEZZNS1_27merge_sort_block_merge_implIS3_N6thrust23THRUST_200600_302600_NS6detail15normal_iteratorINS8_10device_ptrIiEEEESD_jNS1_19radix_merge_compareILb0ELb1EiNS0_19identity_decomposerEEEEE10hipError_tT0_T1_T2_jT3_P12ihipStream_tbPNSt15iterator_traitsISI_E10value_typeEPNSO_ISJ_E10value_typeEPSK_NS1_7vsmem_tEENKUlT_SI_SJ_SK_E_clIPiSD_S10_SD_EESH_SX_SI_SJ_SK_EUlSX_E1_NS1_11comp_targetILNS1_3genE5ELNS1_11target_archE942ELNS1_3gpuE9ELNS1_3repE0EEENS1_36merge_oddeven_config_static_selectorELNS0_4arch9wavefront6targetE0EEEvSJ_,@function
_ZN7rocprim17ROCPRIM_400000_NS6detail17trampoline_kernelINS0_14default_configENS1_38merge_sort_block_merge_config_selectorIiiEEZZNS1_27merge_sort_block_merge_implIS3_N6thrust23THRUST_200600_302600_NS6detail15normal_iteratorINS8_10device_ptrIiEEEESD_jNS1_19radix_merge_compareILb0ELb1EiNS0_19identity_decomposerEEEEE10hipError_tT0_T1_T2_jT3_P12ihipStream_tbPNSt15iterator_traitsISI_E10value_typeEPNSO_ISJ_E10value_typeEPSK_NS1_7vsmem_tEENKUlT_SI_SJ_SK_E_clIPiSD_S10_SD_EESH_SX_SI_SJ_SK_EUlSX_E1_NS1_11comp_targetILNS1_3genE5ELNS1_11target_archE942ELNS1_3gpuE9ELNS1_3repE0EEENS1_36merge_oddeven_config_static_selectorELNS0_4arch9wavefront6targetE0EEEvSJ_: ; @_ZN7rocprim17ROCPRIM_400000_NS6detail17trampoline_kernelINS0_14default_configENS1_38merge_sort_block_merge_config_selectorIiiEEZZNS1_27merge_sort_block_merge_implIS3_N6thrust23THRUST_200600_302600_NS6detail15normal_iteratorINS8_10device_ptrIiEEEESD_jNS1_19radix_merge_compareILb0ELb1EiNS0_19identity_decomposerEEEEE10hipError_tT0_T1_T2_jT3_P12ihipStream_tbPNSt15iterator_traitsISI_E10value_typeEPNSO_ISJ_E10value_typeEPSK_NS1_7vsmem_tEENKUlT_SI_SJ_SK_E_clIPiSD_S10_SD_EESH_SX_SI_SJ_SK_EUlSX_E1_NS1_11comp_targetILNS1_3genE5ELNS1_11target_archE942ELNS1_3gpuE9ELNS1_3repE0EEENS1_36merge_oddeven_config_static_selectorELNS0_4arch9wavefront6targetE0EEEvSJ_
; %bb.0:
	.section	.rodata,"a",@progbits
	.p2align	6, 0x0
	.amdhsa_kernel _ZN7rocprim17ROCPRIM_400000_NS6detail17trampoline_kernelINS0_14default_configENS1_38merge_sort_block_merge_config_selectorIiiEEZZNS1_27merge_sort_block_merge_implIS3_N6thrust23THRUST_200600_302600_NS6detail15normal_iteratorINS8_10device_ptrIiEEEESD_jNS1_19radix_merge_compareILb0ELb1EiNS0_19identity_decomposerEEEEE10hipError_tT0_T1_T2_jT3_P12ihipStream_tbPNSt15iterator_traitsISI_E10value_typeEPNSO_ISJ_E10value_typeEPSK_NS1_7vsmem_tEENKUlT_SI_SJ_SK_E_clIPiSD_S10_SD_EESH_SX_SI_SJ_SK_EUlSX_E1_NS1_11comp_targetILNS1_3genE5ELNS1_11target_archE942ELNS1_3gpuE9ELNS1_3repE0EEENS1_36merge_oddeven_config_static_selectorELNS0_4arch9wavefront6targetE0EEEvSJ_
		.amdhsa_group_segment_fixed_size 0
		.amdhsa_private_segment_fixed_size 0
		.amdhsa_kernarg_size 48
		.amdhsa_user_sgpr_count 6
		.amdhsa_user_sgpr_private_segment_buffer 1
		.amdhsa_user_sgpr_dispatch_ptr 0
		.amdhsa_user_sgpr_queue_ptr 0
		.amdhsa_user_sgpr_kernarg_segment_ptr 1
		.amdhsa_user_sgpr_dispatch_id 0
		.amdhsa_user_sgpr_flat_scratch_init 0
		.amdhsa_user_sgpr_private_segment_size 0
		.amdhsa_wavefront_size32 1
		.amdhsa_uses_dynamic_stack 0
		.amdhsa_system_sgpr_private_segment_wavefront_offset 0
		.amdhsa_system_sgpr_workgroup_id_x 1
		.amdhsa_system_sgpr_workgroup_id_y 0
		.amdhsa_system_sgpr_workgroup_id_z 0
		.amdhsa_system_sgpr_workgroup_info 0
		.amdhsa_system_vgpr_workitem_id 0
		.amdhsa_next_free_vgpr 1
		.amdhsa_next_free_sgpr 1
		.amdhsa_reserve_vcc 0
		.amdhsa_reserve_flat_scratch 0
		.amdhsa_float_round_mode_32 0
		.amdhsa_float_round_mode_16_64 0
		.amdhsa_float_denorm_mode_32 3
		.amdhsa_float_denorm_mode_16_64 3
		.amdhsa_dx10_clamp 1
		.amdhsa_ieee_mode 1
		.amdhsa_fp16_overflow 0
		.amdhsa_workgroup_processor_mode 1
		.amdhsa_memory_ordered 1
		.amdhsa_forward_progress 1
		.amdhsa_shared_vgpr_count 0
		.amdhsa_exception_fp_ieee_invalid_op 0
		.amdhsa_exception_fp_denorm_src 0
		.amdhsa_exception_fp_ieee_div_zero 0
		.amdhsa_exception_fp_ieee_overflow 0
		.amdhsa_exception_fp_ieee_underflow 0
		.amdhsa_exception_fp_ieee_inexact 0
		.amdhsa_exception_int_div_zero 0
	.end_amdhsa_kernel
	.section	.text._ZN7rocprim17ROCPRIM_400000_NS6detail17trampoline_kernelINS0_14default_configENS1_38merge_sort_block_merge_config_selectorIiiEEZZNS1_27merge_sort_block_merge_implIS3_N6thrust23THRUST_200600_302600_NS6detail15normal_iteratorINS8_10device_ptrIiEEEESD_jNS1_19radix_merge_compareILb0ELb1EiNS0_19identity_decomposerEEEEE10hipError_tT0_T1_T2_jT3_P12ihipStream_tbPNSt15iterator_traitsISI_E10value_typeEPNSO_ISJ_E10value_typeEPSK_NS1_7vsmem_tEENKUlT_SI_SJ_SK_E_clIPiSD_S10_SD_EESH_SX_SI_SJ_SK_EUlSX_E1_NS1_11comp_targetILNS1_3genE5ELNS1_11target_archE942ELNS1_3gpuE9ELNS1_3repE0EEENS1_36merge_oddeven_config_static_selectorELNS0_4arch9wavefront6targetE0EEEvSJ_,"axG",@progbits,_ZN7rocprim17ROCPRIM_400000_NS6detail17trampoline_kernelINS0_14default_configENS1_38merge_sort_block_merge_config_selectorIiiEEZZNS1_27merge_sort_block_merge_implIS3_N6thrust23THRUST_200600_302600_NS6detail15normal_iteratorINS8_10device_ptrIiEEEESD_jNS1_19radix_merge_compareILb0ELb1EiNS0_19identity_decomposerEEEEE10hipError_tT0_T1_T2_jT3_P12ihipStream_tbPNSt15iterator_traitsISI_E10value_typeEPNSO_ISJ_E10value_typeEPSK_NS1_7vsmem_tEENKUlT_SI_SJ_SK_E_clIPiSD_S10_SD_EESH_SX_SI_SJ_SK_EUlSX_E1_NS1_11comp_targetILNS1_3genE5ELNS1_11target_archE942ELNS1_3gpuE9ELNS1_3repE0EEENS1_36merge_oddeven_config_static_selectorELNS0_4arch9wavefront6targetE0EEEvSJ_,comdat
.Lfunc_end774:
	.size	_ZN7rocprim17ROCPRIM_400000_NS6detail17trampoline_kernelINS0_14default_configENS1_38merge_sort_block_merge_config_selectorIiiEEZZNS1_27merge_sort_block_merge_implIS3_N6thrust23THRUST_200600_302600_NS6detail15normal_iteratorINS8_10device_ptrIiEEEESD_jNS1_19radix_merge_compareILb0ELb1EiNS0_19identity_decomposerEEEEE10hipError_tT0_T1_T2_jT3_P12ihipStream_tbPNSt15iterator_traitsISI_E10value_typeEPNSO_ISJ_E10value_typeEPSK_NS1_7vsmem_tEENKUlT_SI_SJ_SK_E_clIPiSD_S10_SD_EESH_SX_SI_SJ_SK_EUlSX_E1_NS1_11comp_targetILNS1_3genE5ELNS1_11target_archE942ELNS1_3gpuE9ELNS1_3repE0EEENS1_36merge_oddeven_config_static_selectorELNS0_4arch9wavefront6targetE0EEEvSJ_, .Lfunc_end774-_ZN7rocprim17ROCPRIM_400000_NS6detail17trampoline_kernelINS0_14default_configENS1_38merge_sort_block_merge_config_selectorIiiEEZZNS1_27merge_sort_block_merge_implIS3_N6thrust23THRUST_200600_302600_NS6detail15normal_iteratorINS8_10device_ptrIiEEEESD_jNS1_19radix_merge_compareILb0ELb1EiNS0_19identity_decomposerEEEEE10hipError_tT0_T1_T2_jT3_P12ihipStream_tbPNSt15iterator_traitsISI_E10value_typeEPNSO_ISJ_E10value_typeEPSK_NS1_7vsmem_tEENKUlT_SI_SJ_SK_E_clIPiSD_S10_SD_EESH_SX_SI_SJ_SK_EUlSX_E1_NS1_11comp_targetILNS1_3genE5ELNS1_11target_archE942ELNS1_3gpuE9ELNS1_3repE0EEENS1_36merge_oddeven_config_static_selectorELNS0_4arch9wavefront6targetE0EEEvSJ_
                                        ; -- End function
	.set _ZN7rocprim17ROCPRIM_400000_NS6detail17trampoline_kernelINS0_14default_configENS1_38merge_sort_block_merge_config_selectorIiiEEZZNS1_27merge_sort_block_merge_implIS3_N6thrust23THRUST_200600_302600_NS6detail15normal_iteratorINS8_10device_ptrIiEEEESD_jNS1_19radix_merge_compareILb0ELb1EiNS0_19identity_decomposerEEEEE10hipError_tT0_T1_T2_jT3_P12ihipStream_tbPNSt15iterator_traitsISI_E10value_typeEPNSO_ISJ_E10value_typeEPSK_NS1_7vsmem_tEENKUlT_SI_SJ_SK_E_clIPiSD_S10_SD_EESH_SX_SI_SJ_SK_EUlSX_E1_NS1_11comp_targetILNS1_3genE5ELNS1_11target_archE942ELNS1_3gpuE9ELNS1_3repE0EEENS1_36merge_oddeven_config_static_selectorELNS0_4arch9wavefront6targetE0EEEvSJ_.num_vgpr, 0
	.set _ZN7rocprim17ROCPRIM_400000_NS6detail17trampoline_kernelINS0_14default_configENS1_38merge_sort_block_merge_config_selectorIiiEEZZNS1_27merge_sort_block_merge_implIS3_N6thrust23THRUST_200600_302600_NS6detail15normal_iteratorINS8_10device_ptrIiEEEESD_jNS1_19radix_merge_compareILb0ELb1EiNS0_19identity_decomposerEEEEE10hipError_tT0_T1_T2_jT3_P12ihipStream_tbPNSt15iterator_traitsISI_E10value_typeEPNSO_ISJ_E10value_typeEPSK_NS1_7vsmem_tEENKUlT_SI_SJ_SK_E_clIPiSD_S10_SD_EESH_SX_SI_SJ_SK_EUlSX_E1_NS1_11comp_targetILNS1_3genE5ELNS1_11target_archE942ELNS1_3gpuE9ELNS1_3repE0EEENS1_36merge_oddeven_config_static_selectorELNS0_4arch9wavefront6targetE0EEEvSJ_.num_agpr, 0
	.set _ZN7rocprim17ROCPRIM_400000_NS6detail17trampoline_kernelINS0_14default_configENS1_38merge_sort_block_merge_config_selectorIiiEEZZNS1_27merge_sort_block_merge_implIS3_N6thrust23THRUST_200600_302600_NS6detail15normal_iteratorINS8_10device_ptrIiEEEESD_jNS1_19radix_merge_compareILb0ELb1EiNS0_19identity_decomposerEEEEE10hipError_tT0_T1_T2_jT3_P12ihipStream_tbPNSt15iterator_traitsISI_E10value_typeEPNSO_ISJ_E10value_typeEPSK_NS1_7vsmem_tEENKUlT_SI_SJ_SK_E_clIPiSD_S10_SD_EESH_SX_SI_SJ_SK_EUlSX_E1_NS1_11comp_targetILNS1_3genE5ELNS1_11target_archE942ELNS1_3gpuE9ELNS1_3repE0EEENS1_36merge_oddeven_config_static_selectorELNS0_4arch9wavefront6targetE0EEEvSJ_.numbered_sgpr, 0
	.set _ZN7rocprim17ROCPRIM_400000_NS6detail17trampoline_kernelINS0_14default_configENS1_38merge_sort_block_merge_config_selectorIiiEEZZNS1_27merge_sort_block_merge_implIS3_N6thrust23THRUST_200600_302600_NS6detail15normal_iteratorINS8_10device_ptrIiEEEESD_jNS1_19radix_merge_compareILb0ELb1EiNS0_19identity_decomposerEEEEE10hipError_tT0_T1_T2_jT3_P12ihipStream_tbPNSt15iterator_traitsISI_E10value_typeEPNSO_ISJ_E10value_typeEPSK_NS1_7vsmem_tEENKUlT_SI_SJ_SK_E_clIPiSD_S10_SD_EESH_SX_SI_SJ_SK_EUlSX_E1_NS1_11comp_targetILNS1_3genE5ELNS1_11target_archE942ELNS1_3gpuE9ELNS1_3repE0EEENS1_36merge_oddeven_config_static_selectorELNS0_4arch9wavefront6targetE0EEEvSJ_.num_named_barrier, 0
	.set _ZN7rocprim17ROCPRIM_400000_NS6detail17trampoline_kernelINS0_14default_configENS1_38merge_sort_block_merge_config_selectorIiiEEZZNS1_27merge_sort_block_merge_implIS3_N6thrust23THRUST_200600_302600_NS6detail15normal_iteratorINS8_10device_ptrIiEEEESD_jNS1_19radix_merge_compareILb0ELb1EiNS0_19identity_decomposerEEEEE10hipError_tT0_T1_T2_jT3_P12ihipStream_tbPNSt15iterator_traitsISI_E10value_typeEPNSO_ISJ_E10value_typeEPSK_NS1_7vsmem_tEENKUlT_SI_SJ_SK_E_clIPiSD_S10_SD_EESH_SX_SI_SJ_SK_EUlSX_E1_NS1_11comp_targetILNS1_3genE5ELNS1_11target_archE942ELNS1_3gpuE9ELNS1_3repE0EEENS1_36merge_oddeven_config_static_selectorELNS0_4arch9wavefront6targetE0EEEvSJ_.private_seg_size, 0
	.set _ZN7rocprim17ROCPRIM_400000_NS6detail17trampoline_kernelINS0_14default_configENS1_38merge_sort_block_merge_config_selectorIiiEEZZNS1_27merge_sort_block_merge_implIS3_N6thrust23THRUST_200600_302600_NS6detail15normal_iteratorINS8_10device_ptrIiEEEESD_jNS1_19radix_merge_compareILb0ELb1EiNS0_19identity_decomposerEEEEE10hipError_tT0_T1_T2_jT3_P12ihipStream_tbPNSt15iterator_traitsISI_E10value_typeEPNSO_ISJ_E10value_typeEPSK_NS1_7vsmem_tEENKUlT_SI_SJ_SK_E_clIPiSD_S10_SD_EESH_SX_SI_SJ_SK_EUlSX_E1_NS1_11comp_targetILNS1_3genE5ELNS1_11target_archE942ELNS1_3gpuE9ELNS1_3repE0EEENS1_36merge_oddeven_config_static_selectorELNS0_4arch9wavefront6targetE0EEEvSJ_.uses_vcc, 0
	.set _ZN7rocprim17ROCPRIM_400000_NS6detail17trampoline_kernelINS0_14default_configENS1_38merge_sort_block_merge_config_selectorIiiEEZZNS1_27merge_sort_block_merge_implIS3_N6thrust23THRUST_200600_302600_NS6detail15normal_iteratorINS8_10device_ptrIiEEEESD_jNS1_19radix_merge_compareILb0ELb1EiNS0_19identity_decomposerEEEEE10hipError_tT0_T1_T2_jT3_P12ihipStream_tbPNSt15iterator_traitsISI_E10value_typeEPNSO_ISJ_E10value_typeEPSK_NS1_7vsmem_tEENKUlT_SI_SJ_SK_E_clIPiSD_S10_SD_EESH_SX_SI_SJ_SK_EUlSX_E1_NS1_11comp_targetILNS1_3genE5ELNS1_11target_archE942ELNS1_3gpuE9ELNS1_3repE0EEENS1_36merge_oddeven_config_static_selectorELNS0_4arch9wavefront6targetE0EEEvSJ_.uses_flat_scratch, 0
	.set _ZN7rocprim17ROCPRIM_400000_NS6detail17trampoline_kernelINS0_14default_configENS1_38merge_sort_block_merge_config_selectorIiiEEZZNS1_27merge_sort_block_merge_implIS3_N6thrust23THRUST_200600_302600_NS6detail15normal_iteratorINS8_10device_ptrIiEEEESD_jNS1_19radix_merge_compareILb0ELb1EiNS0_19identity_decomposerEEEEE10hipError_tT0_T1_T2_jT3_P12ihipStream_tbPNSt15iterator_traitsISI_E10value_typeEPNSO_ISJ_E10value_typeEPSK_NS1_7vsmem_tEENKUlT_SI_SJ_SK_E_clIPiSD_S10_SD_EESH_SX_SI_SJ_SK_EUlSX_E1_NS1_11comp_targetILNS1_3genE5ELNS1_11target_archE942ELNS1_3gpuE9ELNS1_3repE0EEENS1_36merge_oddeven_config_static_selectorELNS0_4arch9wavefront6targetE0EEEvSJ_.has_dyn_sized_stack, 0
	.set _ZN7rocprim17ROCPRIM_400000_NS6detail17trampoline_kernelINS0_14default_configENS1_38merge_sort_block_merge_config_selectorIiiEEZZNS1_27merge_sort_block_merge_implIS3_N6thrust23THRUST_200600_302600_NS6detail15normal_iteratorINS8_10device_ptrIiEEEESD_jNS1_19radix_merge_compareILb0ELb1EiNS0_19identity_decomposerEEEEE10hipError_tT0_T1_T2_jT3_P12ihipStream_tbPNSt15iterator_traitsISI_E10value_typeEPNSO_ISJ_E10value_typeEPSK_NS1_7vsmem_tEENKUlT_SI_SJ_SK_E_clIPiSD_S10_SD_EESH_SX_SI_SJ_SK_EUlSX_E1_NS1_11comp_targetILNS1_3genE5ELNS1_11target_archE942ELNS1_3gpuE9ELNS1_3repE0EEENS1_36merge_oddeven_config_static_selectorELNS0_4arch9wavefront6targetE0EEEvSJ_.has_recursion, 0
	.set _ZN7rocprim17ROCPRIM_400000_NS6detail17trampoline_kernelINS0_14default_configENS1_38merge_sort_block_merge_config_selectorIiiEEZZNS1_27merge_sort_block_merge_implIS3_N6thrust23THRUST_200600_302600_NS6detail15normal_iteratorINS8_10device_ptrIiEEEESD_jNS1_19radix_merge_compareILb0ELb1EiNS0_19identity_decomposerEEEEE10hipError_tT0_T1_T2_jT3_P12ihipStream_tbPNSt15iterator_traitsISI_E10value_typeEPNSO_ISJ_E10value_typeEPSK_NS1_7vsmem_tEENKUlT_SI_SJ_SK_E_clIPiSD_S10_SD_EESH_SX_SI_SJ_SK_EUlSX_E1_NS1_11comp_targetILNS1_3genE5ELNS1_11target_archE942ELNS1_3gpuE9ELNS1_3repE0EEENS1_36merge_oddeven_config_static_selectorELNS0_4arch9wavefront6targetE0EEEvSJ_.has_indirect_call, 0
	.section	.AMDGPU.csdata,"",@progbits
; Kernel info:
; codeLenInByte = 0
; TotalNumSgprs: 0
; NumVgprs: 0
; ScratchSize: 0
; MemoryBound: 0
; FloatMode: 240
; IeeeMode: 1
; LDSByteSize: 0 bytes/workgroup (compile time only)
; SGPRBlocks: 0
; VGPRBlocks: 0
; NumSGPRsForWavesPerEU: 1
; NumVGPRsForWavesPerEU: 1
; Occupancy: 16
; WaveLimiterHint : 0
; COMPUTE_PGM_RSRC2:SCRATCH_EN: 0
; COMPUTE_PGM_RSRC2:USER_SGPR: 6
; COMPUTE_PGM_RSRC2:TRAP_HANDLER: 0
; COMPUTE_PGM_RSRC2:TGID_X_EN: 1
; COMPUTE_PGM_RSRC2:TGID_Y_EN: 0
; COMPUTE_PGM_RSRC2:TGID_Z_EN: 0
; COMPUTE_PGM_RSRC2:TIDIG_COMP_CNT: 0
	.section	.text._ZN7rocprim17ROCPRIM_400000_NS6detail17trampoline_kernelINS0_14default_configENS1_38merge_sort_block_merge_config_selectorIiiEEZZNS1_27merge_sort_block_merge_implIS3_N6thrust23THRUST_200600_302600_NS6detail15normal_iteratorINS8_10device_ptrIiEEEESD_jNS1_19radix_merge_compareILb0ELb1EiNS0_19identity_decomposerEEEEE10hipError_tT0_T1_T2_jT3_P12ihipStream_tbPNSt15iterator_traitsISI_E10value_typeEPNSO_ISJ_E10value_typeEPSK_NS1_7vsmem_tEENKUlT_SI_SJ_SK_E_clIPiSD_S10_SD_EESH_SX_SI_SJ_SK_EUlSX_E1_NS1_11comp_targetILNS1_3genE4ELNS1_11target_archE910ELNS1_3gpuE8ELNS1_3repE0EEENS1_36merge_oddeven_config_static_selectorELNS0_4arch9wavefront6targetE0EEEvSJ_,"axG",@progbits,_ZN7rocprim17ROCPRIM_400000_NS6detail17trampoline_kernelINS0_14default_configENS1_38merge_sort_block_merge_config_selectorIiiEEZZNS1_27merge_sort_block_merge_implIS3_N6thrust23THRUST_200600_302600_NS6detail15normal_iteratorINS8_10device_ptrIiEEEESD_jNS1_19radix_merge_compareILb0ELb1EiNS0_19identity_decomposerEEEEE10hipError_tT0_T1_T2_jT3_P12ihipStream_tbPNSt15iterator_traitsISI_E10value_typeEPNSO_ISJ_E10value_typeEPSK_NS1_7vsmem_tEENKUlT_SI_SJ_SK_E_clIPiSD_S10_SD_EESH_SX_SI_SJ_SK_EUlSX_E1_NS1_11comp_targetILNS1_3genE4ELNS1_11target_archE910ELNS1_3gpuE8ELNS1_3repE0EEENS1_36merge_oddeven_config_static_selectorELNS0_4arch9wavefront6targetE0EEEvSJ_,comdat
	.protected	_ZN7rocprim17ROCPRIM_400000_NS6detail17trampoline_kernelINS0_14default_configENS1_38merge_sort_block_merge_config_selectorIiiEEZZNS1_27merge_sort_block_merge_implIS3_N6thrust23THRUST_200600_302600_NS6detail15normal_iteratorINS8_10device_ptrIiEEEESD_jNS1_19radix_merge_compareILb0ELb1EiNS0_19identity_decomposerEEEEE10hipError_tT0_T1_T2_jT3_P12ihipStream_tbPNSt15iterator_traitsISI_E10value_typeEPNSO_ISJ_E10value_typeEPSK_NS1_7vsmem_tEENKUlT_SI_SJ_SK_E_clIPiSD_S10_SD_EESH_SX_SI_SJ_SK_EUlSX_E1_NS1_11comp_targetILNS1_3genE4ELNS1_11target_archE910ELNS1_3gpuE8ELNS1_3repE0EEENS1_36merge_oddeven_config_static_selectorELNS0_4arch9wavefront6targetE0EEEvSJ_ ; -- Begin function _ZN7rocprim17ROCPRIM_400000_NS6detail17trampoline_kernelINS0_14default_configENS1_38merge_sort_block_merge_config_selectorIiiEEZZNS1_27merge_sort_block_merge_implIS3_N6thrust23THRUST_200600_302600_NS6detail15normal_iteratorINS8_10device_ptrIiEEEESD_jNS1_19radix_merge_compareILb0ELb1EiNS0_19identity_decomposerEEEEE10hipError_tT0_T1_T2_jT3_P12ihipStream_tbPNSt15iterator_traitsISI_E10value_typeEPNSO_ISJ_E10value_typeEPSK_NS1_7vsmem_tEENKUlT_SI_SJ_SK_E_clIPiSD_S10_SD_EESH_SX_SI_SJ_SK_EUlSX_E1_NS1_11comp_targetILNS1_3genE4ELNS1_11target_archE910ELNS1_3gpuE8ELNS1_3repE0EEENS1_36merge_oddeven_config_static_selectorELNS0_4arch9wavefront6targetE0EEEvSJ_
	.globl	_ZN7rocprim17ROCPRIM_400000_NS6detail17trampoline_kernelINS0_14default_configENS1_38merge_sort_block_merge_config_selectorIiiEEZZNS1_27merge_sort_block_merge_implIS3_N6thrust23THRUST_200600_302600_NS6detail15normal_iteratorINS8_10device_ptrIiEEEESD_jNS1_19radix_merge_compareILb0ELb1EiNS0_19identity_decomposerEEEEE10hipError_tT0_T1_T2_jT3_P12ihipStream_tbPNSt15iterator_traitsISI_E10value_typeEPNSO_ISJ_E10value_typeEPSK_NS1_7vsmem_tEENKUlT_SI_SJ_SK_E_clIPiSD_S10_SD_EESH_SX_SI_SJ_SK_EUlSX_E1_NS1_11comp_targetILNS1_3genE4ELNS1_11target_archE910ELNS1_3gpuE8ELNS1_3repE0EEENS1_36merge_oddeven_config_static_selectorELNS0_4arch9wavefront6targetE0EEEvSJ_
	.p2align	8
	.type	_ZN7rocprim17ROCPRIM_400000_NS6detail17trampoline_kernelINS0_14default_configENS1_38merge_sort_block_merge_config_selectorIiiEEZZNS1_27merge_sort_block_merge_implIS3_N6thrust23THRUST_200600_302600_NS6detail15normal_iteratorINS8_10device_ptrIiEEEESD_jNS1_19radix_merge_compareILb0ELb1EiNS0_19identity_decomposerEEEEE10hipError_tT0_T1_T2_jT3_P12ihipStream_tbPNSt15iterator_traitsISI_E10value_typeEPNSO_ISJ_E10value_typeEPSK_NS1_7vsmem_tEENKUlT_SI_SJ_SK_E_clIPiSD_S10_SD_EESH_SX_SI_SJ_SK_EUlSX_E1_NS1_11comp_targetILNS1_3genE4ELNS1_11target_archE910ELNS1_3gpuE8ELNS1_3repE0EEENS1_36merge_oddeven_config_static_selectorELNS0_4arch9wavefront6targetE0EEEvSJ_,@function
_ZN7rocprim17ROCPRIM_400000_NS6detail17trampoline_kernelINS0_14default_configENS1_38merge_sort_block_merge_config_selectorIiiEEZZNS1_27merge_sort_block_merge_implIS3_N6thrust23THRUST_200600_302600_NS6detail15normal_iteratorINS8_10device_ptrIiEEEESD_jNS1_19radix_merge_compareILb0ELb1EiNS0_19identity_decomposerEEEEE10hipError_tT0_T1_T2_jT3_P12ihipStream_tbPNSt15iterator_traitsISI_E10value_typeEPNSO_ISJ_E10value_typeEPSK_NS1_7vsmem_tEENKUlT_SI_SJ_SK_E_clIPiSD_S10_SD_EESH_SX_SI_SJ_SK_EUlSX_E1_NS1_11comp_targetILNS1_3genE4ELNS1_11target_archE910ELNS1_3gpuE8ELNS1_3repE0EEENS1_36merge_oddeven_config_static_selectorELNS0_4arch9wavefront6targetE0EEEvSJ_: ; @_ZN7rocprim17ROCPRIM_400000_NS6detail17trampoline_kernelINS0_14default_configENS1_38merge_sort_block_merge_config_selectorIiiEEZZNS1_27merge_sort_block_merge_implIS3_N6thrust23THRUST_200600_302600_NS6detail15normal_iteratorINS8_10device_ptrIiEEEESD_jNS1_19radix_merge_compareILb0ELb1EiNS0_19identity_decomposerEEEEE10hipError_tT0_T1_T2_jT3_P12ihipStream_tbPNSt15iterator_traitsISI_E10value_typeEPNSO_ISJ_E10value_typeEPSK_NS1_7vsmem_tEENKUlT_SI_SJ_SK_E_clIPiSD_S10_SD_EESH_SX_SI_SJ_SK_EUlSX_E1_NS1_11comp_targetILNS1_3genE4ELNS1_11target_archE910ELNS1_3gpuE8ELNS1_3repE0EEENS1_36merge_oddeven_config_static_selectorELNS0_4arch9wavefront6targetE0EEEvSJ_
; %bb.0:
	.section	.rodata,"a",@progbits
	.p2align	6, 0x0
	.amdhsa_kernel _ZN7rocprim17ROCPRIM_400000_NS6detail17trampoline_kernelINS0_14default_configENS1_38merge_sort_block_merge_config_selectorIiiEEZZNS1_27merge_sort_block_merge_implIS3_N6thrust23THRUST_200600_302600_NS6detail15normal_iteratorINS8_10device_ptrIiEEEESD_jNS1_19radix_merge_compareILb0ELb1EiNS0_19identity_decomposerEEEEE10hipError_tT0_T1_T2_jT3_P12ihipStream_tbPNSt15iterator_traitsISI_E10value_typeEPNSO_ISJ_E10value_typeEPSK_NS1_7vsmem_tEENKUlT_SI_SJ_SK_E_clIPiSD_S10_SD_EESH_SX_SI_SJ_SK_EUlSX_E1_NS1_11comp_targetILNS1_3genE4ELNS1_11target_archE910ELNS1_3gpuE8ELNS1_3repE0EEENS1_36merge_oddeven_config_static_selectorELNS0_4arch9wavefront6targetE0EEEvSJ_
		.amdhsa_group_segment_fixed_size 0
		.amdhsa_private_segment_fixed_size 0
		.amdhsa_kernarg_size 48
		.amdhsa_user_sgpr_count 6
		.amdhsa_user_sgpr_private_segment_buffer 1
		.amdhsa_user_sgpr_dispatch_ptr 0
		.amdhsa_user_sgpr_queue_ptr 0
		.amdhsa_user_sgpr_kernarg_segment_ptr 1
		.amdhsa_user_sgpr_dispatch_id 0
		.amdhsa_user_sgpr_flat_scratch_init 0
		.amdhsa_user_sgpr_private_segment_size 0
		.amdhsa_wavefront_size32 1
		.amdhsa_uses_dynamic_stack 0
		.amdhsa_system_sgpr_private_segment_wavefront_offset 0
		.amdhsa_system_sgpr_workgroup_id_x 1
		.amdhsa_system_sgpr_workgroup_id_y 0
		.amdhsa_system_sgpr_workgroup_id_z 0
		.amdhsa_system_sgpr_workgroup_info 0
		.amdhsa_system_vgpr_workitem_id 0
		.amdhsa_next_free_vgpr 1
		.amdhsa_next_free_sgpr 1
		.amdhsa_reserve_vcc 0
		.amdhsa_reserve_flat_scratch 0
		.amdhsa_float_round_mode_32 0
		.amdhsa_float_round_mode_16_64 0
		.amdhsa_float_denorm_mode_32 3
		.amdhsa_float_denorm_mode_16_64 3
		.amdhsa_dx10_clamp 1
		.amdhsa_ieee_mode 1
		.amdhsa_fp16_overflow 0
		.amdhsa_workgroup_processor_mode 1
		.amdhsa_memory_ordered 1
		.amdhsa_forward_progress 1
		.amdhsa_shared_vgpr_count 0
		.amdhsa_exception_fp_ieee_invalid_op 0
		.amdhsa_exception_fp_denorm_src 0
		.amdhsa_exception_fp_ieee_div_zero 0
		.amdhsa_exception_fp_ieee_overflow 0
		.amdhsa_exception_fp_ieee_underflow 0
		.amdhsa_exception_fp_ieee_inexact 0
		.amdhsa_exception_int_div_zero 0
	.end_amdhsa_kernel
	.section	.text._ZN7rocprim17ROCPRIM_400000_NS6detail17trampoline_kernelINS0_14default_configENS1_38merge_sort_block_merge_config_selectorIiiEEZZNS1_27merge_sort_block_merge_implIS3_N6thrust23THRUST_200600_302600_NS6detail15normal_iteratorINS8_10device_ptrIiEEEESD_jNS1_19radix_merge_compareILb0ELb1EiNS0_19identity_decomposerEEEEE10hipError_tT0_T1_T2_jT3_P12ihipStream_tbPNSt15iterator_traitsISI_E10value_typeEPNSO_ISJ_E10value_typeEPSK_NS1_7vsmem_tEENKUlT_SI_SJ_SK_E_clIPiSD_S10_SD_EESH_SX_SI_SJ_SK_EUlSX_E1_NS1_11comp_targetILNS1_3genE4ELNS1_11target_archE910ELNS1_3gpuE8ELNS1_3repE0EEENS1_36merge_oddeven_config_static_selectorELNS0_4arch9wavefront6targetE0EEEvSJ_,"axG",@progbits,_ZN7rocprim17ROCPRIM_400000_NS6detail17trampoline_kernelINS0_14default_configENS1_38merge_sort_block_merge_config_selectorIiiEEZZNS1_27merge_sort_block_merge_implIS3_N6thrust23THRUST_200600_302600_NS6detail15normal_iteratorINS8_10device_ptrIiEEEESD_jNS1_19radix_merge_compareILb0ELb1EiNS0_19identity_decomposerEEEEE10hipError_tT0_T1_T2_jT3_P12ihipStream_tbPNSt15iterator_traitsISI_E10value_typeEPNSO_ISJ_E10value_typeEPSK_NS1_7vsmem_tEENKUlT_SI_SJ_SK_E_clIPiSD_S10_SD_EESH_SX_SI_SJ_SK_EUlSX_E1_NS1_11comp_targetILNS1_3genE4ELNS1_11target_archE910ELNS1_3gpuE8ELNS1_3repE0EEENS1_36merge_oddeven_config_static_selectorELNS0_4arch9wavefront6targetE0EEEvSJ_,comdat
.Lfunc_end775:
	.size	_ZN7rocprim17ROCPRIM_400000_NS6detail17trampoline_kernelINS0_14default_configENS1_38merge_sort_block_merge_config_selectorIiiEEZZNS1_27merge_sort_block_merge_implIS3_N6thrust23THRUST_200600_302600_NS6detail15normal_iteratorINS8_10device_ptrIiEEEESD_jNS1_19radix_merge_compareILb0ELb1EiNS0_19identity_decomposerEEEEE10hipError_tT0_T1_T2_jT3_P12ihipStream_tbPNSt15iterator_traitsISI_E10value_typeEPNSO_ISJ_E10value_typeEPSK_NS1_7vsmem_tEENKUlT_SI_SJ_SK_E_clIPiSD_S10_SD_EESH_SX_SI_SJ_SK_EUlSX_E1_NS1_11comp_targetILNS1_3genE4ELNS1_11target_archE910ELNS1_3gpuE8ELNS1_3repE0EEENS1_36merge_oddeven_config_static_selectorELNS0_4arch9wavefront6targetE0EEEvSJ_, .Lfunc_end775-_ZN7rocprim17ROCPRIM_400000_NS6detail17trampoline_kernelINS0_14default_configENS1_38merge_sort_block_merge_config_selectorIiiEEZZNS1_27merge_sort_block_merge_implIS3_N6thrust23THRUST_200600_302600_NS6detail15normal_iteratorINS8_10device_ptrIiEEEESD_jNS1_19radix_merge_compareILb0ELb1EiNS0_19identity_decomposerEEEEE10hipError_tT0_T1_T2_jT3_P12ihipStream_tbPNSt15iterator_traitsISI_E10value_typeEPNSO_ISJ_E10value_typeEPSK_NS1_7vsmem_tEENKUlT_SI_SJ_SK_E_clIPiSD_S10_SD_EESH_SX_SI_SJ_SK_EUlSX_E1_NS1_11comp_targetILNS1_3genE4ELNS1_11target_archE910ELNS1_3gpuE8ELNS1_3repE0EEENS1_36merge_oddeven_config_static_selectorELNS0_4arch9wavefront6targetE0EEEvSJ_
                                        ; -- End function
	.set _ZN7rocprim17ROCPRIM_400000_NS6detail17trampoline_kernelINS0_14default_configENS1_38merge_sort_block_merge_config_selectorIiiEEZZNS1_27merge_sort_block_merge_implIS3_N6thrust23THRUST_200600_302600_NS6detail15normal_iteratorINS8_10device_ptrIiEEEESD_jNS1_19radix_merge_compareILb0ELb1EiNS0_19identity_decomposerEEEEE10hipError_tT0_T1_T2_jT3_P12ihipStream_tbPNSt15iterator_traitsISI_E10value_typeEPNSO_ISJ_E10value_typeEPSK_NS1_7vsmem_tEENKUlT_SI_SJ_SK_E_clIPiSD_S10_SD_EESH_SX_SI_SJ_SK_EUlSX_E1_NS1_11comp_targetILNS1_3genE4ELNS1_11target_archE910ELNS1_3gpuE8ELNS1_3repE0EEENS1_36merge_oddeven_config_static_selectorELNS0_4arch9wavefront6targetE0EEEvSJ_.num_vgpr, 0
	.set _ZN7rocprim17ROCPRIM_400000_NS6detail17trampoline_kernelINS0_14default_configENS1_38merge_sort_block_merge_config_selectorIiiEEZZNS1_27merge_sort_block_merge_implIS3_N6thrust23THRUST_200600_302600_NS6detail15normal_iteratorINS8_10device_ptrIiEEEESD_jNS1_19radix_merge_compareILb0ELb1EiNS0_19identity_decomposerEEEEE10hipError_tT0_T1_T2_jT3_P12ihipStream_tbPNSt15iterator_traitsISI_E10value_typeEPNSO_ISJ_E10value_typeEPSK_NS1_7vsmem_tEENKUlT_SI_SJ_SK_E_clIPiSD_S10_SD_EESH_SX_SI_SJ_SK_EUlSX_E1_NS1_11comp_targetILNS1_3genE4ELNS1_11target_archE910ELNS1_3gpuE8ELNS1_3repE0EEENS1_36merge_oddeven_config_static_selectorELNS0_4arch9wavefront6targetE0EEEvSJ_.num_agpr, 0
	.set _ZN7rocprim17ROCPRIM_400000_NS6detail17trampoline_kernelINS0_14default_configENS1_38merge_sort_block_merge_config_selectorIiiEEZZNS1_27merge_sort_block_merge_implIS3_N6thrust23THRUST_200600_302600_NS6detail15normal_iteratorINS8_10device_ptrIiEEEESD_jNS1_19radix_merge_compareILb0ELb1EiNS0_19identity_decomposerEEEEE10hipError_tT0_T1_T2_jT3_P12ihipStream_tbPNSt15iterator_traitsISI_E10value_typeEPNSO_ISJ_E10value_typeEPSK_NS1_7vsmem_tEENKUlT_SI_SJ_SK_E_clIPiSD_S10_SD_EESH_SX_SI_SJ_SK_EUlSX_E1_NS1_11comp_targetILNS1_3genE4ELNS1_11target_archE910ELNS1_3gpuE8ELNS1_3repE0EEENS1_36merge_oddeven_config_static_selectorELNS0_4arch9wavefront6targetE0EEEvSJ_.numbered_sgpr, 0
	.set _ZN7rocprim17ROCPRIM_400000_NS6detail17trampoline_kernelINS0_14default_configENS1_38merge_sort_block_merge_config_selectorIiiEEZZNS1_27merge_sort_block_merge_implIS3_N6thrust23THRUST_200600_302600_NS6detail15normal_iteratorINS8_10device_ptrIiEEEESD_jNS1_19radix_merge_compareILb0ELb1EiNS0_19identity_decomposerEEEEE10hipError_tT0_T1_T2_jT3_P12ihipStream_tbPNSt15iterator_traitsISI_E10value_typeEPNSO_ISJ_E10value_typeEPSK_NS1_7vsmem_tEENKUlT_SI_SJ_SK_E_clIPiSD_S10_SD_EESH_SX_SI_SJ_SK_EUlSX_E1_NS1_11comp_targetILNS1_3genE4ELNS1_11target_archE910ELNS1_3gpuE8ELNS1_3repE0EEENS1_36merge_oddeven_config_static_selectorELNS0_4arch9wavefront6targetE0EEEvSJ_.num_named_barrier, 0
	.set _ZN7rocprim17ROCPRIM_400000_NS6detail17trampoline_kernelINS0_14default_configENS1_38merge_sort_block_merge_config_selectorIiiEEZZNS1_27merge_sort_block_merge_implIS3_N6thrust23THRUST_200600_302600_NS6detail15normal_iteratorINS8_10device_ptrIiEEEESD_jNS1_19radix_merge_compareILb0ELb1EiNS0_19identity_decomposerEEEEE10hipError_tT0_T1_T2_jT3_P12ihipStream_tbPNSt15iterator_traitsISI_E10value_typeEPNSO_ISJ_E10value_typeEPSK_NS1_7vsmem_tEENKUlT_SI_SJ_SK_E_clIPiSD_S10_SD_EESH_SX_SI_SJ_SK_EUlSX_E1_NS1_11comp_targetILNS1_3genE4ELNS1_11target_archE910ELNS1_3gpuE8ELNS1_3repE0EEENS1_36merge_oddeven_config_static_selectorELNS0_4arch9wavefront6targetE0EEEvSJ_.private_seg_size, 0
	.set _ZN7rocprim17ROCPRIM_400000_NS6detail17trampoline_kernelINS0_14default_configENS1_38merge_sort_block_merge_config_selectorIiiEEZZNS1_27merge_sort_block_merge_implIS3_N6thrust23THRUST_200600_302600_NS6detail15normal_iteratorINS8_10device_ptrIiEEEESD_jNS1_19radix_merge_compareILb0ELb1EiNS0_19identity_decomposerEEEEE10hipError_tT0_T1_T2_jT3_P12ihipStream_tbPNSt15iterator_traitsISI_E10value_typeEPNSO_ISJ_E10value_typeEPSK_NS1_7vsmem_tEENKUlT_SI_SJ_SK_E_clIPiSD_S10_SD_EESH_SX_SI_SJ_SK_EUlSX_E1_NS1_11comp_targetILNS1_3genE4ELNS1_11target_archE910ELNS1_3gpuE8ELNS1_3repE0EEENS1_36merge_oddeven_config_static_selectorELNS0_4arch9wavefront6targetE0EEEvSJ_.uses_vcc, 0
	.set _ZN7rocprim17ROCPRIM_400000_NS6detail17trampoline_kernelINS0_14default_configENS1_38merge_sort_block_merge_config_selectorIiiEEZZNS1_27merge_sort_block_merge_implIS3_N6thrust23THRUST_200600_302600_NS6detail15normal_iteratorINS8_10device_ptrIiEEEESD_jNS1_19radix_merge_compareILb0ELb1EiNS0_19identity_decomposerEEEEE10hipError_tT0_T1_T2_jT3_P12ihipStream_tbPNSt15iterator_traitsISI_E10value_typeEPNSO_ISJ_E10value_typeEPSK_NS1_7vsmem_tEENKUlT_SI_SJ_SK_E_clIPiSD_S10_SD_EESH_SX_SI_SJ_SK_EUlSX_E1_NS1_11comp_targetILNS1_3genE4ELNS1_11target_archE910ELNS1_3gpuE8ELNS1_3repE0EEENS1_36merge_oddeven_config_static_selectorELNS0_4arch9wavefront6targetE0EEEvSJ_.uses_flat_scratch, 0
	.set _ZN7rocprim17ROCPRIM_400000_NS6detail17trampoline_kernelINS0_14default_configENS1_38merge_sort_block_merge_config_selectorIiiEEZZNS1_27merge_sort_block_merge_implIS3_N6thrust23THRUST_200600_302600_NS6detail15normal_iteratorINS8_10device_ptrIiEEEESD_jNS1_19radix_merge_compareILb0ELb1EiNS0_19identity_decomposerEEEEE10hipError_tT0_T1_T2_jT3_P12ihipStream_tbPNSt15iterator_traitsISI_E10value_typeEPNSO_ISJ_E10value_typeEPSK_NS1_7vsmem_tEENKUlT_SI_SJ_SK_E_clIPiSD_S10_SD_EESH_SX_SI_SJ_SK_EUlSX_E1_NS1_11comp_targetILNS1_3genE4ELNS1_11target_archE910ELNS1_3gpuE8ELNS1_3repE0EEENS1_36merge_oddeven_config_static_selectorELNS0_4arch9wavefront6targetE0EEEvSJ_.has_dyn_sized_stack, 0
	.set _ZN7rocprim17ROCPRIM_400000_NS6detail17trampoline_kernelINS0_14default_configENS1_38merge_sort_block_merge_config_selectorIiiEEZZNS1_27merge_sort_block_merge_implIS3_N6thrust23THRUST_200600_302600_NS6detail15normal_iteratorINS8_10device_ptrIiEEEESD_jNS1_19radix_merge_compareILb0ELb1EiNS0_19identity_decomposerEEEEE10hipError_tT0_T1_T2_jT3_P12ihipStream_tbPNSt15iterator_traitsISI_E10value_typeEPNSO_ISJ_E10value_typeEPSK_NS1_7vsmem_tEENKUlT_SI_SJ_SK_E_clIPiSD_S10_SD_EESH_SX_SI_SJ_SK_EUlSX_E1_NS1_11comp_targetILNS1_3genE4ELNS1_11target_archE910ELNS1_3gpuE8ELNS1_3repE0EEENS1_36merge_oddeven_config_static_selectorELNS0_4arch9wavefront6targetE0EEEvSJ_.has_recursion, 0
	.set _ZN7rocprim17ROCPRIM_400000_NS6detail17trampoline_kernelINS0_14default_configENS1_38merge_sort_block_merge_config_selectorIiiEEZZNS1_27merge_sort_block_merge_implIS3_N6thrust23THRUST_200600_302600_NS6detail15normal_iteratorINS8_10device_ptrIiEEEESD_jNS1_19radix_merge_compareILb0ELb1EiNS0_19identity_decomposerEEEEE10hipError_tT0_T1_T2_jT3_P12ihipStream_tbPNSt15iterator_traitsISI_E10value_typeEPNSO_ISJ_E10value_typeEPSK_NS1_7vsmem_tEENKUlT_SI_SJ_SK_E_clIPiSD_S10_SD_EESH_SX_SI_SJ_SK_EUlSX_E1_NS1_11comp_targetILNS1_3genE4ELNS1_11target_archE910ELNS1_3gpuE8ELNS1_3repE0EEENS1_36merge_oddeven_config_static_selectorELNS0_4arch9wavefront6targetE0EEEvSJ_.has_indirect_call, 0
	.section	.AMDGPU.csdata,"",@progbits
; Kernel info:
; codeLenInByte = 0
; TotalNumSgprs: 0
; NumVgprs: 0
; ScratchSize: 0
; MemoryBound: 0
; FloatMode: 240
; IeeeMode: 1
; LDSByteSize: 0 bytes/workgroup (compile time only)
; SGPRBlocks: 0
; VGPRBlocks: 0
; NumSGPRsForWavesPerEU: 1
; NumVGPRsForWavesPerEU: 1
; Occupancy: 16
; WaveLimiterHint : 0
; COMPUTE_PGM_RSRC2:SCRATCH_EN: 0
; COMPUTE_PGM_RSRC2:USER_SGPR: 6
; COMPUTE_PGM_RSRC2:TRAP_HANDLER: 0
; COMPUTE_PGM_RSRC2:TGID_X_EN: 1
; COMPUTE_PGM_RSRC2:TGID_Y_EN: 0
; COMPUTE_PGM_RSRC2:TGID_Z_EN: 0
; COMPUTE_PGM_RSRC2:TIDIG_COMP_CNT: 0
	.section	.text._ZN7rocprim17ROCPRIM_400000_NS6detail17trampoline_kernelINS0_14default_configENS1_38merge_sort_block_merge_config_selectorIiiEEZZNS1_27merge_sort_block_merge_implIS3_N6thrust23THRUST_200600_302600_NS6detail15normal_iteratorINS8_10device_ptrIiEEEESD_jNS1_19radix_merge_compareILb0ELb1EiNS0_19identity_decomposerEEEEE10hipError_tT0_T1_T2_jT3_P12ihipStream_tbPNSt15iterator_traitsISI_E10value_typeEPNSO_ISJ_E10value_typeEPSK_NS1_7vsmem_tEENKUlT_SI_SJ_SK_E_clIPiSD_S10_SD_EESH_SX_SI_SJ_SK_EUlSX_E1_NS1_11comp_targetILNS1_3genE3ELNS1_11target_archE908ELNS1_3gpuE7ELNS1_3repE0EEENS1_36merge_oddeven_config_static_selectorELNS0_4arch9wavefront6targetE0EEEvSJ_,"axG",@progbits,_ZN7rocprim17ROCPRIM_400000_NS6detail17trampoline_kernelINS0_14default_configENS1_38merge_sort_block_merge_config_selectorIiiEEZZNS1_27merge_sort_block_merge_implIS3_N6thrust23THRUST_200600_302600_NS6detail15normal_iteratorINS8_10device_ptrIiEEEESD_jNS1_19radix_merge_compareILb0ELb1EiNS0_19identity_decomposerEEEEE10hipError_tT0_T1_T2_jT3_P12ihipStream_tbPNSt15iterator_traitsISI_E10value_typeEPNSO_ISJ_E10value_typeEPSK_NS1_7vsmem_tEENKUlT_SI_SJ_SK_E_clIPiSD_S10_SD_EESH_SX_SI_SJ_SK_EUlSX_E1_NS1_11comp_targetILNS1_3genE3ELNS1_11target_archE908ELNS1_3gpuE7ELNS1_3repE0EEENS1_36merge_oddeven_config_static_selectorELNS0_4arch9wavefront6targetE0EEEvSJ_,comdat
	.protected	_ZN7rocprim17ROCPRIM_400000_NS6detail17trampoline_kernelINS0_14default_configENS1_38merge_sort_block_merge_config_selectorIiiEEZZNS1_27merge_sort_block_merge_implIS3_N6thrust23THRUST_200600_302600_NS6detail15normal_iteratorINS8_10device_ptrIiEEEESD_jNS1_19radix_merge_compareILb0ELb1EiNS0_19identity_decomposerEEEEE10hipError_tT0_T1_T2_jT3_P12ihipStream_tbPNSt15iterator_traitsISI_E10value_typeEPNSO_ISJ_E10value_typeEPSK_NS1_7vsmem_tEENKUlT_SI_SJ_SK_E_clIPiSD_S10_SD_EESH_SX_SI_SJ_SK_EUlSX_E1_NS1_11comp_targetILNS1_3genE3ELNS1_11target_archE908ELNS1_3gpuE7ELNS1_3repE0EEENS1_36merge_oddeven_config_static_selectorELNS0_4arch9wavefront6targetE0EEEvSJ_ ; -- Begin function _ZN7rocprim17ROCPRIM_400000_NS6detail17trampoline_kernelINS0_14default_configENS1_38merge_sort_block_merge_config_selectorIiiEEZZNS1_27merge_sort_block_merge_implIS3_N6thrust23THRUST_200600_302600_NS6detail15normal_iteratorINS8_10device_ptrIiEEEESD_jNS1_19radix_merge_compareILb0ELb1EiNS0_19identity_decomposerEEEEE10hipError_tT0_T1_T2_jT3_P12ihipStream_tbPNSt15iterator_traitsISI_E10value_typeEPNSO_ISJ_E10value_typeEPSK_NS1_7vsmem_tEENKUlT_SI_SJ_SK_E_clIPiSD_S10_SD_EESH_SX_SI_SJ_SK_EUlSX_E1_NS1_11comp_targetILNS1_3genE3ELNS1_11target_archE908ELNS1_3gpuE7ELNS1_3repE0EEENS1_36merge_oddeven_config_static_selectorELNS0_4arch9wavefront6targetE0EEEvSJ_
	.globl	_ZN7rocprim17ROCPRIM_400000_NS6detail17trampoline_kernelINS0_14default_configENS1_38merge_sort_block_merge_config_selectorIiiEEZZNS1_27merge_sort_block_merge_implIS3_N6thrust23THRUST_200600_302600_NS6detail15normal_iteratorINS8_10device_ptrIiEEEESD_jNS1_19radix_merge_compareILb0ELb1EiNS0_19identity_decomposerEEEEE10hipError_tT0_T1_T2_jT3_P12ihipStream_tbPNSt15iterator_traitsISI_E10value_typeEPNSO_ISJ_E10value_typeEPSK_NS1_7vsmem_tEENKUlT_SI_SJ_SK_E_clIPiSD_S10_SD_EESH_SX_SI_SJ_SK_EUlSX_E1_NS1_11comp_targetILNS1_3genE3ELNS1_11target_archE908ELNS1_3gpuE7ELNS1_3repE0EEENS1_36merge_oddeven_config_static_selectorELNS0_4arch9wavefront6targetE0EEEvSJ_
	.p2align	8
	.type	_ZN7rocprim17ROCPRIM_400000_NS6detail17trampoline_kernelINS0_14default_configENS1_38merge_sort_block_merge_config_selectorIiiEEZZNS1_27merge_sort_block_merge_implIS3_N6thrust23THRUST_200600_302600_NS6detail15normal_iteratorINS8_10device_ptrIiEEEESD_jNS1_19radix_merge_compareILb0ELb1EiNS0_19identity_decomposerEEEEE10hipError_tT0_T1_T2_jT3_P12ihipStream_tbPNSt15iterator_traitsISI_E10value_typeEPNSO_ISJ_E10value_typeEPSK_NS1_7vsmem_tEENKUlT_SI_SJ_SK_E_clIPiSD_S10_SD_EESH_SX_SI_SJ_SK_EUlSX_E1_NS1_11comp_targetILNS1_3genE3ELNS1_11target_archE908ELNS1_3gpuE7ELNS1_3repE0EEENS1_36merge_oddeven_config_static_selectorELNS0_4arch9wavefront6targetE0EEEvSJ_,@function
_ZN7rocprim17ROCPRIM_400000_NS6detail17trampoline_kernelINS0_14default_configENS1_38merge_sort_block_merge_config_selectorIiiEEZZNS1_27merge_sort_block_merge_implIS3_N6thrust23THRUST_200600_302600_NS6detail15normal_iteratorINS8_10device_ptrIiEEEESD_jNS1_19radix_merge_compareILb0ELb1EiNS0_19identity_decomposerEEEEE10hipError_tT0_T1_T2_jT3_P12ihipStream_tbPNSt15iterator_traitsISI_E10value_typeEPNSO_ISJ_E10value_typeEPSK_NS1_7vsmem_tEENKUlT_SI_SJ_SK_E_clIPiSD_S10_SD_EESH_SX_SI_SJ_SK_EUlSX_E1_NS1_11comp_targetILNS1_3genE3ELNS1_11target_archE908ELNS1_3gpuE7ELNS1_3repE0EEENS1_36merge_oddeven_config_static_selectorELNS0_4arch9wavefront6targetE0EEEvSJ_: ; @_ZN7rocprim17ROCPRIM_400000_NS6detail17trampoline_kernelINS0_14default_configENS1_38merge_sort_block_merge_config_selectorIiiEEZZNS1_27merge_sort_block_merge_implIS3_N6thrust23THRUST_200600_302600_NS6detail15normal_iteratorINS8_10device_ptrIiEEEESD_jNS1_19radix_merge_compareILb0ELb1EiNS0_19identity_decomposerEEEEE10hipError_tT0_T1_T2_jT3_P12ihipStream_tbPNSt15iterator_traitsISI_E10value_typeEPNSO_ISJ_E10value_typeEPSK_NS1_7vsmem_tEENKUlT_SI_SJ_SK_E_clIPiSD_S10_SD_EESH_SX_SI_SJ_SK_EUlSX_E1_NS1_11comp_targetILNS1_3genE3ELNS1_11target_archE908ELNS1_3gpuE7ELNS1_3repE0EEENS1_36merge_oddeven_config_static_selectorELNS0_4arch9wavefront6targetE0EEEvSJ_
; %bb.0:
	.section	.rodata,"a",@progbits
	.p2align	6, 0x0
	.amdhsa_kernel _ZN7rocprim17ROCPRIM_400000_NS6detail17trampoline_kernelINS0_14default_configENS1_38merge_sort_block_merge_config_selectorIiiEEZZNS1_27merge_sort_block_merge_implIS3_N6thrust23THRUST_200600_302600_NS6detail15normal_iteratorINS8_10device_ptrIiEEEESD_jNS1_19radix_merge_compareILb0ELb1EiNS0_19identity_decomposerEEEEE10hipError_tT0_T1_T2_jT3_P12ihipStream_tbPNSt15iterator_traitsISI_E10value_typeEPNSO_ISJ_E10value_typeEPSK_NS1_7vsmem_tEENKUlT_SI_SJ_SK_E_clIPiSD_S10_SD_EESH_SX_SI_SJ_SK_EUlSX_E1_NS1_11comp_targetILNS1_3genE3ELNS1_11target_archE908ELNS1_3gpuE7ELNS1_3repE0EEENS1_36merge_oddeven_config_static_selectorELNS0_4arch9wavefront6targetE0EEEvSJ_
		.amdhsa_group_segment_fixed_size 0
		.amdhsa_private_segment_fixed_size 0
		.amdhsa_kernarg_size 48
		.amdhsa_user_sgpr_count 6
		.amdhsa_user_sgpr_private_segment_buffer 1
		.amdhsa_user_sgpr_dispatch_ptr 0
		.amdhsa_user_sgpr_queue_ptr 0
		.amdhsa_user_sgpr_kernarg_segment_ptr 1
		.amdhsa_user_sgpr_dispatch_id 0
		.amdhsa_user_sgpr_flat_scratch_init 0
		.amdhsa_user_sgpr_private_segment_size 0
		.amdhsa_wavefront_size32 1
		.amdhsa_uses_dynamic_stack 0
		.amdhsa_system_sgpr_private_segment_wavefront_offset 0
		.amdhsa_system_sgpr_workgroup_id_x 1
		.amdhsa_system_sgpr_workgroup_id_y 0
		.amdhsa_system_sgpr_workgroup_id_z 0
		.amdhsa_system_sgpr_workgroup_info 0
		.amdhsa_system_vgpr_workitem_id 0
		.amdhsa_next_free_vgpr 1
		.amdhsa_next_free_sgpr 1
		.amdhsa_reserve_vcc 0
		.amdhsa_reserve_flat_scratch 0
		.amdhsa_float_round_mode_32 0
		.amdhsa_float_round_mode_16_64 0
		.amdhsa_float_denorm_mode_32 3
		.amdhsa_float_denorm_mode_16_64 3
		.amdhsa_dx10_clamp 1
		.amdhsa_ieee_mode 1
		.amdhsa_fp16_overflow 0
		.amdhsa_workgroup_processor_mode 1
		.amdhsa_memory_ordered 1
		.amdhsa_forward_progress 1
		.amdhsa_shared_vgpr_count 0
		.amdhsa_exception_fp_ieee_invalid_op 0
		.amdhsa_exception_fp_denorm_src 0
		.amdhsa_exception_fp_ieee_div_zero 0
		.amdhsa_exception_fp_ieee_overflow 0
		.amdhsa_exception_fp_ieee_underflow 0
		.amdhsa_exception_fp_ieee_inexact 0
		.amdhsa_exception_int_div_zero 0
	.end_amdhsa_kernel
	.section	.text._ZN7rocprim17ROCPRIM_400000_NS6detail17trampoline_kernelINS0_14default_configENS1_38merge_sort_block_merge_config_selectorIiiEEZZNS1_27merge_sort_block_merge_implIS3_N6thrust23THRUST_200600_302600_NS6detail15normal_iteratorINS8_10device_ptrIiEEEESD_jNS1_19radix_merge_compareILb0ELb1EiNS0_19identity_decomposerEEEEE10hipError_tT0_T1_T2_jT3_P12ihipStream_tbPNSt15iterator_traitsISI_E10value_typeEPNSO_ISJ_E10value_typeEPSK_NS1_7vsmem_tEENKUlT_SI_SJ_SK_E_clIPiSD_S10_SD_EESH_SX_SI_SJ_SK_EUlSX_E1_NS1_11comp_targetILNS1_3genE3ELNS1_11target_archE908ELNS1_3gpuE7ELNS1_3repE0EEENS1_36merge_oddeven_config_static_selectorELNS0_4arch9wavefront6targetE0EEEvSJ_,"axG",@progbits,_ZN7rocprim17ROCPRIM_400000_NS6detail17trampoline_kernelINS0_14default_configENS1_38merge_sort_block_merge_config_selectorIiiEEZZNS1_27merge_sort_block_merge_implIS3_N6thrust23THRUST_200600_302600_NS6detail15normal_iteratorINS8_10device_ptrIiEEEESD_jNS1_19radix_merge_compareILb0ELb1EiNS0_19identity_decomposerEEEEE10hipError_tT0_T1_T2_jT3_P12ihipStream_tbPNSt15iterator_traitsISI_E10value_typeEPNSO_ISJ_E10value_typeEPSK_NS1_7vsmem_tEENKUlT_SI_SJ_SK_E_clIPiSD_S10_SD_EESH_SX_SI_SJ_SK_EUlSX_E1_NS1_11comp_targetILNS1_3genE3ELNS1_11target_archE908ELNS1_3gpuE7ELNS1_3repE0EEENS1_36merge_oddeven_config_static_selectorELNS0_4arch9wavefront6targetE0EEEvSJ_,comdat
.Lfunc_end776:
	.size	_ZN7rocprim17ROCPRIM_400000_NS6detail17trampoline_kernelINS0_14default_configENS1_38merge_sort_block_merge_config_selectorIiiEEZZNS1_27merge_sort_block_merge_implIS3_N6thrust23THRUST_200600_302600_NS6detail15normal_iteratorINS8_10device_ptrIiEEEESD_jNS1_19radix_merge_compareILb0ELb1EiNS0_19identity_decomposerEEEEE10hipError_tT0_T1_T2_jT3_P12ihipStream_tbPNSt15iterator_traitsISI_E10value_typeEPNSO_ISJ_E10value_typeEPSK_NS1_7vsmem_tEENKUlT_SI_SJ_SK_E_clIPiSD_S10_SD_EESH_SX_SI_SJ_SK_EUlSX_E1_NS1_11comp_targetILNS1_3genE3ELNS1_11target_archE908ELNS1_3gpuE7ELNS1_3repE0EEENS1_36merge_oddeven_config_static_selectorELNS0_4arch9wavefront6targetE0EEEvSJ_, .Lfunc_end776-_ZN7rocprim17ROCPRIM_400000_NS6detail17trampoline_kernelINS0_14default_configENS1_38merge_sort_block_merge_config_selectorIiiEEZZNS1_27merge_sort_block_merge_implIS3_N6thrust23THRUST_200600_302600_NS6detail15normal_iteratorINS8_10device_ptrIiEEEESD_jNS1_19radix_merge_compareILb0ELb1EiNS0_19identity_decomposerEEEEE10hipError_tT0_T1_T2_jT3_P12ihipStream_tbPNSt15iterator_traitsISI_E10value_typeEPNSO_ISJ_E10value_typeEPSK_NS1_7vsmem_tEENKUlT_SI_SJ_SK_E_clIPiSD_S10_SD_EESH_SX_SI_SJ_SK_EUlSX_E1_NS1_11comp_targetILNS1_3genE3ELNS1_11target_archE908ELNS1_3gpuE7ELNS1_3repE0EEENS1_36merge_oddeven_config_static_selectorELNS0_4arch9wavefront6targetE0EEEvSJ_
                                        ; -- End function
	.set _ZN7rocprim17ROCPRIM_400000_NS6detail17trampoline_kernelINS0_14default_configENS1_38merge_sort_block_merge_config_selectorIiiEEZZNS1_27merge_sort_block_merge_implIS3_N6thrust23THRUST_200600_302600_NS6detail15normal_iteratorINS8_10device_ptrIiEEEESD_jNS1_19radix_merge_compareILb0ELb1EiNS0_19identity_decomposerEEEEE10hipError_tT0_T1_T2_jT3_P12ihipStream_tbPNSt15iterator_traitsISI_E10value_typeEPNSO_ISJ_E10value_typeEPSK_NS1_7vsmem_tEENKUlT_SI_SJ_SK_E_clIPiSD_S10_SD_EESH_SX_SI_SJ_SK_EUlSX_E1_NS1_11comp_targetILNS1_3genE3ELNS1_11target_archE908ELNS1_3gpuE7ELNS1_3repE0EEENS1_36merge_oddeven_config_static_selectorELNS0_4arch9wavefront6targetE0EEEvSJ_.num_vgpr, 0
	.set _ZN7rocprim17ROCPRIM_400000_NS6detail17trampoline_kernelINS0_14default_configENS1_38merge_sort_block_merge_config_selectorIiiEEZZNS1_27merge_sort_block_merge_implIS3_N6thrust23THRUST_200600_302600_NS6detail15normal_iteratorINS8_10device_ptrIiEEEESD_jNS1_19radix_merge_compareILb0ELb1EiNS0_19identity_decomposerEEEEE10hipError_tT0_T1_T2_jT3_P12ihipStream_tbPNSt15iterator_traitsISI_E10value_typeEPNSO_ISJ_E10value_typeEPSK_NS1_7vsmem_tEENKUlT_SI_SJ_SK_E_clIPiSD_S10_SD_EESH_SX_SI_SJ_SK_EUlSX_E1_NS1_11comp_targetILNS1_3genE3ELNS1_11target_archE908ELNS1_3gpuE7ELNS1_3repE0EEENS1_36merge_oddeven_config_static_selectorELNS0_4arch9wavefront6targetE0EEEvSJ_.num_agpr, 0
	.set _ZN7rocprim17ROCPRIM_400000_NS6detail17trampoline_kernelINS0_14default_configENS1_38merge_sort_block_merge_config_selectorIiiEEZZNS1_27merge_sort_block_merge_implIS3_N6thrust23THRUST_200600_302600_NS6detail15normal_iteratorINS8_10device_ptrIiEEEESD_jNS1_19radix_merge_compareILb0ELb1EiNS0_19identity_decomposerEEEEE10hipError_tT0_T1_T2_jT3_P12ihipStream_tbPNSt15iterator_traitsISI_E10value_typeEPNSO_ISJ_E10value_typeEPSK_NS1_7vsmem_tEENKUlT_SI_SJ_SK_E_clIPiSD_S10_SD_EESH_SX_SI_SJ_SK_EUlSX_E1_NS1_11comp_targetILNS1_3genE3ELNS1_11target_archE908ELNS1_3gpuE7ELNS1_3repE0EEENS1_36merge_oddeven_config_static_selectorELNS0_4arch9wavefront6targetE0EEEvSJ_.numbered_sgpr, 0
	.set _ZN7rocprim17ROCPRIM_400000_NS6detail17trampoline_kernelINS0_14default_configENS1_38merge_sort_block_merge_config_selectorIiiEEZZNS1_27merge_sort_block_merge_implIS3_N6thrust23THRUST_200600_302600_NS6detail15normal_iteratorINS8_10device_ptrIiEEEESD_jNS1_19radix_merge_compareILb0ELb1EiNS0_19identity_decomposerEEEEE10hipError_tT0_T1_T2_jT3_P12ihipStream_tbPNSt15iterator_traitsISI_E10value_typeEPNSO_ISJ_E10value_typeEPSK_NS1_7vsmem_tEENKUlT_SI_SJ_SK_E_clIPiSD_S10_SD_EESH_SX_SI_SJ_SK_EUlSX_E1_NS1_11comp_targetILNS1_3genE3ELNS1_11target_archE908ELNS1_3gpuE7ELNS1_3repE0EEENS1_36merge_oddeven_config_static_selectorELNS0_4arch9wavefront6targetE0EEEvSJ_.num_named_barrier, 0
	.set _ZN7rocprim17ROCPRIM_400000_NS6detail17trampoline_kernelINS0_14default_configENS1_38merge_sort_block_merge_config_selectorIiiEEZZNS1_27merge_sort_block_merge_implIS3_N6thrust23THRUST_200600_302600_NS6detail15normal_iteratorINS8_10device_ptrIiEEEESD_jNS1_19radix_merge_compareILb0ELb1EiNS0_19identity_decomposerEEEEE10hipError_tT0_T1_T2_jT3_P12ihipStream_tbPNSt15iterator_traitsISI_E10value_typeEPNSO_ISJ_E10value_typeEPSK_NS1_7vsmem_tEENKUlT_SI_SJ_SK_E_clIPiSD_S10_SD_EESH_SX_SI_SJ_SK_EUlSX_E1_NS1_11comp_targetILNS1_3genE3ELNS1_11target_archE908ELNS1_3gpuE7ELNS1_3repE0EEENS1_36merge_oddeven_config_static_selectorELNS0_4arch9wavefront6targetE0EEEvSJ_.private_seg_size, 0
	.set _ZN7rocprim17ROCPRIM_400000_NS6detail17trampoline_kernelINS0_14default_configENS1_38merge_sort_block_merge_config_selectorIiiEEZZNS1_27merge_sort_block_merge_implIS3_N6thrust23THRUST_200600_302600_NS6detail15normal_iteratorINS8_10device_ptrIiEEEESD_jNS1_19radix_merge_compareILb0ELb1EiNS0_19identity_decomposerEEEEE10hipError_tT0_T1_T2_jT3_P12ihipStream_tbPNSt15iterator_traitsISI_E10value_typeEPNSO_ISJ_E10value_typeEPSK_NS1_7vsmem_tEENKUlT_SI_SJ_SK_E_clIPiSD_S10_SD_EESH_SX_SI_SJ_SK_EUlSX_E1_NS1_11comp_targetILNS1_3genE3ELNS1_11target_archE908ELNS1_3gpuE7ELNS1_3repE0EEENS1_36merge_oddeven_config_static_selectorELNS0_4arch9wavefront6targetE0EEEvSJ_.uses_vcc, 0
	.set _ZN7rocprim17ROCPRIM_400000_NS6detail17trampoline_kernelINS0_14default_configENS1_38merge_sort_block_merge_config_selectorIiiEEZZNS1_27merge_sort_block_merge_implIS3_N6thrust23THRUST_200600_302600_NS6detail15normal_iteratorINS8_10device_ptrIiEEEESD_jNS1_19radix_merge_compareILb0ELb1EiNS0_19identity_decomposerEEEEE10hipError_tT0_T1_T2_jT3_P12ihipStream_tbPNSt15iterator_traitsISI_E10value_typeEPNSO_ISJ_E10value_typeEPSK_NS1_7vsmem_tEENKUlT_SI_SJ_SK_E_clIPiSD_S10_SD_EESH_SX_SI_SJ_SK_EUlSX_E1_NS1_11comp_targetILNS1_3genE3ELNS1_11target_archE908ELNS1_3gpuE7ELNS1_3repE0EEENS1_36merge_oddeven_config_static_selectorELNS0_4arch9wavefront6targetE0EEEvSJ_.uses_flat_scratch, 0
	.set _ZN7rocprim17ROCPRIM_400000_NS6detail17trampoline_kernelINS0_14default_configENS1_38merge_sort_block_merge_config_selectorIiiEEZZNS1_27merge_sort_block_merge_implIS3_N6thrust23THRUST_200600_302600_NS6detail15normal_iteratorINS8_10device_ptrIiEEEESD_jNS1_19radix_merge_compareILb0ELb1EiNS0_19identity_decomposerEEEEE10hipError_tT0_T1_T2_jT3_P12ihipStream_tbPNSt15iterator_traitsISI_E10value_typeEPNSO_ISJ_E10value_typeEPSK_NS1_7vsmem_tEENKUlT_SI_SJ_SK_E_clIPiSD_S10_SD_EESH_SX_SI_SJ_SK_EUlSX_E1_NS1_11comp_targetILNS1_3genE3ELNS1_11target_archE908ELNS1_3gpuE7ELNS1_3repE0EEENS1_36merge_oddeven_config_static_selectorELNS0_4arch9wavefront6targetE0EEEvSJ_.has_dyn_sized_stack, 0
	.set _ZN7rocprim17ROCPRIM_400000_NS6detail17trampoline_kernelINS0_14default_configENS1_38merge_sort_block_merge_config_selectorIiiEEZZNS1_27merge_sort_block_merge_implIS3_N6thrust23THRUST_200600_302600_NS6detail15normal_iteratorINS8_10device_ptrIiEEEESD_jNS1_19radix_merge_compareILb0ELb1EiNS0_19identity_decomposerEEEEE10hipError_tT0_T1_T2_jT3_P12ihipStream_tbPNSt15iterator_traitsISI_E10value_typeEPNSO_ISJ_E10value_typeEPSK_NS1_7vsmem_tEENKUlT_SI_SJ_SK_E_clIPiSD_S10_SD_EESH_SX_SI_SJ_SK_EUlSX_E1_NS1_11comp_targetILNS1_3genE3ELNS1_11target_archE908ELNS1_3gpuE7ELNS1_3repE0EEENS1_36merge_oddeven_config_static_selectorELNS0_4arch9wavefront6targetE0EEEvSJ_.has_recursion, 0
	.set _ZN7rocprim17ROCPRIM_400000_NS6detail17trampoline_kernelINS0_14default_configENS1_38merge_sort_block_merge_config_selectorIiiEEZZNS1_27merge_sort_block_merge_implIS3_N6thrust23THRUST_200600_302600_NS6detail15normal_iteratorINS8_10device_ptrIiEEEESD_jNS1_19radix_merge_compareILb0ELb1EiNS0_19identity_decomposerEEEEE10hipError_tT0_T1_T2_jT3_P12ihipStream_tbPNSt15iterator_traitsISI_E10value_typeEPNSO_ISJ_E10value_typeEPSK_NS1_7vsmem_tEENKUlT_SI_SJ_SK_E_clIPiSD_S10_SD_EESH_SX_SI_SJ_SK_EUlSX_E1_NS1_11comp_targetILNS1_3genE3ELNS1_11target_archE908ELNS1_3gpuE7ELNS1_3repE0EEENS1_36merge_oddeven_config_static_selectorELNS0_4arch9wavefront6targetE0EEEvSJ_.has_indirect_call, 0
	.section	.AMDGPU.csdata,"",@progbits
; Kernel info:
; codeLenInByte = 0
; TotalNumSgprs: 0
; NumVgprs: 0
; ScratchSize: 0
; MemoryBound: 0
; FloatMode: 240
; IeeeMode: 1
; LDSByteSize: 0 bytes/workgroup (compile time only)
; SGPRBlocks: 0
; VGPRBlocks: 0
; NumSGPRsForWavesPerEU: 1
; NumVGPRsForWavesPerEU: 1
; Occupancy: 16
; WaveLimiterHint : 0
; COMPUTE_PGM_RSRC2:SCRATCH_EN: 0
; COMPUTE_PGM_RSRC2:USER_SGPR: 6
; COMPUTE_PGM_RSRC2:TRAP_HANDLER: 0
; COMPUTE_PGM_RSRC2:TGID_X_EN: 1
; COMPUTE_PGM_RSRC2:TGID_Y_EN: 0
; COMPUTE_PGM_RSRC2:TGID_Z_EN: 0
; COMPUTE_PGM_RSRC2:TIDIG_COMP_CNT: 0
	.section	.text._ZN7rocprim17ROCPRIM_400000_NS6detail17trampoline_kernelINS0_14default_configENS1_38merge_sort_block_merge_config_selectorIiiEEZZNS1_27merge_sort_block_merge_implIS3_N6thrust23THRUST_200600_302600_NS6detail15normal_iteratorINS8_10device_ptrIiEEEESD_jNS1_19radix_merge_compareILb0ELb1EiNS0_19identity_decomposerEEEEE10hipError_tT0_T1_T2_jT3_P12ihipStream_tbPNSt15iterator_traitsISI_E10value_typeEPNSO_ISJ_E10value_typeEPSK_NS1_7vsmem_tEENKUlT_SI_SJ_SK_E_clIPiSD_S10_SD_EESH_SX_SI_SJ_SK_EUlSX_E1_NS1_11comp_targetILNS1_3genE2ELNS1_11target_archE906ELNS1_3gpuE6ELNS1_3repE0EEENS1_36merge_oddeven_config_static_selectorELNS0_4arch9wavefront6targetE0EEEvSJ_,"axG",@progbits,_ZN7rocprim17ROCPRIM_400000_NS6detail17trampoline_kernelINS0_14default_configENS1_38merge_sort_block_merge_config_selectorIiiEEZZNS1_27merge_sort_block_merge_implIS3_N6thrust23THRUST_200600_302600_NS6detail15normal_iteratorINS8_10device_ptrIiEEEESD_jNS1_19radix_merge_compareILb0ELb1EiNS0_19identity_decomposerEEEEE10hipError_tT0_T1_T2_jT3_P12ihipStream_tbPNSt15iterator_traitsISI_E10value_typeEPNSO_ISJ_E10value_typeEPSK_NS1_7vsmem_tEENKUlT_SI_SJ_SK_E_clIPiSD_S10_SD_EESH_SX_SI_SJ_SK_EUlSX_E1_NS1_11comp_targetILNS1_3genE2ELNS1_11target_archE906ELNS1_3gpuE6ELNS1_3repE0EEENS1_36merge_oddeven_config_static_selectorELNS0_4arch9wavefront6targetE0EEEvSJ_,comdat
	.protected	_ZN7rocprim17ROCPRIM_400000_NS6detail17trampoline_kernelINS0_14default_configENS1_38merge_sort_block_merge_config_selectorIiiEEZZNS1_27merge_sort_block_merge_implIS3_N6thrust23THRUST_200600_302600_NS6detail15normal_iteratorINS8_10device_ptrIiEEEESD_jNS1_19radix_merge_compareILb0ELb1EiNS0_19identity_decomposerEEEEE10hipError_tT0_T1_T2_jT3_P12ihipStream_tbPNSt15iterator_traitsISI_E10value_typeEPNSO_ISJ_E10value_typeEPSK_NS1_7vsmem_tEENKUlT_SI_SJ_SK_E_clIPiSD_S10_SD_EESH_SX_SI_SJ_SK_EUlSX_E1_NS1_11comp_targetILNS1_3genE2ELNS1_11target_archE906ELNS1_3gpuE6ELNS1_3repE0EEENS1_36merge_oddeven_config_static_selectorELNS0_4arch9wavefront6targetE0EEEvSJ_ ; -- Begin function _ZN7rocprim17ROCPRIM_400000_NS6detail17trampoline_kernelINS0_14default_configENS1_38merge_sort_block_merge_config_selectorIiiEEZZNS1_27merge_sort_block_merge_implIS3_N6thrust23THRUST_200600_302600_NS6detail15normal_iteratorINS8_10device_ptrIiEEEESD_jNS1_19radix_merge_compareILb0ELb1EiNS0_19identity_decomposerEEEEE10hipError_tT0_T1_T2_jT3_P12ihipStream_tbPNSt15iterator_traitsISI_E10value_typeEPNSO_ISJ_E10value_typeEPSK_NS1_7vsmem_tEENKUlT_SI_SJ_SK_E_clIPiSD_S10_SD_EESH_SX_SI_SJ_SK_EUlSX_E1_NS1_11comp_targetILNS1_3genE2ELNS1_11target_archE906ELNS1_3gpuE6ELNS1_3repE0EEENS1_36merge_oddeven_config_static_selectorELNS0_4arch9wavefront6targetE0EEEvSJ_
	.globl	_ZN7rocprim17ROCPRIM_400000_NS6detail17trampoline_kernelINS0_14default_configENS1_38merge_sort_block_merge_config_selectorIiiEEZZNS1_27merge_sort_block_merge_implIS3_N6thrust23THRUST_200600_302600_NS6detail15normal_iteratorINS8_10device_ptrIiEEEESD_jNS1_19radix_merge_compareILb0ELb1EiNS0_19identity_decomposerEEEEE10hipError_tT0_T1_T2_jT3_P12ihipStream_tbPNSt15iterator_traitsISI_E10value_typeEPNSO_ISJ_E10value_typeEPSK_NS1_7vsmem_tEENKUlT_SI_SJ_SK_E_clIPiSD_S10_SD_EESH_SX_SI_SJ_SK_EUlSX_E1_NS1_11comp_targetILNS1_3genE2ELNS1_11target_archE906ELNS1_3gpuE6ELNS1_3repE0EEENS1_36merge_oddeven_config_static_selectorELNS0_4arch9wavefront6targetE0EEEvSJ_
	.p2align	8
	.type	_ZN7rocprim17ROCPRIM_400000_NS6detail17trampoline_kernelINS0_14default_configENS1_38merge_sort_block_merge_config_selectorIiiEEZZNS1_27merge_sort_block_merge_implIS3_N6thrust23THRUST_200600_302600_NS6detail15normal_iteratorINS8_10device_ptrIiEEEESD_jNS1_19radix_merge_compareILb0ELb1EiNS0_19identity_decomposerEEEEE10hipError_tT0_T1_T2_jT3_P12ihipStream_tbPNSt15iterator_traitsISI_E10value_typeEPNSO_ISJ_E10value_typeEPSK_NS1_7vsmem_tEENKUlT_SI_SJ_SK_E_clIPiSD_S10_SD_EESH_SX_SI_SJ_SK_EUlSX_E1_NS1_11comp_targetILNS1_3genE2ELNS1_11target_archE906ELNS1_3gpuE6ELNS1_3repE0EEENS1_36merge_oddeven_config_static_selectorELNS0_4arch9wavefront6targetE0EEEvSJ_,@function
_ZN7rocprim17ROCPRIM_400000_NS6detail17trampoline_kernelINS0_14default_configENS1_38merge_sort_block_merge_config_selectorIiiEEZZNS1_27merge_sort_block_merge_implIS3_N6thrust23THRUST_200600_302600_NS6detail15normal_iteratorINS8_10device_ptrIiEEEESD_jNS1_19radix_merge_compareILb0ELb1EiNS0_19identity_decomposerEEEEE10hipError_tT0_T1_T2_jT3_P12ihipStream_tbPNSt15iterator_traitsISI_E10value_typeEPNSO_ISJ_E10value_typeEPSK_NS1_7vsmem_tEENKUlT_SI_SJ_SK_E_clIPiSD_S10_SD_EESH_SX_SI_SJ_SK_EUlSX_E1_NS1_11comp_targetILNS1_3genE2ELNS1_11target_archE906ELNS1_3gpuE6ELNS1_3repE0EEENS1_36merge_oddeven_config_static_selectorELNS0_4arch9wavefront6targetE0EEEvSJ_: ; @_ZN7rocprim17ROCPRIM_400000_NS6detail17trampoline_kernelINS0_14default_configENS1_38merge_sort_block_merge_config_selectorIiiEEZZNS1_27merge_sort_block_merge_implIS3_N6thrust23THRUST_200600_302600_NS6detail15normal_iteratorINS8_10device_ptrIiEEEESD_jNS1_19radix_merge_compareILb0ELb1EiNS0_19identity_decomposerEEEEE10hipError_tT0_T1_T2_jT3_P12ihipStream_tbPNSt15iterator_traitsISI_E10value_typeEPNSO_ISJ_E10value_typeEPSK_NS1_7vsmem_tEENKUlT_SI_SJ_SK_E_clIPiSD_S10_SD_EESH_SX_SI_SJ_SK_EUlSX_E1_NS1_11comp_targetILNS1_3genE2ELNS1_11target_archE906ELNS1_3gpuE6ELNS1_3repE0EEENS1_36merge_oddeven_config_static_selectorELNS0_4arch9wavefront6targetE0EEEvSJ_
; %bb.0:
	.section	.rodata,"a",@progbits
	.p2align	6, 0x0
	.amdhsa_kernel _ZN7rocprim17ROCPRIM_400000_NS6detail17trampoline_kernelINS0_14default_configENS1_38merge_sort_block_merge_config_selectorIiiEEZZNS1_27merge_sort_block_merge_implIS3_N6thrust23THRUST_200600_302600_NS6detail15normal_iteratorINS8_10device_ptrIiEEEESD_jNS1_19radix_merge_compareILb0ELb1EiNS0_19identity_decomposerEEEEE10hipError_tT0_T1_T2_jT3_P12ihipStream_tbPNSt15iterator_traitsISI_E10value_typeEPNSO_ISJ_E10value_typeEPSK_NS1_7vsmem_tEENKUlT_SI_SJ_SK_E_clIPiSD_S10_SD_EESH_SX_SI_SJ_SK_EUlSX_E1_NS1_11comp_targetILNS1_3genE2ELNS1_11target_archE906ELNS1_3gpuE6ELNS1_3repE0EEENS1_36merge_oddeven_config_static_selectorELNS0_4arch9wavefront6targetE0EEEvSJ_
		.amdhsa_group_segment_fixed_size 0
		.amdhsa_private_segment_fixed_size 0
		.amdhsa_kernarg_size 48
		.amdhsa_user_sgpr_count 6
		.amdhsa_user_sgpr_private_segment_buffer 1
		.amdhsa_user_sgpr_dispatch_ptr 0
		.amdhsa_user_sgpr_queue_ptr 0
		.amdhsa_user_sgpr_kernarg_segment_ptr 1
		.amdhsa_user_sgpr_dispatch_id 0
		.amdhsa_user_sgpr_flat_scratch_init 0
		.amdhsa_user_sgpr_private_segment_size 0
		.amdhsa_wavefront_size32 1
		.amdhsa_uses_dynamic_stack 0
		.amdhsa_system_sgpr_private_segment_wavefront_offset 0
		.amdhsa_system_sgpr_workgroup_id_x 1
		.amdhsa_system_sgpr_workgroup_id_y 0
		.amdhsa_system_sgpr_workgroup_id_z 0
		.amdhsa_system_sgpr_workgroup_info 0
		.amdhsa_system_vgpr_workitem_id 0
		.amdhsa_next_free_vgpr 1
		.amdhsa_next_free_sgpr 1
		.amdhsa_reserve_vcc 0
		.amdhsa_reserve_flat_scratch 0
		.amdhsa_float_round_mode_32 0
		.amdhsa_float_round_mode_16_64 0
		.amdhsa_float_denorm_mode_32 3
		.amdhsa_float_denorm_mode_16_64 3
		.amdhsa_dx10_clamp 1
		.amdhsa_ieee_mode 1
		.amdhsa_fp16_overflow 0
		.amdhsa_workgroup_processor_mode 1
		.amdhsa_memory_ordered 1
		.amdhsa_forward_progress 1
		.amdhsa_shared_vgpr_count 0
		.amdhsa_exception_fp_ieee_invalid_op 0
		.amdhsa_exception_fp_denorm_src 0
		.amdhsa_exception_fp_ieee_div_zero 0
		.amdhsa_exception_fp_ieee_overflow 0
		.amdhsa_exception_fp_ieee_underflow 0
		.amdhsa_exception_fp_ieee_inexact 0
		.amdhsa_exception_int_div_zero 0
	.end_amdhsa_kernel
	.section	.text._ZN7rocprim17ROCPRIM_400000_NS6detail17trampoline_kernelINS0_14default_configENS1_38merge_sort_block_merge_config_selectorIiiEEZZNS1_27merge_sort_block_merge_implIS3_N6thrust23THRUST_200600_302600_NS6detail15normal_iteratorINS8_10device_ptrIiEEEESD_jNS1_19radix_merge_compareILb0ELb1EiNS0_19identity_decomposerEEEEE10hipError_tT0_T1_T2_jT3_P12ihipStream_tbPNSt15iterator_traitsISI_E10value_typeEPNSO_ISJ_E10value_typeEPSK_NS1_7vsmem_tEENKUlT_SI_SJ_SK_E_clIPiSD_S10_SD_EESH_SX_SI_SJ_SK_EUlSX_E1_NS1_11comp_targetILNS1_3genE2ELNS1_11target_archE906ELNS1_3gpuE6ELNS1_3repE0EEENS1_36merge_oddeven_config_static_selectorELNS0_4arch9wavefront6targetE0EEEvSJ_,"axG",@progbits,_ZN7rocprim17ROCPRIM_400000_NS6detail17trampoline_kernelINS0_14default_configENS1_38merge_sort_block_merge_config_selectorIiiEEZZNS1_27merge_sort_block_merge_implIS3_N6thrust23THRUST_200600_302600_NS6detail15normal_iteratorINS8_10device_ptrIiEEEESD_jNS1_19radix_merge_compareILb0ELb1EiNS0_19identity_decomposerEEEEE10hipError_tT0_T1_T2_jT3_P12ihipStream_tbPNSt15iterator_traitsISI_E10value_typeEPNSO_ISJ_E10value_typeEPSK_NS1_7vsmem_tEENKUlT_SI_SJ_SK_E_clIPiSD_S10_SD_EESH_SX_SI_SJ_SK_EUlSX_E1_NS1_11comp_targetILNS1_3genE2ELNS1_11target_archE906ELNS1_3gpuE6ELNS1_3repE0EEENS1_36merge_oddeven_config_static_selectorELNS0_4arch9wavefront6targetE0EEEvSJ_,comdat
.Lfunc_end777:
	.size	_ZN7rocprim17ROCPRIM_400000_NS6detail17trampoline_kernelINS0_14default_configENS1_38merge_sort_block_merge_config_selectorIiiEEZZNS1_27merge_sort_block_merge_implIS3_N6thrust23THRUST_200600_302600_NS6detail15normal_iteratorINS8_10device_ptrIiEEEESD_jNS1_19radix_merge_compareILb0ELb1EiNS0_19identity_decomposerEEEEE10hipError_tT0_T1_T2_jT3_P12ihipStream_tbPNSt15iterator_traitsISI_E10value_typeEPNSO_ISJ_E10value_typeEPSK_NS1_7vsmem_tEENKUlT_SI_SJ_SK_E_clIPiSD_S10_SD_EESH_SX_SI_SJ_SK_EUlSX_E1_NS1_11comp_targetILNS1_3genE2ELNS1_11target_archE906ELNS1_3gpuE6ELNS1_3repE0EEENS1_36merge_oddeven_config_static_selectorELNS0_4arch9wavefront6targetE0EEEvSJ_, .Lfunc_end777-_ZN7rocprim17ROCPRIM_400000_NS6detail17trampoline_kernelINS0_14default_configENS1_38merge_sort_block_merge_config_selectorIiiEEZZNS1_27merge_sort_block_merge_implIS3_N6thrust23THRUST_200600_302600_NS6detail15normal_iteratorINS8_10device_ptrIiEEEESD_jNS1_19radix_merge_compareILb0ELb1EiNS0_19identity_decomposerEEEEE10hipError_tT0_T1_T2_jT3_P12ihipStream_tbPNSt15iterator_traitsISI_E10value_typeEPNSO_ISJ_E10value_typeEPSK_NS1_7vsmem_tEENKUlT_SI_SJ_SK_E_clIPiSD_S10_SD_EESH_SX_SI_SJ_SK_EUlSX_E1_NS1_11comp_targetILNS1_3genE2ELNS1_11target_archE906ELNS1_3gpuE6ELNS1_3repE0EEENS1_36merge_oddeven_config_static_selectorELNS0_4arch9wavefront6targetE0EEEvSJ_
                                        ; -- End function
	.set _ZN7rocprim17ROCPRIM_400000_NS6detail17trampoline_kernelINS0_14default_configENS1_38merge_sort_block_merge_config_selectorIiiEEZZNS1_27merge_sort_block_merge_implIS3_N6thrust23THRUST_200600_302600_NS6detail15normal_iteratorINS8_10device_ptrIiEEEESD_jNS1_19radix_merge_compareILb0ELb1EiNS0_19identity_decomposerEEEEE10hipError_tT0_T1_T2_jT3_P12ihipStream_tbPNSt15iterator_traitsISI_E10value_typeEPNSO_ISJ_E10value_typeEPSK_NS1_7vsmem_tEENKUlT_SI_SJ_SK_E_clIPiSD_S10_SD_EESH_SX_SI_SJ_SK_EUlSX_E1_NS1_11comp_targetILNS1_3genE2ELNS1_11target_archE906ELNS1_3gpuE6ELNS1_3repE0EEENS1_36merge_oddeven_config_static_selectorELNS0_4arch9wavefront6targetE0EEEvSJ_.num_vgpr, 0
	.set _ZN7rocprim17ROCPRIM_400000_NS6detail17trampoline_kernelINS0_14default_configENS1_38merge_sort_block_merge_config_selectorIiiEEZZNS1_27merge_sort_block_merge_implIS3_N6thrust23THRUST_200600_302600_NS6detail15normal_iteratorINS8_10device_ptrIiEEEESD_jNS1_19radix_merge_compareILb0ELb1EiNS0_19identity_decomposerEEEEE10hipError_tT0_T1_T2_jT3_P12ihipStream_tbPNSt15iterator_traitsISI_E10value_typeEPNSO_ISJ_E10value_typeEPSK_NS1_7vsmem_tEENKUlT_SI_SJ_SK_E_clIPiSD_S10_SD_EESH_SX_SI_SJ_SK_EUlSX_E1_NS1_11comp_targetILNS1_3genE2ELNS1_11target_archE906ELNS1_3gpuE6ELNS1_3repE0EEENS1_36merge_oddeven_config_static_selectorELNS0_4arch9wavefront6targetE0EEEvSJ_.num_agpr, 0
	.set _ZN7rocprim17ROCPRIM_400000_NS6detail17trampoline_kernelINS0_14default_configENS1_38merge_sort_block_merge_config_selectorIiiEEZZNS1_27merge_sort_block_merge_implIS3_N6thrust23THRUST_200600_302600_NS6detail15normal_iteratorINS8_10device_ptrIiEEEESD_jNS1_19radix_merge_compareILb0ELb1EiNS0_19identity_decomposerEEEEE10hipError_tT0_T1_T2_jT3_P12ihipStream_tbPNSt15iterator_traitsISI_E10value_typeEPNSO_ISJ_E10value_typeEPSK_NS1_7vsmem_tEENKUlT_SI_SJ_SK_E_clIPiSD_S10_SD_EESH_SX_SI_SJ_SK_EUlSX_E1_NS1_11comp_targetILNS1_3genE2ELNS1_11target_archE906ELNS1_3gpuE6ELNS1_3repE0EEENS1_36merge_oddeven_config_static_selectorELNS0_4arch9wavefront6targetE0EEEvSJ_.numbered_sgpr, 0
	.set _ZN7rocprim17ROCPRIM_400000_NS6detail17trampoline_kernelINS0_14default_configENS1_38merge_sort_block_merge_config_selectorIiiEEZZNS1_27merge_sort_block_merge_implIS3_N6thrust23THRUST_200600_302600_NS6detail15normal_iteratorINS8_10device_ptrIiEEEESD_jNS1_19radix_merge_compareILb0ELb1EiNS0_19identity_decomposerEEEEE10hipError_tT0_T1_T2_jT3_P12ihipStream_tbPNSt15iterator_traitsISI_E10value_typeEPNSO_ISJ_E10value_typeEPSK_NS1_7vsmem_tEENKUlT_SI_SJ_SK_E_clIPiSD_S10_SD_EESH_SX_SI_SJ_SK_EUlSX_E1_NS1_11comp_targetILNS1_3genE2ELNS1_11target_archE906ELNS1_3gpuE6ELNS1_3repE0EEENS1_36merge_oddeven_config_static_selectorELNS0_4arch9wavefront6targetE0EEEvSJ_.num_named_barrier, 0
	.set _ZN7rocprim17ROCPRIM_400000_NS6detail17trampoline_kernelINS0_14default_configENS1_38merge_sort_block_merge_config_selectorIiiEEZZNS1_27merge_sort_block_merge_implIS3_N6thrust23THRUST_200600_302600_NS6detail15normal_iteratorINS8_10device_ptrIiEEEESD_jNS1_19radix_merge_compareILb0ELb1EiNS0_19identity_decomposerEEEEE10hipError_tT0_T1_T2_jT3_P12ihipStream_tbPNSt15iterator_traitsISI_E10value_typeEPNSO_ISJ_E10value_typeEPSK_NS1_7vsmem_tEENKUlT_SI_SJ_SK_E_clIPiSD_S10_SD_EESH_SX_SI_SJ_SK_EUlSX_E1_NS1_11comp_targetILNS1_3genE2ELNS1_11target_archE906ELNS1_3gpuE6ELNS1_3repE0EEENS1_36merge_oddeven_config_static_selectorELNS0_4arch9wavefront6targetE0EEEvSJ_.private_seg_size, 0
	.set _ZN7rocprim17ROCPRIM_400000_NS6detail17trampoline_kernelINS0_14default_configENS1_38merge_sort_block_merge_config_selectorIiiEEZZNS1_27merge_sort_block_merge_implIS3_N6thrust23THRUST_200600_302600_NS6detail15normal_iteratorINS8_10device_ptrIiEEEESD_jNS1_19radix_merge_compareILb0ELb1EiNS0_19identity_decomposerEEEEE10hipError_tT0_T1_T2_jT3_P12ihipStream_tbPNSt15iterator_traitsISI_E10value_typeEPNSO_ISJ_E10value_typeEPSK_NS1_7vsmem_tEENKUlT_SI_SJ_SK_E_clIPiSD_S10_SD_EESH_SX_SI_SJ_SK_EUlSX_E1_NS1_11comp_targetILNS1_3genE2ELNS1_11target_archE906ELNS1_3gpuE6ELNS1_3repE0EEENS1_36merge_oddeven_config_static_selectorELNS0_4arch9wavefront6targetE0EEEvSJ_.uses_vcc, 0
	.set _ZN7rocprim17ROCPRIM_400000_NS6detail17trampoline_kernelINS0_14default_configENS1_38merge_sort_block_merge_config_selectorIiiEEZZNS1_27merge_sort_block_merge_implIS3_N6thrust23THRUST_200600_302600_NS6detail15normal_iteratorINS8_10device_ptrIiEEEESD_jNS1_19radix_merge_compareILb0ELb1EiNS0_19identity_decomposerEEEEE10hipError_tT0_T1_T2_jT3_P12ihipStream_tbPNSt15iterator_traitsISI_E10value_typeEPNSO_ISJ_E10value_typeEPSK_NS1_7vsmem_tEENKUlT_SI_SJ_SK_E_clIPiSD_S10_SD_EESH_SX_SI_SJ_SK_EUlSX_E1_NS1_11comp_targetILNS1_3genE2ELNS1_11target_archE906ELNS1_3gpuE6ELNS1_3repE0EEENS1_36merge_oddeven_config_static_selectorELNS0_4arch9wavefront6targetE0EEEvSJ_.uses_flat_scratch, 0
	.set _ZN7rocprim17ROCPRIM_400000_NS6detail17trampoline_kernelINS0_14default_configENS1_38merge_sort_block_merge_config_selectorIiiEEZZNS1_27merge_sort_block_merge_implIS3_N6thrust23THRUST_200600_302600_NS6detail15normal_iteratorINS8_10device_ptrIiEEEESD_jNS1_19radix_merge_compareILb0ELb1EiNS0_19identity_decomposerEEEEE10hipError_tT0_T1_T2_jT3_P12ihipStream_tbPNSt15iterator_traitsISI_E10value_typeEPNSO_ISJ_E10value_typeEPSK_NS1_7vsmem_tEENKUlT_SI_SJ_SK_E_clIPiSD_S10_SD_EESH_SX_SI_SJ_SK_EUlSX_E1_NS1_11comp_targetILNS1_3genE2ELNS1_11target_archE906ELNS1_3gpuE6ELNS1_3repE0EEENS1_36merge_oddeven_config_static_selectorELNS0_4arch9wavefront6targetE0EEEvSJ_.has_dyn_sized_stack, 0
	.set _ZN7rocprim17ROCPRIM_400000_NS6detail17trampoline_kernelINS0_14default_configENS1_38merge_sort_block_merge_config_selectorIiiEEZZNS1_27merge_sort_block_merge_implIS3_N6thrust23THRUST_200600_302600_NS6detail15normal_iteratorINS8_10device_ptrIiEEEESD_jNS1_19radix_merge_compareILb0ELb1EiNS0_19identity_decomposerEEEEE10hipError_tT0_T1_T2_jT3_P12ihipStream_tbPNSt15iterator_traitsISI_E10value_typeEPNSO_ISJ_E10value_typeEPSK_NS1_7vsmem_tEENKUlT_SI_SJ_SK_E_clIPiSD_S10_SD_EESH_SX_SI_SJ_SK_EUlSX_E1_NS1_11comp_targetILNS1_3genE2ELNS1_11target_archE906ELNS1_3gpuE6ELNS1_3repE0EEENS1_36merge_oddeven_config_static_selectorELNS0_4arch9wavefront6targetE0EEEvSJ_.has_recursion, 0
	.set _ZN7rocprim17ROCPRIM_400000_NS6detail17trampoline_kernelINS0_14default_configENS1_38merge_sort_block_merge_config_selectorIiiEEZZNS1_27merge_sort_block_merge_implIS3_N6thrust23THRUST_200600_302600_NS6detail15normal_iteratorINS8_10device_ptrIiEEEESD_jNS1_19radix_merge_compareILb0ELb1EiNS0_19identity_decomposerEEEEE10hipError_tT0_T1_T2_jT3_P12ihipStream_tbPNSt15iterator_traitsISI_E10value_typeEPNSO_ISJ_E10value_typeEPSK_NS1_7vsmem_tEENKUlT_SI_SJ_SK_E_clIPiSD_S10_SD_EESH_SX_SI_SJ_SK_EUlSX_E1_NS1_11comp_targetILNS1_3genE2ELNS1_11target_archE906ELNS1_3gpuE6ELNS1_3repE0EEENS1_36merge_oddeven_config_static_selectorELNS0_4arch9wavefront6targetE0EEEvSJ_.has_indirect_call, 0
	.section	.AMDGPU.csdata,"",@progbits
; Kernel info:
; codeLenInByte = 0
; TotalNumSgprs: 0
; NumVgprs: 0
; ScratchSize: 0
; MemoryBound: 0
; FloatMode: 240
; IeeeMode: 1
; LDSByteSize: 0 bytes/workgroup (compile time only)
; SGPRBlocks: 0
; VGPRBlocks: 0
; NumSGPRsForWavesPerEU: 1
; NumVGPRsForWavesPerEU: 1
; Occupancy: 16
; WaveLimiterHint : 0
; COMPUTE_PGM_RSRC2:SCRATCH_EN: 0
; COMPUTE_PGM_RSRC2:USER_SGPR: 6
; COMPUTE_PGM_RSRC2:TRAP_HANDLER: 0
; COMPUTE_PGM_RSRC2:TGID_X_EN: 1
; COMPUTE_PGM_RSRC2:TGID_Y_EN: 0
; COMPUTE_PGM_RSRC2:TGID_Z_EN: 0
; COMPUTE_PGM_RSRC2:TIDIG_COMP_CNT: 0
	.section	.text._ZN7rocprim17ROCPRIM_400000_NS6detail17trampoline_kernelINS0_14default_configENS1_38merge_sort_block_merge_config_selectorIiiEEZZNS1_27merge_sort_block_merge_implIS3_N6thrust23THRUST_200600_302600_NS6detail15normal_iteratorINS8_10device_ptrIiEEEESD_jNS1_19radix_merge_compareILb0ELb1EiNS0_19identity_decomposerEEEEE10hipError_tT0_T1_T2_jT3_P12ihipStream_tbPNSt15iterator_traitsISI_E10value_typeEPNSO_ISJ_E10value_typeEPSK_NS1_7vsmem_tEENKUlT_SI_SJ_SK_E_clIPiSD_S10_SD_EESH_SX_SI_SJ_SK_EUlSX_E1_NS1_11comp_targetILNS1_3genE9ELNS1_11target_archE1100ELNS1_3gpuE3ELNS1_3repE0EEENS1_36merge_oddeven_config_static_selectorELNS0_4arch9wavefront6targetE0EEEvSJ_,"axG",@progbits,_ZN7rocprim17ROCPRIM_400000_NS6detail17trampoline_kernelINS0_14default_configENS1_38merge_sort_block_merge_config_selectorIiiEEZZNS1_27merge_sort_block_merge_implIS3_N6thrust23THRUST_200600_302600_NS6detail15normal_iteratorINS8_10device_ptrIiEEEESD_jNS1_19radix_merge_compareILb0ELb1EiNS0_19identity_decomposerEEEEE10hipError_tT0_T1_T2_jT3_P12ihipStream_tbPNSt15iterator_traitsISI_E10value_typeEPNSO_ISJ_E10value_typeEPSK_NS1_7vsmem_tEENKUlT_SI_SJ_SK_E_clIPiSD_S10_SD_EESH_SX_SI_SJ_SK_EUlSX_E1_NS1_11comp_targetILNS1_3genE9ELNS1_11target_archE1100ELNS1_3gpuE3ELNS1_3repE0EEENS1_36merge_oddeven_config_static_selectorELNS0_4arch9wavefront6targetE0EEEvSJ_,comdat
	.protected	_ZN7rocprim17ROCPRIM_400000_NS6detail17trampoline_kernelINS0_14default_configENS1_38merge_sort_block_merge_config_selectorIiiEEZZNS1_27merge_sort_block_merge_implIS3_N6thrust23THRUST_200600_302600_NS6detail15normal_iteratorINS8_10device_ptrIiEEEESD_jNS1_19radix_merge_compareILb0ELb1EiNS0_19identity_decomposerEEEEE10hipError_tT0_T1_T2_jT3_P12ihipStream_tbPNSt15iterator_traitsISI_E10value_typeEPNSO_ISJ_E10value_typeEPSK_NS1_7vsmem_tEENKUlT_SI_SJ_SK_E_clIPiSD_S10_SD_EESH_SX_SI_SJ_SK_EUlSX_E1_NS1_11comp_targetILNS1_3genE9ELNS1_11target_archE1100ELNS1_3gpuE3ELNS1_3repE0EEENS1_36merge_oddeven_config_static_selectorELNS0_4arch9wavefront6targetE0EEEvSJ_ ; -- Begin function _ZN7rocprim17ROCPRIM_400000_NS6detail17trampoline_kernelINS0_14default_configENS1_38merge_sort_block_merge_config_selectorIiiEEZZNS1_27merge_sort_block_merge_implIS3_N6thrust23THRUST_200600_302600_NS6detail15normal_iteratorINS8_10device_ptrIiEEEESD_jNS1_19radix_merge_compareILb0ELb1EiNS0_19identity_decomposerEEEEE10hipError_tT0_T1_T2_jT3_P12ihipStream_tbPNSt15iterator_traitsISI_E10value_typeEPNSO_ISJ_E10value_typeEPSK_NS1_7vsmem_tEENKUlT_SI_SJ_SK_E_clIPiSD_S10_SD_EESH_SX_SI_SJ_SK_EUlSX_E1_NS1_11comp_targetILNS1_3genE9ELNS1_11target_archE1100ELNS1_3gpuE3ELNS1_3repE0EEENS1_36merge_oddeven_config_static_selectorELNS0_4arch9wavefront6targetE0EEEvSJ_
	.globl	_ZN7rocprim17ROCPRIM_400000_NS6detail17trampoline_kernelINS0_14default_configENS1_38merge_sort_block_merge_config_selectorIiiEEZZNS1_27merge_sort_block_merge_implIS3_N6thrust23THRUST_200600_302600_NS6detail15normal_iteratorINS8_10device_ptrIiEEEESD_jNS1_19radix_merge_compareILb0ELb1EiNS0_19identity_decomposerEEEEE10hipError_tT0_T1_T2_jT3_P12ihipStream_tbPNSt15iterator_traitsISI_E10value_typeEPNSO_ISJ_E10value_typeEPSK_NS1_7vsmem_tEENKUlT_SI_SJ_SK_E_clIPiSD_S10_SD_EESH_SX_SI_SJ_SK_EUlSX_E1_NS1_11comp_targetILNS1_3genE9ELNS1_11target_archE1100ELNS1_3gpuE3ELNS1_3repE0EEENS1_36merge_oddeven_config_static_selectorELNS0_4arch9wavefront6targetE0EEEvSJ_
	.p2align	8
	.type	_ZN7rocprim17ROCPRIM_400000_NS6detail17trampoline_kernelINS0_14default_configENS1_38merge_sort_block_merge_config_selectorIiiEEZZNS1_27merge_sort_block_merge_implIS3_N6thrust23THRUST_200600_302600_NS6detail15normal_iteratorINS8_10device_ptrIiEEEESD_jNS1_19radix_merge_compareILb0ELb1EiNS0_19identity_decomposerEEEEE10hipError_tT0_T1_T2_jT3_P12ihipStream_tbPNSt15iterator_traitsISI_E10value_typeEPNSO_ISJ_E10value_typeEPSK_NS1_7vsmem_tEENKUlT_SI_SJ_SK_E_clIPiSD_S10_SD_EESH_SX_SI_SJ_SK_EUlSX_E1_NS1_11comp_targetILNS1_3genE9ELNS1_11target_archE1100ELNS1_3gpuE3ELNS1_3repE0EEENS1_36merge_oddeven_config_static_selectorELNS0_4arch9wavefront6targetE0EEEvSJ_,@function
_ZN7rocprim17ROCPRIM_400000_NS6detail17trampoline_kernelINS0_14default_configENS1_38merge_sort_block_merge_config_selectorIiiEEZZNS1_27merge_sort_block_merge_implIS3_N6thrust23THRUST_200600_302600_NS6detail15normal_iteratorINS8_10device_ptrIiEEEESD_jNS1_19radix_merge_compareILb0ELb1EiNS0_19identity_decomposerEEEEE10hipError_tT0_T1_T2_jT3_P12ihipStream_tbPNSt15iterator_traitsISI_E10value_typeEPNSO_ISJ_E10value_typeEPSK_NS1_7vsmem_tEENKUlT_SI_SJ_SK_E_clIPiSD_S10_SD_EESH_SX_SI_SJ_SK_EUlSX_E1_NS1_11comp_targetILNS1_3genE9ELNS1_11target_archE1100ELNS1_3gpuE3ELNS1_3repE0EEENS1_36merge_oddeven_config_static_selectorELNS0_4arch9wavefront6targetE0EEEvSJ_: ; @_ZN7rocprim17ROCPRIM_400000_NS6detail17trampoline_kernelINS0_14default_configENS1_38merge_sort_block_merge_config_selectorIiiEEZZNS1_27merge_sort_block_merge_implIS3_N6thrust23THRUST_200600_302600_NS6detail15normal_iteratorINS8_10device_ptrIiEEEESD_jNS1_19radix_merge_compareILb0ELb1EiNS0_19identity_decomposerEEEEE10hipError_tT0_T1_T2_jT3_P12ihipStream_tbPNSt15iterator_traitsISI_E10value_typeEPNSO_ISJ_E10value_typeEPSK_NS1_7vsmem_tEENKUlT_SI_SJ_SK_E_clIPiSD_S10_SD_EESH_SX_SI_SJ_SK_EUlSX_E1_NS1_11comp_targetILNS1_3genE9ELNS1_11target_archE1100ELNS1_3gpuE3ELNS1_3repE0EEENS1_36merge_oddeven_config_static_selectorELNS0_4arch9wavefront6targetE0EEEvSJ_
; %bb.0:
	.section	.rodata,"a",@progbits
	.p2align	6, 0x0
	.amdhsa_kernel _ZN7rocprim17ROCPRIM_400000_NS6detail17trampoline_kernelINS0_14default_configENS1_38merge_sort_block_merge_config_selectorIiiEEZZNS1_27merge_sort_block_merge_implIS3_N6thrust23THRUST_200600_302600_NS6detail15normal_iteratorINS8_10device_ptrIiEEEESD_jNS1_19radix_merge_compareILb0ELb1EiNS0_19identity_decomposerEEEEE10hipError_tT0_T1_T2_jT3_P12ihipStream_tbPNSt15iterator_traitsISI_E10value_typeEPNSO_ISJ_E10value_typeEPSK_NS1_7vsmem_tEENKUlT_SI_SJ_SK_E_clIPiSD_S10_SD_EESH_SX_SI_SJ_SK_EUlSX_E1_NS1_11comp_targetILNS1_3genE9ELNS1_11target_archE1100ELNS1_3gpuE3ELNS1_3repE0EEENS1_36merge_oddeven_config_static_selectorELNS0_4arch9wavefront6targetE0EEEvSJ_
		.amdhsa_group_segment_fixed_size 0
		.amdhsa_private_segment_fixed_size 0
		.amdhsa_kernarg_size 48
		.amdhsa_user_sgpr_count 6
		.amdhsa_user_sgpr_private_segment_buffer 1
		.amdhsa_user_sgpr_dispatch_ptr 0
		.amdhsa_user_sgpr_queue_ptr 0
		.amdhsa_user_sgpr_kernarg_segment_ptr 1
		.amdhsa_user_sgpr_dispatch_id 0
		.amdhsa_user_sgpr_flat_scratch_init 0
		.amdhsa_user_sgpr_private_segment_size 0
		.amdhsa_wavefront_size32 1
		.amdhsa_uses_dynamic_stack 0
		.amdhsa_system_sgpr_private_segment_wavefront_offset 0
		.amdhsa_system_sgpr_workgroup_id_x 1
		.amdhsa_system_sgpr_workgroup_id_y 0
		.amdhsa_system_sgpr_workgroup_id_z 0
		.amdhsa_system_sgpr_workgroup_info 0
		.amdhsa_system_vgpr_workitem_id 0
		.amdhsa_next_free_vgpr 1
		.amdhsa_next_free_sgpr 1
		.amdhsa_reserve_vcc 0
		.amdhsa_reserve_flat_scratch 0
		.amdhsa_float_round_mode_32 0
		.amdhsa_float_round_mode_16_64 0
		.amdhsa_float_denorm_mode_32 3
		.amdhsa_float_denorm_mode_16_64 3
		.amdhsa_dx10_clamp 1
		.amdhsa_ieee_mode 1
		.amdhsa_fp16_overflow 0
		.amdhsa_workgroup_processor_mode 1
		.amdhsa_memory_ordered 1
		.amdhsa_forward_progress 1
		.amdhsa_shared_vgpr_count 0
		.amdhsa_exception_fp_ieee_invalid_op 0
		.amdhsa_exception_fp_denorm_src 0
		.amdhsa_exception_fp_ieee_div_zero 0
		.amdhsa_exception_fp_ieee_overflow 0
		.amdhsa_exception_fp_ieee_underflow 0
		.amdhsa_exception_fp_ieee_inexact 0
		.amdhsa_exception_int_div_zero 0
	.end_amdhsa_kernel
	.section	.text._ZN7rocprim17ROCPRIM_400000_NS6detail17trampoline_kernelINS0_14default_configENS1_38merge_sort_block_merge_config_selectorIiiEEZZNS1_27merge_sort_block_merge_implIS3_N6thrust23THRUST_200600_302600_NS6detail15normal_iteratorINS8_10device_ptrIiEEEESD_jNS1_19radix_merge_compareILb0ELb1EiNS0_19identity_decomposerEEEEE10hipError_tT0_T1_T2_jT3_P12ihipStream_tbPNSt15iterator_traitsISI_E10value_typeEPNSO_ISJ_E10value_typeEPSK_NS1_7vsmem_tEENKUlT_SI_SJ_SK_E_clIPiSD_S10_SD_EESH_SX_SI_SJ_SK_EUlSX_E1_NS1_11comp_targetILNS1_3genE9ELNS1_11target_archE1100ELNS1_3gpuE3ELNS1_3repE0EEENS1_36merge_oddeven_config_static_selectorELNS0_4arch9wavefront6targetE0EEEvSJ_,"axG",@progbits,_ZN7rocprim17ROCPRIM_400000_NS6detail17trampoline_kernelINS0_14default_configENS1_38merge_sort_block_merge_config_selectorIiiEEZZNS1_27merge_sort_block_merge_implIS3_N6thrust23THRUST_200600_302600_NS6detail15normal_iteratorINS8_10device_ptrIiEEEESD_jNS1_19radix_merge_compareILb0ELb1EiNS0_19identity_decomposerEEEEE10hipError_tT0_T1_T2_jT3_P12ihipStream_tbPNSt15iterator_traitsISI_E10value_typeEPNSO_ISJ_E10value_typeEPSK_NS1_7vsmem_tEENKUlT_SI_SJ_SK_E_clIPiSD_S10_SD_EESH_SX_SI_SJ_SK_EUlSX_E1_NS1_11comp_targetILNS1_3genE9ELNS1_11target_archE1100ELNS1_3gpuE3ELNS1_3repE0EEENS1_36merge_oddeven_config_static_selectorELNS0_4arch9wavefront6targetE0EEEvSJ_,comdat
.Lfunc_end778:
	.size	_ZN7rocprim17ROCPRIM_400000_NS6detail17trampoline_kernelINS0_14default_configENS1_38merge_sort_block_merge_config_selectorIiiEEZZNS1_27merge_sort_block_merge_implIS3_N6thrust23THRUST_200600_302600_NS6detail15normal_iteratorINS8_10device_ptrIiEEEESD_jNS1_19radix_merge_compareILb0ELb1EiNS0_19identity_decomposerEEEEE10hipError_tT0_T1_T2_jT3_P12ihipStream_tbPNSt15iterator_traitsISI_E10value_typeEPNSO_ISJ_E10value_typeEPSK_NS1_7vsmem_tEENKUlT_SI_SJ_SK_E_clIPiSD_S10_SD_EESH_SX_SI_SJ_SK_EUlSX_E1_NS1_11comp_targetILNS1_3genE9ELNS1_11target_archE1100ELNS1_3gpuE3ELNS1_3repE0EEENS1_36merge_oddeven_config_static_selectorELNS0_4arch9wavefront6targetE0EEEvSJ_, .Lfunc_end778-_ZN7rocprim17ROCPRIM_400000_NS6detail17trampoline_kernelINS0_14default_configENS1_38merge_sort_block_merge_config_selectorIiiEEZZNS1_27merge_sort_block_merge_implIS3_N6thrust23THRUST_200600_302600_NS6detail15normal_iteratorINS8_10device_ptrIiEEEESD_jNS1_19radix_merge_compareILb0ELb1EiNS0_19identity_decomposerEEEEE10hipError_tT0_T1_T2_jT3_P12ihipStream_tbPNSt15iterator_traitsISI_E10value_typeEPNSO_ISJ_E10value_typeEPSK_NS1_7vsmem_tEENKUlT_SI_SJ_SK_E_clIPiSD_S10_SD_EESH_SX_SI_SJ_SK_EUlSX_E1_NS1_11comp_targetILNS1_3genE9ELNS1_11target_archE1100ELNS1_3gpuE3ELNS1_3repE0EEENS1_36merge_oddeven_config_static_selectorELNS0_4arch9wavefront6targetE0EEEvSJ_
                                        ; -- End function
	.set _ZN7rocprim17ROCPRIM_400000_NS6detail17trampoline_kernelINS0_14default_configENS1_38merge_sort_block_merge_config_selectorIiiEEZZNS1_27merge_sort_block_merge_implIS3_N6thrust23THRUST_200600_302600_NS6detail15normal_iteratorINS8_10device_ptrIiEEEESD_jNS1_19radix_merge_compareILb0ELb1EiNS0_19identity_decomposerEEEEE10hipError_tT0_T1_T2_jT3_P12ihipStream_tbPNSt15iterator_traitsISI_E10value_typeEPNSO_ISJ_E10value_typeEPSK_NS1_7vsmem_tEENKUlT_SI_SJ_SK_E_clIPiSD_S10_SD_EESH_SX_SI_SJ_SK_EUlSX_E1_NS1_11comp_targetILNS1_3genE9ELNS1_11target_archE1100ELNS1_3gpuE3ELNS1_3repE0EEENS1_36merge_oddeven_config_static_selectorELNS0_4arch9wavefront6targetE0EEEvSJ_.num_vgpr, 0
	.set _ZN7rocprim17ROCPRIM_400000_NS6detail17trampoline_kernelINS0_14default_configENS1_38merge_sort_block_merge_config_selectorIiiEEZZNS1_27merge_sort_block_merge_implIS3_N6thrust23THRUST_200600_302600_NS6detail15normal_iteratorINS8_10device_ptrIiEEEESD_jNS1_19radix_merge_compareILb0ELb1EiNS0_19identity_decomposerEEEEE10hipError_tT0_T1_T2_jT3_P12ihipStream_tbPNSt15iterator_traitsISI_E10value_typeEPNSO_ISJ_E10value_typeEPSK_NS1_7vsmem_tEENKUlT_SI_SJ_SK_E_clIPiSD_S10_SD_EESH_SX_SI_SJ_SK_EUlSX_E1_NS1_11comp_targetILNS1_3genE9ELNS1_11target_archE1100ELNS1_3gpuE3ELNS1_3repE0EEENS1_36merge_oddeven_config_static_selectorELNS0_4arch9wavefront6targetE0EEEvSJ_.num_agpr, 0
	.set _ZN7rocprim17ROCPRIM_400000_NS6detail17trampoline_kernelINS0_14default_configENS1_38merge_sort_block_merge_config_selectorIiiEEZZNS1_27merge_sort_block_merge_implIS3_N6thrust23THRUST_200600_302600_NS6detail15normal_iteratorINS8_10device_ptrIiEEEESD_jNS1_19radix_merge_compareILb0ELb1EiNS0_19identity_decomposerEEEEE10hipError_tT0_T1_T2_jT3_P12ihipStream_tbPNSt15iterator_traitsISI_E10value_typeEPNSO_ISJ_E10value_typeEPSK_NS1_7vsmem_tEENKUlT_SI_SJ_SK_E_clIPiSD_S10_SD_EESH_SX_SI_SJ_SK_EUlSX_E1_NS1_11comp_targetILNS1_3genE9ELNS1_11target_archE1100ELNS1_3gpuE3ELNS1_3repE0EEENS1_36merge_oddeven_config_static_selectorELNS0_4arch9wavefront6targetE0EEEvSJ_.numbered_sgpr, 0
	.set _ZN7rocprim17ROCPRIM_400000_NS6detail17trampoline_kernelINS0_14default_configENS1_38merge_sort_block_merge_config_selectorIiiEEZZNS1_27merge_sort_block_merge_implIS3_N6thrust23THRUST_200600_302600_NS6detail15normal_iteratorINS8_10device_ptrIiEEEESD_jNS1_19radix_merge_compareILb0ELb1EiNS0_19identity_decomposerEEEEE10hipError_tT0_T1_T2_jT3_P12ihipStream_tbPNSt15iterator_traitsISI_E10value_typeEPNSO_ISJ_E10value_typeEPSK_NS1_7vsmem_tEENKUlT_SI_SJ_SK_E_clIPiSD_S10_SD_EESH_SX_SI_SJ_SK_EUlSX_E1_NS1_11comp_targetILNS1_3genE9ELNS1_11target_archE1100ELNS1_3gpuE3ELNS1_3repE0EEENS1_36merge_oddeven_config_static_selectorELNS0_4arch9wavefront6targetE0EEEvSJ_.num_named_barrier, 0
	.set _ZN7rocprim17ROCPRIM_400000_NS6detail17trampoline_kernelINS0_14default_configENS1_38merge_sort_block_merge_config_selectorIiiEEZZNS1_27merge_sort_block_merge_implIS3_N6thrust23THRUST_200600_302600_NS6detail15normal_iteratorINS8_10device_ptrIiEEEESD_jNS1_19radix_merge_compareILb0ELb1EiNS0_19identity_decomposerEEEEE10hipError_tT0_T1_T2_jT3_P12ihipStream_tbPNSt15iterator_traitsISI_E10value_typeEPNSO_ISJ_E10value_typeEPSK_NS1_7vsmem_tEENKUlT_SI_SJ_SK_E_clIPiSD_S10_SD_EESH_SX_SI_SJ_SK_EUlSX_E1_NS1_11comp_targetILNS1_3genE9ELNS1_11target_archE1100ELNS1_3gpuE3ELNS1_3repE0EEENS1_36merge_oddeven_config_static_selectorELNS0_4arch9wavefront6targetE0EEEvSJ_.private_seg_size, 0
	.set _ZN7rocprim17ROCPRIM_400000_NS6detail17trampoline_kernelINS0_14default_configENS1_38merge_sort_block_merge_config_selectorIiiEEZZNS1_27merge_sort_block_merge_implIS3_N6thrust23THRUST_200600_302600_NS6detail15normal_iteratorINS8_10device_ptrIiEEEESD_jNS1_19radix_merge_compareILb0ELb1EiNS0_19identity_decomposerEEEEE10hipError_tT0_T1_T2_jT3_P12ihipStream_tbPNSt15iterator_traitsISI_E10value_typeEPNSO_ISJ_E10value_typeEPSK_NS1_7vsmem_tEENKUlT_SI_SJ_SK_E_clIPiSD_S10_SD_EESH_SX_SI_SJ_SK_EUlSX_E1_NS1_11comp_targetILNS1_3genE9ELNS1_11target_archE1100ELNS1_3gpuE3ELNS1_3repE0EEENS1_36merge_oddeven_config_static_selectorELNS0_4arch9wavefront6targetE0EEEvSJ_.uses_vcc, 0
	.set _ZN7rocprim17ROCPRIM_400000_NS6detail17trampoline_kernelINS0_14default_configENS1_38merge_sort_block_merge_config_selectorIiiEEZZNS1_27merge_sort_block_merge_implIS3_N6thrust23THRUST_200600_302600_NS6detail15normal_iteratorINS8_10device_ptrIiEEEESD_jNS1_19radix_merge_compareILb0ELb1EiNS0_19identity_decomposerEEEEE10hipError_tT0_T1_T2_jT3_P12ihipStream_tbPNSt15iterator_traitsISI_E10value_typeEPNSO_ISJ_E10value_typeEPSK_NS1_7vsmem_tEENKUlT_SI_SJ_SK_E_clIPiSD_S10_SD_EESH_SX_SI_SJ_SK_EUlSX_E1_NS1_11comp_targetILNS1_3genE9ELNS1_11target_archE1100ELNS1_3gpuE3ELNS1_3repE0EEENS1_36merge_oddeven_config_static_selectorELNS0_4arch9wavefront6targetE0EEEvSJ_.uses_flat_scratch, 0
	.set _ZN7rocprim17ROCPRIM_400000_NS6detail17trampoline_kernelINS0_14default_configENS1_38merge_sort_block_merge_config_selectorIiiEEZZNS1_27merge_sort_block_merge_implIS3_N6thrust23THRUST_200600_302600_NS6detail15normal_iteratorINS8_10device_ptrIiEEEESD_jNS1_19radix_merge_compareILb0ELb1EiNS0_19identity_decomposerEEEEE10hipError_tT0_T1_T2_jT3_P12ihipStream_tbPNSt15iterator_traitsISI_E10value_typeEPNSO_ISJ_E10value_typeEPSK_NS1_7vsmem_tEENKUlT_SI_SJ_SK_E_clIPiSD_S10_SD_EESH_SX_SI_SJ_SK_EUlSX_E1_NS1_11comp_targetILNS1_3genE9ELNS1_11target_archE1100ELNS1_3gpuE3ELNS1_3repE0EEENS1_36merge_oddeven_config_static_selectorELNS0_4arch9wavefront6targetE0EEEvSJ_.has_dyn_sized_stack, 0
	.set _ZN7rocprim17ROCPRIM_400000_NS6detail17trampoline_kernelINS0_14default_configENS1_38merge_sort_block_merge_config_selectorIiiEEZZNS1_27merge_sort_block_merge_implIS3_N6thrust23THRUST_200600_302600_NS6detail15normal_iteratorINS8_10device_ptrIiEEEESD_jNS1_19radix_merge_compareILb0ELb1EiNS0_19identity_decomposerEEEEE10hipError_tT0_T1_T2_jT3_P12ihipStream_tbPNSt15iterator_traitsISI_E10value_typeEPNSO_ISJ_E10value_typeEPSK_NS1_7vsmem_tEENKUlT_SI_SJ_SK_E_clIPiSD_S10_SD_EESH_SX_SI_SJ_SK_EUlSX_E1_NS1_11comp_targetILNS1_3genE9ELNS1_11target_archE1100ELNS1_3gpuE3ELNS1_3repE0EEENS1_36merge_oddeven_config_static_selectorELNS0_4arch9wavefront6targetE0EEEvSJ_.has_recursion, 0
	.set _ZN7rocprim17ROCPRIM_400000_NS6detail17trampoline_kernelINS0_14default_configENS1_38merge_sort_block_merge_config_selectorIiiEEZZNS1_27merge_sort_block_merge_implIS3_N6thrust23THRUST_200600_302600_NS6detail15normal_iteratorINS8_10device_ptrIiEEEESD_jNS1_19radix_merge_compareILb0ELb1EiNS0_19identity_decomposerEEEEE10hipError_tT0_T1_T2_jT3_P12ihipStream_tbPNSt15iterator_traitsISI_E10value_typeEPNSO_ISJ_E10value_typeEPSK_NS1_7vsmem_tEENKUlT_SI_SJ_SK_E_clIPiSD_S10_SD_EESH_SX_SI_SJ_SK_EUlSX_E1_NS1_11comp_targetILNS1_3genE9ELNS1_11target_archE1100ELNS1_3gpuE3ELNS1_3repE0EEENS1_36merge_oddeven_config_static_selectorELNS0_4arch9wavefront6targetE0EEEvSJ_.has_indirect_call, 0
	.section	.AMDGPU.csdata,"",@progbits
; Kernel info:
; codeLenInByte = 0
; TotalNumSgprs: 0
; NumVgprs: 0
; ScratchSize: 0
; MemoryBound: 0
; FloatMode: 240
; IeeeMode: 1
; LDSByteSize: 0 bytes/workgroup (compile time only)
; SGPRBlocks: 0
; VGPRBlocks: 0
; NumSGPRsForWavesPerEU: 1
; NumVGPRsForWavesPerEU: 1
; Occupancy: 16
; WaveLimiterHint : 0
; COMPUTE_PGM_RSRC2:SCRATCH_EN: 0
; COMPUTE_PGM_RSRC2:USER_SGPR: 6
; COMPUTE_PGM_RSRC2:TRAP_HANDLER: 0
; COMPUTE_PGM_RSRC2:TGID_X_EN: 1
; COMPUTE_PGM_RSRC2:TGID_Y_EN: 0
; COMPUTE_PGM_RSRC2:TGID_Z_EN: 0
; COMPUTE_PGM_RSRC2:TIDIG_COMP_CNT: 0
	.section	.text._ZN7rocprim17ROCPRIM_400000_NS6detail17trampoline_kernelINS0_14default_configENS1_38merge_sort_block_merge_config_selectorIiiEEZZNS1_27merge_sort_block_merge_implIS3_N6thrust23THRUST_200600_302600_NS6detail15normal_iteratorINS8_10device_ptrIiEEEESD_jNS1_19radix_merge_compareILb0ELb1EiNS0_19identity_decomposerEEEEE10hipError_tT0_T1_T2_jT3_P12ihipStream_tbPNSt15iterator_traitsISI_E10value_typeEPNSO_ISJ_E10value_typeEPSK_NS1_7vsmem_tEENKUlT_SI_SJ_SK_E_clIPiSD_S10_SD_EESH_SX_SI_SJ_SK_EUlSX_E1_NS1_11comp_targetILNS1_3genE8ELNS1_11target_archE1030ELNS1_3gpuE2ELNS1_3repE0EEENS1_36merge_oddeven_config_static_selectorELNS0_4arch9wavefront6targetE0EEEvSJ_,"axG",@progbits,_ZN7rocprim17ROCPRIM_400000_NS6detail17trampoline_kernelINS0_14default_configENS1_38merge_sort_block_merge_config_selectorIiiEEZZNS1_27merge_sort_block_merge_implIS3_N6thrust23THRUST_200600_302600_NS6detail15normal_iteratorINS8_10device_ptrIiEEEESD_jNS1_19radix_merge_compareILb0ELb1EiNS0_19identity_decomposerEEEEE10hipError_tT0_T1_T2_jT3_P12ihipStream_tbPNSt15iterator_traitsISI_E10value_typeEPNSO_ISJ_E10value_typeEPSK_NS1_7vsmem_tEENKUlT_SI_SJ_SK_E_clIPiSD_S10_SD_EESH_SX_SI_SJ_SK_EUlSX_E1_NS1_11comp_targetILNS1_3genE8ELNS1_11target_archE1030ELNS1_3gpuE2ELNS1_3repE0EEENS1_36merge_oddeven_config_static_selectorELNS0_4arch9wavefront6targetE0EEEvSJ_,comdat
	.protected	_ZN7rocprim17ROCPRIM_400000_NS6detail17trampoline_kernelINS0_14default_configENS1_38merge_sort_block_merge_config_selectorIiiEEZZNS1_27merge_sort_block_merge_implIS3_N6thrust23THRUST_200600_302600_NS6detail15normal_iteratorINS8_10device_ptrIiEEEESD_jNS1_19radix_merge_compareILb0ELb1EiNS0_19identity_decomposerEEEEE10hipError_tT0_T1_T2_jT3_P12ihipStream_tbPNSt15iterator_traitsISI_E10value_typeEPNSO_ISJ_E10value_typeEPSK_NS1_7vsmem_tEENKUlT_SI_SJ_SK_E_clIPiSD_S10_SD_EESH_SX_SI_SJ_SK_EUlSX_E1_NS1_11comp_targetILNS1_3genE8ELNS1_11target_archE1030ELNS1_3gpuE2ELNS1_3repE0EEENS1_36merge_oddeven_config_static_selectorELNS0_4arch9wavefront6targetE0EEEvSJ_ ; -- Begin function _ZN7rocprim17ROCPRIM_400000_NS6detail17trampoline_kernelINS0_14default_configENS1_38merge_sort_block_merge_config_selectorIiiEEZZNS1_27merge_sort_block_merge_implIS3_N6thrust23THRUST_200600_302600_NS6detail15normal_iteratorINS8_10device_ptrIiEEEESD_jNS1_19radix_merge_compareILb0ELb1EiNS0_19identity_decomposerEEEEE10hipError_tT0_T1_T2_jT3_P12ihipStream_tbPNSt15iterator_traitsISI_E10value_typeEPNSO_ISJ_E10value_typeEPSK_NS1_7vsmem_tEENKUlT_SI_SJ_SK_E_clIPiSD_S10_SD_EESH_SX_SI_SJ_SK_EUlSX_E1_NS1_11comp_targetILNS1_3genE8ELNS1_11target_archE1030ELNS1_3gpuE2ELNS1_3repE0EEENS1_36merge_oddeven_config_static_selectorELNS0_4arch9wavefront6targetE0EEEvSJ_
	.globl	_ZN7rocprim17ROCPRIM_400000_NS6detail17trampoline_kernelINS0_14default_configENS1_38merge_sort_block_merge_config_selectorIiiEEZZNS1_27merge_sort_block_merge_implIS3_N6thrust23THRUST_200600_302600_NS6detail15normal_iteratorINS8_10device_ptrIiEEEESD_jNS1_19radix_merge_compareILb0ELb1EiNS0_19identity_decomposerEEEEE10hipError_tT0_T1_T2_jT3_P12ihipStream_tbPNSt15iterator_traitsISI_E10value_typeEPNSO_ISJ_E10value_typeEPSK_NS1_7vsmem_tEENKUlT_SI_SJ_SK_E_clIPiSD_S10_SD_EESH_SX_SI_SJ_SK_EUlSX_E1_NS1_11comp_targetILNS1_3genE8ELNS1_11target_archE1030ELNS1_3gpuE2ELNS1_3repE0EEENS1_36merge_oddeven_config_static_selectorELNS0_4arch9wavefront6targetE0EEEvSJ_
	.p2align	8
	.type	_ZN7rocprim17ROCPRIM_400000_NS6detail17trampoline_kernelINS0_14default_configENS1_38merge_sort_block_merge_config_selectorIiiEEZZNS1_27merge_sort_block_merge_implIS3_N6thrust23THRUST_200600_302600_NS6detail15normal_iteratorINS8_10device_ptrIiEEEESD_jNS1_19radix_merge_compareILb0ELb1EiNS0_19identity_decomposerEEEEE10hipError_tT0_T1_T2_jT3_P12ihipStream_tbPNSt15iterator_traitsISI_E10value_typeEPNSO_ISJ_E10value_typeEPSK_NS1_7vsmem_tEENKUlT_SI_SJ_SK_E_clIPiSD_S10_SD_EESH_SX_SI_SJ_SK_EUlSX_E1_NS1_11comp_targetILNS1_3genE8ELNS1_11target_archE1030ELNS1_3gpuE2ELNS1_3repE0EEENS1_36merge_oddeven_config_static_selectorELNS0_4arch9wavefront6targetE0EEEvSJ_,@function
_ZN7rocprim17ROCPRIM_400000_NS6detail17trampoline_kernelINS0_14default_configENS1_38merge_sort_block_merge_config_selectorIiiEEZZNS1_27merge_sort_block_merge_implIS3_N6thrust23THRUST_200600_302600_NS6detail15normal_iteratorINS8_10device_ptrIiEEEESD_jNS1_19radix_merge_compareILb0ELb1EiNS0_19identity_decomposerEEEEE10hipError_tT0_T1_T2_jT3_P12ihipStream_tbPNSt15iterator_traitsISI_E10value_typeEPNSO_ISJ_E10value_typeEPSK_NS1_7vsmem_tEENKUlT_SI_SJ_SK_E_clIPiSD_S10_SD_EESH_SX_SI_SJ_SK_EUlSX_E1_NS1_11comp_targetILNS1_3genE8ELNS1_11target_archE1030ELNS1_3gpuE2ELNS1_3repE0EEENS1_36merge_oddeven_config_static_selectorELNS0_4arch9wavefront6targetE0EEEvSJ_: ; @_ZN7rocprim17ROCPRIM_400000_NS6detail17trampoline_kernelINS0_14default_configENS1_38merge_sort_block_merge_config_selectorIiiEEZZNS1_27merge_sort_block_merge_implIS3_N6thrust23THRUST_200600_302600_NS6detail15normal_iteratorINS8_10device_ptrIiEEEESD_jNS1_19radix_merge_compareILb0ELb1EiNS0_19identity_decomposerEEEEE10hipError_tT0_T1_T2_jT3_P12ihipStream_tbPNSt15iterator_traitsISI_E10value_typeEPNSO_ISJ_E10value_typeEPSK_NS1_7vsmem_tEENKUlT_SI_SJ_SK_E_clIPiSD_S10_SD_EESH_SX_SI_SJ_SK_EUlSX_E1_NS1_11comp_targetILNS1_3genE8ELNS1_11target_archE1030ELNS1_3gpuE2ELNS1_3repE0EEENS1_36merge_oddeven_config_static_selectorELNS0_4arch9wavefront6targetE0EEEvSJ_
; %bb.0:
	s_load_dword s16, s[4:5], 0x20
	s_waitcnt lgkmcnt(0)
	s_lshr_b32 s0, s16, 8
	s_cmp_eq_u32 s6, s0
	s_cselect_b32 s7, -1, 0
	s_cmp_lg_u32 s6, s0
	s_cselect_b32 s0, -1, 0
	s_lshl_b32 s2, s6, 8
	s_sub_i32 s1, s16, s2
	v_cmp_gt_u32_e64 s1, s1, v0
	s_or_b32 s0, s0, s1
	s_and_saveexec_b32 s3, s0
	s_cbranch_execz .LBB779_24
; %bb.1:
	s_load_dwordx8 s[8:15], s[4:5], 0x0
	s_mov_b32 s3, 0
	v_lshlrev_b32_e32 v1, 2, v0
	s_lshl_b64 s[18:19], s[2:3], 2
	v_add_nc_u32_e32 v0, s2, v0
	s_mov_b32 s2, -1
	s_waitcnt lgkmcnt(0)
	s_add_u32 s20, s8, s18
	s_addc_u32 s21, s9, s19
	s_add_u32 s12, s12, s18
	s_addc_u32 s13, s13, s19
	s_clause 0x1
	global_load_dword v2, v1, s[12:13]
	global_load_dword v3, v1, s[20:21]
	s_load_dword s12, s[4:5], 0x24
	s_waitcnt lgkmcnt(0)
	s_lshr_b32 s0, s12, 8
	s_sub_i32 s3, 0, s0
	s_and_b32 s3, s6, s3
	s_and_b32 s0, s3, s0
	s_lshl_b32 s6, s3, 8
	s_sub_i32 s3, 0, s12
	s_cmp_eq_u32 s0, 0
	s_cselect_b32 s0, -1, 0
	s_and_b32 s13, s0, exec_lo
	s_cselect_b32 s3, s12, s3
	s_add_i32 s3, s3, s6
	s_cmp_gt_u32 s16, s3
	s_cbranch_scc1 .LBB779_9
; %bb.2:
	s_and_b32 vcc_lo, exec_lo, s7
	s_cbranch_vccz .LBB779_6
; %bb.3:
	s_mov_b32 s2, exec_lo
	v_cmpx_gt_u32_e64 s16, v0
	s_cbranch_execz .LBB779_5
; %bb.4:
	v_mov_b32_e32 v1, 0
	v_lshlrev_b64 v[4:5], 2, v[0:1]
	v_add_co_u32 v6, vcc_lo, s10, v4
	v_add_co_ci_u32_e64 v7, null, s11, v5, vcc_lo
	v_add_co_u32 v4, vcc_lo, s14, v4
	v_add_co_ci_u32_e64 v5, null, s15, v5, vcc_lo
	s_waitcnt vmcnt(0)
	global_store_dword v[6:7], v3, off
	global_store_dword v[4:5], v2, off
.LBB779_5:
	s_or_b32 exec_lo, exec_lo, s2
	s_mov_b32 s2, 0
.LBB779_6:
	s_andn2_b32 vcc_lo, exec_lo, s2
	s_cbranch_vccnz .LBB779_8
; %bb.7:
	v_mov_b32_e32 v1, 0
	v_lshlrev_b64 v[4:5], 2, v[0:1]
	v_add_co_u32 v6, vcc_lo, s10, v4
	v_add_co_ci_u32_e64 v7, null, s11, v5, vcc_lo
	v_add_co_u32 v4, vcc_lo, s14, v4
	v_add_co_ci_u32_e64 v5, null, s15, v5, vcc_lo
	s_waitcnt vmcnt(0)
	global_store_dword v[6:7], v3, off
	global_store_dword v[4:5], v2, off
.LBB779_8:
	s_mov_b32 s2, 0
.LBB779_9:
	s_andn2_b32 vcc_lo, exec_lo, s2
	s_cbranch_vccnz .LBB779_24
; %bb.10:
	s_load_dword s2, s[4:5], 0x28
	s_min_u32 s4, s3, s16
	s_and_b32 vcc_lo, exec_lo, s7
	s_add_i32 s5, s6, s4
	s_min_u32 s6, s6, s4
	v_subrev_nc_u32_e32 v0, s5, v0
	s_add_i32 s5, s4, s12
	s_min_u32 s5, s5, s16
	v_add_nc_u32_e32 v4, s6, v0
	s_mov_b32 s6, -1
	s_waitcnt vmcnt(0) lgkmcnt(0)
	v_and_b32_e32 v5, s2, v3
	s_cbranch_vccz .LBB779_18
; %bb.11:
	s_and_saveexec_b32 s6, s1
	s_cbranch_execz .LBB779_17
; %bb.12:
	v_mov_b32_e32 v6, s4
	s_cmp_ge_u32 s3, s5
	s_cbranch_scc1 .LBB779_16
; %bb.13:
	v_mov_b32_e32 v7, s5
	v_mov_b32_e32 v6, s4
	v_mov_b32_e32 v1, 0
	s_mov_b32 s1, 0
	.p2align	6
.LBB779_14:                             ; =>This Inner Loop Header: Depth=1
	v_add_nc_u32_e32 v0, v6, v7
	v_lshrrev_b32_e32 v0, 1, v0
	v_lshlrev_b64 v[8:9], 2, v[0:1]
	v_add_co_u32 v8, vcc_lo, s8, v8
	v_add_co_ci_u32_e64 v9, null, s9, v9, vcc_lo
	global_load_dword v8, v[8:9], off
	s_waitcnt vmcnt(0)
	v_and_b32_e32 v8, s2, v8
	v_cmp_gt_i32_e32 vcc_lo, v5, v8
	v_cndmask_b32_e64 v9, 0, 1, vcc_lo
	v_cmp_le_i32_e32 vcc_lo, v8, v5
	v_cndmask_b32_e64 v8, 0, 1, vcc_lo
	v_cndmask_b32_e64 v8, v8, v9, s0
	v_add_nc_u32_e32 v9, 1, v0
	v_and_b32_e32 v8, 1, v8
	v_cmp_eq_u32_e32 vcc_lo, 1, v8
	v_cndmask_b32_e32 v7, v0, v7, vcc_lo
	v_cndmask_b32_e32 v6, v6, v9, vcc_lo
	v_cmp_ge_u32_e32 vcc_lo, v6, v7
	s_or_b32 s1, vcc_lo, s1
	s_andn2_b32 exec_lo, exec_lo, s1
	s_cbranch_execnz .LBB779_14
; %bb.15:
	s_or_b32 exec_lo, exec_lo, s1
.LBB779_16:
	v_add_nc_u32_e32 v0, v6, v4
	v_mov_b32_e32 v1, 0
	v_lshlrev_b64 v[0:1], 2, v[0:1]
	v_add_co_u32 v6, vcc_lo, s10, v0
	v_add_co_ci_u32_e64 v7, null, s11, v1, vcc_lo
	v_add_co_u32 v0, vcc_lo, s14, v0
	v_add_co_ci_u32_e64 v1, null, s15, v1, vcc_lo
	global_store_dword v[6:7], v3, off
	global_store_dword v[0:1], v2, off
.LBB779_17:
	s_or_b32 exec_lo, exec_lo, s6
	s_mov_b32 s6, 0
.LBB779_18:
	s_andn2_b32 vcc_lo, exec_lo, s6
	s_cbranch_vccnz .LBB779_24
; %bb.19:
	v_mov_b32_e32 v6, s4
	s_cmp_ge_u32 s3, s5
	s_cbranch_scc1 .LBB779_23
; %bb.20:
	v_mov_b32_e32 v7, s5
	v_mov_b32_e32 v6, s4
	;; [unrolled: 1-line block ×3, first 2 shown]
	s_mov_b32 s1, 0
	.p2align	6
.LBB779_21:                             ; =>This Inner Loop Header: Depth=1
	v_add_nc_u32_e32 v0, v6, v7
	v_lshrrev_b32_e32 v0, 1, v0
	v_lshlrev_b64 v[8:9], 2, v[0:1]
	v_add_co_u32 v8, vcc_lo, s8, v8
	v_add_co_ci_u32_e64 v9, null, s9, v9, vcc_lo
	global_load_dword v8, v[8:9], off
	s_waitcnt vmcnt(0)
	v_and_b32_e32 v8, s2, v8
	v_cmp_gt_i32_e32 vcc_lo, v5, v8
	v_cndmask_b32_e64 v9, 0, 1, vcc_lo
	v_cmp_le_i32_e32 vcc_lo, v8, v5
	v_cndmask_b32_e64 v8, 0, 1, vcc_lo
	v_cndmask_b32_e64 v8, v8, v9, s0
	v_add_nc_u32_e32 v9, 1, v0
	v_and_b32_e32 v8, 1, v8
	v_cmp_eq_u32_e32 vcc_lo, 1, v8
	v_cndmask_b32_e32 v7, v0, v7, vcc_lo
	v_cndmask_b32_e32 v6, v6, v9, vcc_lo
	v_cmp_ge_u32_e32 vcc_lo, v6, v7
	s_or_b32 s1, vcc_lo, s1
	s_andn2_b32 exec_lo, exec_lo, s1
	s_cbranch_execnz .LBB779_21
; %bb.22:
	s_or_b32 exec_lo, exec_lo, s1
.LBB779_23:
	v_add_nc_u32_e32 v0, v6, v4
	v_mov_b32_e32 v1, 0
	v_lshlrev_b64 v[0:1], 2, v[0:1]
	v_add_co_u32 v4, vcc_lo, s10, v0
	v_add_co_ci_u32_e64 v5, null, s11, v1, vcc_lo
	v_add_co_u32 v0, vcc_lo, s14, v0
	v_add_co_ci_u32_e64 v1, null, s15, v1, vcc_lo
	global_store_dword v[4:5], v3, off
	global_store_dword v[0:1], v2, off
.LBB779_24:
	s_endpgm
	.section	.rodata,"a",@progbits
	.p2align	6, 0x0
	.amdhsa_kernel _ZN7rocprim17ROCPRIM_400000_NS6detail17trampoline_kernelINS0_14default_configENS1_38merge_sort_block_merge_config_selectorIiiEEZZNS1_27merge_sort_block_merge_implIS3_N6thrust23THRUST_200600_302600_NS6detail15normal_iteratorINS8_10device_ptrIiEEEESD_jNS1_19radix_merge_compareILb0ELb1EiNS0_19identity_decomposerEEEEE10hipError_tT0_T1_T2_jT3_P12ihipStream_tbPNSt15iterator_traitsISI_E10value_typeEPNSO_ISJ_E10value_typeEPSK_NS1_7vsmem_tEENKUlT_SI_SJ_SK_E_clIPiSD_S10_SD_EESH_SX_SI_SJ_SK_EUlSX_E1_NS1_11comp_targetILNS1_3genE8ELNS1_11target_archE1030ELNS1_3gpuE2ELNS1_3repE0EEENS1_36merge_oddeven_config_static_selectorELNS0_4arch9wavefront6targetE0EEEvSJ_
		.amdhsa_group_segment_fixed_size 0
		.amdhsa_private_segment_fixed_size 0
		.amdhsa_kernarg_size 48
		.amdhsa_user_sgpr_count 6
		.amdhsa_user_sgpr_private_segment_buffer 1
		.amdhsa_user_sgpr_dispatch_ptr 0
		.amdhsa_user_sgpr_queue_ptr 0
		.amdhsa_user_sgpr_kernarg_segment_ptr 1
		.amdhsa_user_sgpr_dispatch_id 0
		.amdhsa_user_sgpr_flat_scratch_init 0
		.amdhsa_user_sgpr_private_segment_size 0
		.amdhsa_wavefront_size32 1
		.amdhsa_uses_dynamic_stack 0
		.amdhsa_system_sgpr_private_segment_wavefront_offset 0
		.amdhsa_system_sgpr_workgroup_id_x 1
		.amdhsa_system_sgpr_workgroup_id_y 0
		.amdhsa_system_sgpr_workgroup_id_z 0
		.amdhsa_system_sgpr_workgroup_info 0
		.amdhsa_system_vgpr_workitem_id 0
		.amdhsa_next_free_vgpr 10
		.amdhsa_next_free_sgpr 22
		.amdhsa_reserve_vcc 1
		.amdhsa_reserve_flat_scratch 0
		.amdhsa_float_round_mode_32 0
		.amdhsa_float_round_mode_16_64 0
		.amdhsa_float_denorm_mode_32 3
		.amdhsa_float_denorm_mode_16_64 3
		.amdhsa_dx10_clamp 1
		.amdhsa_ieee_mode 1
		.amdhsa_fp16_overflow 0
		.amdhsa_workgroup_processor_mode 1
		.amdhsa_memory_ordered 1
		.amdhsa_forward_progress 1
		.amdhsa_shared_vgpr_count 0
		.amdhsa_exception_fp_ieee_invalid_op 0
		.amdhsa_exception_fp_denorm_src 0
		.amdhsa_exception_fp_ieee_div_zero 0
		.amdhsa_exception_fp_ieee_overflow 0
		.amdhsa_exception_fp_ieee_underflow 0
		.amdhsa_exception_fp_ieee_inexact 0
		.amdhsa_exception_int_div_zero 0
	.end_amdhsa_kernel
	.section	.text._ZN7rocprim17ROCPRIM_400000_NS6detail17trampoline_kernelINS0_14default_configENS1_38merge_sort_block_merge_config_selectorIiiEEZZNS1_27merge_sort_block_merge_implIS3_N6thrust23THRUST_200600_302600_NS6detail15normal_iteratorINS8_10device_ptrIiEEEESD_jNS1_19radix_merge_compareILb0ELb1EiNS0_19identity_decomposerEEEEE10hipError_tT0_T1_T2_jT3_P12ihipStream_tbPNSt15iterator_traitsISI_E10value_typeEPNSO_ISJ_E10value_typeEPSK_NS1_7vsmem_tEENKUlT_SI_SJ_SK_E_clIPiSD_S10_SD_EESH_SX_SI_SJ_SK_EUlSX_E1_NS1_11comp_targetILNS1_3genE8ELNS1_11target_archE1030ELNS1_3gpuE2ELNS1_3repE0EEENS1_36merge_oddeven_config_static_selectorELNS0_4arch9wavefront6targetE0EEEvSJ_,"axG",@progbits,_ZN7rocprim17ROCPRIM_400000_NS6detail17trampoline_kernelINS0_14default_configENS1_38merge_sort_block_merge_config_selectorIiiEEZZNS1_27merge_sort_block_merge_implIS3_N6thrust23THRUST_200600_302600_NS6detail15normal_iteratorINS8_10device_ptrIiEEEESD_jNS1_19radix_merge_compareILb0ELb1EiNS0_19identity_decomposerEEEEE10hipError_tT0_T1_T2_jT3_P12ihipStream_tbPNSt15iterator_traitsISI_E10value_typeEPNSO_ISJ_E10value_typeEPSK_NS1_7vsmem_tEENKUlT_SI_SJ_SK_E_clIPiSD_S10_SD_EESH_SX_SI_SJ_SK_EUlSX_E1_NS1_11comp_targetILNS1_3genE8ELNS1_11target_archE1030ELNS1_3gpuE2ELNS1_3repE0EEENS1_36merge_oddeven_config_static_selectorELNS0_4arch9wavefront6targetE0EEEvSJ_,comdat
.Lfunc_end779:
	.size	_ZN7rocprim17ROCPRIM_400000_NS6detail17trampoline_kernelINS0_14default_configENS1_38merge_sort_block_merge_config_selectorIiiEEZZNS1_27merge_sort_block_merge_implIS3_N6thrust23THRUST_200600_302600_NS6detail15normal_iteratorINS8_10device_ptrIiEEEESD_jNS1_19radix_merge_compareILb0ELb1EiNS0_19identity_decomposerEEEEE10hipError_tT0_T1_T2_jT3_P12ihipStream_tbPNSt15iterator_traitsISI_E10value_typeEPNSO_ISJ_E10value_typeEPSK_NS1_7vsmem_tEENKUlT_SI_SJ_SK_E_clIPiSD_S10_SD_EESH_SX_SI_SJ_SK_EUlSX_E1_NS1_11comp_targetILNS1_3genE8ELNS1_11target_archE1030ELNS1_3gpuE2ELNS1_3repE0EEENS1_36merge_oddeven_config_static_selectorELNS0_4arch9wavefront6targetE0EEEvSJ_, .Lfunc_end779-_ZN7rocprim17ROCPRIM_400000_NS6detail17trampoline_kernelINS0_14default_configENS1_38merge_sort_block_merge_config_selectorIiiEEZZNS1_27merge_sort_block_merge_implIS3_N6thrust23THRUST_200600_302600_NS6detail15normal_iteratorINS8_10device_ptrIiEEEESD_jNS1_19radix_merge_compareILb0ELb1EiNS0_19identity_decomposerEEEEE10hipError_tT0_T1_T2_jT3_P12ihipStream_tbPNSt15iterator_traitsISI_E10value_typeEPNSO_ISJ_E10value_typeEPSK_NS1_7vsmem_tEENKUlT_SI_SJ_SK_E_clIPiSD_S10_SD_EESH_SX_SI_SJ_SK_EUlSX_E1_NS1_11comp_targetILNS1_3genE8ELNS1_11target_archE1030ELNS1_3gpuE2ELNS1_3repE0EEENS1_36merge_oddeven_config_static_selectorELNS0_4arch9wavefront6targetE0EEEvSJ_
                                        ; -- End function
	.set _ZN7rocprim17ROCPRIM_400000_NS6detail17trampoline_kernelINS0_14default_configENS1_38merge_sort_block_merge_config_selectorIiiEEZZNS1_27merge_sort_block_merge_implIS3_N6thrust23THRUST_200600_302600_NS6detail15normal_iteratorINS8_10device_ptrIiEEEESD_jNS1_19radix_merge_compareILb0ELb1EiNS0_19identity_decomposerEEEEE10hipError_tT0_T1_T2_jT3_P12ihipStream_tbPNSt15iterator_traitsISI_E10value_typeEPNSO_ISJ_E10value_typeEPSK_NS1_7vsmem_tEENKUlT_SI_SJ_SK_E_clIPiSD_S10_SD_EESH_SX_SI_SJ_SK_EUlSX_E1_NS1_11comp_targetILNS1_3genE8ELNS1_11target_archE1030ELNS1_3gpuE2ELNS1_3repE0EEENS1_36merge_oddeven_config_static_selectorELNS0_4arch9wavefront6targetE0EEEvSJ_.num_vgpr, 10
	.set _ZN7rocprim17ROCPRIM_400000_NS6detail17trampoline_kernelINS0_14default_configENS1_38merge_sort_block_merge_config_selectorIiiEEZZNS1_27merge_sort_block_merge_implIS3_N6thrust23THRUST_200600_302600_NS6detail15normal_iteratorINS8_10device_ptrIiEEEESD_jNS1_19radix_merge_compareILb0ELb1EiNS0_19identity_decomposerEEEEE10hipError_tT0_T1_T2_jT3_P12ihipStream_tbPNSt15iterator_traitsISI_E10value_typeEPNSO_ISJ_E10value_typeEPSK_NS1_7vsmem_tEENKUlT_SI_SJ_SK_E_clIPiSD_S10_SD_EESH_SX_SI_SJ_SK_EUlSX_E1_NS1_11comp_targetILNS1_3genE8ELNS1_11target_archE1030ELNS1_3gpuE2ELNS1_3repE0EEENS1_36merge_oddeven_config_static_selectorELNS0_4arch9wavefront6targetE0EEEvSJ_.num_agpr, 0
	.set _ZN7rocprim17ROCPRIM_400000_NS6detail17trampoline_kernelINS0_14default_configENS1_38merge_sort_block_merge_config_selectorIiiEEZZNS1_27merge_sort_block_merge_implIS3_N6thrust23THRUST_200600_302600_NS6detail15normal_iteratorINS8_10device_ptrIiEEEESD_jNS1_19radix_merge_compareILb0ELb1EiNS0_19identity_decomposerEEEEE10hipError_tT0_T1_T2_jT3_P12ihipStream_tbPNSt15iterator_traitsISI_E10value_typeEPNSO_ISJ_E10value_typeEPSK_NS1_7vsmem_tEENKUlT_SI_SJ_SK_E_clIPiSD_S10_SD_EESH_SX_SI_SJ_SK_EUlSX_E1_NS1_11comp_targetILNS1_3genE8ELNS1_11target_archE1030ELNS1_3gpuE2ELNS1_3repE0EEENS1_36merge_oddeven_config_static_selectorELNS0_4arch9wavefront6targetE0EEEvSJ_.numbered_sgpr, 22
	.set _ZN7rocprim17ROCPRIM_400000_NS6detail17trampoline_kernelINS0_14default_configENS1_38merge_sort_block_merge_config_selectorIiiEEZZNS1_27merge_sort_block_merge_implIS3_N6thrust23THRUST_200600_302600_NS6detail15normal_iteratorINS8_10device_ptrIiEEEESD_jNS1_19radix_merge_compareILb0ELb1EiNS0_19identity_decomposerEEEEE10hipError_tT0_T1_T2_jT3_P12ihipStream_tbPNSt15iterator_traitsISI_E10value_typeEPNSO_ISJ_E10value_typeEPSK_NS1_7vsmem_tEENKUlT_SI_SJ_SK_E_clIPiSD_S10_SD_EESH_SX_SI_SJ_SK_EUlSX_E1_NS1_11comp_targetILNS1_3genE8ELNS1_11target_archE1030ELNS1_3gpuE2ELNS1_3repE0EEENS1_36merge_oddeven_config_static_selectorELNS0_4arch9wavefront6targetE0EEEvSJ_.num_named_barrier, 0
	.set _ZN7rocprim17ROCPRIM_400000_NS6detail17trampoline_kernelINS0_14default_configENS1_38merge_sort_block_merge_config_selectorIiiEEZZNS1_27merge_sort_block_merge_implIS3_N6thrust23THRUST_200600_302600_NS6detail15normal_iteratorINS8_10device_ptrIiEEEESD_jNS1_19radix_merge_compareILb0ELb1EiNS0_19identity_decomposerEEEEE10hipError_tT0_T1_T2_jT3_P12ihipStream_tbPNSt15iterator_traitsISI_E10value_typeEPNSO_ISJ_E10value_typeEPSK_NS1_7vsmem_tEENKUlT_SI_SJ_SK_E_clIPiSD_S10_SD_EESH_SX_SI_SJ_SK_EUlSX_E1_NS1_11comp_targetILNS1_3genE8ELNS1_11target_archE1030ELNS1_3gpuE2ELNS1_3repE0EEENS1_36merge_oddeven_config_static_selectorELNS0_4arch9wavefront6targetE0EEEvSJ_.private_seg_size, 0
	.set _ZN7rocprim17ROCPRIM_400000_NS6detail17trampoline_kernelINS0_14default_configENS1_38merge_sort_block_merge_config_selectorIiiEEZZNS1_27merge_sort_block_merge_implIS3_N6thrust23THRUST_200600_302600_NS6detail15normal_iteratorINS8_10device_ptrIiEEEESD_jNS1_19radix_merge_compareILb0ELb1EiNS0_19identity_decomposerEEEEE10hipError_tT0_T1_T2_jT3_P12ihipStream_tbPNSt15iterator_traitsISI_E10value_typeEPNSO_ISJ_E10value_typeEPSK_NS1_7vsmem_tEENKUlT_SI_SJ_SK_E_clIPiSD_S10_SD_EESH_SX_SI_SJ_SK_EUlSX_E1_NS1_11comp_targetILNS1_3genE8ELNS1_11target_archE1030ELNS1_3gpuE2ELNS1_3repE0EEENS1_36merge_oddeven_config_static_selectorELNS0_4arch9wavefront6targetE0EEEvSJ_.uses_vcc, 1
	.set _ZN7rocprim17ROCPRIM_400000_NS6detail17trampoline_kernelINS0_14default_configENS1_38merge_sort_block_merge_config_selectorIiiEEZZNS1_27merge_sort_block_merge_implIS3_N6thrust23THRUST_200600_302600_NS6detail15normal_iteratorINS8_10device_ptrIiEEEESD_jNS1_19radix_merge_compareILb0ELb1EiNS0_19identity_decomposerEEEEE10hipError_tT0_T1_T2_jT3_P12ihipStream_tbPNSt15iterator_traitsISI_E10value_typeEPNSO_ISJ_E10value_typeEPSK_NS1_7vsmem_tEENKUlT_SI_SJ_SK_E_clIPiSD_S10_SD_EESH_SX_SI_SJ_SK_EUlSX_E1_NS1_11comp_targetILNS1_3genE8ELNS1_11target_archE1030ELNS1_3gpuE2ELNS1_3repE0EEENS1_36merge_oddeven_config_static_selectorELNS0_4arch9wavefront6targetE0EEEvSJ_.uses_flat_scratch, 0
	.set _ZN7rocprim17ROCPRIM_400000_NS6detail17trampoline_kernelINS0_14default_configENS1_38merge_sort_block_merge_config_selectorIiiEEZZNS1_27merge_sort_block_merge_implIS3_N6thrust23THRUST_200600_302600_NS6detail15normal_iteratorINS8_10device_ptrIiEEEESD_jNS1_19radix_merge_compareILb0ELb1EiNS0_19identity_decomposerEEEEE10hipError_tT0_T1_T2_jT3_P12ihipStream_tbPNSt15iterator_traitsISI_E10value_typeEPNSO_ISJ_E10value_typeEPSK_NS1_7vsmem_tEENKUlT_SI_SJ_SK_E_clIPiSD_S10_SD_EESH_SX_SI_SJ_SK_EUlSX_E1_NS1_11comp_targetILNS1_3genE8ELNS1_11target_archE1030ELNS1_3gpuE2ELNS1_3repE0EEENS1_36merge_oddeven_config_static_selectorELNS0_4arch9wavefront6targetE0EEEvSJ_.has_dyn_sized_stack, 0
	.set _ZN7rocprim17ROCPRIM_400000_NS6detail17trampoline_kernelINS0_14default_configENS1_38merge_sort_block_merge_config_selectorIiiEEZZNS1_27merge_sort_block_merge_implIS3_N6thrust23THRUST_200600_302600_NS6detail15normal_iteratorINS8_10device_ptrIiEEEESD_jNS1_19radix_merge_compareILb0ELb1EiNS0_19identity_decomposerEEEEE10hipError_tT0_T1_T2_jT3_P12ihipStream_tbPNSt15iterator_traitsISI_E10value_typeEPNSO_ISJ_E10value_typeEPSK_NS1_7vsmem_tEENKUlT_SI_SJ_SK_E_clIPiSD_S10_SD_EESH_SX_SI_SJ_SK_EUlSX_E1_NS1_11comp_targetILNS1_3genE8ELNS1_11target_archE1030ELNS1_3gpuE2ELNS1_3repE0EEENS1_36merge_oddeven_config_static_selectorELNS0_4arch9wavefront6targetE0EEEvSJ_.has_recursion, 0
	.set _ZN7rocprim17ROCPRIM_400000_NS6detail17trampoline_kernelINS0_14default_configENS1_38merge_sort_block_merge_config_selectorIiiEEZZNS1_27merge_sort_block_merge_implIS3_N6thrust23THRUST_200600_302600_NS6detail15normal_iteratorINS8_10device_ptrIiEEEESD_jNS1_19radix_merge_compareILb0ELb1EiNS0_19identity_decomposerEEEEE10hipError_tT0_T1_T2_jT3_P12ihipStream_tbPNSt15iterator_traitsISI_E10value_typeEPNSO_ISJ_E10value_typeEPSK_NS1_7vsmem_tEENKUlT_SI_SJ_SK_E_clIPiSD_S10_SD_EESH_SX_SI_SJ_SK_EUlSX_E1_NS1_11comp_targetILNS1_3genE8ELNS1_11target_archE1030ELNS1_3gpuE2ELNS1_3repE0EEENS1_36merge_oddeven_config_static_selectorELNS0_4arch9wavefront6targetE0EEEvSJ_.has_indirect_call, 0
	.section	.AMDGPU.csdata,"",@progbits
; Kernel info:
; codeLenInByte = 956
; TotalNumSgprs: 24
; NumVgprs: 10
; ScratchSize: 0
; MemoryBound: 0
; FloatMode: 240
; IeeeMode: 1
; LDSByteSize: 0 bytes/workgroup (compile time only)
; SGPRBlocks: 0
; VGPRBlocks: 1
; NumSGPRsForWavesPerEU: 24
; NumVGPRsForWavesPerEU: 10
; Occupancy: 16
; WaveLimiterHint : 0
; COMPUTE_PGM_RSRC2:SCRATCH_EN: 0
; COMPUTE_PGM_RSRC2:USER_SGPR: 6
; COMPUTE_PGM_RSRC2:TRAP_HANDLER: 0
; COMPUTE_PGM_RSRC2:TGID_X_EN: 1
; COMPUTE_PGM_RSRC2:TGID_Y_EN: 0
; COMPUTE_PGM_RSRC2:TGID_Z_EN: 0
; COMPUTE_PGM_RSRC2:TIDIG_COMP_CNT: 0
	.section	.text._ZN7rocprim17ROCPRIM_400000_NS6detail17trampoline_kernelINS0_14default_configENS1_38merge_sort_block_merge_config_selectorIiiEEZZNS1_27merge_sort_block_merge_implIS3_N6thrust23THRUST_200600_302600_NS6detail15normal_iteratorINS8_10device_ptrIiEEEESD_jNS1_19radix_merge_compareILb0ELb1EiNS0_19identity_decomposerEEEEE10hipError_tT0_T1_T2_jT3_P12ihipStream_tbPNSt15iterator_traitsISI_E10value_typeEPNSO_ISJ_E10value_typeEPSK_NS1_7vsmem_tEENKUlT_SI_SJ_SK_E_clISD_PiSD_S10_EESH_SX_SI_SJ_SK_EUlSX_E_NS1_11comp_targetILNS1_3genE0ELNS1_11target_archE4294967295ELNS1_3gpuE0ELNS1_3repE0EEENS1_48merge_mergepath_partition_config_static_selectorELNS0_4arch9wavefront6targetE0EEEvSJ_,"axG",@progbits,_ZN7rocprim17ROCPRIM_400000_NS6detail17trampoline_kernelINS0_14default_configENS1_38merge_sort_block_merge_config_selectorIiiEEZZNS1_27merge_sort_block_merge_implIS3_N6thrust23THRUST_200600_302600_NS6detail15normal_iteratorINS8_10device_ptrIiEEEESD_jNS1_19radix_merge_compareILb0ELb1EiNS0_19identity_decomposerEEEEE10hipError_tT0_T1_T2_jT3_P12ihipStream_tbPNSt15iterator_traitsISI_E10value_typeEPNSO_ISJ_E10value_typeEPSK_NS1_7vsmem_tEENKUlT_SI_SJ_SK_E_clISD_PiSD_S10_EESH_SX_SI_SJ_SK_EUlSX_E_NS1_11comp_targetILNS1_3genE0ELNS1_11target_archE4294967295ELNS1_3gpuE0ELNS1_3repE0EEENS1_48merge_mergepath_partition_config_static_selectorELNS0_4arch9wavefront6targetE0EEEvSJ_,comdat
	.protected	_ZN7rocprim17ROCPRIM_400000_NS6detail17trampoline_kernelINS0_14default_configENS1_38merge_sort_block_merge_config_selectorIiiEEZZNS1_27merge_sort_block_merge_implIS3_N6thrust23THRUST_200600_302600_NS6detail15normal_iteratorINS8_10device_ptrIiEEEESD_jNS1_19radix_merge_compareILb0ELb1EiNS0_19identity_decomposerEEEEE10hipError_tT0_T1_T2_jT3_P12ihipStream_tbPNSt15iterator_traitsISI_E10value_typeEPNSO_ISJ_E10value_typeEPSK_NS1_7vsmem_tEENKUlT_SI_SJ_SK_E_clISD_PiSD_S10_EESH_SX_SI_SJ_SK_EUlSX_E_NS1_11comp_targetILNS1_3genE0ELNS1_11target_archE4294967295ELNS1_3gpuE0ELNS1_3repE0EEENS1_48merge_mergepath_partition_config_static_selectorELNS0_4arch9wavefront6targetE0EEEvSJ_ ; -- Begin function _ZN7rocprim17ROCPRIM_400000_NS6detail17trampoline_kernelINS0_14default_configENS1_38merge_sort_block_merge_config_selectorIiiEEZZNS1_27merge_sort_block_merge_implIS3_N6thrust23THRUST_200600_302600_NS6detail15normal_iteratorINS8_10device_ptrIiEEEESD_jNS1_19radix_merge_compareILb0ELb1EiNS0_19identity_decomposerEEEEE10hipError_tT0_T1_T2_jT3_P12ihipStream_tbPNSt15iterator_traitsISI_E10value_typeEPNSO_ISJ_E10value_typeEPSK_NS1_7vsmem_tEENKUlT_SI_SJ_SK_E_clISD_PiSD_S10_EESH_SX_SI_SJ_SK_EUlSX_E_NS1_11comp_targetILNS1_3genE0ELNS1_11target_archE4294967295ELNS1_3gpuE0ELNS1_3repE0EEENS1_48merge_mergepath_partition_config_static_selectorELNS0_4arch9wavefront6targetE0EEEvSJ_
	.globl	_ZN7rocprim17ROCPRIM_400000_NS6detail17trampoline_kernelINS0_14default_configENS1_38merge_sort_block_merge_config_selectorIiiEEZZNS1_27merge_sort_block_merge_implIS3_N6thrust23THRUST_200600_302600_NS6detail15normal_iteratorINS8_10device_ptrIiEEEESD_jNS1_19radix_merge_compareILb0ELb1EiNS0_19identity_decomposerEEEEE10hipError_tT0_T1_T2_jT3_P12ihipStream_tbPNSt15iterator_traitsISI_E10value_typeEPNSO_ISJ_E10value_typeEPSK_NS1_7vsmem_tEENKUlT_SI_SJ_SK_E_clISD_PiSD_S10_EESH_SX_SI_SJ_SK_EUlSX_E_NS1_11comp_targetILNS1_3genE0ELNS1_11target_archE4294967295ELNS1_3gpuE0ELNS1_3repE0EEENS1_48merge_mergepath_partition_config_static_selectorELNS0_4arch9wavefront6targetE0EEEvSJ_
	.p2align	8
	.type	_ZN7rocprim17ROCPRIM_400000_NS6detail17trampoline_kernelINS0_14default_configENS1_38merge_sort_block_merge_config_selectorIiiEEZZNS1_27merge_sort_block_merge_implIS3_N6thrust23THRUST_200600_302600_NS6detail15normal_iteratorINS8_10device_ptrIiEEEESD_jNS1_19radix_merge_compareILb0ELb1EiNS0_19identity_decomposerEEEEE10hipError_tT0_T1_T2_jT3_P12ihipStream_tbPNSt15iterator_traitsISI_E10value_typeEPNSO_ISJ_E10value_typeEPSK_NS1_7vsmem_tEENKUlT_SI_SJ_SK_E_clISD_PiSD_S10_EESH_SX_SI_SJ_SK_EUlSX_E_NS1_11comp_targetILNS1_3genE0ELNS1_11target_archE4294967295ELNS1_3gpuE0ELNS1_3repE0EEENS1_48merge_mergepath_partition_config_static_selectorELNS0_4arch9wavefront6targetE0EEEvSJ_,@function
_ZN7rocprim17ROCPRIM_400000_NS6detail17trampoline_kernelINS0_14default_configENS1_38merge_sort_block_merge_config_selectorIiiEEZZNS1_27merge_sort_block_merge_implIS3_N6thrust23THRUST_200600_302600_NS6detail15normal_iteratorINS8_10device_ptrIiEEEESD_jNS1_19radix_merge_compareILb0ELb1EiNS0_19identity_decomposerEEEEE10hipError_tT0_T1_T2_jT3_P12ihipStream_tbPNSt15iterator_traitsISI_E10value_typeEPNSO_ISJ_E10value_typeEPSK_NS1_7vsmem_tEENKUlT_SI_SJ_SK_E_clISD_PiSD_S10_EESH_SX_SI_SJ_SK_EUlSX_E_NS1_11comp_targetILNS1_3genE0ELNS1_11target_archE4294967295ELNS1_3gpuE0ELNS1_3repE0EEENS1_48merge_mergepath_partition_config_static_selectorELNS0_4arch9wavefront6targetE0EEEvSJ_: ; @_ZN7rocprim17ROCPRIM_400000_NS6detail17trampoline_kernelINS0_14default_configENS1_38merge_sort_block_merge_config_selectorIiiEEZZNS1_27merge_sort_block_merge_implIS3_N6thrust23THRUST_200600_302600_NS6detail15normal_iteratorINS8_10device_ptrIiEEEESD_jNS1_19radix_merge_compareILb0ELb1EiNS0_19identity_decomposerEEEEE10hipError_tT0_T1_T2_jT3_P12ihipStream_tbPNSt15iterator_traitsISI_E10value_typeEPNSO_ISJ_E10value_typeEPSK_NS1_7vsmem_tEENKUlT_SI_SJ_SK_E_clISD_PiSD_S10_EESH_SX_SI_SJ_SK_EUlSX_E_NS1_11comp_targetILNS1_3genE0ELNS1_11target_archE4294967295ELNS1_3gpuE0ELNS1_3repE0EEENS1_48merge_mergepath_partition_config_static_selectorELNS0_4arch9wavefront6targetE0EEEvSJ_
; %bb.0:
	.section	.rodata,"a",@progbits
	.p2align	6, 0x0
	.amdhsa_kernel _ZN7rocprim17ROCPRIM_400000_NS6detail17trampoline_kernelINS0_14default_configENS1_38merge_sort_block_merge_config_selectorIiiEEZZNS1_27merge_sort_block_merge_implIS3_N6thrust23THRUST_200600_302600_NS6detail15normal_iteratorINS8_10device_ptrIiEEEESD_jNS1_19radix_merge_compareILb0ELb1EiNS0_19identity_decomposerEEEEE10hipError_tT0_T1_T2_jT3_P12ihipStream_tbPNSt15iterator_traitsISI_E10value_typeEPNSO_ISJ_E10value_typeEPSK_NS1_7vsmem_tEENKUlT_SI_SJ_SK_E_clISD_PiSD_S10_EESH_SX_SI_SJ_SK_EUlSX_E_NS1_11comp_targetILNS1_3genE0ELNS1_11target_archE4294967295ELNS1_3gpuE0ELNS1_3repE0EEENS1_48merge_mergepath_partition_config_static_selectorELNS0_4arch9wavefront6targetE0EEEvSJ_
		.amdhsa_group_segment_fixed_size 0
		.amdhsa_private_segment_fixed_size 0
		.amdhsa_kernarg_size 40
		.amdhsa_user_sgpr_count 6
		.amdhsa_user_sgpr_private_segment_buffer 1
		.amdhsa_user_sgpr_dispatch_ptr 0
		.amdhsa_user_sgpr_queue_ptr 0
		.amdhsa_user_sgpr_kernarg_segment_ptr 1
		.amdhsa_user_sgpr_dispatch_id 0
		.amdhsa_user_sgpr_flat_scratch_init 0
		.amdhsa_user_sgpr_private_segment_size 0
		.amdhsa_wavefront_size32 1
		.amdhsa_uses_dynamic_stack 0
		.amdhsa_system_sgpr_private_segment_wavefront_offset 0
		.amdhsa_system_sgpr_workgroup_id_x 1
		.amdhsa_system_sgpr_workgroup_id_y 0
		.amdhsa_system_sgpr_workgroup_id_z 0
		.amdhsa_system_sgpr_workgroup_info 0
		.amdhsa_system_vgpr_workitem_id 0
		.amdhsa_next_free_vgpr 1
		.amdhsa_next_free_sgpr 1
		.amdhsa_reserve_vcc 0
		.amdhsa_reserve_flat_scratch 0
		.amdhsa_float_round_mode_32 0
		.amdhsa_float_round_mode_16_64 0
		.amdhsa_float_denorm_mode_32 3
		.amdhsa_float_denorm_mode_16_64 3
		.amdhsa_dx10_clamp 1
		.amdhsa_ieee_mode 1
		.amdhsa_fp16_overflow 0
		.amdhsa_workgroup_processor_mode 1
		.amdhsa_memory_ordered 1
		.amdhsa_forward_progress 1
		.amdhsa_shared_vgpr_count 0
		.amdhsa_exception_fp_ieee_invalid_op 0
		.amdhsa_exception_fp_denorm_src 0
		.amdhsa_exception_fp_ieee_div_zero 0
		.amdhsa_exception_fp_ieee_overflow 0
		.amdhsa_exception_fp_ieee_underflow 0
		.amdhsa_exception_fp_ieee_inexact 0
		.amdhsa_exception_int_div_zero 0
	.end_amdhsa_kernel
	.section	.text._ZN7rocprim17ROCPRIM_400000_NS6detail17trampoline_kernelINS0_14default_configENS1_38merge_sort_block_merge_config_selectorIiiEEZZNS1_27merge_sort_block_merge_implIS3_N6thrust23THRUST_200600_302600_NS6detail15normal_iteratorINS8_10device_ptrIiEEEESD_jNS1_19radix_merge_compareILb0ELb1EiNS0_19identity_decomposerEEEEE10hipError_tT0_T1_T2_jT3_P12ihipStream_tbPNSt15iterator_traitsISI_E10value_typeEPNSO_ISJ_E10value_typeEPSK_NS1_7vsmem_tEENKUlT_SI_SJ_SK_E_clISD_PiSD_S10_EESH_SX_SI_SJ_SK_EUlSX_E_NS1_11comp_targetILNS1_3genE0ELNS1_11target_archE4294967295ELNS1_3gpuE0ELNS1_3repE0EEENS1_48merge_mergepath_partition_config_static_selectorELNS0_4arch9wavefront6targetE0EEEvSJ_,"axG",@progbits,_ZN7rocprim17ROCPRIM_400000_NS6detail17trampoline_kernelINS0_14default_configENS1_38merge_sort_block_merge_config_selectorIiiEEZZNS1_27merge_sort_block_merge_implIS3_N6thrust23THRUST_200600_302600_NS6detail15normal_iteratorINS8_10device_ptrIiEEEESD_jNS1_19radix_merge_compareILb0ELb1EiNS0_19identity_decomposerEEEEE10hipError_tT0_T1_T2_jT3_P12ihipStream_tbPNSt15iterator_traitsISI_E10value_typeEPNSO_ISJ_E10value_typeEPSK_NS1_7vsmem_tEENKUlT_SI_SJ_SK_E_clISD_PiSD_S10_EESH_SX_SI_SJ_SK_EUlSX_E_NS1_11comp_targetILNS1_3genE0ELNS1_11target_archE4294967295ELNS1_3gpuE0ELNS1_3repE0EEENS1_48merge_mergepath_partition_config_static_selectorELNS0_4arch9wavefront6targetE0EEEvSJ_,comdat
.Lfunc_end780:
	.size	_ZN7rocprim17ROCPRIM_400000_NS6detail17trampoline_kernelINS0_14default_configENS1_38merge_sort_block_merge_config_selectorIiiEEZZNS1_27merge_sort_block_merge_implIS3_N6thrust23THRUST_200600_302600_NS6detail15normal_iteratorINS8_10device_ptrIiEEEESD_jNS1_19radix_merge_compareILb0ELb1EiNS0_19identity_decomposerEEEEE10hipError_tT0_T1_T2_jT3_P12ihipStream_tbPNSt15iterator_traitsISI_E10value_typeEPNSO_ISJ_E10value_typeEPSK_NS1_7vsmem_tEENKUlT_SI_SJ_SK_E_clISD_PiSD_S10_EESH_SX_SI_SJ_SK_EUlSX_E_NS1_11comp_targetILNS1_3genE0ELNS1_11target_archE4294967295ELNS1_3gpuE0ELNS1_3repE0EEENS1_48merge_mergepath_partition_config_static_selectorELNS0_4arch9wavefront6targetE0EEEvSJ_, .Lfunc_end780-_ZN7rocprim17ROCPRIM_400000_NS6detail17trampoline_kernelINS0_14default_configENS1_38merge_sort_block_merge_config_selectorIiiEEZZNS1_27merge_sort_block_merge_implIS3_N6thrust23THRUST_200600_302600_NS6detail15normal_iteratorINS8_10device_ptrIiEEEESD_jNS1_19radix_merge_compareILb0ELb1EiNS0_19identity_decomposerEEEEE10hipError_tT0_T1_T2_jT3_P12ihipStream_tbPNSt15iterator_traitsISI_E10value_typeEPNSO_ISJ_E10value_typeEPSK_NS1_7vsmem_tEENKUlT_SI_SJ_SK_E_clISD_PiSD_S10_EESH_SX_SI_SJ_SK_EUlSX_E_NS1_11comp_targetILNS1_3genE0ELNS1_11target_archE4294967295ELNS1_3gpuE0ELNS1_3repE0EEENS1_48merge_mergepath_partition_config_static_selectorELNS0_4arch9wavefront6targetE0EEEvSJ_
                                        ; -- End function
	.set _ZN7rocprim17ROCPRIM_400000_NS6detail17trampoline_kernelINS0_14default_configENS1_38merge_sort_block_merge_config_selectorIiiEEZZNS1_27merge_sort_block_merge_implIS3_N6thrust23THRUST_200600_302600_NS6detail15normal_iteratorINS8_10device_ptrIiEEEESD_jNS1_19radix_merge_compareILb0ELb1EiNS0_19identity_decomposerEEEEE10hipError_tT0_T1_T2_jT3_P12ihipStream_tbPNSt15iterator_traitsISI_E10value_typeEPNSO_ISJ_E10value_typeEPSK_NS1_7vsmem_tEENKUlT_SI_SJ_SK_E_clISD_PiSD_S10_EESH_SX_SI_SJ_SK_EUlSX_E_NS1_11comp_targetILNS1_3genE0ELNS1_11target_archE4294967295ELNS1_3gpuE0ELNS1_3repE0EEENS1_48merge_mergepath_partition_config_static_selectorELNS0_4arch9wavefront6targetE0EEEvSJ_.num_vgpr, 0
	.set _ZN7rocprim17ROCPRIM_400000_NS6detail17trampoline_kernelINS0_14default_configENS1_38merge_sort_block_merge_config_selectorIiiEEZZNS1_27merge_sort_block_merge_implIS3_N6thrust23THRUST_200600_302600_NS6detail15normal_iteratorINS8_10device_ptrIiEEEESD_jNS1_19radix_merge_compareILb0ELb1EiNS0_19identity_decomposerEEEEE10hipError_tT0_T1_T2_jT3_P12ihipStream_tbPNSt15iterator_traitsISI_E10value_typeEPNSO_ISJ_E10value_typeEPSK_NS1_7vsmem_tEENKUlT_SI_SJ_SK_E_clISD_PiSD_S10_EESH_SX_SI_SJ_SK_EUlSX_E_NS1_11comp_targetILNS1_3genE0ELNS1_11target_archE4294967295ELNS1_3gpuE0ELNS1_3repE0EEENS1_48merge_mergepath_partition_config_static_selectorELNS0_4arch9wavefront6targetE0EEEvSJ_.num_agpr, 0
	.set _ZN7rocprim17ROCPRIM_400000_NS6detail17trampoline_kernelINS0_14default_configENS1_38merge_sort_block_merge_config_selectorIiiEEZZNS1_27merge_sort_block_merge_implIS3_N6thrust23THRUST_200600_302600_NS6detail15normal_iteratorINS8_10device_ptrIiEEEESD_jNS1_19radix_merge_compareILb0ELb1EiNS0_19identity_decomposerEEEEE10hipError_tT0_T1_T2_jT3_P12ihipStream_tbPNSt15iterator_traitsISI_E10value_typeEPNSO_ISJ_E10value_typeEPSK_NS1_7vsmem_tEENKUlT_SI_SJ_SK_E_clISD_PiSD_S10_EESH_SX_SI_SJ_SK_EUlSX_E_NS1_11comp_targetILNS1_3genE0ELNS1_11target_archE4294967295ELNS1_3gpuE0ELNS1_3repE0EEENS1_48merge_mergepath_partition_config_static_selectorELNS0_4arch9wavefront6targetE0EEEvSJ_.numbered_sgpr, 0
	.set _ZN7rocprim17ROCPRIM_400000_NS6detail17trampoline_kernelINS0_14default_configENS1_38merge_sort_block_merge_config_selectorIiiEEZZNS1_27merge_sort_block_merge_implIS3_N6thrust23THRUST_200600_302600_NS6detail15normal_iteratorINS8_10device_ptrIiEEEESD_jNS1_19radix_merge_compareILb0ELb1EiNS0_19identity_decomposerEEEEE10hipError_tT0_T1_T2_jT3_P12ihipStream_tbPNSt15iterator_traitsISI_E10value_typeEPNSO_ISJ_E10value_typeEPSK_NS1_7vsmem_tEENKUlT_SI_SJ_SK_E_clISD_PiSD_S10_EESH_SX_SI_SJ_SK_EUlSX_E_NS1_11comp_targetILNS1_3genE0ELNS1_11target_archE4294967295ELNS1_3gpuE0ELNS1_3repE0EEENS1_48merge_mergepath_partition_config_static_selectorELNS0_4arch9wavefront6targetE0EEEvSJ_.num_named_barrier, 0
	.set _ZN7rocprim17ROCPRIM_400000_NS6detail17trampoline_kernelINS0_14default_configENS1_38merge_sort_block_merge_config_selectorIiiEEZZNS1_27merge_sort_block_merge_implIS3_N6thrust23THRUST_200600_302600_NS6detail15normal_iteratorINS8_10device_ptrIiEEEESD_jNS1_19radix_merge_compareILb0ELb1EiNS0_19identity_decomposerEEEEE10hipError_tT0_T1_T2_jT3_P12ihipStream_tbPNSt15iterator_traitsISI_E10value_typeEPNSO_ISJ_E10value_typeEPSK_NS1_7vsmem_tEENKUlT_SI_SJ_SK_E_clISD_PiSD_S10_EESH_SX_SI_SJ_SK_EUlSX_E_NS1_11comp_targetILNS1_3genE0ELNS1_11target_archE4294967295ELNS1_3gpuE0ELNS1_3repE0EEENS1_48merge_mergepath_partition_config_static_selectorELNS0_4arch9wavefront6targetE0EEEvSJ_.private_seg_size, 0
	.set _ZN7rocprim17ROCPRIM_400000_NS6detail17trampoline_kernelINS0_14default_configENS1_38merge_sort_block_merge_config_selectorIiiEEZZNS1_27merge_sort_block_merge_implIS3_N6thrust23THRUST_200600_302600_NS6detail15normal_iteratorINS8_10device_ptrIiEEEESD_jNS1_19radix_merge_compareILb0ELb1EiNS0_19identity_decomposerEEEEE10hipError_tT0_T1_T2_jT3_P12ihipStream_tbPNSt15iterator_traitsISI_E10value_typeEPNSO_ISJ_E10value_typeEPSK_NS1_7vsmem_tEENKUlT_SI_SJ_SK_E_clISD_PiSD_S10_EESH_SX_SI_SJ_SK_EUlSX_E_NS1_11comp_targetILNS1_3genE0ELNS1_11target_archE4294967295ELNS1_3gpuE0ELNS1_3repE0EEENS1_48merge_mergepath_partition_config_static_selectorELNS0_4arch9wavefront6targetE0EEEvSJ_.uses_vcc, 0
	.set _ZN7rocprim17ROCPRIM_400000_NS6detail17trampoline_kernelINS0_14default_configENS1_38merge_sort_block_merge_config_selectorIiiEEZZNS1_27merge_sort_block_merge_implIS3_N6thrust23THRUST_200600_302600_NS6detail15normal_iteratorINS8_10device_ptrIiEEEESD_jNS1_19radix_merge_compareILb0ELb1EiNS0_19identity_decomposerEEEEE10hipError_tT0_T1_T2_jT3_P12ihipStream_tbPNSt15iterator_traitsISI_E10value_typeEPNSO_ISJ_E10value_typeEPSK_NS1_7vsmem_tEENKUlT_SI_SJ_SK_E_clISD_PiSD_S10_EESH_SX_SI_SJ_SK_EUlSX_E_NS1_11comp_targetILNS1_3genE0ELNS1_11target_archE4294967295ELNS1_3gpuE0ELNS1_3repE0EEENS1_48merge_mergepath_partition_config_static_selectorELNS0_4arch9wavefront6targetE0EEEvSJ_.uses_flat_scratch, 0
	.set _ZN7rocprim17ROCPRIM_400000_NS6detail17trampoline_kernelINS0_14default_configENS1_38merge_sort_block_merge_config_selectorIiiEEZZNS1_27merge_sort_block_merge_implIS3_N6thrust23THRUST_200600_302600_NS6detail15normal_iteratorINS8_10device_ptrIiEEEESD_jNS1_19radix_merge_compareILb0ELb1EiNS0_19identity_decomposerEEEEE10hipError_tT0_T1_T2_jT3_P12ihipStream_tbPNSt15iterator_traitsISI_E10value_typeEPNSO_ISJ_E10value_typeEPSK_NS1_7vsmem_tEENKUlT_SI_SJ_SK_E_clISD_PiSD_S10_EESH_SX_SI_SJ_SK_EUlSX_E_NS1_11comp_targetILNS1_3genE0ELNS1_11target_archE4294967295ELNS1_3gpuE0ELNS1_3repE0EEENS1_48merge_mergepath_partition_config_static_selectorELNS0_4arch9wavefront6targetE0EEEvSJ_.has_dyn_sized_stack, 0
	.set _ZN7rocprim17ROCPRIM_400000_NS6detail17trampoline_kernelINS0_14default_configENS1_38merge_sort_block_merge_config_selectorIiiEEZZNS1_27merge_sort_block_merge_implIS3_N6thrust23THRUST_200600_302600_NS6detail15normal_iteratorINS8_10device_ptrIiEEEESD_jNS1_19radix_merge_compareILb0ELb1EiNS0_19identity_decomposerEEEEE10hipError_tT0_T1_T2_jT3_P12ihipStream_tbPNSt15iterator_traitsISI_E10value_typeEPNSO_ISJ_E10value_typeEPSK_NS1_7vsmem_tEENKUlT_SI_SJ_SK_E_clISD_PiSD_S10_EESH_SX_SI_SJ_SK_EUlSX_E_NS1_11comp_targetILNS1_3genE0ELNS1_11target_archE4294967295ELNS1_3gpuE0ELNS1_3repE0EEENS1_48merge_mergepath_partition_config_static_selectorELNS0_4arch9wavefront6targetE0EEEvSJ_.has_recursion, 0
	.set _ZN7rocprim17ROCPRIM_400000_NS6detail17trampoline_kernelINS0_14default_configENS1_38merge_sort_block_merge_config_selectorIiiEEZZNS1_27merge_sort_block_merge_implIS3_N6thrust23THRUST_200600_302600_NS6detail15normal_iteratorINS8_10device_ptrIiEEEESD_jNS1_19radix_merge_compareILb0ELb1EiNS0_19identity_decomposerEEEEE10hipError_tT0_T1_T2_jT3_P12ihipStream_tbPNSt15iterator_traitsISI_E10value_typeEPNSO_ISJ_E10value_typeEPSK_NS1_7vsmem_tEENKUlT_SI_SJ_SK_E_clISD_PiSD_S10_EESH_SX_SI_SJ_SK_EUlSX_E_NS1_11comp_targetILNS1_3genE0ELNS1_11target_archE4294967295ELNS1_3gpuE0ELNS1_3repE0EEENS1_48merge_mergepath_partition_config_static_selectorELNS0_4arch9wavefront6targetE0EEEvSJ_.has_indirect_call, 0
	.section	.AMDGPU.csdata,"",@progbits
; Kernel info:
; codeLenInByte = 0
; TotalNumSgprs: 0
; NumVgprs: 0
; ScratchSize: 0
; MemoryBound: 0
; FloatMode: 240
; IeeeMode: 1
; LDSByteSize: 0 bytes/workgroup (compile time only)
; SGPRBlocks: 0
; VGPRBlocks: 0
; NumSGPRsForWavesPerEU: 1
; NumVGPRsForWavesPerEU: 1
; Occupancy: 16
; WaveLimiterHint : 0
; COMPUTE_PGM_RSRC2:SCRATCH_EN: 0
; COMPUTE_PGM_RSRC2:USER_SGPR: 6
; COMPUTE_PGM_RSRC2:TRAP_HANDLER: 0
; COMPUTE_PGM_RSRC2:TGID_X_EN: 1
; COMPUTE_PGM_RSRC2:TGID_Y_EN: 0
; COMPUTE_PGM_RSRC2:TGID_Z_EN: 0
; COMPUTE_PGM_RSRC2:TIDIG_COMP_CNT: 0
	.section	.text._ZN7rocprim17ROCPRIM_400000_NS6detail17trampoline_kernelINS0_14default_configENS1_38merge_sort_block_merge_config_selectorIiiEEZZNS1_27merge_sort_block_merge_implIS3_N6thrust23THRUST_200600_302600_NS6detail15normal_iteratorINS8_10device_ptrIiEEEESD_jNS1_19radix_merge_compareILb0ELb1EiNS0_19identity_decomposerEEEEE10hipError_tT0_T1_T2_jT3_P12ihipStream_tbPNSt15iterator_traitsISI_E10value_typeEPNSO_ISJ_E10value_typeEPSK_NS1_7vsmem_tEENKUlT_SI_SJ_SK_E_clISD_PiSD_S10_EESH_SX_SI_SJ_SK_EUlSX_E_NS1_11comp_targetILNS1_3genE10ELNS1_11target_archE1201ELNS1_3gpuE5ELNS1_3repE0EEENS1_48merge_mergepath_partition_config_static_selectorELNS0_4arch9wavefront6targetE0EEEvSJ_,"axG",@progbits,_ZN7rocprim17ROCPRIM_400000_NS6detail17trampoline_kernelINS0_14default_configENS1_38merge_sort_block_merge_config_selectorIiiEEZZNS1_27merge_sort_block_merge_implIS3_N6thrust23THRUST_200600_302600_NS6detail15normal_iteratorINS8_10device_ptrIiEEEESD_jNS1_19radix_merge_compareILb0ELb1EiNS0_19identity_decomposerEEEEE10hipError_tT0_T1_T2_jT3_P12ihipStream_tbPNSt15iterator_traitsISI_E10value_typeEPNSO_ISJ_E10value_typeEPSK_NS1_7vsmem_tEENKUlT_SI_SJ_SK_E_clISD_PiSD_S10_EESH_SX_SI_SJ_SK_EUlSX_E_NS1_11comp_targetILNS1_3genE10ELNS1_11target_archE1201ELNS1_3gpuE5ELNS1_3repE0EEENS1_48merge_mergepath_partition_config_static_selectorELNS0_4arch9wavefront6targetE0EEEvSJ_,comdat
	.protected	_ZN7rocprim17ROCPRIM_400000_NS6detail17trampoline_kernelINS0_14default_configENS1_38merge_sort_block_merge_config_selectorIiiEEZZNS1_27merge_sort_block_merge_implIS3_N6thrust23THRUST_200600_302600_NS6detail15normal_iteratorINS8_10device_ptrIiEEEESD_jNS1_19radix_merge_compareILb0ELb1EiNS0_19identity_decomposerEEEEE10hipError_tT0_T1_T2_jT3_P12ihipStream_tbPNSt15iterator_traitsISI_E10value_typeEPNSO_ISJ_E10value_typeEPSK_NS1_7vsmem_tEENKUlT_SI_SJ_SK_E_clISD_PiSD_S10_EESH_SX_SI_SJ_SK_EUlSX_E_NS1_11comp_targetILNS1_3genE10ELNS1_11target_archE1201ELNS1_3gpuE5ELNS1_3repE0EEENS1_48merge_mergepath_partition_config_static_selectorELNS0_4arch9wavefront6targetE0EEEvSJ_ ; -- Begin function _ZN7rocprim17ROCPRIM_400000_NS6detail17trampoline_kernelINS0_14default_configENS1_38merge_sort_block_merge_config_selectorIiiEEZZNS1_27merge_sort_block_merge_implIS3_N6thrust23THRUST_200600_302600_NS6detail15normal_iteratorINS8_10device_ptrIiEEEESD_jNS1_19radix_merge_compareILb0ELb1EiNS0_19identity_decomposerEEEEE10hipError_tT0_T1_T2_jT3_P12ihipStream_tbPNSt15iterator_traitsISI_E10value_typeEPNSO_ISJ_E10value_typeEPSK_NS1_7vsmem_tEENKUlT_SI_SJ_SK_E_clISD_PiSD_S10_EESH_SX_SI_SJ_SK_EUlSX_E_NS1_11comp_targetILNS1_3genE10ELNS1_11target_archE1201ELNS1_3gpuE5ELNS1_3repE0EEENS1_48merge_mergepath_partition_config_static_selectorELNS0_4arch9wavefront6targetE0EEEvSJ_
	.globl	_ZN7rocprim17ROCPRIM_400000_NS6detail17trampoline_kernelINS0_14default_configENS1_38merge_sort_block_merge_config_selectorIiiEEZZNS1_27merge_sort_block_merge_implIS3_N6thrust23THRUST_200600_302600_NS6detail15normal_iteratorINS8_10device_ptrIiEEEESD_jNS1_19radix_merge_compareILb0ELb1EiNS0_19identity_decomposerEEEEE10hipError_tT0_T1_T2_jT3_P12ihipStream_tbPNSt15iterator_traitsISI_E10value_typeEPNSO_ISJ_E10value_typeEPSK_NS1_7vsmem_tEENKUlT_SI_SJ_SK_E_clISD_PiSD_S10_EESH_SX_SI_SJ_SK_EUlSX_E_NS1_11comp_targetILNS1_3genE10ELNS1_11target_archE1201ELNS1_3gpuE5ELNS1_3repE0EEENS1_48merge_mergepath_partition_config_static_selectorELNS0_4arch9wavefront6targetE0EEEvSJ_
	.p2align	8
	.type	_ZN7rocprim17ROCPRIM_400000_NS6detail17trampoline_kernelINS0_14default_configENS1_38merge_sort_block_merge_config_selectorIiiEEZZNS1_27merge_sort_block_merge_implIS3_N6thrust23THRUST_200600_302600_NS6detail15normal_iteratorINS8_10device_ptrIiEEEESD_jNS1_19radix_merge_compareILb0ELb1EiNS0_19identity_decomposerEEEEE10hipError_tT0_T1_T2_jT3_P12ihipStream_tbPNSt15iterator_traitsISI_E10value_typeEPNSO_ISJ_E10value_typeEPSK_NS1_7vsmem_tEENKUlT_SI_SJ_SK_E_clISD_PiSD_S10_EESH_SX_SI_SJ_SK_EUlSX_E_NS1_11comp_targetILNS1_3genE10ELNS1_11target_archE1201ELNS1_3gpuE5ELNS1_3repE0EEENS1_48merge_mergepath_partition_config_static_selectorELNS0_4arch9wavefront6targetE0EEEvSJ_,@function
_ZN7rocprim17ROCPRIM_400000_NS6detail17trampoline_kernelINS0_14default_configENS1_38merge_sort_block_merge_config_selectorIiiEEZZNS1_27merge_sort_block_merge_implIS3_N6thrust23THRUST_200600_302600_NS6detail15normal_iteratorINS8_10device_ptrIiEEEESD_jNS1_19radix_merge_compareILb0ELb1EiNS0_19identity_decomposerEEEEE10hipError_tT0_T1_T2_jT3_P12ihipStream_tbPNSt15iterator_traitsISI_E10value_typeEPNSO_ISJ_E10value_typeEPSK_NS1_7vsmem_tEENKUlT_SI_SJ_SK_E_clISD_PiSD_S10_EESH_SX_SI_SJ_SK_EUlSX_E_NS1_11comp_targetILNS1_3genE10ELNS1_11target_archE1201ELNS1_3gpuE5ELNS1_3repE0EEENS1_48merge_mergepath_partition_config_static_selectorELNS0_4arch9wavefront6targetE0EEEvSJ_: ; @_ZN7rocprim17ROCPRIM_400000_NS6detail17trampoline_kernelINS0_14default_configENS1_38merge_sort_block_merge_config_selectorIiiEEZZNS1_27merge_sort_block_merge_implIS3_N6thrust23THRUST_200600_302600_NS6detail15normal_iteratorINS8_10device_ptrIiEEEESD_jNS1_19radix_merge_compareILb0ELb1EiNS0_19identity_decomposerEEEEE10hipError_tT0_T1_T2_jT3_P12ihipStream_tbPNSt15iterator_traitsISI_E10value_typeEPNSO_ISJ_E10value_typeEPSK_NS1_7vsmem_tEENKUlT_SI_SJ_SK_E_clISD_PiSD_S10_EESH_SX_SI_SJ_SK_EUlSX_E_NS1_11comp_targetILNS1_3genE10ELNS1_11target_archE1201ELNS1_3gpuE5ELNS1_3repE0EEENS1_48merge_mergepath_partition_config_static_selectorELNS0_4arch9wavefront6targetE0EEEvSJ_
; %bb.0:
	.section	.rodata,"a",@progbits
	.p2align	6, 0x0
	.amdhsa_kernel _ZN7rocprim17ROCPRIM_400000_NS6detail17trampoline_kernelINS0_14default_configENS1_38merge_sort_block_merge_config_selectorIiiEEZZNS1_27merge_sort_block_merge_implIS3_N6thrust23THRUST_200600_302600_NS6detail15normal_iteratorINS8_10device_ptrIiEEEESD_jNS1_19radix_merge_compareILb0ELb1EiNS0_19identity_decomposerEEEEE10hipError_tT0_T1_T2_jT3_P12ihipStream_tbPNSt15iterator_traitsISI_E10value_typeEPNSO_ISJ_E10value_typeEPSK_NS1_7vsmem_tEENKUlT_SI_SJ_SK_E_clISD_PiSD_S10_EESH_SX_SI_SJ_SK_EUlSX_E_NS1_11comp_targetILNS1_3genE10ELNS1_11target_archE1201ELNS1_3gpuE5ELNS1_3repE0EEENS1_48merge_mergepath_partition_config_static_selectorELNS0_4arch9wavefront6targetE0EEEvSJ_
		.amdhsa_group_segment_fixed_size 0
		.amdhsa_private_segment_fixed_size 0
		.amdhsa_kernarg_size 40
		.amdhsa_user_sgpr_count 6
		.amdhsa_user_sgpr_private_segment_buffer 1
		.amdhsa_user_sgpr_dispatch_ptr 0
		.amdhsa_user_sgpr_queue_ptr 0
		.amdhsa_user_sgpr_kernarg_segment_ptr 1
		.amdhsa_user_sgpr_dispatch_id 0
		.amdhsa_user_sgpr_flat_scratch_init 0
		.amdhsa_user_sgpr_private_segment_size 0
		.amdhsa_wavefront_size32 1
		.amdhsa_uses_dynamic_stack 0
		.amdhsa_system_sgpr_private_segment_wavefront_offset 0
		.amdhsa_system_sgpr_workgroup_id_x 1
		.amdhsa_system_sgpr_workgroup_id_y 0
		.amdhsa_system_sgpr_workgroup_id_z 0
		.amdhsa_system_sgpr_workgroup_info 0
		.amdhsa_system_vgpr_workitem_id 0
		.amdhsa_next_free_vgpr 1
		.amdhsa_next_free_sgpr 1
		.amdhsa_reserve_vcc 0
		.amdhsa_reserve_flat_scratch 0
		.amdhsa_float_round_mode_32 0
		.amdhsa_float_round_mode_16_64 0
		.amdhsa_float_denorm_mode_32 3
		.amdhsa_float_denorm_mode_16_64 3
		.amdhsa_dx10_clamp 1
		.amdhsa_ieee_mode 1
		.amdhsa_fp16_overflow 0
		.amdhsa_workgroup_processor_mode 1
		.amdhsa_memory_ordered 1
		.amdhsa_forward_progress 1
		.amdhsa_shared_vgpr_count 0
		.amdhsa_exception_fp_ieee_invalid_op 0
		.amdhsa_exception_fp_denorm_src 0
		.amdhsa_exception_fp_ieee_div_zero 0
		.amdhsa_exception_fp_ieee_overflow 0
		.amdhsa_exception_fp_ieee_underflow 0
		.amdhsa_exception_fp_ieee_inexact 0
		.amdhsa_exception_int_div_zero 0
	.end_amdhsa_kernel
	.section	.text._ZN7rocprim17ROCPRIM_400000_NS6detail17trampoline_kernelINS0_14default_configENS1_38merge_sort_block_merge_config_selectorIiiEEZZNS1_27merge_sort_block_merge_implIS3_N6thrust23THRUST_200600_302600_NS6detail15normal_iteratorINS8_10device_ptrIiEEEESD_jNS1_19radix_merge_compareILb0ELb1EiNS0_19identity_decomposerEEEEE10hipError_tT0_T1_T2_jT3_P12ihipStream_tbPNSt15iterator_traitsISI_E10value_typeEPNSO_ISJ_E10value_typeEPSK_NS1_7vsmem_tEENKUlT_SI_SJ_SK_E_clISD_PiSD_S10_EESH_SX_SI_SJ_SK_EUlSX_E_NS1_11comp_targetILNS1_3genE10ELNS1_11target_archE1201ELNS1_3gpuE5ELNS1_3repE0EEENS1_48merge_mergepath_partition_config_static_selectorELNS0_4arch9wavefront6targetE0EEEvSJ_,"axG",@progbits,_ZN7rocprim17ROCPRIM_400000_NS6detail17trampoline_kernelINS0_14default_configENS1_38merge_sort_block_merge_config_selectorIiiEEZZNS1_27merge_sort_block_merge_implIS3_N6thrust23THRUST_200600_302600_NS6detail15normal_iteratorINS8_10device_ptrIiEEEESD_jNS1_19radix_merge_compareILb0ELb1EiNS0_19identity_decomposerEEEEE10hipError_tT0_T1_T2_jT3_P12ihipStream_tbPNSt15iterator_traitsISI_E10value_typeEPNSO_ISJ_E10value_typeEPSK_NS1_7vsmem_tEENKUlT_SI_SJ_SK_E_clISD_PiSD_S10_EESH_SX_SI_SJ_SK_EUlSX_E_NS1_11comp_targetILNS1_3genE10ELNS1_11target_archE1201ELNS1_3gpuE5ELNS1_3repE0EEENS1_48merge_mergepath_partition_config_static_selectorELNS0_4arch9wavefront6targetE0EEEvSJ_,comdat
.Lfunc_end781:
	.size	_ZN7rocprim17ROCPRIM_400000_NS6detail17trampoline_kernelINS0_14default_configENS1_38merge_sort_block_merge_config_selectorIiiEEZZNS1_27merge_sort_block_merge_implIS3_N6thrust23THRUST_200600_302600_NS6detail15normal_iteratorINS8_10device_ptrIiEEEESD_jNS1_19radix_merge_compareILb0ELb1EiNS0_19identity_decomposerEEEEE10hipError_tT0_T1_T2_jT3_P12ihipStream_tbPNSt15iterator_traitsISI_E10value_typeEPNSO_ISJ_E10value_typeEPSK_NS1_7vsmem_tEENKUlT_SI_SJ_SK_E_clISD_PiSD_S10_EESH_SX_SI_SJ_SK_EUlSX_E_NS1_11comp_targetILNS1_3genE10ELNS1_11target_archE1201ELNS1_3gpuE5ELNS1_3repE0EEENS1_48merge_mergepath_partition_config_static_selectorELNS0_4arch9wavefront6targetE0EEEvSJ_, .Lfunc_end781-_ZN7rocprim17ROCPRIM_400000_NS6detail17trampoline_kernelINS0_14default_configENS1_38merge_sort_block_merge_config_selectorIiiEEZZNS1_27merge_sort_block_merge_implIS3_N6thrust23THRUST_200600_302600_NS6detail15normal_iteratorINS8_10device_ptrIiEEEESD_jNS1_19radix_merge_compareILb0ELb1EiNS0_19identity_decomposerEEEEE10hipError_tT0_T1_T2_jT3_P12ihipStream_tbPNSt15iterator_traitsISI_E10value_typeEPNSO_ISJ_E10value_typeEPSK_NS1_7vsmem_tEENKUlT_SI_SJ_SK_E_clISD_PiSD_S10_EESH_SX_SI_SJ_SK_EUlSX_E_NS1_11comp_targetILNS1_3genE10ELNS1_11target_archE1201ELNS1_3gpuE5ELNS1_3repE0EEENS1_48merge_mergepath_partition_config_static_selectorELNS0_4arch9wavefront6targetE0EEEvSJ_
                                        ; -- End function
	.set _ZN7rocprim17ROCPRIM_400000_NS6detail17trampoline_kernelINS0_14default_configENS1_38merge_sort_block_merge_config_selectorIiiEEZZNS1_27merge_sort_block_merge_implIS3_N6thrust23THRUST_200600_302600_NS6detail15normal_iteratorINS8_10device_ptrIiEEEESD_jNS1_19radix_merge_compareILb0ELb1EiNS0_19identity_decomposerEEEEE10hipError_tT0_T1_T2_jT3_P12ihipStream_tbPNSt15iterator_traitsISI_E10value_typeEPNSO_ISJ_E10value_typeEPSK_NS1_7vsmem_tEENKUlT_SI_SJ_SK_E_clISD_PiSD_S10_EESH_SX_SI_SJ_SK_EUlSX_E_NS1_11comp_targetILNS1_3genE10ELNS1_11target_archE1201ELNS1_3gpuE5ELNS1_3repE0EEENS1_48merge_mergepath_partition_config_static_selectorELNS0_4arch9wavefront6targetE0EEEvSJ_.num_vgpr, 0
	.set _ZN7rocprim17ROCPRIM_400000_NS6detail17trampoline_kernelINS0_14default_configENS1_38merge_sort_block_merge_config_selectorIiiEEZZNS1_27merge_sort_block_merge_implIS3_N6thrust23THRUST_200600_302600_NS6detail15normal_iteratorINS8_10device_ptrIiEEEESD_jNS1_19radix_merge_compareILb0ELb1EiNS0_19identity_decomposerEEEEE10hipError_tT0_T1_T2_jT3_P12ihipStream_tbPNSt15iterator_traitsISI_E10value_typeEPNSO_ISJ_E10value_typeEPSK_NS1_7vsmem_tEENKUlT_SI_SJ_SK_E_clISD_PiSD_S10_EESH_SX_SI_SJ_SK_EUlSX_E_NS1_11comp_targetILNS1_3genE10ELNS1_11target_archE1201ELNS1_3gpuE5ELNS1_3repE0EEENS1_48merge_mergepath_partition_config_static_selectorELNS0_4arch9wavefront6targetE0EEEvSJ_.num_agpr, 0
	.set _ZN7rocprim17ROCPRIM_400000_NS6detail17trampoline_kernelINS0_14default_configENS1_38merge_sort_block_merge_config_selectorIiiEEZZNS1_27merge_sort_block_merge_implIS3_N6thrust23THRUST_200600_302600_NS6detail15normal_iteratorINS8_10device_ptrIiEEEESD_jNS1_19radix_merge_compareILb0ELb1EiNS0_19identity_decomposerEEEEE10hipError_tT0_T1_T2_jT3_P12ihipStream_tbPNSt15iterator_traitsISI_E10value_typeEPNSO_ISJ_E10value_typeEPSK_NS1_7vsmem_tEENKUlT_SI_SJ_SK_E_clISD_PiSD_S10_EESH_SX_SI_SJ_SK_EUlSX_E_NS1_11comp_targetILNS1_3genE10ELNS1_11target_archE1201ELNS1_3gpuE5ELNS1_3repE0EEENS1_48merge_mergepath_partition_config_static_selectorELNS0_4arch9wavefront6targetE0EEEvSJ_.numbered_sgpr, 0
	.set _ZN7rocprim17ROCPRIM_400000_NS6detail17trampoline_kernelINS0_14default_configENS1_38merge_sort_block_merge_config_selectorIiiEEZZNS1_27merge_sort_block_merge_implIS3_N6thrust23THRUST_200600_302600_NS6detail15normal_iteratorINS8_10device_ptrIiEEEESD_jNS1_19radix_merge_compareILb0ELb1EiNS0_19identity_decomposerEEEEE10hipError_tT0_T1_T2_jT3_P12ihipStream_tbPNSt15iterator_traitsISI_E10value_typeEPNSO_ISJ_E10value_typeEPSK_NS1_7vsmem_tEENKUlT_SI_SJ_SK_E_clISD_PiSD_S10_EESH_SX_SI_SJ_SK_EUlSX_E_NS1_11comp_targetILNS1_3genE10ELNS1_11target_archE1201ELNS1_3gpuE5ELNS1_3repE0EEENS1_48merge_mergepath_partition_config_static_selectorELNS0_4arch9wavefront6targetE0EEEvSJ_.num_named_barrier, 0
	.set _ZN7rocprim17ROCPRIM_400000_NS6detail17trampoline_kernelINS0_14default_configENS1_38merge_sort_block_merge_config_selectorIiiEEZZNS1_27merge_sort_block_merge_implIS3_N6thrust23THRUST_200600_302600_NS6detail15normal_iteratorINS8_10device_ptrIiEEEESD_jNS1_19radix_merge_compareILb0ELb1EiNS0_19identity_decomposerEEEEE10hipError_tT0_T1_T2_jT3_P12ihipStream_tbPNSt15iterator_traitsISI_E10value_typeEPNSO_ISJ_E10value_typeEPSK_NS1_7vsmem_tEENKUlT_SI_SJ_SK_E_clISD_PiSD_S10_EESH_SX_SI_SJ_SK_EUlSX_E_NS1_11comp_targetILNS1_3genE10ELNS1_11target_archE1201ELNS1_3gpuE5ELNS1_3repE0EEENS1_48merge_mergepath_partition_config_static_selectorELNS0_4arch9wavefront6targetE0EEEvSJ_.private_seg_size, 0
	.set _ZN7rocprim17ROCPRIM_400000_NS6detail17trampoline_kernelINS0_14default_configENS1_38merge_sort_block_merge_config_selectorIiiEEZZNS1_27merge_sort_block_merge_implIS3_N6thrust23THRUST_200600_302600_NS6detail15normal_iteratorINS8_10device_ptrIiEEEESD_jNS1_19radix_merge_compareILb0ELb1EiNS0_19identity_decomposerEEEEE10hipError_tT0_T1_T2_jT3_P12ihipStream_tbPNSt15iterator_traitsISI_E10value_typeEPNSO_ISJ_E10value_typeEPSK_NS1_7vsmem_tEENKUlT_SI_SJ_SK_E_clISD_PiSD_S10_EESH_SX_SI_SJ_SK_EUlSX_E_NS1_11comp_targetILNS1_3genE10ELNS1_11target_archE1201ELNS1_3gpuE5ELNS1_3repE0EEENS1_48merge_mergepath_partition_config_static_selectorELNS0_4arch9wavefront6targetE0EEEvSJ_.uses_vcc, 0
	.set _ZN7rocprim17ROCPRIM_400000_NS6detail17trampoline_kernelINS0_14default_configENS1_38merge_sort_block_merge_config_selectorIiiEEZZNS1_27merge_sort_block_merge_implIS3_N6thrust23THRUST_200600_302600_NS6detail15normal_iteratorINS8_10device_ptrIiEEEESD_jNS1_19radix_merge_compareILb0ELb1EiNS0_19identity_decomposerEEEEE10hipError_tT0_T1_T2_jT3_P12ihipStream_tbPNSt15iterator_traitsISI_E10value_typeEPNSO_ISJ_E10value_typeEPSK_NS1_7vsmem_tEENKUlT_SI_SJ_SK_E_clISD_PiSD_S10_EESH_SX_SI_SJ_SK_EUlSX_E_NS1_11comp_targetILNS1_3genE10ELNS1_11target_archE1201ELNS1_3gpuE5ELNS1_3repE0EEENS1_48merge_mergepath_partition_config_static_selectorELNS0_4arch9wavefront6targetE0EEEvSJ_.uses_flat_scratch, 0
	.set _ZN7rocprim17ROCPRIM_400000_NS6detail17trampoline_kernelINS0_14default_configENS1_38merge_sort_block_merge_config_selectorIiiEEZZNS1_27merge_sort_block_merge_implIS3_N6thrust23THRUST_200600_302600_NS6detail15normal_iteratorINS8_10device_ptrIiEEEESD_jNS1_19radix_merge_compareILb0ELb1EiNS0_19identity_decomposerEEEEE10hipError_tT0_T1_T2_jT3_P12ihipStream_tbPNSt15iterator_traitsISI_E10value_typeEPNSO_ISJ_E10value_typeEPSK_NS1_7vsmem_tEENKUlT_SI_SJ_SK_E_clISD_PiSD_S10_EESH_SX_SI_SJ_SK_EUlSX_E_NS1_11comp_targetILNS1_3genE10ELNS1_11target_archE1201ELNS1_3gpuE5ELNS1_3repE0EEENS1_48merge_mergepath_partition_config_static_selectorELNS0_4arch9wavefront6targetE0EEEvSJ_.has_dyn_sized_stack, 0
	.set _ZN7rocprim17ROCPRIM_400000_NS6detail17trampoline_kernelINS0_14default_configENS1_38merge_sort_block_merge_config_selectorIiiEEZZNS1_27merge_sort_block_merge_implIS3_N6thrust23THRUST_200600_302600_NS6detail15normal_iteratorINS8_10device_ptrIiEEEESD_jNS1_19radix_merge_compareILb0ELb1EiNS0_19identity_decomposerEEEEE10hipError_tT0_T1_T2_jT3_P12ihipStream_tbPNSt15iterator_traitsISI_E10value_typeEPNSO_ISJ_E10value_typeEPSK_NS1_7vsmem_tEENKUlT_SI_SJ_SK_E_clISD_PiSD_S10_EESH_SX_SI_SJ_SK_EUlSX_E_NS1_11comp_targetILNS1_3genE10ELNS1_11target_archE1201ELNS1_3gpuE5ELNS1_3repE0EEENS1_48merge_mergepath_partition_config_static_selectorELNS0_4arch9wavefront6targetE0EEEvSJ_.has_recursion, 0
	.set _ZN7rocprim17ROCPRIM_400000_NS6detail17trampoline_kernelINS0_14default_configENS1_38merge_sort_block_merge_config_selectorIiiEEZZNS1_27merge_sort_block_merge_implIS3_N6thrust23THRUST_200600_302600_NS6detail15normal_iteratorINS8_10device_ptrIiEEEESD_jNS1_19radix_merge_compareILb0ELb1EiNS0_19identity_decomposerEEEEE10hipError_tT0_T1_T2_jT3_P12ihipStream_tbPNSt15iterator_traitsISI_E10value_typeEPNSO_ISJ_E10value_typeEPSK_NS1_7vsmem_tEENKUlT_SI_SJ_SK_E_clISD_PiSD_S10_EESH_SX_SI_SJ_SK_EUlSX_E_NS1_11comp_targetILNS1_3genE10ELNS1_11target_archE1201ELNS1_3gpuE5ELNS1_3repE0EEENS1_48merge_mergepath_partition_config_static_selectorELNS0_4arch9wavefront6targetE0EEEvSJ_.has_indirect_call, 0
	.section	.AMDGPU.csdata,"",@progbits
; Kernel info:
; codeLenInByte = 0
; TotalNumSgprs: 0
; NumVgprs: 0
; ScratchSize: 0
; MemoryBound: 0
; FloatMode: 240
; IeeeMode: 1
; LDSByteSize: 0 bytes/workgroup (compile time only)
; SGPRBlocks: 0
; VGPRBlocks: 0
; NumSGPRsForWavesPerEU: 1
; NumVGPRsForWavesPerEU: 1
; Occupancy: 16
; WaveLimiterHint : 0
; COMPUTE_PGM_RSRC2:SCRATCH_EN: 0
; COMPUTE_PGM_RSRC2:USER_SGPR: 6
; COMPUTE_PGM_RSRC2:TRAP_HANDLER: 0
; COMPUTE_PGM_RSRC2:TGID_X_EN: 1
; COMPUTE_PGM_RSRC2:TGID_Y_EN: 0
; COMPUTE_PGM_RSRC2:TGID_Z_EN: 0
; COMPUTE_PGM_RSRC2:TIDIG_COMP_CNT: 0
	.section	.text._ZN7rocprim17ROCPRIM_400000_NS6detail17trampoline_kernelINS0_14default_configENS1_38merge_sort_block_merge_config_selectorIiiEEZZNS1_27merge_sort_block_merge_implIS3_N6thrust23THRUST_200600_302600_NS6detail15normal_iteratorINS8_10device_ptrIiEEEESD_jNS1_19radix_merge_compareILb0ELb1EiNS0_19identity_decomposerEEEEE10hipError_tT0_T1_T2_jT3_P12ihipStream_tbPNSt15iterator_traitsISI_E10value_typeEPNSO_ISJ_E10value_typeEPSK_NS1_7vsmem_tEENKUlT_SI_SJ_SK_E_clISD_PiSD_S10_EESH_SX_SI_SJ_SK_EUlSX_E_NS1_11comp_targetILNS1_3genE5ELNS1_11target_archE942ELNS1_3gpuE9ELNS1_3repE0EEENS1_48merge_mergepath_partition_config_static_selectorELNS0_4arch9wavefront6targetE0EEEvSJ_,"axG",@progbits,_ZN7rocprim17ROCPRIM_400000_NS6detail17trampoline_kernelINS0_14default_configENS1_38merge_sort_block_merge_config_selectorIiiEEZZNS1_27merge_sort_block_merge_implIS3_N6thrust23THRUST_200600_302600_NS6detail15normal_iteratorINS8_10device_ptrIiEEEESD_jNS1_19radix_merge_compareILb0ELb1EiNS0_19identity_decomposerEEEEE10hipError_tT0_T1_T2_jT3_P12ihipStream_tbPNSt15iterator_traitsISI_E10value_typeEPNSO_ISJ_E10value_typeEPSK_NS1_7vsmem_tEENKUlT_SI_SJ_SK_E_clISD_PiSD_S10_EESH_SX_SI_SJ_SK_EUlSX_E_NS1_11comp_targetILNS1_3genE5ELNS1_11target_archE942ELNS1_3gpuE9ELNS1_3repE0EEENS1_48merge_mergepath_partition_config_static_selectorELNS0_4arch9wavefront6targetE0EEEvSJ_,comdat
	.protected	_ZN7rocprim17ROCPRIM_400000_NS6detail17trampoline_kernelINS0_14default_configENS1_38merge_sort_block_merge_config_selectorIiiEEZZNS1_27merge_sort_block_merge_implIS3_N6thrust23THRUST_200600_302600_NS6detail15normal_iteratorINS8_10device_ptrIiEEEESD_jNS1_19radix_merge_compareILb0ELb1EiNS0_19identity_decomposerEEEEE10hipError_tT0_T1_T2_jT3_P12ihipStream_tbPNSt15iterator_traitsISI_E10value_typeEPNSO_ISJ_E10value_typeEPSK_NS1_7vsmem_tEENKUlT_SI_SJ_SK_E_clISD_PiSD_S10_EESH_SX_SI_SJ_SK_EUlSX_E_NS1_11comp_targetILNS1_3genE5ELNS1_11target_archE942ELNS1_3gpuE9ELNS1_3repE0EEENS1_48merge_mergepath_partition_config_static_selectorELNS0_4arch9wavefront6targetE0EEEvSJ_ ; -- Begin function _ZN7rocprim17ROCPRIM_400000_NS6detail17trampoline_kernelINS0_14default_configENS1_38merge_sort_block_merge_config_selectorIiiEEZZNS1_27merge_sort_block_merge_implIS3_N6thrust23THRUST_200600_302600_NS6detail15normal_iteratorINS8_10device_ptrIiEEEESD_jNS1_19radix_merge_compareILb0ELb1EiNS0_19identity_decomposerEEEEE10hipError_tT0_T1_T2_jT3_P12ihipStream_tbPNSt15iterator_traitsISI_E10value_typeEPNSO_ISJ_E10value_typeEPSK_NS1_7vsmem_tEENKUlT_SI_SJ_SK_E_clISD_PiSD_S10_EESH_SX_SI_SJ_SK_EUlSX_E_NS1_11comp_targetILNS1_3genE5ELNS1_11target_archE942ELNS1_3gpuE9ELNS1_3repE0EEENS1_48merge_mergepath_partition_config_static_selectorELNS0_4arch9wavefront6targetE0EEEvSJ_
	.globl	_ZN7rocprim17ROCPRIM_400000_NS6detail17trampoline_kernelINS0_14default_configENS1_38merge_sort_block_merge_config_selectorIiiEEZZNS1_27merge_sort_block_merge_implIS3_N6thrust23THRUST_200600_302600_NS6detail15normal_iteratorINS8_10device_ptrIiEEEESD_jNS1_19radix_merge_compareILb0ELb1EiNS0_19identity_decomposerEEEEE10hipError_tT0_T1_T2_jT3_P12ihipStream_tbPNSt15iterator_traitsISI_E10value_typeEPNSO_ISJ_E10value_typeEPSK_NS1_7vsmem_tEENKUlT_SI_SJ_SK_E_clISD_PiSD_S10_EESH_SX_SI_SJ_SK_EUlSX_E_NS1_11comp_targetILNS1_3genE5ELNS1_11target_archE942ELNS1_3gpuE9ELNS1_3repE0EEENS1_48merge_mergepath_partition_config_static_selectorELNS0_4arch9wavefront6targetE0EEEvSJ_
	.p2align	8
	.type	_ZN7rocprim17ROCPRIM_400000_NS6detail17trampoline_kernelINS0_14default_configENS1_38merge_sort_block_merge_config_selectorIiiEEZZNS1_27merge_sort_block_merge_implIS3_N6thrust23THRUST_200600_302600_NS6detail15normal_iteratorINS8_10device_ptrIiEEEESD_jNS1_19radix_merge_compareILb0ELb1EiNS0_19identity_decomposerEEEEE10hipError_tT0_T1_T2_jT3_P12ihipStream_tbPNSt15iterator_traitsISI_E10value_typeEPNSO_ISJ_E10value_typeEPSK_NS1_7vsmem_tEENKUlT_SI_SJ_SK_E_clISD_PiSD_S10_EESH_SX_SI_SJ_SK_EUlSX_E_NS1_11comp_targetILNS1_3genE5ELNS1_11target_archE942ELNS1_3gpuE9ELNS1_3repE0EEENS1_48merge_mergepath_partition_config_static_selectorELNS0_4arch9wavefront6targetE0EEEvSJ_,@function
_ZN7rocprim17ROCPRIM_400000_NS6detail17trampoline_kernelINS0_14default_configENS1_38merge_sort_block_merge_config_selectorIiiEEZZNS1_27merge_sort_block_merge_implIS3_N6thrust23THRUST_200600_302600_NS6detail15normal_iteratorINS8_10device_ptrIiEEEESD_jNS1_19radix_merge_compareILb0ELb1EiNS0_19identity_decomposerEEEEE10hipError_tT0_T1_T2_jT3_P12ihipStream_tbPNSt15iterator_traitsISI_E10value_typeEPNSO_ISJ_E10value_typeEPSK_NS1_7vsmem_tEENKUlT_SI_SJ_SK_E_clISD_PiSD_S10_EESH_SX_SI_SJ_SK_EUlSX_E_NS1_11comp_targetILNS1_3genE5ELNS1_11target_archE942ELNS1_3gpuE9ELNS1_3repE0EEENS1_48merge_mergepath_partition_config_static_selectorELNS0_4arch9wavefront6targetE0EEEvSJ_: ; @_ZN7rocprim17ROCPRIM_400000_NS6detail17trampoline_kernelINS0_14default_configENS1_38merge_sort_block_merge_config_selectorIiiEEZZNS1_27merge_sort_block_merge_implIS3_N6thrust23THRUST_200600_302600_NS6detail15normal_iteratorINS8_10device_ptrIiEEEESD_jNS1_19radix_merge_compareILb0ELb1EiNS0_19identity_decomposerEEEEE10hipError_tT0_T1_T2_jT3_P12ihipStream_tbPNSt15iterator_traitsISI_E10value_typeEPNSO_ISJ_E10value_typeEPSK_NS1_7vsmem_tEENKUlT_SI_SJ_SK_E_clISD_PiSD_S10_EESH_SX_SI_SJ_SK_EUlSX_E_NS1_11comp_targetILNS1_3genE5ELNS1_11target_archE942ELNS1_3gpuE9ELNS1_3repE0EEENS1_48merge_mergepath_partition_config_static_selectorELNS0_4arch9wavefront6targetE0EEEvSJ_
; %bb.0:
	.section	.rodata,"a",@progbits
	.p2align	6, 0x0
	.amdhsa_kernel _ZN7rocprim17ROCPRIM_400000_NS6detail17trampoline_kernelINS0_14default_configENS1_38merge_sort_block_merge_config_selectorIiiEEZZNS1_27merge_sort_block_merge_implIS3_N6thrust23THRUST_200600_302600_NS6detail15normal_iteratorINS8_10device_ptrIiEEEESD_jNS1_19radix_merge_compareILb0ELb1EiNS0_19identity_decomposerEEEEE10hipError_tT0_T1_T2_jT3_P12ihipStream_tbPNSt15iterator_traitsISI_E10value_typeEPNSO_ISJ_E10value_typeEPSK_NS1_7vsmem_tEENKUlT_SI_SJ_SK_E_clISD_PiSD_S10_EESH_SX_SI_SJ_SK_EUlSX_E_NS1_11comp_targetILNS1_3genE5ELNS1_11target_archE942ELNS1_3gpuE9ELNS1_3repE0EEENS1_48merge_mergepath_partition_config_static_selectorELNS0_4arch9wavefront6targetE0EEEvSJ_
		.amdhsa_group_segment_fixed_size 0
		.amdhsa_private_segment_fixed_size 0
		.amdhsa_kernarg_size 40
		.amdhsa_user_sgpr_count 6
		.amdhsa_user_sgpr_private_segment_buffer 1
		.amdhsa_user_sgpr_dispatch_ptr 0
		.amdhsa_user_sgpr_queue_ptr 0
		.amdhsa_user_sgpr_kernarg_segment_ptr 1
		.amdhsa_user_sgpr_dispatch_id 0
		.amdhsa_user_sgpr_flat_scratch_init 0
		.amdhsa_user_sgpr_private_segment_size 0
		.amdhsa_wavefront_size32 1
		.amdhsa_uses_dynamic_stack 0
		.amdhsa_system_sgpr_private_segment_wavefront_offset 0
		.amdhsa_system_sgpr_workgroup_id_x 1
		.amdhsa_system_sgpr_workgroup_id_y 0
		.amdhsa_system_sgpr_workgroup_id_z 0
		.amdhsa_system_sgpr_workgroup_info 0
		.amdhsa_system_vgpr_workitem_id 0
		.amdhsa_next_free_vgpr 1
		.amdhsa_next_free_sgpr 1
		.amdhsa_reserve_vcc 0
		.amdhsa_reserve_flat_scratch 0
		.amdhsa_float_round_mode_32 0
		.amdhsa_float_round_mode_16_64 0
		.amdhsa_float_denorm_mode_32 3
		.amdhsa_float_denorm_mode_16_64 3
		.amdhsa_dx10_clamp 1
		.amdhsa_ieee_mode 1
		.amdhsa_fp16_overflow 0
		.amdhsa_workgroup_processor_mode 1
		.amdhsa_memory_ordered 1
		.amdhsa_forward_progress 1
		.amdhsa_shared_vgpr_count 0
		.amdhsa_exception_fp_ieee_invalid_op 0
		.amdhsa_exception_fp_denorm_src 0
		.amdhsa_exception_fp_ieee_div_zero 0
		.amdhsa_exception_fp_ieee_overflow 0
		.amdhsa_exception_fp_ieee_underflow 0
		.amdhsa_exception_fp_ieee_inexact 0
		.amdhsa_exception_int_div_zero 0
	.end_amdhsa_kernel
	.section	.text._ZN7rocprim17ROCPRIM_400000_NS6detail17trampoline_kernelINS0_14default_configENS1_38merge_sort_block_merge_config_selectorIiiEEZZNS1_27merge_sort_block_merge_implIS3_N6thrust23THRUST_200600_302600_NS6detail15normal_iteratorINS8_10device_ptrIiEEEESD_jNS1_19radix_merge_compareILb0ELb1EiNS0_19identity_decomposerEEEEE10hipError_tT0_T1_T2_jT3_P12ihipStream_tbPNSt15iterator_traitsISI_E10value_typeEPNSO_ISJ_E10value_typeEPSK_NS1_7vsmem_tEENKUlT_SI_SJ_SK_E_clISD_PiSD_S10_EESH_SX_SI_SJ_SK_EUlSX_E_NS1_11comp_targetILNS1_3genE5ELNS1_11target_archE942ELNS1_3gpuE9ELNS1_3repE0EEENS1_48merge_mergepath_partition_config_static_selectorELNS0_4arch9wavefront6targetE0EEEvSJ_,"axG",@progbits,_ZN7rocprim17ROCPRIM_400000_NS6detail17trampoline_kernelINS0_14default_configENS1_38merge_sort_block_merge_config_selectorIiiEEZZNS1_27merge_sort_block_merge_implIS3_N6thrust23THRUST_200600_302600_NS6detail15normal_iteratorINS8_10device_ptrIiEEEESD_jNS1_19radix_merge_compareILb0ELb1EiNS0_19identity_decomposerEEEEE10hipError_tT0_T1_T2_jT3_P12ihipStream_tbPNSt15iterator_traitsISI_E10value_typeEPNSO_ISJ_E10value_typeEPSK_NS1_7vsmem_tEENKUlT_SI_SJ_SK_E_clISD_PiSD_S10_EESH_SX_SI_SJ_SK_EUlSX_E_NS1_11comp_targetILNS1_3genE5ELNS1_11target_archE942ELNS1_3gpuE9ELNS1_3repE0EEENS1_48merge_mergepath_partition_config_static_selectorELNS0_4arch9wavefront6targetE0EEEvSJ_,comdat
.Lfunc_end782:
	.size	_ZN7rocprim17ROCPRIM_400000_NS6detail17trampoline_kernelINS0_14default_configENS1_38merge_sort_block_merge_config_selectorIiiEEZZNS1_27merge_sort_block_merge_implIS3_N6thrust23THRUST_200600_302600_NS6detail15normal_iteratorINS8_10device_ptrIiEEEESD_jNS1_19radix_merge_compareILb0ELb1EiNS0_19identity_decomposerEEEEE10hipError_tT0_T1_T2_jT3_P12ihipStream_tbPNSt15iterator_traitsISI_E10value_typeEPNSO_ISJ_E10value_typeEPSK_NS1_7vsmem_tEENKUlT_SI_SJ_SK_E_clISD_PiSD_S10_EESH_SX_SI_SJ_SK_EUlSX_E_NS1_11comp_targetILNS1_3genE5ELNS1_11target_archE942ELNS1_3gpuE9ELNS1_3repE0EEENS1_48merge_mergepath_partition_config_static_selectorELNS0_4arch9wavefront6targetE0EEEvSJ_, .Lfunc_end782-_ZN7rocprim17ROCPRIM_400000_NS6detail17trampoline_kernelINS0_14default_configENS1_38merge_sort_block_merge_config_selectorIiiEEZZNS1_27merge_sort_block_merge_implIS3_N6thrust23THRUST_200600_302600_NS6detail15normal_iteratorINS8_10device_ptrIiEEEESD_jNS1_19radix_merge_compareILb0ELb1EiNS0_19identity_decomposerEEEEE10hipError_tT0_T1_T2_jT3_P12ihipStream_tbPNSt15iterator_traitsISI_E10value_typeEPNSO_ISJ_E10value_typeEPSK_NS1_7vsmem_tEENKUlT_SI_SJ_SK_E_clISD_PiSD_S10_EESH_SX_SI_SJ_SK_EUlSX_E_NS1_11comp_targetILNS1_3genE5ELNS1_11target_archE942ELNS1_3gpuE9ELNS1_3repE0EEENS1_48merge_mergepath_partition_config_static_selectorELNS0_4arch9wavefront6targetE0EEEvSJ_
                                        ; -- End function
	.set _ZN7rocprim17ROCPRIM_400000_NS6detail17trampoline_kernelINS0_14default_configENS1_38merge_sort_block_merge_config_selectorIiiEEZZNS1_27merge_sort_block_merge_implIS3_N6thrust23THRUST_200600_302600_NS6detail15normal_iteratorINS8_10device_ptrIiEEEESD_jNS1_19radix_merge_compareILb0ELb1EiNS0_19identity_decomposerEEEEE10hipError_tT0_T1_T2_jT3_P12ihipStream_tbPNSt15iterator_traitsISI_E10value_typeEPNSO_ISJ_E10value_typeEPSK_NS1_7vsmem_tEENKUlT_SI_SJ_SK_E_clISD_PiSD_S10_EESH_SX_SI_SJ_SK_EUlSX_E_NS1_11comp_targetILNS1_3genE5ELNS1_11target_archE942ELNS1_3gpuE9ELNS1_3repE0EEENS1_48merge_mergepath_partition_config_static_selectorELNS0_4arch9wavefront6targetE0EEEvSJ_.num_vgpr, 0
	.set _ZN7rocprim17ROCPRIM_400000_NS6detail17trampoline_kernelINS0_14default_configENS1_38merge_sort_block_merge_config_selectorIiiEEZZNS1_27merge_sort_block_merge_implIS3_N6thrust23THRUST_200600_302600_NS6detail15normal_iteratorINS8_10device_ptrIiEEEESD_jNS1_19radix_merge_compareILb0ELb1EiNS0_19identity_decomposerEEEEE10hipError_tT0_T1_T2_jT3_P12ihipStream_tbPNSt15iterator_traitsISI_E10value_typeEPNSO_ISJ_E10value_typeEPSK_NS1_7vsmem_tEENKUlT_SI_SJ_SK_E_clISD_PiSD_S10_EESH_SX_SI_SJ_SK_EUlSX_E_NS1_11comp_targetILNS1_3genE5ELNS1_11target_archE942ELNS1_3gpuE9ELNS1_3repE0EEENS1_48merge_mergepath_partition_config_static_selectorELNS0_4arch9wavefront6targetE0EEEvSJ_.num_agpr, 0
	.set _ZN7rocprim17ROCPRIM_400000_NS6detail17trampoline_kernelINS0_14default_configENS1_38merge_sort_block_merge_config_selectorIiiEEZZNS1_27merge_sort_block_merge_implIS3_N6thrust23THRUST_200600_302600_NS6detail15normal_iteratorINS8_10device_ptrIiEEEESD_jNS1_19radix_merge_compareILb0ELb1EiNS0_19identity_decomposerEEEEE10hipError_tT0_T1_T2_jT3_P12ihipStream_tbPNSt15iterator_traitsISI_E10value_typeEPNSO_ISJ_E10value_typeEPSK_NS1_7vsmem_tEENKUlT_SI_SJ_SK_E_clISD_PiSD_S10_EESH_SX_SI_SJ_SK_EUlSX_E_NS1_11comp_targetILNS1_3genE5ELNS1_11target_archE942ELNS1_3gpuE9ELNS1_3repE0EEENS1_48merge_mergepath_partition_config_static_selectorELNS0_4arch9wavefront6targetE0EEEvSJ_.numbered_sgpr, 0
	.set _ZN7rocprim17ROCPRIM_400000_NS6detail17trampoline_kernelINS0_14default_configENS1_38merge_sort_block_merge_config_selectorIiiEEZZNS1_27merge_sort_block_merge_implIS3_N6thrust23THRUST_200600_302600_NS6detail15normal_iteratorINS8_10device_ptrIiEEEESD_jNS1_19radix_merge_compareILb0ELb1EiNS0_19identity_decomposerEEEEE10hipError_tT0_T1_T2_jT3_P12ihipStream_tbPNSt15iterator_traitsISI_E10value_typeEPNSO_ISJ_E10value_typeEPSK_NS1_7vsmem_tEENKUlT_SI_SJ_SK_E_clISD_PiSD_S10_EESH_SX_SI_SJ_SK_EUlSX_E_NS1_11comp_targetILNS1_3genE5ELNS1_11target_archE942ELNS1_3gpuE9ELNS1_3repE0EEENS1_48merge_mergepath_partition_config_static_selectorELNS0_4arch9wavefront6targetE0EEEvSJ_.num_named_barrier, 0
	.set _ZN7rocprim17ROCPRIM_400000_NS6detail17trampoline_kernelINS0_14default_configENS1_38merge_sort_block_merge_config_selectorIiiEEZZNS1_27merge_sort_block_merge_implIS3_N6thrust23THRUST_200600_302600_NS6detail15normal_iteratorINS8_10device_ptrIiEEEESD_jNS1_19radix_merge_compareILb0ELb1EiNS0_19identity_decomposerEEEEE10hipError_tT0_T1_T2_jT3_P12ihipStream_tbPNSt15iterator_traitsISI_E10value_typeEPNSO_ISJ_E10value_typeEPSK_NS1_7vsmem_tEENKUlT_SI_SJ_SK_E_clISD_PiSD_S10_EESH_SX_SI_SJ_SK_EUlSX_E_NS1_11comp_targetILNS1_3genE5ELNS1_11target_archE942ELNS1_3gpuE9ELNS1_3repE0EEENS1_48merge_mergepath_partition_config_static_selectorELNS0_4arch9wavefront6targetE0EEEvSJ_.private_seg_size, 0
	.set _ZN7rocprim17ROCPRIM_400000_NS6detail17trampoline_kernelINS0_14default_configENS1_38merge_sort_block_merge_config_selectorIiiEEZZNS1_27merge_sort_block_merge_implIS3_N6thrust23THRUST_200600_302600_NS6detail15normal_iteratorINS8_10device_ptrIiEEEESD_jNS1_19radix_merge_compareILb0ELb1EiNS0_19identity_decomposerEEEEE10hipError_tT0_T1_T2_jT3_P12ihipStream_tbPNSt15iterator_traitsISI_E10value_typeEPNSO_ISJ_E10value_typeEPSK_NS1_7vsmem_tEENKUlT_SI_SJ_SK_E_clISD_PiSD_S10_EESH_SX_SI_SJ_SK_EUlSX_E_NS1_11comp_targetILNS1_3genE5ELNS1_11target_archE942ELNS1_3gpuE9ELNS1_3repE0EEENS1_48merge_mergepath_partition_config_static_selectorELNS0_4arch9wavefront6targetE0EEEvSJ_.uses_vcc, 0
	.set _ZN7rocprim17ROCPRIM_400000_NS6detail17trampoline_kernelINS0_14default_configENS1_38merge_sort_block_merge_config_selectorIiiEEZZNS1_27merge_sort_block_merge_implIS3_N6thrust23THRUST_200600_302600_NS6detail15normal_iteratorINS8_10device_ptrIiEEEESD_jNS1_19radix_merge_compareILb0ELb1EiNS0_19identity_decomposerEEEEE10hipError_tT0_T1_T2_jT3_P12ihipStream_tbPNSt15iterator_traitsISI_E10value_typeEPNSO_ISJ_E10value_typeEPSK_NS1_7vsmem_tEENKUlT_SI_SJ_SK_E_clISD_PiSD_S10_EESH_SX_SI_SJ_SK_EUlSX_E_NS1_11comp_targetILNS1_3genE5ELNS1_11target_archE942ELNS1_3gpuE9ELNS1_3repE0EEENS1_48merge_mergepath_partition_config_static_selectorELNS0_4arch9wavefront6targetE0EEEvSJ_.uses_flat_scratch, 0
	.set _ZN7rocprim17ROCPRIM_400000_NS6detail17trampoline_kernelINS0_14default_configENS1_38merge_sort_block_merge_config_selectorIiiEEZZNS1_27merge_sort_block_merge_implIS3_N6thrust23THRUST_200600_302600_NS6detail15normal_iteratorINS8_10device_ptrIiEEEESD_jNS1_19radix_merge_compareILb0ELb1EiNS0_19identity_decomposerEEEEE10hipError_tT0_T1_T2_jT3_P12ihipStream_tbPNSt15iterator_traitsISI_E10value_typeEPNSO_ISJ_E10value_typeEPSK_NS1_7vsmem_tEENKUlT_SI_SJ_SK_E_clISD_PiSD_S10_EESH_SX_SI_SJ_SK_EUlSX_E_NS1_11comp_targetILNS1_3genE5ELNS1_11target_archE942ELNS1_3gpuE9ELNS1_3repE0EEENS1_48merge_mergepath_partition_config_static_selectorELNS0_4arch9wavefront6targetE0EEEvSJ_.has_dyn_sized_stack, 0
	.set _ZN7rocprim17ROCPRIM_400000_NS6detail17trampoline_kernelINS0_14default_configENS1_38merge_sort_block_merge_config_selectorIiiEEZZNS1_27merge_sort_block_merge_implIS3_N6thrust23THRUST_200600_302600_NS6detail15normal_iteratorINS8_10device_ptrIiEEEESD_jNS1_19radix_merge_compareILb0ELb1EiNS0_19identity_decomposerEEEEE10hipError_tT0_T1_T2_jT3_P12ihipStream_tbPNSt15iterator_traitsISI_E10value_typeEPNSO_ISJ_E10value_typeEPSK_NS1_7vsmem_tEENKUlT_SI_SJ_SK_E_clISD_PiSD_S10_EESH_SX_SI_SJ_SK_EUlSX_E_NS1_11comp_targetILNS1_3genE5ELNS1_11target_archE942ELNS1_3gpuE9ELNS1_3repE0EEENS1_48merge_mergepath_partition_config_static_selectorELNS0_4arch9wavefront6targetE0EEEvSJ_.has_recursion, 0
	.set _ZN7rocprim17ROCPRIM_400000_NS6detail17trampoline_kernelINS0_14default_configENS1_38merge_sort_block_merge_config_selectorIiiEEZZNS1_27merge_sort_block_merge_implIS3_N6thrust23THRUST_200600_302600_NS6detail15normal_iteratorINS8_10device_ptrIiEEEESD_jNS1_19radix_merge_compareILb0ELb1EiNS0_19identity_decomposerEEEEE10hipError_tT0_T1_T2_jT3_P12ihipStream_tbPNSt15iterator_traitsISI_E10value_typeEPNSO_ISJ_E10value_typeEPSK_NS1_7vsmem_tEENKUlT_SI_SJ_SK_E_clISD_PiSD_S10_EESH_SX_SI_SJ_SK_EUlSX_E_NS1_11comp_targetILNS1_3genE5ELNS1_11target_archE942ELNS1_3gpuE9ELNS1_3repE0EEENS1_48merge_mergepath_partition_config_static_selectorELNS0_4arch9wavefront6targetE0EEEvSJ_.has_indirect_call, 0
	.section	.AMDGPU.csdata,"",@progbits
; Kernel info:
; codeLenInByte = 0
; TotalNumSgprs: 0
; NumVgprs: 0
; ScratchSize: 0
; MemoryBound: 0
; FloatMode: 240
; IeeeMode: 1
; LDSByteSize: 0 bytes/workgroup (compile time only)
; SGPRBlocks: 0
; VGPRBlocks: 0
; NumSGPRsForWavesPerEU: 1
; NumVGPRsForWavesPerEU: 1
; Occupancy: 16
; WaveLimiterHint : 0
; COMPUTE_PGM_RSRC2:SCRATCH_EN: 0
; COMPUTE_PGM_RSRC2:USER_SGPR: 6
; COMPUTE_PGM_RSRC2:TRAP_HANDLER: 0
; COMPUTE_PGM_RSRC2:TGID_X_EN: 1
; COMPUTE_PGM_RSRC2:TGID_Y_EN: 0
; COMPUTE_PGM_RSRC2:TGID_Z_EN: 0
; COMPUTE_PGM_RSRC2:TIDIG_COMP_CNT: 0
	.section	.text._ZN7rocprim17ROCPRIM_400000_NS6detail17trampoline_kernelINS0_14default_configENS1_38merge_sort_block_merge_config_selectorIiiEEZZNS1_27merge_sort_block_merge_implIS3_N6thrust23THRUST_200600_302600_NS6detail15normal_iteratorINS8_10device_ptrIiEEEESD_jNS1_19radix_merge_compareILb0ELb1EiNS0_19identity_decomposerEEEEE10hipError_tT0_T1_T2_jT3_P12ihipStream_tbPNSt15iterator_traitsISI_E10value_typeEPNSO_ISJ_E10value_typeEPSK_NS1_7vsmem_tEENKUlT_SI_SJ_SK_E_clISD_PiSD_S10_EESH_SX_SI_SJ_SK_EUlSX_E_NS1_11comp_targetILNS1_3genE4ELNS1_11target_archE910ELNS1_3gpuE8ELNS1_3repE0EEENS1_48merge_mergepath_partition_config_static_selectorELNS0_4arch9wavefront6targetE0EEEvSJ_,"axG",@progbits,_ZN7rocprim17ROCPRIM_400000_NS6detail17trampoline_kernelINS0_14default_configENS1_38merge_sort_block_merge_config_selectorIiiEEZZNS1_27merge_sort_block_merge_implIS3_N6thrust23THRUST_200600_302600_NS6detail15normal_iteratorINS8_10device_ptrIiEEEESD_jNS1_19radix_merge_compareILb0ELb1EiNS0_19identity_decomposerEEEEE10hipError_tT0_T1_T2_jT3_P12ihipStream_tbPNSt15iterator_traitsISI_E10value_typeEPNSO_ISJ_E10value_typeEPSK_NS1_7vsmem_tEENKUlT_SI_SJ_SK_E_clISD_PiSD_S10_EESH_SX_SI_SJ_SK_EUlSX_E_NS1_11comp_targetILNS1_3genE4ELNS1_11target_archE910ELNS1_3gpuE8ELNS1_3repE0EEENS1_48merge_mergepath_partition_config_static_selectorELNS0_4arch9wavefront6targetE0EEEvSJ_,comdat
	.protected	_ZN7rocprim17ROCPRIM_400000_NS6detail17trampoline_kernelINS0_14default_configENS1_38merge_sort_block_merge_config_selectorIiiEEZZNS1_27merge_sort_block_merge_implIS3_N6thrust23THRUST_200600_302600_NS6detail15normal_iteratorINS8_10device_ptrIiEEEESD_jNS1_19radix_merge_compareILb0ELb1EiNS0_19identity_decomposerEEEEE10hipError_tT0_T1_T2_jT3_P12ihipStream_tbPNSt15iterator_traitsISI_E10value_typeEPNSO_ISJ_E10value_typeEPSK_NS1_7vsmem_tEENKUlT_SI_SJ_SK_E_clISD_PiSD_S10_EESH_SX_SI_SJ_SK_EUlSX_E_NS1_11comp_targetILNS1_3genE4ELNS1_11target_archE910ELNS1_3gpuE8ELNS1_3repE0EEENS1_48merge_mergepath_partition_config_static_selectorELNS0_4arch9wavefront6targetE0EEEvSJ_ ; -- Begin function _ZN7rocprim17ROCPRIM_400000_NS6detail17trampoline_kernelINS0_14default_configENS1_38merge_sort_block_merge_config_selectorIiiEEZZNS1_27merge_sort_block_merge_implIS3_N6thrust23THRUST_200600_302600_NS6detail15normal_iteratorINS8_10device_ptrIiEEEESD_jNS1_19radix_merge_compareILb0ELb1EiNS0_19identity_decomposerEEEEE10hipError_tT0_T1_T2_jT3_P12ihipStream_tbPNSt15iterator_traitsISI_E10value_typeEPNSO_ISJ_E10value_typeEPSK_NS1_7vsmem_tEENKUlT_SI_SJ_SK_E_clISD_PiSD_S10_EESH_SX_SI_SJ_SK_EUlSX_E_NS1_11comp_targetILNS1_3genE4ELNS1_11target_archE910ELNS1_3gpuE8ELNS1_3repE0EEENS1_48merge_mergepath_partition_config_static_selectorELNS0_4arch9wavefront6targetE0EEEvSJ_
	.globl	_ZN7rocprim17ROCPRIM_400000_NS6detail17trampoline_kernelINS0_14default_configENS1_38merge_sort_block_merge_config_selectorIiiEEZZNS1_27merge_sort_block_merge_implIS3_N6thrust23THRUST_200600_302600_NS6detail15normal_iteratorINS8_10device_ptrIiEEEESD_jNS1_19radix_merge_compareILb0ELb1EiNS0_19identity_decomposerEEEEE10hipError_tT0_T1_T2_jT3_P12ihipStream_tbPNSt15iterator_traitsISI_E10value_typeEPNSO_ISJ_E10value_typeEPSK_NS1_7vsmem_tEENKUlT_SI_SJ_SK_E_clISD_PiSD_S10_EESH_SX_SI_SJ_SK_EUlSX_E_NS1_11comp_targetILNS1_3genE4ELNS1_11target_archE910ELNS1_3gpuE8ELNS1_3repE0EEENS1_48merge_mergepath_partition_config_static_selectorELNS0_4arch9wavefront6targetE0EEEvSJ_
	.p2align	8
	.type	_ZN7rocprim17ROCPRIM_400000_NS6detail17trampoline_kernelINS0_14default_configENS1_38merge_sort_block_merge_config_selectorIiiEEZZNS1_27merge_sort_block_merge_implIS3_N6thrust23THRUST_200600_302600_NS6detail15normal_iteratorINS8_10device_ptrIiEEEESD_jNS1_19radix_merge_compareILb0ELb1EiNS0_19identity_decomposerEEEEE10hipError_tT0_T1_T2_jT3_P12ihipStream_tbPNSt15iterator_traitsISI_E10value_typeEPNSO_ISJ_E10value_typeEPSK_NS1_7vsmem_tEENKUlT_SI_SJ_SK_E_clISD_PiSD_S10_EESH_SX_SI_SJ_SK_EUlSX_E_NS1_11comp_targetILNS1_3genE4ELNS1_11target_archE910ELNS1_3gpuE8ELNS1_3repE0EEENS1_48merge_mergepath_partition_config_static_selectorELNS0_4arch9wavefront6targetE0EEEvSJ_,@function
_ZN7rocprim17ROCPRIM_400000_NS6detail17trampoline_kernelINS0_14default_configENS1_38merge_sort_block_merge_config_selectorIiiEEZZNS1_27merge_sort_block_merge_implIS3_N6thrust23THRUST_200600_302600_NS6detail15normal_iteratorINS8_10device_ptrIiEEEESD_jNS1_19radix_merge_compareILb0ELb1EiNS0_19identity_decomposerEEEEE10hipError_tT0_T1_T2_jT3_P12ihipStream_tbPNSt15iterator_traitsISI_E10value_typeEPNSO_ISJ_E10value_typeEPSK_NS1_7vsmem_tEENKUlT_SI_SJ_SK_E_clISD_PiSD_S10_EESH_SX_SI_SJ_SK_EUlSX_E_NS1_11comp_targetILNS1_3genE4ELNS1_11target_archE910ELNS1_3gpuE8ELNS1_3repE0EEENS1_48merge_mergepath_partition_config_static_selectorELNS0_4arch9wavefront6targetE0EEEvSJ_: ; @_ZN7rocprim17ROCPRIM_400000_NS6detail17trampoline_kernelINS0_14default_configENS1_38merge_sort_block_merge_config_selectorIiiEEZZNS1_27merge_sort_block_merge_implIS3_N6thrust23THRUST_200600_302600_NS6detail15normal_iteratorINS8_10device_ptrIiEEEESD_jNS1_19radix_merge_compareILb0ELb1EiNS0_19identity_decomposerEEEEE10hipError_tT0_T1_T2_jT3_P12ihipStream_tbPNSt15iterator_traitsISI_E10value_typeEPNSO_ISJ_E10value_typeEPSK_NS1_7vsmem_tEENKUlT_SI_SJ_SK_E_clISD_PiSD_S10_EESH_SX_SI_SJ_SK_EUlSX_E_NS1_11comp_targetILNS1_3genE4ELNS1_11target_archE910ELNS1_3gpuE8ELNS1_3repE0EEENS1_48merge_mergepath_partition_config_static_selectorELNS0_4arch9wavefront6targetE0EEEvSJ_
; %bb.0:
	.section	.rodata,"a",@progbits
	.p2align	6, 0x0
	.amdhsa_kernel _ZN7rocprim17ROCPRIM_400000_NS6detail17trampoline_kernelINS0_14default_configENS1_38merge_sort_block_merge_config_selectorIiiEEZZNS1_27merge_sort_block_merge_implIS3_N6thrust23THRUST_200600_302600_NS6detail15normal_iteratorINS8_10device_ptrIiEEEESD_jNS1_19radix_merge_compareILb0ELb1EiNS0_19identity_decomposerEEEEE10hipError_tT0_T1_T2_jT3_P12ihipStream_tbPNSt15iterator_traitsISI_E10value_typeEPNSO_ISJ_E10value_typeEPSK_NS1_7vsmem_tEENKUlT_SI_SJ_SK_E_clISD_PiSD_S10_EESH_SX_SI_SJ_SK_EUlSX_E_NS1_11comp_targetILNS1_3genE4ELNS1_11target_archE910ELNS1_3gpuE8ELNS1_3repE0EEENS1_48merge_mergepath_partition_config_static_selectorELNS0_4arch9wavefront6targetE0EEEvSJ_
		.amdhsa_group_segment_fixed_size 0
		.amdhsa_private_segment_fixed_size 0
		.amdhsa_kernarg_size 40
		.amdhsa_user_sgpr_count 6
		.amdhsa_user_sgpr_private_segment_buffer 1
		.amdhsa_user_sgpr_dispatch_ptr 0
		.amdhsa_user_sgpr_queue_ptr 0
		.amdhsa_user_sgpr_kernarg_segment_ptr 1
		.amdhsa_user_sgpr_dispatch_id 0
		.amdhsa_user_sgpr_flat_scratch_init 0
		.amdhsa_user_sgpr_private_segment_size 0
		.amdhsa_wavefront_size32 1
		.amdhsa_uses_dynamic_stack 0
		.amdhsa_system_sgpr_private_segment_wavefront_offset 0
		.amdhsa_system_sgpr_workgroup_id_x 1
		.amdhsa_system_sgpr_workgroup_id_y 0
		.amdhsa_system_sgpr_workgroup_id_z 0
		.amdhsa_system_sgpr_workgroup_info 0
		.amdhsa_system_vgpr_workitem_id 0
		.amdhsa_next_free_vgpr 1
		.amdhsa_next_free_sgpr 1
		.amdhsa_reserve_vcc 0
		.amdhsa_reserve_flat_scratch 0
		.amdhsa_float_round_mode_32 0
		.amdhsa_float_round_mode_16_64 0
		.amdhsa_float_denorm_mode_32 3
		.amdhsa_float_denorm_mode_16_64 3
		.amdhsa_dx10_clamp 1
		.amdhsa_ieee_mode 1
		.amdhsa_fp16_overflow 0
		.amdhsa_workgroup_processor_mode 1
		.amdhsa_memory_ordered 1
		.amdhsa_forward_progress 1
		.amdhsa_shared_vgpr_count 0
		.amdhsa_exception_fp_ieee_invalid_op 0
		.amdhsa_exception_fp_denorm_src 0
		.amdhsa_exception_fp_ieee_div_zero 0
		.amdhsa_exception_fp_ieee_overflow 0
		.amdhsa_exception_fp_ieee_underflow 0
		.amdhsa_exception_fp_ieee_inexact 0
		.amdhsa_exception_int_div_zero 0
	.end_amdhsa_kernel
	.section	.text._ZN7rocprim17ROCPRIM_400000_NS6detail17trampoline_kernelINS0_14default_configENS1_38merge_sort_block_merge_config_selectorIiiEEZZNS1_27merge_sort_block_merge_implIS3_N6thrust23THRUST_200600_302600_NS6detail15normal_iteratorINS8_10device_ptrIiEEEESD_jNS1_19radix_merge_compareILb0ELb1EiNS0_19identity_decomposerEEEEE10hipError_tT0_T1_T2_jT3_P12ihipStream_tbPNSt15iterator_traitsISI_E10value_typeEPNSO_ISJ_E10value_typeEPSK_NS1_7vsmem_tEENKUlT_SI_SJ_SK_E_clISD_PiSD_S10_EESH_SX_SI_SJ_SK_EUlSX_E_NS1_11comp_targetILNS1_3genE4ELNS1_11target_archE910ELNS1_3gpuE8ELNS1_3repE0EEENS1_48merge_mergepath_partition_config_static_selectorELNS0_4arch9wavefront6targetE0EEEvSJ_,"axG",@progbits,_ZN7rocprim17ROCPRIM_400000_NS6detail17trampoline_kernelINS0_14default_configENS1_38merge_sort_block_merge_config_selectorIiiEEZZNS1_27merge_sort_block_merge_implIS3_N6thrust23THRUST_200600_302600_NS6detail15normal_iteratorINS8_10device_ptrIiEEEESD_jNS1_19radix_merge_compareILb0ELb1EiNS0_19identity_decomposerEEEEE10hipError_tT0_T1_T2_jT3_P12ihipStream_tbPNSt15iterator_traitsISI_E10value_typeEPNSO_ISJ_E10value_typeEPSK_NS1_7vsmem_tEENKUlT_SI_SJ_SK_E_clISD_PiSD_S10_EESH_SX_SI_SJ_SK_EUlSX_E_NS1_11comp_targetILNS1_3genE4ELNS1_11target_archE910ELNS1_3gpuE8ELNS1_3repE0EEENS1_48merge_mergepath_partition_config_static_selectorELNS0_4arch9wavefront6targetE0EEEvSJ_,comdat
.Lfunc_end783:
	.size	_ZN7rocprim17ROCPRIM_400000_NS6detail17trampoline_kernelINS0_14default_configENS1_38merge_sort_block_merge_config_selectorIiiEEZZNS1_27merge_sort_block_merge_implIS3_N6thrust23THRUST_200600_302600_NS6detail15normal_iteratorINS8_10device_ptrIiEEEESD_jNS1_19radix_merge_compareILb0ELb1EiNS0_19identity_decomposerEEEEE10hipError_tT0_T1_T2_jT3_P12ihipStream_tbPNSt15iterator_traitsISI_E10value_typeEPNSO_ISJ_E10value_typeEPSK_NS1_7vsmem_tEENKUlT_SI_SJ_SK_E_clISD_PiSD_S10_EESH_SX_SI_SJ_SK_EUlSX_E_NS1_11comp_targetILNS1_3genE4ELNS1_11target_archE910ELNS1_3gpuE8ELNS1_3repE0EEENS1_48merge_mergepath_partition_config_static_selectorELNS0_4arch9wavefront6targetE0EEEvSJ_, .Lfunc_end783-_ZN7rocprim17ROCPRIM_400000_NS6detail17trampoline_kernelINS0_14default_configENS1_38merge_sort_block_merge_config_selectorIiiEEZZNS1_27merge_sort_block_merge_implIS3_N6thrust23THRUST_200600_302600_NS6detail15normal_iteratorINS8_10device_ptrIiEEEESD_jNS1_19radix_merge_compareILb0ELb1EiNS0_19identity_decomposerEEEEE10hipError_tT0_T1_T2_jT3_P12ihipStream_tbPNSt15iterator_traitsISI_E10value_typeEPNSO_ISJ_E10value_typeEPSK_NS1_7vsmem_tEENKUlT_SI_SJ_SK_E_clISD_PiSD_S10_EESH_SX_SI_SJ_SK_EUlSX_E_NS1_11comp_targetILNS1_3genE4ELNS1_11target_archE910ELNS1_3gpuE8ELNS1_3repE0EEENS1_48merge_mergepath_partition_config_static_selectorELNS0_4arch9wavefront6targetE0EEEvSJ_
                                        ; -- End function
	.set _ZN7rocprim17ROCPRIM_400000_NS6detail17trampoline_kernelINS0_14default_configENS1_38merge_sort_block_merge_config_selectorIiiEEZZNS1_27merge_sort_block_merge_implIS3_N6thrust23THRUST_200600_302600_NS6detail15normal_iteratorINS8_10device_ptrIiEEEESD_jNS1_19radix_merge_compareILb0ELb1EiNS0_19identity_decomposerEEEEE10hipError_tT0_T1_T2_jT3_P12ihipStream_tbPNSt15iterator_traitsISI_E10value_typeEPNSO_ISJ_E10value_typeEPSK_NS1_7vsmem_tEENKUlT_SI_SJ_SK_E_clISD_PiSD_S10_EESH_SX_SI_SJ_SK_EUlSX_E_NS1_11comp_targetILNS1_3genE4ELNS1_11target_archE910ELNS1_3gpuE8ELNS1_3repE0EEENS1_48merge_mergepath_partition_config_static_selectorELNS0_4arch9wavefront6targetE0EEEvSJ_.num_vgpr, 0
	.set _ZN7rocprim17ROCPRIM_400000_NS6detail17trampoline_kernelINS0_14default_configENS1_38merge_sort_block_merge_config_selectorIiiEEZZNS1_27merge_sort_block_merge_implIS3_N6thrust23THRUST_200600_302600_NS6detail15normal_iteratorINS8_10device_ptrIiEEEESD_jNS1_19radix_merge_compareILb0ELb1EiNS0_19identity_decomposerEEEEE10hipError_tT0_T1_T2_jT3_P12ihipStream_tbPNSt15iterator_traitsISI_E10value_typeEPNSO_ISJ_E10value_typeEPSK_NS1_7vsmem_tEENKUlT_SI_SJ_SK_E_clISD_PiSD_S10_EESH_SX_SI_SJ_SK_EUlSX_E_NS1_11comp_targetILNS1_3genE4ELNS1_11target_archE910ELNS1_3gpuE8ELNS1_3repE0EEENS1_48merge_mergepath_partition_config_static_selectorELNS0_4arch9wavefront6targetE0EEEvSJ_.num_agpr, 0
	.set _ZN7rocprim17ROCPRIM_400000_NS6detail17trampoline_kernelINS0_14default_configENS1_38merge_sort_block_merge_config_selectorIiiEEZZNS1_27merge_sort_block_merge_implIS3_N6thrust23THRUST_200600_302600_NS6detail15normal_iteratorINS8_10device_ptrIiEEEESD_jNS1_19radix_merge_compareILb0ELb1EiNS0_19identity_decomposerEEEEE10hipError_tT0_T1_T2_jT3_P12ihipStream_tbPNSt15iterator_traitsISI_E10value_typeEPNSO_ISJ_E10value_typeEPSK_NS1_7vsmem_tEENKUlT_SI_SJ_SK_E_clISD_PiSD_S10_EESH_SX_SI_SJ_SK_EUlSX_E_NS1_11comp_targetILNS1_3genE4ELNS1_11target_archE910ELNS1_3gpuE8ELNS1_3repE0EEENS1_48merge_mergepath_partition_config_static_selectorELNS0_4arch9wavefront6targetE0EEEvSJ_.numbered_sgpr, 0
	.set _ZN7rocprim17ROCPRIM_400000_NS6detail17trampoline_kernelINS0_14default_configENS1_38merge_sort_block_merge_config_selectorIiiEEZZNS1_27merge_sort_block_merge_implIS3_N6thrust23THRUST_200600_302600_NS6detail15normal_iteratorINS8_10device_ptrIiEEEESD_jNS1_19radix_merge_compareILb0ELb1EiNS0_19identity_decomposerEEEEE10hipError_tT0_T1_T2_jT3_P12ihipStream_tbPNSt15iterator_traitsISI_E10value_typeEPNSO_ISJ_E10value_typeEPSK_NS1_7vsmem_tEENKUlT_SI_SJ_SK_E_clISD_PiSD_S10_EESH_SX_SI_SJ_SK_EUlSX_E_NS1_11comp_targetILNS1_3genE4ELNS1_11target_archE910ELNS1_3gpuE8ELNS1_3repE0EEENS1_48merge_mergepath_partition_config_static_selectorELNS0_4arch9wavefront6targetE0EEEvSJ_.num_named_barrier, 0
	.set _ZN7rocprim17ROCPRIM_400000_NS6detail17trampoline_kernelINS0_14default_configENS1_38merge_sort_block_merge_config_selectorIiiEEZZNS1_27merge_sort_block_merge_implIS3_N6thrust23THRUST_200600_302600_NS6detail15normal_iteratorINS8_10device_ptrIiEEEESD_jNS1_19radix_merge_compareILb0ELb1EiNS0_19identity_decomposerEEEEE10hipError_tT0_T1_T2_jT3_P12ihipStream_tbPNSt15iterator_traitsISI_E10value_typeEPNSO_ISJ_E10value_typeEPSK_NS1_7vsmem_tEENKUlT_SI_SJ_SK_E_clISD_PiSD_S10_EESH_SX_SI_SJ_SK_EUlSX_E_NS1_11comp_targetILNS1_3genE4ELNS1_11target_archE910ELNS1_3gpuE8ELNS1_3repE0EEENS1_48merge_mergepath_partition_config_static_selectorELNS0_4arch9wavefront6targetE0EEEvSJ_.private_seg_size, 0
	.set _ZN7rocprim17ROCPRIM_400000_NS6detail17trampoline_kernelINS0_14default_configENS1_38merge_sort_block_merge_config_selectorIiiEEZZNS1_27merge_sort_block_merge_implIS3_N6thrust23THRUST_200600_302600_NS6detail15normal_iteratorINS8_10device_ptrIiEEEESD_jNS1_19radix_merge_compareILb0ELb1EiNS0_19identity_decomposerEEEEE10hipError_tT0_T1_T2_jT3_P12ihipStream_tbPNSt15iterator_traitsISI_E10value_typeEPNSO_ISJ_E10value_typeEPSK_NS1_7vsmem_tEENKUlT_SI_SJ_SK_E_clISD_PiSD_S10_EESH_SX_SI_SJ_SK_EUlSX_E_NS1_11comp_targetILNS1_3genE4ELNS1_11target_archE910ELNS1_3gpuE8ELNS1_3repE0EEENS1_48merge_mergepath_partition_config_static_selectorELNS0_4arch9wavefront6targetE0EEEvSJ_.uses_vcc, 0
	.set _ZN7rocprim17ROCPRIM_400000_NS6detail17trampoline_kernelINS0_14default_configENS1_38merge_sort_block_merge_config_selectorIiiEEZZNS1_27merge_sort_block_merge_implIS3_N6thrust23THRUST_200600_302600_NS6detail15normal_iteratorINS8_10device_ptrIiEEEESD_jNS1_19radix_merge_compareILb0ELb1EiNS0_19identity_decomposerEEEEE10hipError_tT0_T1_T2_jT3_P12ihipStream_tbPNSt15iterator_traitsISI_E10value_typeEPNSO_ISJ_E10value_typeEPSK_NS1_7vsmem_tEENKUlT_SI_SJ_SK_E_clISD_PiSD_S10_EESH_SX_SI_SJ_SK_EUlSX_E_NS1_11comp_targetILNS1_3genE4ELNS1_11target_archE910ELNS1_3gpuE8ELNS1_3repE0EEENS1_48merge_mergepath_partition_config_static_selectorELNS0_4arch9wavefront6targetE0EEEvSJ_.uses_flat_scratch, 0
	.set _ZN7rocprim17ROCPRIM_400000_NS6detail17trampoline_kernelINS0_14default_configENS1_38merge_sort_block_merge_config_selectorIiiEEZZNS1_27merge_sort_block_merge_implIS3_N6thrust23THRUST_200600_302600_NS6detail15normal_iteratorINS8_10device_ptrIiEEEESD_jNS1_19radix_merge_compareILb0ELb1EiNS0_19identity_decomposerEEEEE10hipError_tT0_T1_T2_jT3_P12ihipStream_tbPNSt15iterator_traitsISI_E10value_typeEPNSO_ISJ_E10value_typeEPSK_NS1_7vsmem_tEENKUlT_SI_SJ_SK_E_clISD_PiSD_S10_EESH_SX_SI_SJ_SK_EUlSX_E_NS1_11comp_targetILNS1_3genE4ELNS1_11target_archE910ELNS1_3gpuE8ELNS1_3repE0EEENS1_48merge_mergepath_partition_config_static_selectorELNS0_4arch9wavefront6targetE0EEEvSJ_.has_dyn_sized_stack, 0
	.set _ZN7rocprim17ROCPRIM_400000_NS6detail17trampoline_kernelINS0_14default_configENS1_38merge_sort_block_merge_config_selectorIiiEEZZNS1_27merge_sort_block_merge_implIS3_N6thrust23THRUST_200600_302600_NS6detail15normal_iteratorINS8_10device_ptrIiEEEESD_jNS1_19radix_merge_compareILb0ELb1EiNS0_19identity_decomposerEEEEE10hipError_tT0_T1_T2_jT3_P12ihipStream_tbPNSt15iterator_traitsISI_E10value_typeEPNSO_ISJ_E10value_typeEPSK_NS1_7vsmem_tEENKUlT_SI_SJ_SK_E_clISD_PiSD_S10_EESH_SX_SI_SJ_SK_EUlSX_E_NS1_11comp_targetILNS1_3genE4ELNS1_11target_archE910ELNS1_3gpuE8ELNS1_3repE0EEENS1_48merge_mergepath_partition_config_static_selectorELNS0_4arch9wavefront6targetE0EEEvSJ_.has_recursion, 0
	.set _ZN7rocprim17ROCPRIM_400000_NS6detail17trampoline_kernelINS0_14default_configENS1_38merge_sort_block_merge_config_selectorIiiEEZZNS1_27merge_sort_block_merge_implIS3_N6thrust23THRUST_200600_302600_NS6detail15normal_iteratorINS8_10device_ptrIiEEEESD_jNS1_19radix_merge_compareILb0ELb1EiNS0_19identity_decomposerEEEEE10hipError_tT0_T1_T2_jT3_P12ihipStream_tbPNSt15iterator_traitsISI_E10value_typeEPNSO_ISJ_E10value_typeEPSK_NS1_7vsmem_tEENKUlT_SI_SJ_SK_E_clISD_PiSD_S10_EESH_SX_SI_SJ_SK_EUlSX_E_NS1_11comp_targetILNS1_3genE4ELNS1_11target_archE910ELNS1_3gpuE8ELNS1_3repE0EEENS1_48merge_mergepath_partition_config_static_selectorELNS0_4arch9wavefront6targetE0EEEvSJ_.has_indirect_call, 0
	.section	.AMDGPU.csdata,"",@progbits
; Kernel info:
; codeLenInByte = 0
; TotalNumSgprs: 0
; NumVgprs: 0
; ScratchSize: 0
; MemoryBound: 0
; FloatMode: 240
; IeeeMode: 1
; LDSByteSize: 0 bytes/workgroup (compile time only)
; SGPRBlocks: 0
; VGPRBlocks: 0
; NumSGPRsForWavesPerEU: 1
; NumVGPRsForWavesPerEU: 1
; Occupancy: 16
; WaveLimiterHint : 0
; COMPUTE_PGM_RSRC2:SCRATCH_EN: 0
; COMPUTE_PGM_RSRC2:USER_SGPR: 6
; COMPUTE_PGM_RSRC2:TRAP_HANDLER: 0
; COMPUTE_PGM_RSRC2:TGID_X_EN: 1
; COMPUTE_PGM_RSRC2:TGID_Y_EN: 0
; COMPUTE_PGM_RSRC2:TGID_Z_EN: 0
; COMPUTE_PGM_RSRC2:TIDIG_COMP_CNT: 0
	.section	.text._ZN7rocprim17ROCPRIM_400000_NS6detail17trampoline_kernelINS0_14default_configENS1_38merge_sort_block_merge_config_selectorIiiEEZZNS1_27merge_sort_block_merge_implIS3_N6thrust23THRUST_200600_302600_NS6detail15normal_iteratorINS8_10device_ptrIiEEEESD_jNS1_19radix_merge_compareILb0ELb1EiNS0_19identity_decomposerEEEEE10hipError_tT0_T1_T2_jT3_P12ihipStream_tbPNSt15iterator_traitsISI_E10value_typeEPNSO_ISJ_E10value_typeEPSK_NS1_7vsmem_tEENKUlT_SI_SJ_SK_E_clISD_PiSD_S10_EESH_SX_SI_SJ_SK_EUlSX_E_NS1_11comp_targetILNS1_3genE3ELNS1_11target_archE908ELNS1_3gpuE7ELNS1_3repE0EEENS1_48merge_mergepath_partition_config_static_selectorELNS0_4arch9wavefront6targetE0EEEvSJ_,"axG",@progbits,_ZN7rocprim17ROCPRIM_400000_NS6detail17trampoline_kernelINS0_14default_configENS1_38merge_sort_block_merge_config_selectorIiiEEZZNS1_27merge_sort_block_merge_implIS3_N6thrust23THRUST_200600_302600_NS6detail15normal_iteratorINS8_10device_ptrIiEEEESD_jNS1_19radix_merge_compareILb0ELb1EiNS0_19identity_decomposerEEEEE10hipError_tT0_T1_T2_jT3_P12ihipStream_tbPNSt15iterator_traitsISI_E10value_typeEPNSO_ISJ_E10value_typeEPSK_NS1_7vsmem_tEENKUlT_SI_SJ_SK_E_clISD_PiSD_S10_EESH_SX_SI_SJ_SK_EUlSX_E_NS1_11comp_targetILNS1_3genE3ELNS1_11target_archE908ELNS1_3gpuE7ELNS1_3repE0EEENS1_48merge_mergepath_partition_config_static_selectorELNS0_4arch9wavefront6targetE0EEEvSJ_,comdat
	.protected	_ZN7rocprim17ROCPRIM_400000_NS6detail17trampoline_kernelINS0_14default_configENS1_38merge_sort_block_merge_config_selectorIiiEEZZNS1_27merge_sort_block_merge_implIS3_N6thrust23THRUST_200600_302600_NS6detail15normal_iteratorINS8_10device_ptrIiEEEESD_jNS1_19radix_merge_compareILb0ELb1EiNS0_19identity_decomposerEEEEE10hipError_tT0_T1_T2_jT3_P12ihipStream_tbPNSt15iterator_traitsISI_E10value_typeEPNSO_ISJ_E10value_typeEPSK_NS1_7vsmem_tEENKUlT_SI_SJ_SK_E_clISD_PiSD_S10_EESH_SX_SI_SJ_SK_EUlSX_E_NS1_11comp_targetILNS1_3genE3ELNS1_11target_archE908ELNS1_3gpuE7ELNS1_3repE0EEENS1_48merge_mergepath_partition_config_static_selectorELNS0_4arch9wavefront6targetE0EEEvSJ_ ; -- Begin function _ZN7rocprim17ROCPRIM_400000_NS6detail17trampoline_kernelINS0_14default_configENS1_38merge_sort_block_merge_config_selectorIiiEEZZNS1_27merge_sort_block_merge_implIS3_N6thrust23THRUST_200600_302600_NS6detail15normal_iteratorINS8_10device_ptrIiEEEESD_jNS1_19radix_merge_compareILb0ELb1EiNS0_19identity_decomposerEEEEE10hipError_tT0_T1_T2_jT3_P12ihipStream_tbPNSt15iterator_traitsISI_E10value_typeEPNSO_ISJ_E10value_typeEPSK_NS1_7vsmem_tEENKUlT_SI_SJ_SK_E_clISD_PiSD_S10_EESH_SX_SI_SJ_SK_EUlSX_E_NS1_11comp_targetILNS1_3genE3ELNS1_11target_archE908ELNS1_3gpuE7ELNS1_3repE0EEENS1_48merge_mergepath_partition_config_static_selectorELNS0_4arch9wavefront6targetE0EEEvSJ_
	.globl	_ZN7rocprim17ROCPRIM_400000_NS6detail17trampoline_kernelINS0_14default_configENS1_38merge_sort_block_merge_config_selectorIiiEEZZNS1_27merge_sort_block_merge_implIS3_N6thrust23THRUST_200600_302600_NS6detail15normal_iteratorINS8_10device_ptrIiEEEESD_jNS1_19radix_merge_compareILb0ELb1EiNS0_19identity_decomposerEEEEE10hipError_tT0_T1_T2_jT3_P12ihipStream_tbPNSt15iterator_traitsISI_E10value_typeEPNSO_ISJ_E10value_typeEPSK_NS1_7vsmem_tEENKUlT_SI_SJ_SK_E_clISD_PiSD_S10_EESH_SX_SI_SJ_SK_EUlSX_E_NS1_11comp_targetILNS1_3genE3ELNS1_11target_archE908ELNS1_3gpuE7ELNS1_3repE0EEENS1_48merge_mergepath_partition_config_static_selectorELNS0_4arch9wavefront6targetE0EEEvSJ_
	.p2align	8
	.type	_ZN7rocprim17ROCPRIM_400000_NS6detail17trampoline_kernelINS0_14default_configENS1_38merge_sort_block_merge_config_selectorIiiEEZZNS1_27merge_sort_block_merge_implIS3_N6thrust23THRUST_200600_302600_NS6detail15normal_iteratorINS8_10device_ptrIiEEEESD_jNS1_19radix_merge_compareILb0ELb1EiNS0_19identity_decomposerEEEEE10hipError_tT0_T1_T2_jT3_P12ihipStream_tbPNSt15iterator_traitsISI_E10value_typeEPNSO_ISJ_E10value_typeEPSK_NS1_7vsmem_tEENKUlT_SI_SJ_SK_E_clISD_PiSD_S10_EESH_SX_SI_SJ_SK_EUlSX_E_NS1_11comp_targetILNS1_3genE3ELNS1_11target_archE908ELNS1_3gpuE7ELNS1_3repE0EEENS1_48merge_mergepath_partition_config_static_selectorELNS0_4arch9wavefront6targetE0EEEvSJ_,@function
_ZN7rocprim17ROCPRIM_400000_NS6detail17trampoline_kernelINS0_14default_configENS1_38merge_sort_block_merge_config_selectorIiiEEZZNS1_27merge_sort_block_merge_implIS3_N6thrust23THRUST_200600_302600_NS6detail15normal_iteratorINS8_10device_ptrIiEEEESD_jNS1_19radix_merge_compareILb0ELb1EiNS0_19identity_decomposerEEEEE10hipError_tT0_T1_T2_jT3_P12ihipStream_tbPNSt15iterator_traitsISI_E10value_typeEPNSO_ISJ_E10value_typeEPSK_NS1_7vsmem_tEENKUlT_SI_SJ_SK_E_clISD_PiSD_S10_EESH_SX_SI_SJ_SK_EUlSX_E_NS1_11comp_targetILNS1_3genE3ELNS1_11target_archE908ELNS1_3gpuE7ELNS1_3repE0EEENS1_48merge_mergepath_partition_config_static_selectorELNS0_4arch9wavefront6targetE0EEEvSJ_: ; @_ZN7rocprim17ROCPRIM_400000_NS6detail17trampoline_kernelINS0_14default_configENS1_38merge_sort_block_merge_config_selectorIiiEEZZNS1_27merge_sort_block_merge_implIS3_N6thrust23THRUST_200600_302600_NS6detail15normal_iteratorINS8_10device_ptrIiEEEESD_jNS1_19radix_merge_compareILb0ELb1EiNS0_19identity_decomposerEEEEE10hipError_tT0_T1_T2_jT3_P12ihipStream_tbPNSt15iterator_traitsISI_E10value_typeEPNSO_ISJ_E10value_typeEPSK_NS1_7vsmem_tEENKUlT_SI_SJ_SK_E_clISD_PiSD_S10_EESH_SX_SI_SJ_SK_EUlSX_E_NS1_11comp_targetILNS1_3genE3ELNS1_11target_archE908ELNS1_3gpuE7ELNS1_3repE0EEENS1_48merge_mergepath_partition_config_static_selectorELNS0_4arch9wavefront6targetE0EEEvSJ_
; %bb.0:
	.section	.rodata,"a",@progbits
	.p2align	6, 0x0
	.amdhsa_kernel _ZN7rocprim17ROCPRIM_400000_NS6detail17trampoline_kernelINS0_14default_configENS1_38merge_sort_block_merge_config_selectorIiiEEZZNS1_27merge_sort_block_merge_implIS3_N6thrust23THRUST_200600_302600_NS6detail15normal_iteratorINS8_10device_ptrIiEEEESD_jNS1_19radix_merge_compareILb0ELb1EiNS0_19identity_decomposerEEEEE10hipError_tT0_T1_T2_jT3_P12ihipStream_tbPNSt15iterator_traitsISI_E10value_typeEPNSO_ISJ_E10value_typeEPSK_NS1_7vsmem_tEENKUlT_SI_SJ_SK_E_clISD_PiSD_S10_EESH_SX_SI_SJ_SK_EUlSX_E_NS1_11comp_targetILNS1_3genE3ELNS1_11target_archE908ELNS1_3gpuE7ELNS1_3repE0EEENS1_48merge_mergepath_partition_config_static_selectorELNS0_4arch9wavefront6targetE0EEEvSJ_
		.amdhsa_group_segment_fixed_size 0
		.amdhsa_private_segment_fixed_size 0
		.amdhsa_kernarg_size 40
		.amdhsa_user_sgpr_count 6
		.amdhsa_user_sgpr_private_segment_buffer 1
		.amdhsa_user_sgpr_dispatch_ptr 0
		.amdhsa_user_sgpr_queue_ptr 0
		.amdhsa_user_sgpr_kernarg_segment_ptr 1
		.amdhsa_user_sgpr_dispatch_id 0
		.amdhsa_user_sgpr_flat_scratch_init 0
		.amdhsa_user_sgpr_private_segment_size 0
		.amdhsa_wavefront_size32 1
		.amdhsa_uses_dynamic_stack 0
		.amdhsa_system_sgpr_private_segment_wavefront_offset 0
		.amdhsa_system_sgpr_workgroup_id_x 1
		.amdhsa_system_sgpr_workgroup_id_y 0
		.amdhsa_system_sgpr_workgroup_id_z 0
		.amdhsa_system_sgpr_workgroup_info 0
		.amdhsa_system_vgpr_workitem_id 0
		.amdhsa_next_free_vgpr 1
		.amdhsa_next_free_sgpr 1
		.amdhsa_reserve_vcc 0
		.amdhsa_reserve_flat_scratch 0
		.amdhsa_float_round_mode_32 0
		.amdhsa_float_round_mode_16_64 0
		.amdhsa_float_denorm_mode_32 3
		.amdhsa_float_denorm_mode_16_64 3
		.amdhsa_dx10_clamp 1
		.amdhsa_ieee_mode 1
		.amdhsa_fp16_overflow 0
		.amdhsa_workgroup_processor_mode 1
		.amdhsa_memory_ordered 1
		.amdhsa_forward_progress 1
		.amdhsa_shared_vgpr_count 0
		.amdhsa_exception_fp_ieee_invalid_op 0
		.amdhsa_exception_fp_denorm_src 0
		.amdhsa_exception_fp_ieee_div_zero 0
		.amdhsa_exception_fp_ieee_overflow 0
		.amdhsa_exception_fp_ieee_underflow 0
		.amdhsa_exception_fp_ieee_inexact 0
		.amdhsa_exception_int_div_zero 0
	.end_amdhsa_kernel
	.section	.text._ZN7rocprim17ROCPRIM_400000_NS6detail17trampoline_kernelINS0_14default_configENS1_38merge_sort_block_merge_config_selectorIiiEEZZNS1_27merge_sort_block_merge_implIS3_N6thrust23THRUST_200600_302600_NS6detail15normal_iteratorINS8_10device_ptrIiEEEESD_jNS1_19radix_merge_compareILb0ELb1EiNS0_19identity_decomposerEEEEE10hipError_tT0_T1_T2_jT3_P12ihipStream_tbPNSt15iterator_traitsISI_E10value_typeEPNSO_ISJ_E10value_typeEPSK_NS1_7vsmem_tEENKUlT_SI_SJ_SK_E_clISD_PiSD_S10_EESH_SX_SI_SJ_SK_EUlSX_E_NS1_11comp_targetILNS1_3genE3ELNS1_11target_archE908ELNS1_3gpuE7ELNS1_3repE0EEENS1_48merge_mergepath_partition_config_static_selectorELNS0_4arch9wavefront6targetE0EEEvSJ_,"axG",@progbits,_ZN7rocprim17ROCPRIM_400000_NS6detail17trampoline_kernelINS0_14default_configENS1_38merge_sort_block_merge_config_selectorIiiEEZZNS1_27merge_sort_block_merge_implIS3_N6thrust23THRUST_200600_302600_NS6detail15normal_iteratorINS8_10device_ptrIiEEEESD_jNS1_19radix_merge_compareILb0ELb1EiNS0_19identity_decomposerEEEEE10hipError_tT0_T1_T2_jT3_P12ihipStream_tbPNSt15iterator_traitsISI_E10value_typeEPNSO_ISJ_E10value_typeEPSK_NS1_7vsmem_tEENKUlT_SI_SJ_SK_E_clISD_PiSD_S10_EESH_SX_SI_SJ_SK_EUlSX_E_NS1_11comp_targetILNS1_3genE3ELNS1_11target_archE908ELNS1_3gpuE7ELNS1_3repE0EEENS1_48merge_mergepath_partition_config_static_selectorELNS0_4arch9wavefront6targetE0EEEvSJ_,comdat
.Lfunc_end784:
	.size	_ZN7rocprim17ROCPRIM_400000_NS6detail17trampoline_kernelINS0_14default_configENS1_38merge_sort_block_merge_config_selectorIiiEEZZNS1_27merge_sort_block_merge_implIS3_N6thrust23THRUST_200600_302600_NS6detail15normal_iteratorINS8_10device_ptrIiEEEESD_jNS1_19radix_merge_compareILb0ELb1EiNS0_19identity_decomposerEEEEE10hipError_tT0_T1_T2_jT3_P12ihipStream_tbPNSt15iterator_traitsISI_E10value_typeEPNSO_ISJ_E10value_typeEPSK_NS1_7vsmem_tEENKUlT_SI_SJ_SK_E_clISD_PiSD_S10_EESH_SX_SI_SJ_SK_EUlSX_E_NS1_11comp_targetILNS1_3genE3ELNS1_11target_archE908ELNS1_3gpuE7ELNS1_3repE0EEENS1_48merge_mergepath_partition_config_static_selectorELNS0_4arch9wavefront6targetE0EEEvSJ_, .Lfunc_end784-_ZN7rocprim17ROCPRIM_400000_NS6detail17trampoline_kernelINS0_14default_configENS1_38merge_sort_block_merge_config_selectorIiiEEZZNS1_27merge_sort_block_merge_implIS3_N6thrust23THRUST_200600_302600_NS6detail15normal_iteratorINS8_10device_ptrIiEEEESD_jNS1_19radix_merge_compareILb0ELb1EiNS0_19identity_decomposerEEEEE10hipError_tT0_T1_T2_jT3_P12ihipStream_tbPNSt15iterator_traitsISI_E10value_typeEPNSO_ISJ_E10value_typeEPSK_NS1_7vsmem_tEENKUlT_SI_SJ_SK_E_clISD_PiSD_S10_EESH_SX_SI_SJ_SK_EUlSX_E_NS1_11comp_targetILNS1_3genE3ELNS1_11target_archE908ELNS1_3gpuE7ELNS1_3repE0EEENS1_48merge_mergepath_partition_config_static_selectorELNS0_4arch9wavefront6targetE0EEEvSJ_
                                        ; -- End function
	.set _ZN7rocprim17ROCPRIM_400000_NS6detail17trampoline_kernelINS0_14default_configENS1_38merge_sort_block_merge_config_selectorIiiEEZZNS1_27merge_sort_block_merge_implIS3_N6thrust23THRUST_200600_302600_NS6detail15normal_iteratorINS8_10device_ptrIiEEEESD_jNS1_19radix_merge_compareILb0ELb1EiNS0_19identity_decomposerEEEEE10hipError_tT0_T1_T2_jT3_P12ihipStream_tbPNSt15iterator_traitsISI_E10value_typeEPNSO_ISJ_E10value_typeEPSK_NS1_7vsmem_tEENKUlT_SI_SJ_SK_E_clISD_PiSD_S10_EESH_SX_SI_SJ_SK_EUlSX_E_NS1_11comp_targetILNS1_3genE3ELNS1_11target_archE908ELNS1_3gpuE7ELNS1_3repE0EEENS1_48merge_mergepath_partition_config_static_selectorELNS0_4arch9wavefront6targetE0EEEvSJ_.num_vgpr, 0
	.set _ZN7rocprim17ROCPRIM_400000_NS6detail17trampoline_kernelINS0_14default_configENS1_38merge_sort_block_merge_config_selectorIiiEEZZNS1_27merge_sort_block_merge_implIS3_N6thrust23THRUST_200600_302600_NS6detail15normal_iteratorINS8_10device_ptrIiEEEESD_jNS1_19radix_merge_compareILb0ELb1EiNS0_19identity_decomposerEEEEE10hipError_tT0_T1_T2_jT3_P12ihipStream_tbPNSt15iterator_traitsISI_E10value_typeEPNSO_ISJ_E10value_typeEPSK_NS1_7vsmem_tEENKUlT_SI_SJ_SK_E_clISD_PiSD_S10_EESH_SX_SI_SJ_SK_EUlSX_E_NS1_11comp_targetILNS1_3genE3ELNS1_11target_archE908ELNS1_3gpuE7ELNS1_3repE0EEENS1_48merge_mergepath_partition_config_static_selectorELNS0_4arch9wavefront6targetE0EEEvSJ_.num_agpr, 0
	.set _ZN7rocprim17ROCPRIM_400000_NS6detail17trampoline_kernelINS0_14default_configENS1_38merge_sort_block_merge_config_selectorIiiEEZZNS1_27merge_sort_block_merge_implIS3_N6thrust23THRUST_200600_302600_NS6detail15normal_iteratorINS8_10device_ptrIiEEEESD_jNS1_19radix_merge_compareILb0ELb1EiNS0_19identity_decomposerEEEEE10hipError_tT0_T1_T2_jT3_P12ihipStream_tbPNSt15iterator_traitsISI_E10value_typeEPNSO_ISJ_E10value_typeEPSK_NS1_7vsmem_tEENKUlT_SI_SJ_SK_E_clISD_PiSD_S10_EESH_SX_SI_SJ_SK_EUlSX_E_NS1_11comp_targetILNS1_3genE3ELNS1_11target_archE908ELNS1_3gpuE7ELNS1_3repE0EEENS1_48merge_mergepath_partition_config_static_selectorELNS0_4arch9wavefront6targetE0EEEvSJ_.numbered_sgpr, 0
	.set _ZN7rocprim17ROCPRIM_400000_NS6detail17trampoline_kernelINS0_14default_configENS1_38merge_sort_block_merge_config_selectorIiiEEZZNS1_27merge_sort_block_merge_implIS3_N6thrust23THRUST_200600_302600_NS6detail15normal_iteratorINS8_10device_ptrIiEEEESD_jNS1_19radix_merge_compareILb0ELb1EiNS0_19identity_decomposerEEEEE10hipError_tT0_T1_T2_jT3_P12ihipStream_tbPNSt15iterator_traitsISI_E10value_typeEPNSO_ISJ_E10value_typeEPSK_NS1_7vsmem_tEENKUlT_SI_SJ_SK_E_clISD_PiSD_S10_EESH_SX_SI_SJ_SK_EUlSX_E_NS1_11comp_targetILNS1_3genE3ELNS1_11target_archE908ELNS1_3gpuE7ELNS1_3repE0EEENS1_48merge_mergepath_partition_config_static_selectorELNS0_4arch9wavefront6targetE0EEEvSJ_.num_named_barrier, 0
	.set _ZN7rocprim17ROCPRIM_400000_NS6detail17trampoline_kernelINS0_14default_configENS1_38merge_sort_block_merge_config_selectorIiiEEZZNS1_27merge_sort_block_merge_implIS3_N6thrust23THRUST_200600_302600_NS6detail15normal_iteratorINS8_10device_ptrIiEEEESD_jNS1_19radix_merge_compareILb0ELb1EiNS0_19identity_decomposerEEEEE10hipError_tT0_T1_T2_jT3_P12ihipStream_tbPNSt15iterator_traitsISI_E10value_typeEPNSO_ISJ_E10value_typeEPSK_NS1_7vsmem_tEENKUlT_SI_SJ_SK_E_clISD_PiSD_S10_EESH_SX_SI_SJ_SK_EUlSX_E_NS1_11comp_targetILNS1_3genE3ELNS1_11target_archE908ELNS1_3gpuE7ELNS1_3repE0EEENS1_48merge_mergepath_partition_config_static_selectorELNS0_4arch9wavefront6targetE0EEEvSJ_.private_seg_size, 0
	.set _ZN7rocprim17ROCPRIM_400000_NS6detail17trampoline_kernelINS0_14default_configENS1_38merge_sort_block_merge_config_selectorIiiEEZZNS1_27merge_sort_block_merge_implIS3_N6thrust23THRUST_200600_302600_NS6detail15normal_iteratorINS8_10device_ptrIiEEEESD_jNS1_19radix_merge_compareILb0ELb1EiNS0_19identity_decomposerEEEEE10hipError_tT0_T1_T2_jT3_P12ihipStream_tbPNSt15iterator_traitsISI_E10value_typeEPNSO_ISJ_E10value_typeEPSK_NS1_7vsmem_tEENKUlT_SI_SJ_SK_E_clISD_PiSD_S10_EESH_SX_SI_SJ_SK_EUlSX_E_NS1_11comp_targetILNS1_3genE3ELNS1_11target_archE908ELNS1_3gpuE7ELNS1_3repE0EEENS1_48merge_mergepath_partition_config_static_selectorELNS0_4arch9wavefront6targetE0EEEvSJ_.uses_vcc, 0
	.set _ZN7rocprim17ROCPRIM_400000_NS6detail17trampoline_kernelINS0_14default_configENS1_38merge_sort_block_merge_config_selectorIiiEEZZNS1_27merge_sort_block_merge_implIS3_N6thrust23THRUST_200600_302600_NS6detail15normal_iteratorINS8_10device_ptrIiEEEESD_jNS1_19radix_merge_compareILb0ELb1EiNS0_19identity_decomposerEEEEE10hipError_tT0_T1_T2_jT3_P12ihipStream_tbPNSt15iterator_traitsISI_E10value_typeEPNSO_ISJ_E10value_typeEPSK_NS1_7vsmem_tEENKUlT_SI_SJ_SK_E_clISD_PiSD_S10_EESH_SX_SI_SJ_SK_EUlSX_E_NS1_11comp_targetILNS1_3genE3ELNS1_11target_archE908ELNS1_3gpuE7ELNS1_3repE0EEENS1_48merge_mergepath_partition_config_static_selectorELNS0_4arch9wavefront6targetE0EEEvSJ_.uses_flat_scratch, 0
	.set _ZN7rocprim17ROCPRIM_400000_NS6detail17trampoline_kernelINS0_14default_configENS1_38merge_sort_block_merge_config_selectorIiiEEZZNS1_27merge_sort_block_merge_implIS3_N6thrust23THRUST_200600_302600_NS6detail15normal_iteratorINS8_10device_ptrIiEEEESD_jNS1_19radix_merge_compareILb0ELb1EiNS0_19identity_decomposerEEEEE10hipError_tT0_T1_T2_jT3_P12ihipStream_tbPNSt15iterator_traitsISI_E10value_typeEPNSO_ISJ_E10value_typeEPSK_NS1_7vsmem_tEENKUlT_SI_SJ_SK_E_clISD_PiSD_S10_EESH_SX_SI_SJ_SK_EUlSX_E_NS1_11comp_targetILNS1_3genE3ELNS1_11target_archE908ELNS1_3gpuE7ELNS1_3repE0EEENS1_48merge_mergepath_partition_config_static_selectorELNS0_4arch9wavefront6targetE0EEEvSJ_.has_dyn_sized_stack, 0
	.set _ZN7rocprim17ROCPRIM_400000_NS6detail17trampoline_kernelINS0_14default_configENS1_38merge_sort_block_merge_config_selectorIiiEEZZNS1_27merge_sort_block_merge_implIS3_N6thrust23THRUST_200600_302600_NS6detail15normal_iteratorINS8_10device_ptrIiEEEESD_jNS1_19radix_merge_compareILb0ELb1EiNS0_19identity_decomposerEEEEE10hipError_tT0_T1_T2_jT3_P12ihipStream_tbPNSt15iterator_traitsISI_E10value_typeEPNSO_ISJ_E10value_typeEPSK_NS1_7vsmem_tEENKUlT_SI_SJ_SK_E_clISD_PiSD_S10_EESH_SX_SI_SJ_SK_EUlSX_E_NS1_11comp_targetILNS1_3genE3ELNS1_11target_archE908ELNS1_3gpuE7ELNS1_3repE0EEENS1_48merge_mergepath_partition_config_static_selectorELNS0_4arch9wavefront6targetE0EEEvSJ_.has_recursion, 0
	.set _ZN7rocprim17ROCPRIM_400000_NS6detail17trampoline_kernelINS0_14default_configENS1_38merge_sort_block_merge_config_selectorIiiEEZZNS1_27merge_sort_block_merge_implIS3_N6thrust23THRUST_200600_302600_NS6detail15normal_iteratorINS8_10device_ptrIiEEEESD_jNS1_19radix_merge_compareILb0ELb1EiNS0_19identity_decomposerEEEEE10hipError_tT0_T1_T2_jT3_P12ihipStream_tbPNSt15iterator_traitsISI_E10value_typeEPNSO_ISJ_E10value_typeEPSK_NS1_7vsmem_tEENKUlT_SI_SJ_SK_E_clISD_PiSD_S10_EESH_SX_SI_SJ_SK_EUlSX_E_NS1_11comp_targetILNS1_3genE3ELNS1_11target_archE908ELNS1_3gpuE7ELNS1_3repE0EEENS1_48merge_mergepath_partition_config_static_selectorELNS0_4arch9wavefront6targetE0EEEvSJ_.has_indirect_call, 0
	.section	.AMDGPU.csdata,"",@progbits
; Kernel info:
; codeLenInByte = 0
; TotalNumSgprs: 0
; NumVgprs: 0
; ScratchSize: 0
; MemoryBound: 0
; FloatMode: 240
; IeeeMode: 1
; LDSByteSize: 0 bytes/workgroup (compile time only)
; SGPRBlocks: 0
; VGPRBlocks: 0
; NumSGPRsForWavesPerEU: 1
; NumVGPRsForWavesPerEU: 1
; Occupancy: 16
; WaveLimiterHint : 0
; COMPUTE_PGM_RSRC2:SCRATCH_EN: 0
; COMPUTE_PGM_RSRC2:USER_SGPR: 6
; COMPUTE_PGM_RSRC2:TRAP_HANDLER: 0
; COMPUTE_PGM_RSRC2:TGID_X_EN: 1
; COMPUTE_PGM_RSRC2:TGID_Y_EN: 0
; COMPUTE_PGM_RSRC2:TGID_Z_EN: 0
; COMPUTE_PGM_RSRC2:TIDIG_COMP_CNT: 0
	.section	.text._ZN7rocprim17ROCPRIM_400000_NS6detail17trampoline_kernelINS0_14default_configENS1_38merge_sort_block_merge_config_selectorIiiEEZZNS1_27merge_sort_block_merge_implIS3_N6thrust23THRUST_200600_302600_NS6detail15normal_iteratorINS8_10device_ptrIiEEEESD_jNS1_19radix_merge_compareILb0ELb1EiNS0_19identity_decomposerEEEEE10hipError_tT0_T1_T2_jT3_P12ihipStream_tbPNSt15iterator_traitsISI_E10value_typeEPNSO_ISJ_E10value_typeEPSK_NS1_7vsmem_tEENKUlT_SI_SJ_SK_E_clISD_PiSD_S10_EESH_SX_SI_SJ_SK_EUlSX_E_NS1_11comp_targetILNS1_3genE2ELNS1_11target_archE906ELNS1_3gpuE6ELNS1_3repE0EEENS1_48merge_mergepath_partition_config_static_selectorELNS0_4arch9wavefront6targetE0EEEvSJ_,"axG",@progbits,_ZN7rocprim17ROCPRIM_400000_NS6detail17trampoline_kernelINS0_14default_configENS1_38merge_sort_block_merge_config_selectorIiiEEZZNS1_27merge_sort_block_merge_implIS3_N6thrust23THRUST_200600_302600_NS6detail15normal_iteratorINS8_10device_ptrIiEEEESD_jNS1_19radix_merge_compareILb0ELb1EiNS0_19identity_decomposerEEEEE10hipError_tT0_T1_T2_jT3_P12ihipStream_tbPNSt15iterator_traitsISI_E10value_typeEPNSO_ISJ_E10value_typeEPSK_NS1_7vsmem_tEENKUlT_SI_SJ_SK_E_clISD_PiSD_S10_EESH_SX_SI_SJ_SK_EUlSX_E_NS1_11comp_targetILNS1_3genE2ELNS1_11target_archE906ELNS1_3gpuE6ELNS1_3repE0EEENS1_48merge_mergepath_partition_config_static_selectorELNS0_4arch9wavefront6targetE0EEEvSJ_,comdat
	.protected	_ZN7rocprim17ROCPRIM_400000_NS6detail17trampoline_kernelINS0_14default_configENS1_38merge_sort_block_merge_config_selectorIiiEEZZNS1_27merge_sort_block_merge_implIS3_N6thrust23THRUST_200600_302600_NS6detail15normal_iteratorINS8_10device_ptrIiEEEESD_jNS1_19radix_merge_compareILb0ELb1EiNS0_19identity_decomposerEEEEE10hipError_tT0_T1_T2_jT3_P12ihipStream_tbPNSt15iterator_traitsISI_E10value_typeEPNSO_ISJ_E10value_typeEPSK_NS1_7vsmem_tEENKUlT_SI_SJ_SK_E_clISD_PiSD_S10_EESH_SX_SI_SJ_SK_EUlSX_E_NS1_11comp_targetILNS1_3genE2ELNS1_11target_archE906ELNS1_3gpuE6ELNS1_3repE0EEENS1_48merge_mergepath_partition_config_static_selectorELNS0_4arch9wavefront6targetE0EEEvSJ_ ; -- Begin function _ZN7rocprim17ROCPRIM_400000_NS6detail17trampoline_kernelINS0_14default_configENS1_38merge_sort_block_merge_config_selectorIiiEEZZNS1_27merge_sort_block_merge_implIS3_N6thrust23THRUST_200600_302600_NS6detail15normal_iteratorINS8_10device_ptrIiEEEESD_jNS1_19radix_merge_compareILb0ELb1EiNS0_19identity_decomposerEEEEE10hipError_tT0_T1_T2_jT3_P12ihipStream_tbPNSt15iterator_traitsISI_E10value_typeEPNSO_ISJ_E10value_typeEPSK_NS1_7vsmem_tEENKUlT_SI_SJ_SK_E_clISD_PiSD_S10_EESH_SX_SI_SJ_SK_EUlSX_E_NS1_11comp_targetILNS1_3genE2ELNS1_11target_archE906ELNS1_3gpuE6ELNS1_3repE0EEENS1_48merge_mergepath_partition_config_static_selectorELNS0_4arch9wavefront6targetE0EEEvSJ_
	.globl	_ZN7rocprim17ROCPRIM_400000_NS6detail17trampoline_kernelINS0_14default_configENS1_38merge_sort_block_merge_config_selectorIiiEEZZNS1_27merge_sort_block_merge_implIS3_N6thrust23THRUST_200600_302600_NS6detail15normal_iteratorINS8_10device_ptrIiEEEESD_jNS1_19radix_merge_compareILb0ELb1EiNS0_19identity_decomposerEEEEE10hipError_tT0_T1_T2_jT3_P12ihipStream_tbPNSt15iterator_traitsISI_E10value_typeEPNSO_ISJ_E10value_typeEPSK_NS1_7vsmem_tEENKUlT_SI_SJ_SK_E_clISD_PiSD_S10_EESH_SX_SI_SJ_SK_EUlSX_E_NS1_11comp_targetILNS1_3genE2ELNS1_11target_archE906ELNS1_3gpuE6ELNS1_3repE0EEENS1_48merge_mergepath_partition_config_static_selectorELNS0_4arch9wavefront6targetE0EEEvSJ_
	.p2align	8
	.type	_ZN7rocprim17ROCPRIM_400000_NS6detail17trampoline_kernelINS0_14default_configENS1_38merge_sort_block_merge_config_selectorIiiEEZZNS1_27merge_sort_block_merge_implIS3_N6thrust23THRUST_200600_302600_NS6detail15normal_iteratorINS8_10device_ptrIiEEEESD_jNS1_19radix_merge_compareILb0ELb1EiNS0_19identity_decomposerEEEEE10hipError_tT0_T1_T2_jT3_P12ihipStream_tbPNSt15iterator_traitsISI_E10value_typeEPNSO_ISJ_E10value_typeEPSK_NS1_7vsmem_tEENKUlT_SI_SJ_SK_E_clISD_PiSD_S10_EESH_SX_SI_SJ_SK_EUlSX_E_NS1_11comp_targetILNS1_3genE2ELNS1_11target_archE906ELNS1_3gpuE6ELNS1_3repE0EEENS1_48merge_mergepath_partition_config_static_selectorELNS0_4arch9wavefront6targetE0EEEvSJ_,@function
_ZN7rocprim17ROCPRIM_400000_NS6detail17trampoline_kernelINS0_14default_configENS1_38merge_sort_block_merge_config_selectorIiiEEZZNS1_27merge_sort_block_merge_implIS3_N6thrust23THRUST_200600_302600_NS6detail15normal_iteratorINS8_10device_ptrIiEEEESD_jNS1_19radix_merge_compareILb0ELb1EiNS0_19identity_decomposerEEEEE10hipError_tT0_T1_T2_jT3_P12ihipStream_tbPNSt15iterator_traitsISI_E10value_typeEPNSO_ISJ_E10value_typeEPSK_NS1_7vsmem_tEENKUlT_SI_SJ_SK_E_clISD_PiSD_S10_EESH_SX_SI_SJ_SK_EUlSX_E_NS1_11comp_targetILNS1_3genE2ELNS1_11target_archE906ELNS1_3gpuE6ELNS1_3repE0EEENS1_48merge_mergepath_partition_config_static_selectorELNS0_4arch9wavefront6targetE0EEEvSJ_: ; @_ZN7rocprim17ROCPRIM_400000_NS6detail17trampoline_kernelINS0_14default_configENS1_38merge_sort_block_merge_config_selectorIiiEEZZNS1_27merge_sort_block_merge_implIS3_N6thrust23THRUST_200600_302600_NS6detail15normal_iteratorINS8_10device_ptrIiEEEESD_jNS1_19radix_merge_compareILb0ELb1EiNS0_19identity_decomposerEEEEE10hipError_tT0_T1_T2_jT3_P12ihipStream_tbPNSt15iterator_traitsISI_E10value_typeEPNSO_ISJ_E10value_typeEPSK_NS1_7vsmem_tEENKUlT_SI_SJ_SK_E_clISD_PiSD_S10_EESH_SX_SI_SJ_SK_EUlSX_E_NS1_11comp_targetILNS1_3genE2ELNS1_11target_archE906ELNS1_3gpuE6ELNS1_3repE0EEENS1_48merge_mergepath_partition_config_static_selectorELNS0_4arch9wavefront6targetE0EEEvSJ_
; %bb.0:
	.section	.rodata,"a",@progbits
	.p2align	6, 0x0
	.amdhsa_kernel _ZN7rocprim17ROCPRIM_400000_NS6detail17trampoline_kernelINS0_14default_configENS1_38merge_sort_block_merge_config_selectorIiiEEZZNS1_27merge_sort_block_merge_implIS3_N6thrust23THRUST_200600_302600_NS6detail15normal_iteratorINS8_10device_ptrIiEEEESD_jNS1_19radix_merge_compareILb0ELb1EiNS0_19identity_decomposerEEEEE10hipError_tT0_T1_T2_jT3_P12ihipStream_tbPNSt15iterator_traitsISI_E10value_typeEPNSO_ISJ_E10value_typeEPSK_NS1_7vsmem_tEENKUlT_SI_SJ_SK_E_clISD_PiSD_S10_EESH_SX_SI_SJ_SK_EUlSX_E_NS1_11comp_targetILNS1_3genE2ELNS1_11target_archE906ELNS1_3gpuE6ELNS1_3repE0EEENS1_48merge_mergepath_partition_config_static_selectorELNS0_4arch9wavefront6targetE0EEEvSJ_
		.amdhsa_group_segment_fixed_size 0
		.amdhsa_private_segment_fixed_size 0
		.amdhsa_kernarg_size 40
		.amdhsa_user_sgpr_count 6
		.amdhsa_user_sgpr_private_segment_buffer 1
		.amdhsa_user_sgpr_dispatch_ptr 0
		.amdhsa_user_sgpr_queue_ptr 0
		.amdhsa_user_sgpr_kernarg_segment_ptr 1
		.amdhsa_user_sgpr_dispatch_id 0
		.amdhsa_user_sgpr_flat_scratch_init 0
		.amdhsa_user_sgpr_private_segment_size 0
		.amdhsa_wavefront_size32 1
		.amdhsa_uses_dynamic_stack 0
		.amdhsa_system_sgpr_private_segment_wavefront_offset 0
		.amdhsa_system_sgpr_workgroup_id_x 1
		.amdhsa_system_sgpr_workgroup_id_y 0
		.amdhsa_system_sgpr_workgroup_id_z 0
		.amdhsa_system_sgpr_workgroup_info 0
		.amdhsa_system_vgpr_workitem_id 0
		.amdhsa_next_free_vgpr 1
		.amdhsa_next_free_sgpr 1
		.amdhsa_reserve_vcc 0
		.amdhsa_reserve_flat_scratch 0
		.amdhsa_float_round_mode_32 0
		.amdhsa_float_round_mode_16_64 0
		.amdhsa_float_denorm_mode_32 3
		.amdhsa_float_denorm_mode_16_64 3
		.amdhsa_dx10_clamp 1
		.amdhsa_ieee_mode 1
		.amdhsa_fp16_overflow 0
		.amdhsa_workgroup_processor_mode 1
		.amdhsa_memory_ordered 1
		.amdhsa_forward_progress 1
		.amdhsa_shared_vgpr_count 0
		.amdhsa_exception_fp_ieee_invalid_op 0
		.amdhsa_exception_fp_denorm_src 0
		.amdhsa_exception_fp_ieee_div_zero 0
		.amdhsa_exception_fp_ieee_overflow 0
		.amdhsa_exception_fp_ieee_underflow 0
		.amdhsa_exception_fp_ieee_inexact 0
		.amdhsa_exception_int_div_zero 0
	.end_amdhsa_kernel
	.section	.text._ZN7rocprim17ROCPRIM_400000_NS6detail17trampoline_kernelINS0_14default_configENS1_38merge_sort_block_merge_config_selectorIiiEEZZNS1_27merge_sort_block_merge_implIS3_N6thrust23THRUST_200600_302600_NS6detail15normal_iteratorINS8_10device_ptrIiEEEESD_jNS1_19radix_merge_compareILb0ELb1EiNS0_19identity_decomposerEEEEE10hipError_tT0_T1_T2_jT3_P12ihipStream_tbPNSt15iterator_traitsISI_E10value_typeEPNSO_ISJ_E10value_typeEPSK_NS1_7vsmem_tEENKUlT_SI_SJ_SK_E_clISD_PiSD_S10_EESH_SX_SI_SJ_SK_EUlSX_E_NS1_11comp_targetILNS1_3genE2ELNS1_11target_archE906ELNS1_3gpuE6ELNS1_3repE0EEENS1_48merge_mergepath_partition_config_static_selectorELNS0_4arch9wavefront6targetE0EEEvSJ_,"axG",@progbits,_ZN7rocprim17ROCPRIM_400000_NS6detail17trampoline_kernelINS0_14default_configENS1_38merge_sort_block_merge_config_selectorIiiEEZZNS1_27merge_sort_block_merge_implIS3_N6thrust23THRUST_200600_302600_NS6detail15normal_iteratorINS8_10device_ptrIiEEEESD_jNS1_19radix_merge_compareILb0ELb1EiNS0_19identity_decomposerEEEEE10hipError_tT0_T1_T2_jT3_P12ihipStream_tbPNSt15iterator_traitsISI_E10value_typeEPNSO_ISJ_E10value_typeEPSK_NS1_7vsmem_tEENKUlT_SI_SJ_SK_E_clISD_PiSD_S10_EESH_SX_SI_SJ_SK_EUlSX_E_NS1_11comp_targetILNS1_3genE2ELNS1_11target_archE906ELNS1_3gpuE6ELNS1_3repE0EEENS1_48merge_mergepath_partition_config_static_selectorELNS0_4arch9wavefront6targetE0EEEvSJ_,comdat
.Lfunc_end785:
	.size	_ZN7rocprim17ROCPRIM_400000_NS6detail17trampoline_kernelINS0_14default_configENS1_38merge_sort_block_merge_config_selectorIiiEEZZNS1_27merge_sort_block_merge_implIS3_N6thrust23THRUST_200600_302600_NS6detail15normal_iteratorINS8_10device_ptrIiEEEESD_jNS1_19radix_merge_compareILb0ELb1EiNS0_19identity_decomposerEEEEE10hipError_tT0_T1_T2_jT3_P12ihipStream_tbPNSt15iterator_traitsISI_E10value_typeEPNSO_ISJ_E10value_typeEPSK_NS1_7vsmem_tEENKUlT_SI_SJ_SK_E_clISD_PiSD_S10_EESH_SX_SI_SJ_SK_EUlSX_E_NS1_11comp_targetILNS1_3genE2ELNS1_11target_archE906ELNS1_3gpuE6ELNS1_3repE0EEENS1_48merge_mergepath_partition_config_static_selectorELNS0_4arch9wavefront6targetE0EEEvSJ_, .Lfunc_end785-_ZN7rocprim17ROCPRIM_400000_NS6detail17trampoline_kernelINS0_14default_configENS1_38merge_sort_block_merge_config_selectorIiiEEZZNS1_27merge_sort_block_merge_implIS3_N6thrust23THRUST_200600_302600_NS6detail15normal_iteratorINS8_10device_ptrIiEEEESD_jNS1_19radix_merge_compareILb0ELb1EiNS0_19identity_decomposerEEEEE10hipError_tT0_T1_T2_jT3_P12ihipStream_tbPNSt15iterator_traitsISI_E10value_typeEPNSO_ISJ_E10value_typeEPSK_NS1_7vsmem_tEENKUlT_SI_SJ_SK_E_clISD_PiSD_S10_EESH_SX_SI_SJ_SK_EUlSX_E_NS1_11comp_targetILNS1_3genE2ELNS1_11target_archE906ELNS1_3gpuE6ELNS1_3repE0EEENS1_48merge_mergepath_partition_config_static_selectorELNS0_4arch9wavefront6targetE0EEEvSJ_
                                        ; -- End function
	.set _ZN7rocprim17ROCPRIM_400000_NS6detail17trampoline_kernelINS0_14default_configENS1_38merge_sort_block_merge_config_selectorIiiEEZZNS1_27merge_sort_block_merge_implIS3_N6thrust23THRUST_200600_302600_NS6detail15normal_iteratorINS8_10device_ptrIiEEEESD_jNS1_19radix_merge_compareILb0ELb1EiNS0_19identity_decomposerEEEEE10hipError_tT0_T1_T2_jT3_P12ihipStream_tbPNSt15iterator_traitsISI_E10value_typeEPNSO_ISJ_E10value_typeEPSK_NS1_7vsmem_tEENKUlT_SI_SJ_SK_E_clISD_PiSD_S10_EESH_SX_SI_SJ_SK_EUlSX_E_NS1_11comp_targetILNS1_3genE2ELNS1_11target_archE906ELNS1_3gpuE6ELNS1_3repE0EEENS1_48merge_mergepath_partition_config_static_selectorELNS0_4arch9wavefront6targetE0EEEvSJ_.num_vgpr, 0
	.set _ZN7rocprim17ROCPRIM_400000_NS6detail17trampoline_kernelINS0_14default_configENS1_38merge_sort_block_merge_config_selectorIiiEEZZNS1_27merge_sort_block_merge_implIS3_N6thrust23THRUST_200600_302600_NS6detail15normal_iteratorINS8_10device_ptrIiEEEESD_jNS1_19radix_merge_compareILb0ELb1EiNS0_19identity_decomposerEEEEE10hipError_tT0_T1_T2_jT3_P12ihipStream_tbPNSt15iterator_traitsISI_E10value_typeEPNSO_ISJ_E10value_typeEPSK_NS1_7vsmem_tEENKUlT_SI_SJ_SK_E_clISD_PiSD_S10_EESH_SX_SI_SJ_SK_EUlSX_E_NS1_11comp_targetILNS1_3genE2ELNS1_11target_archE906ELNS1_3gpuE6ELNS1_3repE0EEENS1_48merge_mergepath_partition_config_static_selectorELNS0_4arch9wavefront6targetE0EEEvSJ_.num_agpr, 0
	.set _ZN7rocprim17ROCPRIM_400000_NS6detail17trampoline_kernelINS0_14default_configENS1_38merge_sort_block_merge_config_selectorIiiEEZZNS1_27merge_sort_block_merge_implIS3_N6thrust23THRUST_200600_302600_NS6detail15normal_iteratorINS8_10device_ptrIiEEEESD_jNS1_19radix_merge_compareILb0ELb1EiNS0_19identity_decomposerEEEEE10hipError_tT0_T1_T2_jT3_P12ihipStream_tbPNSt15iterator_traitsISI_E10value_typeEPNSO_ISJ_E10value_typeEPSK_NS1_7vsmem_tEENKUlT_SI_SJ_SK_E_clISD_PiSD_S10_EESH_SX_SI_SJ_SK_EUlSX_E_NS1_11comp_targetILNS1_3genE2ELNS1_11target_archE906ELNS1_3gpuE6ELNS1_3repE0EEENS1_48merge_mergepath_partition_config_static_selectorELNS0_4arch9wavefront6targetE0EEEvSJ_.numbered_sgpr, 0
	.set _ZN7rocprim17ROCPRIM_400000_NS6detail17trampoline_kernelINS0_14default_configENS1_38merge_sort_block_merge_config_selectorIiiEEZZNS1_27merge_sort_block_merge_implIS3_N6thrust23THRUST_200600_302600_NS6detail15normal_iteratorINS8_10device_ptrIiEEEESD_jNS1_19radix_merge_compareILb0ELb1EiNS0_19identity_decomposerEEEEE10hipError_tT0_T1_T2_jT3_P12ihipStream_tbPNSt15iterator_traitsISI_E10value_typeEPNSO_ISJ_E10value_typeEPSK_NS1_7vsmem_tEENKUlT_SI_SJ_SK_E_clISD_PiSD_S10_EESH_SX_SI_SJ_SK_EUlSX_E_NS1_11comp_targetILNS1_3genE2ELNS1_11target_archE906ELNS1_3gpuE6ELNS1_3repE0EEENS1_48merge_mergepath_partition_config_static_selectorELNS0_4arch9wavefront6targetE0EEEvSJ_.num_named_barrier, 0
	.set _ZN7rocprim17ROCPRIM_400000_NS6detail17trampoline_kernelINS0_14default_configENS1_38merge_sort_block_merge_config_selectorIiiEEZZNS1_27merge_sort_block_merge_implIS3_N6thrust23THRUST_200600_302600_NS6detail15normal_iteratorINS8_10device_ptrIiEEEESD_jNS1_19radix_merge_compareILb0ELb1EiNS0_19identity_decomposerEEEEE10hipError_tT0_T1_T2_jT3_P12ihipStream_tbPNSt15iterator_traitsISI_E10value_typeEPNSO_ISJ_E10value_typeEPSK_NS1_7vsmem_tEENKUlT_SI_SJ_SK_E_clISD_PiSD_S10_EESH_SX_SI_SJ_SK_EUlSX_E_NS1_11comp_targetILNS1_3genE2ELNS1_11target_archE906ELNS1_3gpuE6ELNS1_3repE0EEENS1_48merge_mergepath_partition_config_static_selectorELNS0_4arch9wavefront6targetE0EEEvSJ_.private_seg_size, 0
	.set _ZN7rocprim17ROCPRIM_400000_NS6detail17trampoline_kernelINS0_14default_configENS1_38merge_sort_block_merge_config_selectorIiiEEZZNS1_27merge_sort_block_merge_implIS3_N6thrust23THRUST_200600_302600_NS6detail15normal_iteratorINS8_10device_ptrIiEEEESD_jNS1_19radix_merge_compareILb0ELb1EiNS0_19identity_decomposerEEEEE10hipError_tT0_T1_T2_jT3_P12ihipStream_tbPNSt15iterator_traitsISI_E10value_typeEPNSO_ISJ_E10value_typeEPSK_NS1_7vsmem_tEENKUlT_SI_SJ_SK_E_clISD_PiSD_S10_EESH_SX_SI_SJ_SK_EUlSX_E_NS1_11comp_targetILNS1_3genE2ELNS1_11target_archE906ELNS1_3gpuE6ELNS1_3repE0EEENS1_48merge_mergepath_partition_config_static_selectorELNS0_4arch9wavefront6targetE0EEEvSJ_.uses_vcc, 0
	.set _ZN7rocprim17ROCPRIM_400000_NS6detail17trampoline_kernelINS0_14default_configENS1_38merge_sort_block_merge_config_selectorIiiEEZZNS1_27merge_sort_block_merge_implIS3_N6thrust23THRUST_200600_302600_NS6detail15normal_iteratorINS8_10device_ptrIiEEEESD_jNS1_19radix_merge_compareILb0ELb1EiNS0_19identity_decomposerEEEEE10hipError_tT0_T1_T2_jT3_P12ihipStream_tbPNSt15iterator_traitsISI_E10value_typeEPNSO_ISJ_E10value_typeEPSK_NS1_7vsmem_tEENKUlT_SI_SJ_SK_E_clISD_PiSD_S10_EESH_SX_SI_SJ_SK_EUlSX_E_NS1_11comp_targetILNS1_3genE2ELNS1_11target_archE906ELNS1_3gpuE6ELNS1_3repE0EEENS1_48merge_mergepath_partition_config_static_selectorELNS0_4arch9wavefront6targetE0EEEvSJ_.uses_flat_scratch, 0
	.set _ZN7rocprim17ROCPRIM_400000_NS6detail17trampoline_kernelINS0_14default_configENS1_38merge_sort_block_merge_config_selectorIiiEEZZNS1_27merge_sort_block_merge_implIS3_N6thrust23THRUST_200600_302600_NS6detail15normal_iteratorINS8_10device_ptrIiEEEESD_jNS1_19radix_merge_compareILb0ELb1EiNS0_19identity_decomposerEEEEE10hipError_tT0_T1_T2_jT3_P12ihipStream_tbPNSt15iterator_traitsISI_E10value_typeEPNSO_ISJ_E10value_typeEPSK_NS1_7vsmem_tEENKUlT_SI_SJ_SK_E_clISD_PiSD_S10_EESH_SX_SI_SJ_SK_EUlSX_E_NS1_11comp_targetILNS1_3genE2ELNS1_11target_archE906ELNS1_3gpuE6ELNS1_3repE0EEENS1_48merge_mergepath_partition_config_static_selectorELNS0_4arch9wavefront6targetE0EEEvSJ_.has_dyn_sized_stack, 0
	.set _ZN7rocprim17ROCPRIM_400000_NS6detail17trampoline_kernelINS0_14default_configENS1_38merge_sort_block_merge_config_selectorIiiEEZZNS1_27merge_sort_block_merge_implIS3_N6thrust23THRUST_200600_302600_NS6detail15normal_iteratorINS8_10device_ptrIiEEEESD_jNS1_19radix_merge_compareILb0ELb1EiNS0_19identity_decomposerEEEEE10hipError_tT0_T1_T2_jT3_P12ihipStream_tbPNSt15iterator_traitsISI_E10value_typeEPNSO_ISJ_E10value_typeEPSK_NS1_7vsmem_tEENKUlT_SI_SJ_SK_E_clISD_PiSD_S10_EESH_SX_SI_SJ_SK_EUlSX_E_NS1_11comp_targetILNS1_3genE2ELNS1_11target_archE906ELNS1_3gpuE6ELNS1_3repE0EEENS1_48merge_mergepath_partition_config_static_selectorELNS0_4arch9wavefront6targetE0EEEvSJ_.has_recursion, 0
	.set _ZN7rocprim17ROCPRIM_400000_NS6detail17trampoline_kernelINS0_14default_configENS1_38merge_sort_block_merge_config_selectorIiiEEZZNS1_27merge_sort_block_merge_implIS3_N6thrust23THRUST_200600_302600_NS6detail15normal_iteratorINS8_10device_ptrIiEEEESD_jNS1_19radix_merge_compareILb0ELb1EiNS0_19identity_decomposerEEEEE10hipError_tT0_T1_T2_jT3_P12ihipStream_tbPNSt15iterator_traitsISI_E10value_typeEPNSO_ISJ_E10value_typeEPSK_NS1_7vsmem_tEENKUlT_SI_SJ_SK_E_clISD_PiSD_S10_EESH_SX_SI_SJ_SK_EUlSX_E_NS1_11comp_targetILNS1_3genE2ELNS1_11target_archE906ELNS1_3gpuE6ELNS1_3repE0EEENS1_48merge_mergepath_partition_config_static_selectorELNS0_4arch9wavefront6targetE0EEEvSJ_.has_indirect_call, 0
	.section	.AMDGPU.csdata,"",@progbits
; Kernel info:
; codeLenInByte = 0
; TotalNumSgprs: 0
; NumVgprs: 0
; ScratchSize: 0
; MemoryBound: 0
; FloatMode: 240
; IeeeMode: 1
; LDSByteSize: 0 bytes/workgroup (compile time only)
; SGPRBlocks: 0
; VGPRBlocks: 0
; NumSGPRsForWavesPerEU: 1
; NumVGPRsForWavesPerEU: 1
; Occupancy: 16
; WaveLimiterHint : 0
; COMPUTE_PGM_RSRC2:SCRATCH_EN: 0
; COMPUTE_PGM_RSRC2:USER_SGPR: 6
; COMPUTE_PGM_RSRC2:TRAP_HANDLER: 0
; COMPUTE_PGM_RSRC2:TGID_X_EN: 1
; COMPUTE_PGM_RSRC2:TGID_Y_EN: 0
; COMPUTE_PGM_RSRC2:TGID_Z_EN: 0
; COMPUTE_PGM_RSRC2:TIDIG_COMP_CNT: 0
	.section	.text._ZN7rocprim17ROCPRIM_400000_NS6detail17trampoline_kernelINS0_14default_configENS1_38merge_sort_block_merge_config_selectorIiiEEZZNS1_27merge_sort_block_merge_implIS3_N6thrust23THRUST_200600_302600_NS6detail15normal_iteratorINS8_10device_ptrIiEEEESD_jNS1_19radix_merge_compareILb0ELb1EiNS0_19identity_decomposerEEEEE10hipError_tT0_T1_T2_jT3_P12ihipStream_tbPNSt15iterator_traitsISI_E10value_typeEPNSO_ISJ_E10value_typeEPSK_NS1_7vsmem_tEENKUlT_SI_SJ_SK_E_clISD_PiSD_S10_EESH_SX_SI_SJ_SK_EUlSX_E_NS1_11comp_targetILNS1_3genE9ELNS1_11target_archE1100ELNS1_3gpuE3ELNS1_3repE0EEENS1_48merge_mergepath_partition_config_static_selectorELNS0_4arch9wavefront6targetE0EEEvSJ_,"axG",@progbits,_ZN7rocprim17ROCPRIM_400000_NS6detail17trampoline_kernelINS0_14default_configENS1_38merge_sort_block_merge_config_selectorIiiEEZZNS1_27merge_sort_block_merge_implIS3_N6thrust23THRUST_200600_302600_NS6detail15normal_iteratorINS8_10device_ptrIiEEEESD_jNS1_19radix_merge_compareILb0ELb1EiNS0_19identity_decomposerEEEEE10hipError_tT0_T1_T2_jT3_P12ihipStream_tbPNSt15iterator_traitsISI_E10value_typeEPNSO_ISJ_E10value_typeEPSK_NS1_7vsmem_tEENKUlT_SI_SJ_SK_E_clISD_PiSD_S10_EESH_SX_SI_SJ_SK_EUlSX_E_NS1_11comp_targetILNS1_3genE9ELNS1_11target_archE1100ELNS1_3gpuE3ELNS1_3repE0EEENS1_48merge_mergepath_partition_config_static_selectorELNS0_4arch9wavefront6targetE0EEEvSJ_,comdat
	.protected	_ZN7rocprim17ROCPRIM_400000_NS6detail17trampoline_kernelINS0_14default_configENS1_38merge_sort_block_merge_config_selectorIiiEEZZNS1_27merge_sort_block_merge_implIS3_N6thrust23THRUST_200600_302600_NS6detail15normal_iteratorINS8_10device_ptrIiEEEESD_jNS1_19radix_merge_compareILb0ELb1EiNS0_19identity_decomposerEEEEE10hipError_tT0_T1_T2_jT3_P12ihipStream_tbPNSt15iterator_traitsISI_E10value_typeEPNSO_ISJ_E10value_typeEPSK_NS1_7vsmem_tEENKUlT_SI_SJ_SK_E_clISD_PiSD_S10_EESH_SX_SI_SJ_SK_EUlSX_E_NS1_11comp_targetILNS1_3genE9ELNS1_11target_archE1100ELNS1_3gpuE3ELNS1_3repE0EEENS1_48merge_mergepath_partition_config_static_selectorELNS0_4arch9wavefront6targetE0EEEvSJ_ ; -- Begin function _ZN7rocprim17ROCPRIM_400000_NS6detail17trampoline_kernelINS0_14default_configENS1_38merge_sort_block_merge_config_selectorIiiEEZZNS1_27merge_sort_block_merge_implIS3_N6thrust23THRUST_200600_302600_NS6detail15normal_iteratorINS8_10device_ptrIiEEEESD_jNS1_19radix_merge_compareILb0ELb1EiNS0_19identity_decomposerEEEEE10hipError_tT0_T1_T2_jT3_P12ihipStream_tbPNSt15iterator_traitsISI_E10value_typeEPNSO_ISJ_E10value_typeEPSK_NS1_7vsmem_tEENKUlT_SI_SJ_SK_E_clISD_PiSD_S10_EESH_SX_SI_SJ_SK_EUlSX_E_NS1_11comp_targetILNS1_3genE9ELNS1_11target_archE1100ELNS1_3gpuE3ELNS1_3repE0EEENS1_48merge_mergepath_partition_config_static_selectorELNS0_4arch9wavefront6targetE0EEEvSJ_
	.globl	_ZN7rocprim17ROCPRIM_400000_NS6detail17trampoline_kernelINS0_14default_configENS1_38merge_sort_block_merge_config_selectorIiiEEZZNS1_27merge_sort_block_merge_implIS3_N6thrust23THRUST_200600_302600_NS6detail15normal_iteratorINS8_10device_ptrIiEEEESD_jNS1_19radix_merge_compareILb0ELb1EiNS0_19identity_decomposerEEEEE10hipError_tT0_T1_T2_jT3_P12ihipStream_tbPNSt15iterator_traitsISI_E10value_typeEPNSO_ISJ_E10value_typeEPSK_NS1_7vsmem_tEENKUlT_SI_SJ_SK_E_clISD_PiSD_S10_EESH_SX_SI_SJ_SK_EUlSX_E_NS1_11comp_targetILNS1_3genE9ELNS1_11target_archE1100ELNS1_3gpuE3ELNS1_3repE0EEENS1_48merge_mergepath_partition_config_static_selectorELNS0_4arch9wavefront6targetE0EEEvSJ_
	.p2align	8
	.type	_ZN7rocprim17ROCPRIM_400000_NS6detail17trampoline_kernelINS0_14default_configENS1_38merge_sort_block_merge_config_selectorIiiEEZZNS1_27merge_sort_block_merge_implIS3_N6thrust23THRUST_200600_302600_NS6detail15normal_iteratorINS8_10device_ptrIiEEEESD_jNS1_19radix_merge_compareILb0ELb1EiNS0_19identity_decomposerEEEEE10hipError_tT0_T1_T2_jT3_P12ihipStream_tbPNSt15iterator_traitsISI_E10value_typeEPNSO_ISJ_E10value_typeEPSK_NS1_7vsmem_tEENKUlT_SI_SJ_SK_E_clISD_PiSD_S10_EESH_SX_SI_SJ_SK_EUlSX_E_NS1_11comp_targetILNS1_3genE9ELNS1_11target_archE1100ELNS1_3gpuE3ELNS1_3repE0EEENS1_48merge_mergepath_partition_config_static_selectorELNS0_4arch9wavefront6targetE0EEEvSJ_,@function
_ZN7rocprim17ROCPRIM_400000_NS6detail17trampoline_kernelINS0_14default_configENS1_38merge_sort_block_merge_config_selectorIiiEEZZNS1_27merge_sort_block_merge_implIS3_N6thrust23THRUST_200600_302600_NS6detail15normal_iteratorINS8_10device_ptrIiEEEESD_jNS1_19radix_merge_compareILb0ELb1EiNS0_19identity_decomposerEEEEE10hipError_tT0_T1_T2_jT3_P12ihipStream_tbPNSt15iterator_traitsISI_E10value_typeEPNSO_ISJ_E10value_typeEPSK_NS1_7vsmem_tEENKUlT_SI_SJ_SK_E_clISD_PiSD_S10_EESH_SX_SI_SJ_SK_EUlSX_E_NS1_11comp_targetILNS1_3genE9ELNS1_11target_archE1100ELNS1_3gpuE3ELNS1_3repE0EEENS1_48merge_mergepath_partition_config_static_selectorELNS0_4arch9wavefront6targetE0EEEvSJ_: ; @_ZN7rocprim17ROCPRIM_400000_NS6detail17trampoline_kernelINS0_14default_configENS1_38merge_sort_block_merge_config_selectorIiiEEZZNS1_27merge_sort_block_merge_implIS3_N6thrust23THRUST_200600_302600_NS6detail15normal_iteratorINS8_10device_ptrIiEEEESD_jNS1_19radix_merge_compareILb0ELb1EiNS0_19identity_decomposerEEEEE10hipError_tT0_T1_T2_jT3_P12ihipStream_tbPNSt15iterator_traitsISI_E10value_typeEPNSO_ISJ_E10value_typeEPSK_NS1_7vsmem_tEENKUlT_SI_SJ_SK_E_clISD_PiSD_S10_EESH_SX_SI_SJ_SK_EUlSX_E_NS1_11comp_targetILNS1_3genE9ELNS1_11target_archE1100ELNS1_3gpuE3ELNS1_3repE0EEENS1_48merge_mergepath_partition_config_static_selectorELNS0_4arch9wavefront6targetE0EEEvSJ_
; %bb.0:
	.section	.rodata,"a",@progbits
	.p2align	6, 0x0
	.amdhsa_kernel _ZN7rocprim17ROCPRIM_400000_NS6detail17trampoline_kernelINS0_14default_configENS1_38merge_sort_block_merge_config_selectorIiiEEZZNS1_27merge_sort_block_merge_implIS3_N6thrust23THRUST_200600_302600_NS6detail15normal_iteratorINS8_10device_ptrIiEEEESD_jNS1_19radix_merge_compareILb0ELb1EiNS0_19identity_decomposerEEEEE10hipError_tT0_T1_T2_jT3_P12ihipStream_tbPNSt15iterator_traitsISI_E10value_typeEPNSO_ISJ_E10value_typeEPSK_NS1_7vsmem_tEENKUlT_SI_SJ_SK_E_clISD_PiSD_S10_EESH_SX_SI_SJ_SK_EUlSX_E_NS1_11comp_targetILNS1_3genE9ELNS1_11target_archE1100ELNS1_3gpuE3ELNS1_3repE0EEENS1_48merge_mergepath_partition_config_static_selectorELNS0_4arch9wavefront6targetE0EEEvSJ_
		.amdhsa_group_segment_fixed_size 0
		.amdhsa_private_segment_fixed_size 0
		.amdhsa_kernarg_size 40
		.amdhsa_user_sgpr_count 6
		.amdhsa_user_sgpr_private_segment_buffer 1
		.amdhsa_user_sgpr_dispatch_ptr 0
		.amdhsa_user_sgpr_queue_ptr 0
		.amdhsa_user_sgpr_kernarg_segment_ptr 1
		.amdhsa_user_sgpr_dispatch_id 0
		.amdhsa_user_sgpr_flat_scratch_init 0
		.amdhsa_user_sgpr_private_segment_size 0
		.amdhsa_wavefront_size32 1
		.amdhsa_uses_dynamic_stack 0
		.amdhsa_system_sgpr_private_segment_wavefront_offset 0
		.amdhsa_system_sgpr_workgroup_id_x 1
		.amdhsa_system_sgpr_workgroup_id_y 0
		.amdhsa_system_sgpr_workgroup_id_z 0
		.amdhsa_system_sgpr_workgroup_info 0
		.amdhsa_system_vgpr_workitem_id 0
		.amdhsa_next_free_vgpr 1
		.amdhsa_next_free_sgpr 1
		.amdhsa_reserve_vcc 0
		.amdhsa_reserve_flat_scratch 0
		.amdhsa_float_round_mode_32 0
		.amdhsa_float_round_mode_16_64 0
		.amdhsa_float_denorm_mode_32 3
		.amdhsa_float_denorm_mode_16_64 3
		.amdhsa_dx10_clamp 1
		.amdhsa_ieee_mode 1
		.amdhsa_fp16_overflow 0
		.amdhsa_workgroup_processor_mode 1
		.amdhsa_memory_ordered 1
		.amdhsa_forward_progress 1
		.amdhsa_shared_vgpr_count 0
		.amdhsa_exception_fp_ieee_invalid_op 0
		.amdhsa_exception_fp_denorm_src 0
		.amdhsa_exception_fp_ieee_div_zero 0
		.amdhsa_exception_fp_ieee_overflow 0
		.amdhsa_exception_fp_ieee_underflow 0
		.amdhsa_exception_fp_ieee_inexact 0
		.amdhsa_exception_int_div_zero 0
	.end_amdhsa_kernel
	.section	.text._ZN7rocprim17ROCPRIM_400000_NS6detail17trampoline_kernelINS0_14default_configENS1_38merge_sort_block_merge_config_selectorIiiEEZZNS1_27merge_sort_block_merge_implIS3_N6thrust23THRUST_200600_302600_NS6detail15normal_iteratorINS8_10device_ptrIiEEEESD_jNS1_19radix_merge_compareILb0ELb1EiNS0_19identity_decomposerEEEEE10hipError_tT0_T1_T2_jT3_P12ihipStream_tbPNSt15iterator_traitsISI_E10value_typeEPNSO_ISJ_E10value_typeEPSK_NS1_7vsmem_tEENKUlT_SI_SJ_SK_E_clISD_PiSD_S10_EESH_SX_SI_SJ_SK_EUlSX_E_NS1_11comp_targetILNS1_3genE9ELNS1_11target_archE1100ELNS1_3gpuE3ELNS1_3repE0EEENS1_48merge_mergepath_partition_config_static_selectorELNS0_4arch9wavefront6targetE0EEEvSJ_,"axG",@progbits,_ZN7rocprim17ROCPRIM_400000_NS6detail17trampoline_kernelINS0_14default_configENS1_38merge_sort_block_merge_config_selectorIiiEEZZNS1_27merge_sort_block_merge_implIS3_N6thrust23THRUST_200600_302600_NS6detail15normal_iteratorINS8_10device_ptrIiEEEESD_jNS1_19radix_merge_compareILb0ELb1EiNS0_19identity_decomposerEEEEE10hipError_tT0_T1_T2_jT3_P12ihipStream_tbPNSt15iterator_traitsISI_E10value_typeEPNSO_ISJ_E10value_typeEPSK_NS1_7vsmem_tEENKUlT_SI_SJ_SK_E_clISD_PiSD_S10_EESH_SX_SI_SJ_SK_EUlSX_E_NS1_11comp_targetILNS1_3genE9ELNS1_11target_archE1100ELNS1_3gpuE3ELNS1_3repE0EEENS1_48merge_mergepath_partition_config_static_selectorELNS0_4arch9wavefront6targetE0EEEvSJ_,comdat
.Lfunc_end786:
	.size	_ZN7rocprim17ROCPRIM_400000_NS6detail17trampoline_kernelINS0_14default_configENS1_38merge_sort_block_merge_config_selectorIiiEEZZNS1_27merge_sort_block_merge_implIS3_N6thrust23THRUST_200600_302600_NS6detail15normal_iteratorINS8_10device_ptrIiEEEESD_jNS1_19radix_merge_compareILb0ELb1EiNS0_19identity_decomposerEEEEE10hipError_tT0_T1_T2_jT3_P12ihipStream_tbPNSt15iterator_traitsISI_E10value_typeEPNSO_ISJ_E10value_typeEPSK_NS1_7vsmem_tEENKUlT_SI_SJ_SK_E_clISD_PiSD_S10_EESH_SX_SI_SJ_SK_EUlSX_E_NS1_11comp_targetILNS1_3genE9ELNS1_11target_archE1100ELNS1_3gpuE3ELNS1_3repE0EEENS1_48merge_mergepath_partition_config_static_selectorELNS0_4arch9wavefront6targetE0EEEvSJ_, .Lfunc_end786-_ZN7rocprim17ROCPRIM_400000_NS6detail17trampoline_kernelINS0_14default_configENS1_38merge_sort_block_merge_config_selectorIiiEEZZNS1_27merge_sort_block_merge_implIS3_N6thrust23THRUST_200600_302600_NS6detail15normal_iteratorINS8_10device_ptrIiEEEESD_jNS1_19radix_merge_compareILb0ELb1EiNS0_19identity_decomposerEEEEE10hipError_tT0_T1_T2_jT3_P12ihipStream_tbPNSt15iterator_traitsISI_E10value_typeEPNSO_ISJ_E10value_typeEPSK_NS1_7vsmem_tEENKUlT_SI_SJ_SK_E_clISD_PiSD_S10_EESH_SX_SI_SJ_SK_EUlSX_E_NS1_11comp_targetILNS1_3genE9ELNS1_11target_archE1100ELNS1_3gpuE3ELNS1_3repE0EEENS1_48merge_mergepath_partition_config_static_selectorELNS0_4arch9wavefront6targetE0EEEvSJ_
                                        ; -- End function
	.set _ZN7rocprim17ROCPRIM_400000_NS6detail17trampoline_kernelINS0_14default_configENS1_38merge_sort_block_merge_config_selectorIiiEEZZNS1_27merge_sort_block_merge_implIS3_N6thrust23THRUST_200600_302600_NS6detail15normal_iteratorINS8_10device_ptrIiEEEESD_jNS1_19radix_merge_compareILb0ELb1EiNS0_19identity_decomposerEEEEE10hipError_tT0_T1_T2_jT3_P12ihipStream_tbPNSt15iterator_traitsISI_E10value_typeEPNSO_ISJ_E10value_typeEPSK_NS1_7vsmem_tEENKUlT_SI_SJ_SK_E_clISD_PiSD_S10_EESH_SX_SI_SJ_SK_EUlSX_E_NS1_11comp_targetILNS1_3genE9ELNS1_11target_archE1100ELNS1_3gpuE3ELNS1_3repE0EEENS1_48merge_mergepath_partition_config_static_selectorELNS0_4arch9wavefront6targetE0EEEvSJ_.num_vgpr, 0
	.set _ZN7rocprim17ROCPRIM_400000_NS6detail17trampoline_kernelINS0_14default_configENS1_38merge_sort_block_merge_config_selectorIiiEEZZNS1_27merge_sort_block_merge_implIS3_N6thrust23THRUST_200600_302600_NS6detail15normal_iteratorINS8_10device_ptrIiEEEESD_jNS1_19radix_merge_compareILb0ELb1EiNS0_19identity_decomposerEEEEE10hipError_tT0_T1_T2_jT3_P12ihipStream_tbPNSt15iterator_traitsISI_E10value_typeEPNSO_ISJ_E10value_typeEPSK_NS1_7vsmem_tEENKUlT_SI_SJ_SK_E_clISD_PiSD_S10_EESH_SX_SI_SJ_SK_EUlSX_E_NS1_11comp_targetILNS1_3genE9ELNS1_11target_archE1100ELNS1_3gpuE3ELNS1_3repE0EEENS1_48merge_mergepath_partition_config_static_selectorELNS0_4arch9wavefront6targetE0EEEvSJ_.num_agpr, 0
	.set _ZN7rocprim17ROCPRIM_400000_NS6detail17trampoline_kernelINS0_14default_configENS1_38merge_sort_block_merge_config_selectorIiiEEZZNS1_27merge_sort_block_merge_implIS3_N6thrust23THRUST_200600_302600_NS6detail15normal_iteratorINS8_10device_ptrIiEEEESD_jNS1_19radix_merge_compareILb0ELb1EiNS0_19identity_decomposerEEEEE10hipError_tT0_T1_T2_jT3_P12ihipStream_tbPNSt15iterator_traitsISI_E10value_typeEPNSO_ISJ_E10value_typeEPSK_NS1_7vsmem_tEENKUlT_SI_SJ_SK_E_clISD_PiSD_S10_EESH_SX_SI_SJ_SK_EUlSX_E_NS1_11comp_targetILNS1_3genE9ELNS1_11target_archE1100ELNS1_3gpuE3ELNS1_3repE0EEENS1_48merge_mergepath_partition_config_static_selectorELNS0_4arch9wavefront6targetE0EEEvSJ_.numbered_sgpr, 0
	.set _ZN7rocprim17ROCPRIM_400000_NS6detail17trampoline_kernelINS0_14default_configENS1_38merge_sort_block_merge_config_selectorIiiEEZZNS1_27merge_sort_block_merge_implIS3_N6thrust23THRUST_200600_302600_NS6detail15normal_iteratorINS8_10device_ptrIiEEEESD_jNS1_19radix_merge_compareILb0ELb1EiNS0_19identity_decomposerEEEEE10hipError_tT0_T1_T2_jT3_P12ihipStream_tbPNSt15iterator_traitsISI_E10value_typeEPNSO_ISJ_E10value_typeEPSK_NS1_7vsmem_tEENKUlT_SI_SJ_SK_E_clISD_PiSD_S10_EESH_SX_SI_SJ_SK_EUlSX_E_NS1_11comp_targetILNS1_3genE9ELNS1_11target_archE1100ELNS1_3gpuE3ELNS1_3repE0EEENS1_48merge_mergepath_partition_config_static_selectorELNS0_4arch9wavefront6targetE0EEEvSJ_.num_named_barrier, 0
	.set _ZN7rocprim17ROCPRIM_400000_NS6detail17trampoline_kernelINS0_14default_configENS1_38merge_sort_block_merge_config_selectorIiiEEZZNS1_27merge_sort_block_merge_implIS3_N6thrust23THRUST_200600_302600_NS6detail15normal_iteratorINS8_10device_ptrIiEEEESD_jNS1_19radix_merge_compareILb0ELb1EiNS0_19identity_decomposerEEEEE10hipError_tT0_T1_T2_jT3_P12ihipStream_tbPNSt15iterator_traitsISI_E10value_typeEPNSO_ISJ_E10value_typeEPSK_NS1_7vsmem_tEENKUlT_SI_SJ_SK_E_clISD_PiSD_S10_EESH_SX_SI_SJ_SK_EUlSX_E_NS1_11comp_targetILNS1_3genE9ELNS1_11target_archE1100ELNS1_3gpuE3ELNS1_3repE0EEENS1_48merge_mergepath_partition_config_static_selectorELNS0_4arch9wavefront6targetE0EEEvSJ_.private_seg_size, 0
	.set _ZN7rocprim17ROCPRIM_400000_NS6detail17trampoline_kernelINS0_14default_configENS1_38merge_sort_block_merge_config_selectorIiiEEZZNS1_27merge_sort_block_merge_implIS3_N6thrust23THRUST_200600_302600_NS6detail15normal_iteratorINS8_10device_ptrIiEEEESD_jNS1_19radix_merge_compareILb0ELb1EiNS0_19identity_decomposerEEEEE10hipError_tT0_T1_T2_jT3_P12ihipStream_tbPNSt15iterator_traitsISI_E10value_typeEPNSO_ISJ_E10value_typeEPSK_NS1_7vsmem_tEENKUlT_SI_SJ_SK_E_clISD_PiSD_S10_EESH_SX_SI_SJ_SK_EUlSX_E_NS1_11comp_targetILNS1_3genE9ELNS1_11target_archE1100ELNS1_3gpuE3ELNS1_3repE0EEENS1_48merge_mergepath_partition_config_static_selectorELNS0_4arch9wavefront6targetE0EEEvSJ_.uses_vcc, 0
	.set _ZN7rocprim17ROCPRIM_400000_NS6detail17trampoline_kernelINS0_14default_configENS1_38merge_sort_block_merge_config_selectorIiiEEZZNS1_27merge_sort_block_merge_implIS3_N6thrust23THRUST_200600_302600_NS6detail15normal_iteratorINS8_10device_ptrIiEEEESD_jNS1_19radix_merge_compareILb0ELb1EiNS0_19identity_decomposerEEEEE10hipError_tT0_T1_T2_jT3_P12ihipStream_tbPNSt15iterator_traitsISI_E10value_typeEPNSO_ISJ_E10value_typeEPSK_NS1_7vsmem_tEENKUlT_SI_SJ_SK_E_clISD_PiSD_S10_EESH_SX_SI_SJ_SK_EUlSX_E_NS1_11comp_targetILNS1_3genE9ELNS1_11target_archE1100ELNS1_3gpuE3ELNS1_3repE0EEENS1_48merge_mergepath_partition_config_static_selectorELNS0_4arch9wavefront6targetE0EEEvSJ_.uses_flat_scratch, 0
	.set _ZN7rocprim17ROCPRIM_400000_NS6detail17trampoline_kernelINS0_14default_configENS1_38merge_sort_block_merge_config_selectorIiiEEZZNS1_27merge_sort_block_merge_implIS3_N6thrust23THRUST_200600_302600_NS6detail15normal_iteratorINS8_10device_ptrIiEEEESD_jNS1_19radix_merge_compareILb0ELb1EiNS0_19identity_decomposerEEEEE10hipError_tT0_T1_T2_jT3_P12ihipStream_tbPNSt15iterator_traitsISI_E10value_typeEPNSO_ISJ_E10value_typeEPSK_NS1_7vsmem_tEENKUlT_SI_SJ_SK_E_clISD_PiSD_S10_EESH_SX_SI_SJ_SK_EUlSX_E_NS1_11comp_targetILNS1_3genE9ELNS1_11target_archE1100ELNS1_3gpuE3ELNS1_3repE0EEENS1_48merge_mergepath_partition_config_static_selectorELNS0_4arch9wavefront6targetE0EEEvSJ_.has_dyn_sized_stack, 0
	.set _ZN7rocprim17ROCPRIM_400000_NS6detail17trampoline_kernelINS0_14default_configENS1_38merge_sort_block_merge_config_selectorIiiEEZZNS1_27merge_sort_block_merge_implIS3_N6thrust23THRUST_200600_302600_NS6detail15normal_iteratorINS8_10device_ptrIiEEEESD_jNS1_19radix_merge_compareILb0ELb1EiNS0_19identity_decomposerEEEEE10hipError_tT0_T1_T2_jT3_P12ihipStream_tbPNSt15iterator_traitsISI_E10value_typeEPNSO_ISJ_E10value_typeEPSK_NS1_7vsmem_tEENKUlT_SI_SJ_SK_E_clISD_PiSD_S10_EESH_SX_SI_SJ_SK_EUlSX_E_NS1_11comp_targetILNS1_3genE9ELNS1_11target_archE1100ELNS1_3gpuE3ELNS1_3repE0EEENS1_48merge_mergepath_partition_config_static_selectorELNS0_4arch9wavefront6targetE0EEEvSJ_.has_recursion, 0
	.set _ZN7rocprim17ROCPRIM_400000_NS6detail17trampoline_kernelINS0_14default_configENS1_38merge_sort_block_merge_config_selectorIiiEEZZNS1_27merge_sort_block_merge_implIS3_N6thrust23THRUST_200600_302600_NS6detail15normal_iteratorINS8_10device_ptrIiEEEESD_jNS1_19radix_merge_compareILb0ELb1EiNS0_19identity_decomposerEEEEE10hipError_tT0_T1_T2_jT3_P12ihipStream_tbPNSt15iterator_traitsISI_E10value_typeEPNSO_ISJ_E10value_typeEPSK_NS1_7vsmem_tEENKUlT_SI_SJ_SK_E_clISD_PiSD_S10_EESH_SX_SI_SJ_SK_EUlSX_E_NS1_11comp_targetILNS1_3genE9ELNS1_11target_archE1100ELNS1_3gpuE3ELNS1_3repE0EEENS1_48merge_mergepath_partition_config_static_selectorELNS0_4arch9wavefront6targetE0EEEvSJ_.has_indirect_call, 0
	.section	.AMDGPU.csdata,"",@progbits
; Kernel info:
; codeLenInByte = 0
; TotalNumSgprs: 0
; NumVgprs: 0
; ScratchSize: 0
; MemoryBound: 0
; FloatMode: 240
; IeeeMode: 1
; LDSByteSize: 0 bytes/workgroup (compile time only)
; SGPRBlocks: 0
; VGPRBlocks: 0
; NumSGPRsForWavesPerEU: 1
; NumVGPRsForWavesPerEU: 1
; Occupancy: 16
; WaveLimiterHint : 0
; COMPUTE_PGM_RSRC2:SCRATCH_EN: 0
; COMPUTE_PGM_RSRC2:USER_SGPR: 6
; COMPUTE_PGM_RSRC2:TRAP_HANDLER: 0
; COMPUTE_PGM_RSRC2:TGID_X_EN: 1
; COMPUTE_PGM_RSRC2:TGID_Y_EN: 0
; COMPUTE_PGM_RSRC2:TGID_Z_EN: 0
; COMPUTE_PGM_RSRC2:TIDIG_COMP_CNT: 0
	.section	.text._ZN7rocprim17ROCPRIM_400000_NS6detail17trampoline_kernelINS0_14default_configENS1_38merge_sort_block_merge_config_selectorIiiEEZZNS1_27merge_sort_block_merge_implIS3_N6thrust23THRUST_200600_302600_NS6detail15normal_iteratorINS8_10device_ptrIiEEEESD_jNS1_19radix_merge_compareILb0ELb1EiNS0_19identity_decomposerEEEEE10hipError_tT0_T1_T2_jT3_P12ihipStream_tbPNSt15iterator_traitsISI_E10value_typeEPNSO_ISJ_E10value_typeEPSK_NS1_7vsmem_tEENKUlT_SI_SJ_SK_E_clISD_PiSD_S10_EESH_SX_SI_SJ_SK_EUlSX_E_NS1_11comp_targetILNS1_3genE8ELNS1_11target_archE1030ELNS1_3gpuE2ELNS1_3repE0EEENS1_48merge_mergepath_partition_config_static_selectorELNS0_4arch9wavefront6targetE0EEEvSJ_,"axG",@progbits,_ZN7rocprim17ROCPRIM_400000_NS6detail17trampoline_kernelINS0_14default_configENS1_38merge_sort_block_merge_config_selectorIiiEEZZNS1_27merge_sort_block_merge_implIS3_N6thrust23THRUST_200600_302600_NS6detail15normal_iteratorINS8_10device_ptrIiEEEESD_jNS1_19radix_merge_compareILb0ELb1EiNS0_19identity_decomposerEEEEE10hipError_tT0_T1_T2_jT3_P12ihipStream_tbPNSt15iterator_traitsISI_E10value_typeEPNSO_ISJ_E10value_typeEPSK_NS1_7vsmem_tEENKUlT_SI_SJ_SK_E_clISD_PiSD_S10_EESH_SX_SI_SJ_SK_EUlSX_E_NS1_11comp_targetILNS1_3genE8ELNS1_11target_archE1030ELNS1_3gpuE2ELNS1_3repE0EEENS1_48merge_mergepath_partition_config_static_selectorELNS0_4arch9wavefront6targetE0EEEvSJ_,comdat
	.protected	_ZN7rocprim17ROCPRIM_400000_NS6detail17trampoline_kernelINS0_14default_configENS1_38merge_sort_block_merge_config_selectorIiiEEZZNS1_27merge_sort_block_merge_implIS3_N6thrust23THRUST_200600_302600_NS6detail15normal_iteratorINS8_10device_ptrIiEEEESD_jNS1_19radix_merge_compareILb0ELb1EiNS0_19identity_decomposerEEEEE10hipError_tT0_T1_T2_jT3_P12ihipStream_tbPNSt15iterator_traitsISI_E10value_typeEPNSO_ISJ_E10value_typeEPSK_NS1_7vsmem_tEENKUlT_SI_SJ_SK_E_clISD_PiSD_S10_EESH_SX_SI_SJ_SK_EUlSX_E_NS1_11comp_targetILNS1_3genE8ELNS1_11target_archE1030ELNS1_3gpuE2ELNS1_3repE0EEENS1_48merge_mergepath_partition_config_static_selectorELNS0_4arch9wavefront6targetE0EEEvSJ_ ; -- Begin function _ZN7rocprim17ROCPRIM_400000_NS6detail17trampoline_kernelINS0_14default_configENS1_38merge_sort_block_merge_config_selectorIiiEEZZNS1_27merge_sort_block_merge_implIS3_N6thrust23THRUST_200600_302600_NS6detail15normal_iteratorINS8_10device_ptrIiEEEESD_jNS1_19radix_merge_compareILb0ELb1EiNS0_19identity_decomposerEEEEE10hipError_tT0_T1_T2_jT3_P12ihipStream_tbPNSt15iterator_traitsISI_E10value_typeEPNSO_ISJ_E10value_typeEPSK_NS1_7vsmem_tEENKUlT_SI_SJ_SK_E_clISD_PiSD_S10_EESH_SX_SI_SJ_SK_EUlSX_E_NS1_11comp_targetILNS1_3genE8ELNS1_11target_archE1030ELNS1_3gpuE2ELNS1_3repE0EEENS1_48merge_mergepath_partition_config_static_selectorELNS0_4arch9wavefront6targetE0EEEvSJ_
	.globl	_ZN7rocprim17ROCPRIM_400000_NS6detail17trampoline_kernelINS0_14default_configENS1_38merge_sort_block_merge_config_selectorIiiEEZZNS1_27merge_sort_block_merge_implIS3_N6thrust23THRUST_200600_302600_NS6detail15normal_iteratorINS8_10device_ptrIiEEEESD_jNS1_19radix_merge_compareILb0ELb1EiNS0_19identity_decomposerEEEEE10hipError_tT0_T1_T2_jT3_P12ihipStream_tbPNSt15iterator_traitsISI_E10value_typeEPNSO_ISJ_E10value_typeEPSK_NS1_7vsmem_tEENKUlT_SI_SJ_SK_E_clISD_PiSD_S10_EESH_SX_SI_SJ_SK_EUlSX_E_NS1_11comp_targetILNS1_3genE8ELNS1_11target_archE1030ELNS1_3gpuE2ELNS1_3repE0EEENS1_48merge_mergepath_partition_config_static_selectorELNS0_4arch9wavefront6targetE0EEEvSJ_
	.p2align	8
	.type	_ZN7rocprim17ROCPRIM_400000_NS6detail17trampoline_kernelINS0_14default_configENS1_38merge_sort_block_merge_config_selectorIiiEEZZNS1_27merge_sort_block_merge_implIS3_N6thrust23THRUST_200600_302600_NS6detail15normal_iteratorINS8_10device_ptrIiEEEESD_jNS1_19radix_merge_compareILb0ELb1EiNS0_19identity_decomposerEEEEE10hipError_tT0_T1_T2_jT3_P12ihipStream_tbPNSt15iterator_traitsISI_E10value_typeEPNSO_ISJ_E10value_typeEPSK_NS1_7vsmem_tEENKUlT_SI_SJ_SK_E_clISD_PiSD_S10_EESH_SX_SI_SJ_SK_EUlSX_E_NS1_11comp_targetILNS1_3genE8ELNS1_11target_archE1030ELNS1_3gpuE2ELNS1_3repE0EEENS1_48merge_mergepath_partition_config_static_selectorELNS0_4arch9wavefront6targetE0EEEvSJ_,@function
_ZN7rocprim17ROCPRIM_400000_NS6detail17trampoline_kernelINS0_14default_configENS1_38merge_sort_block_merge_config_selectorIiiEEZZNS1_27merge_sort_block_merge_implIS3_N6thrust23THRUST_200600_302600_NS6detail15normal_iteratorINS8_10device_ptrIiEEEESD_jNS1_19radix_merge_compareILb0ELb1EiNS0_19identity_decomposerEEEEE10hipError_tT0_T1_T2_jT3_P12ihipStream_tbPNSt15iterator_traitsISI_E10value_typeEPNSO_ISJ_E10value_typeEPSK_NS1_7vsmem_tEENKUlT_SI_SJ_SK_E_clISD_PiSD_S10_EESH_SX_SI_SJ_SK_EUlSX_E_NS1_11comp_targetILNS1_3genE8ELNS1_11target_archE1030ELNS1_3gpuE2ELNS1_3repE0EEENS1_48merge_mergepath_partition_config_static_selectorELNS0_4arch9wavefront6targetE0EEEvSJ_: ; @_ZN7rocprim17ROCPRIM_400000_NS6detail17trampoline_kernelINS0_14default_configENS1_38merge_sort_block_merge_config_selectorIiiEEZZNS1_27merge_sort_block_merge_implIS3_N6thrust23THRUST_200600_302600_NS6detail15normal_iteratorINS8_10device_ptrIiEEEESD_jNS1_19radix_merge_compareILb0ELb1EiNS0_19identity_decomposerEEEEE10hipError_tT0_T1_T2_jT3_P12ihipStream_tbPNSt15iterator_traitsISI_E10value_typeEPNSO_ISJ_E10value_typeEPSK_NS1_7vsmem_tEENKUlT_SI_SJ_SK_E_clISD_PiSD_S10_EESH_SX_SI_SJ_SK_EUlSX_E_NS1_11comp_targetILNS1_3genE8ELNS1_11target_archE1030ELNS1_3gpuE2ELNS1_3repE0EEENS1_48merge_mergepath_partition_config_static_selectorELNS0_4arch9wavefront6targetE0EEEvSJ_
; %bb.0:
	s_load_dword s0, s[4:5], 0x0
	v_lshl_or_b32 v0, s6, 7, v0
	s_waitcnt lgkmcnt(0)
	v_cmp_gt_u32_e32 vcc_lo, s0, v0
	s_and_saveexec_b32 s0, vcc_lo
	s_cbranch_execz .LBB787_6
; %bb.1:
	s_load_dwordx2 s[0:1], s[4:5], 0x4
	s_waitcnt lgkmcnt(0)
	s_lshr_b32 s2, s0, 9
	s_and_b32 s2, s2, 0x7ffffe
	s_sub_i32 s3, 0, s2
	s_add_i32 s2, s2, -1
	v_and_b32_e32 v1, s3, v0
	v_and_b32_e32 v5, s2, v0
	s_mov_b32 s3, 0
	s_mov_b32 s2, exec_lo
	v_lshlrev_b32_e32 v1, 10, v1
	v_add_nc_u32_e32 v2, s0, v1
	v_min_u32_e32 v4, s1, v2
	v_min_u32_e32 v2, s1, v1
	v_add_nc_u32_e32 v3, s0, v4
	v_min_u32_e32 v1, s1, v3
	s_load_dwordx2 s[0:1], s[4:5], 0x20
	v_lshlrev_b32_e32 v3, 10, v5
	v_sub_nc_u32_e32 v5, v1, v2
	v_sub_nc_u32_e32 v6, v1, v4
	v_min_u32_e32 v1, v5, v3
	v_sub_nc_u32_e32 v3, v4, v2
	v_sub_nc_u32_e64 v6, v1, v6 clamp
	v_min_u32_e32 v7, v1, v3
	v_cmpx_lt_u32_e64 v6, v7
	s_cbranch_execz .LBB787_5
; %bb.2:
	s_load_dwordx2 s[6:7], s[4:5], 0x10
	v_mov_b32_e32 v5, 0
	s_load_dword s4, s[4:5], 0x18
	v_mov_b32_e32 v3, v5
	v_lshlrev_b64 v[10:11], 2, v[4:5]
	v_lshlrev_b64 v[8:9], 2, v[2:3]
	s_waitcnt lgkmcnt(0)
	v_add_co_u32 v3, vcc_lo, s6, v8
	v_add_co_ci_u32_e64 v8, null, s7, v9, vcc_lo
	v_add_co_u32 v9, vcc_lo, s6, v10
	v_add_co_ci_u32_e64 v10, null, s7, v11, vcc_lo
	.p2align	6
.LBB787_3:                              ; =>This Inner Loop Header: Depth=1
	v_add_nc_u32_e32 v4, v7, v6
	v_mov_b32_e32 v12, v5
	v_lshrrev_b32_e32 v4, 1, v4
	v_xad_u32 v11, v4, -1, v1
	v_lshlrev_b64 v[13:14], 2, v[4:5]
	v_lshlrev_b64 v[11:12], 2, v[11:12]
	v_add_co_u32 v13, vcc_lo, v3, v13
	v_add_co_ci_u32_e64 v14, null, v8, v14, vcc_lo
	v_add_co_u32 v11, vcc_lo, v9, v11
	v_add_co_ci_u32_e64 v12, null, v10, v12, vcc_lo
	s_clause 0x1
	flat_load_dword v13, v[13:14]
	flat_load_dword v11, v[11:12]
	s_waitcnt vmcnt(1) lgkmcnt(1)
	v_and_b32_e32 v12, s4, v13
	s_waitcnt vmcnt(0) lgkmcnt(0)
	v_and_b32_e32 v11, s4, v11
	v_add_nc_u32_e32 v13, 1, v4
	v_cmp_gt_i32_e32 vcc_lo, v12, v11
	v_cndmask_b32_e32 v7, v7, v4, vcc_lo
	v_cndmask_b32_e32 v6, v13, v6, vcc_lo
	v_cmp_ge_u32_e32 vcc_lo, v6, v7
	s_or_b32 s3, vcc_lo, s3
	s_andn2_b32 exec_lo, exec_lo, s3
	s_cbranch_execnz .LBB787_3
; %bb.4:
	s_or_b32 exec_lo, exec_lo, s3
.LBB787_5:
	s_or_b32 exec_lo, exec_lo, s2
	v_mov_b32_e32 v1, 0
	v_add_nc_u32_e32 v2, v6, v2
	v_lshlrev_b64 v[0:1], 2, v[0:1]
	s_waitcnt lgkmcnt(0)
	v_add_co_u32 v0, vcc_lo, s0, v0
	v_add_co_ci_u32_e64 v1, null, s1, v1, vcc_lo
	global_store_dword v[0:1], v2, off
.LBB787_6:
	s_endpgm
	.section	.rodata,"a",@progbits
	.p2align	6, 0x0
	.amdhsa_kernel _ZN7rocprim17ROCPRIM_400000_NS6detail17trampoline_kernelINS0_14default_configENS1_38merge_sort_block_merge_config_selectorIiiEEZZNS1_27merge_sort_block_merge_implIS3_N6thrust23THRUST_200600_302600_NS6detail15normal_iteratorINS8_10device_ptrIiEEEESD_jNS1_19radix_merge_compareILb0ELb1EiNS0_19identity_decomposerEEEEE10hipError_tT0_T1_T2_jT3_P12ihipStream_tbPNSt15iterator_traitsISI_E10value_typeEPNSO_ISJ_E10value_typeEPSK_NS1_7vsmem_tEENKUlT_SI_SJ_SK_E_clISD_PiSD_S10_EESH_SX_SI_SJ_SK_EUlSX_E_NS1_11comp_targetILNS1_3genE8ELNS1_11target_archE1030ELNS1_3gpuE2ELNS1_3repE0EEENS1_48merge_mergepath_partition_config_static_selectorELNS0_4arch9wavefront6targetE0EEEvSJ_
		.amdhsa_group_segment_fixed_size 0
		.amdhsa_private_segment_fixed_size 0
		.amdhsa_kernarg_size 40
		.amdhsa_user_sgpr_count 6
		.amdhsa_user_sgpr_private_segment_buffer 1
		.amdhsa_user_sgpr_dispatch_ptr 0
		.amdhsa_user_sgpr_queue_ptr 0
		.amdhsa_user_sgpr_kernarg_segment_ptr 1
		.amdhsa_user_sgpr_dispatch_id 0
		.amdhsa_user_sgpr_flat_scratch_init 0
		.amdhsa_user_sgpr_private_segment_size 0
		.amdhsa_wavefront_size32 1
		.amdhsa_uses_dynamic_stack 0
		.amdhsa_system_sgpr_private_segment_wavefront_offset 0
		.amdhsa_system_sgpr_workgroup_id_x 1
		.amdhsa_system_sgpr_workgroup_id_y 0
		.amdhsa_system_sgpr_workgroup_id_z 0
		.amdhsa_system_sgpr_workgroup_info 0
		.amdhsa_system_vgpr_workitem_id 0
		.amdhsa_next_free_vgpr 15
		.amdhsa_next_free_sgpr 8
		.amdhsa_reserve_vcc 1
		.amdhsa_reserve_flat_scratch 1
		.amdhsa_float_round_mode_32 0
		.amdhsa_float_round_mode_16_64 0
		.amdhsa_float_denorm_mode_32 3
		.amdhsa_float_denorm_mode_16_64 3
		.amdhsa_dx10_clamp 1
		.amdhsa_ieee_mode 1
		.amdhsa_fp16_overflow 0
		.amdhsa_workgroup_processor_mode 1
		.amdhsa_memory_ordered 1
		.amdhsa_forward_progress 1
		.amdhsa_shared_vgpr_count 0
		.amdhsa_exception_fp_ieee_invalid_op 0
		.amdhsa_exception_fp_denorm_src 0
		.amdhsa_exception_fp_ieee_div_zero 0
		.amdhsa_exception_fp_ieee_overflow 0
		.amdhsa_exception_fp_ieee_underflow 0
		.amdhsa_exception_fp_ieee_inexact 0
		.amdhsa_exception_int_div_zero 0
	.end_amdhsa_kernel
	.section	.text._ZN7rocprim17ROCPRIM_400000_NS6detail17trampoline_kernelINS0_14default_configENS1_38merge_sort_block_merge_config_selectorIiiEEZZNS1_27merge_sort_block_merge_implIS3_N6thrust23THRUST_200600_302600_NS6detail15normal_iteratorINS8_10device_ptrIiEEEESD_jNS1_19radix_merge_compareILb0ELb1EiNS0_19identity_decomposerEEEEE10hipError_tT0_T1_T2_jT3_P12ihipStream_tbPNSt15iterator_traitsISI_E10value_typeEPNSO_ISJ_E10value_typeEPSK_NS1_7vsmem_tEENKUlT_SI_SJ_SK_E_clISD_PiSD_S10_EESH_SX_SI_SJ_SK_EUlSX_E_NS1_11comp_targetILNS1_3genE8ELNS1_11target_archE1030ELNS1_3gpuE2ELNS1_3repE0EEENS1_48merge_mergepath_partition_config_static_selectorELNS0_4arch9wavefront6targetE0EEEvSJ_,"axG",@progbits,_ZN7rocprim17ROCPRIM_400000_NS6detail17trampoline_kernelINS0_14default_configENS1_38merge_sort_block_merge_config_selectorIiiEEZZNS1_27merge_sort_block_merge_implIS3_N6thrust23THRUST_200600_302600_NS6detail15normal_iteratorINS8_10device_ptrIiEEEESD_jNS1_19radix_merge_compareILb0ELb1EiNS0_19identity_decomposerEEEEE10hipError_tT0_T1_T2_jT3_P12ihipStream_tbPNSt15iterator_traitsISI_E10value_typeEPNSO_ISJ_E10value_typeEPSK_NS1_7vsmem_tEENKUlT_SI_SJ_SK_E_clISD_PiSD_S10_EESH_SX_SI_SJ_SK_EUlSX_E_NS1_11comp_targetILNS1_3genE8ELNS1_11target_archE1030ELNS1_3gpuE2ELNS1_3repE0EEENS1_48merge_mergepath_partition_config_static_selectorELNS0_4arch9wavefront6targetE0EEEvSJ_,comdat
.Lfunc_end787:
	.size	_ZN7rocprim17ROCPRIM_400000_NS6detail17trampoline_kernelINS0_14default_configENS1_38merge_sort_block_merge_config_selectorIiiEEZZNS1_27merge_sort_block_merge_implIS3_N6thrust23THRUST_200600_302600_NS6detail15normal_iteratorINS8_10device_ptrIiEEEESD_jNS1_19radix_merge_compareILb0ELb1EiNS0_19identity_decomposerEEEEE10hipError_tT0_T1_T2_jT3_P12ihipStream_tbPNSt15iterator_traitsISI_E10value_typeEPNSO_ISJ_E10value_typeEPSK_NS1_7vsmem_tEENKUlT_SI_SJ_SK_E_clISD_PiSD_S10_EESH_SX_SI_SJ_SK_EUlSX_E_NS1_11comp_targetILNS1_3genE8ELNS1_11target_archE1030ELNS1_3gpuE2ELNS1_3repE0EEENS1_48merge_mergepath_partition_config_static_selectorELNS0_4arch9wavefront6targetE0EEEvSJ_, .Lfunc_end787-_ZN7rocprim17ROCPRIM_400000_NS6detail17trampoline_kernelINS0_14default_configENS1_38merge_sort_block_merge_config_selectorIiiEEZZNS1_27merge_sort_block_merge_implIS3_N6thrust23THRUST_200600_302600_NS6detail15normal_iteratorINS8_10device_ptrIiEEEESD_jNS1_19radix_merge_compareILb0ELb1EiNS0_19identity_decomposerEEEEE10hipError_tT0_T1_T2_jT3_P12ihipStream_tbPNSt15iterator_traitsISI_E10value_typeEPNSO_ISJ_E10value_typeEPSK_NS1_7vsmem_tEENKUlT_SI_SJ_SK_E_clISD_PiSD_S10_EESH_SX_SI_SJ_SK_EUlSX_E_NS1_11comp_targetILNS1_3genE8ELNS1_11target_archE1030ELNS1_3gpuE2ELNS1_3repE0EEENS1_48merge_mergepath_partition_config_static_selectorELNS0_4arch9wavefront6targetE0EEEvSJ_
                                        ; -- End function
	.set _ZN7rocprim17ROCPRIM_400000_NS6detail17trampoline_kernelINS0_14default_configENS1_38merge_sort_block_merge_config_selectorIiiEEZZNS1_27merge_sort_block_merge_implIS3_N6thrust23THRUST_200600_302600_NS6detail15normal_iteratorINS8_10device_ptrIiEEEESD_jNS1_19radix_merge_compareILb0ELb1EiNS0_19identity_decomposerEEEEE10hipError_tT0_T1_T2_jT3_P12ihipStream_tbPNSt15iterator_traitsISI_E10value_typeEPNSO_ISJ_E10value_typeEPSK_NS1_7vsmem_tEENKUlT_SI_SJ_SK_E_clISD_PiSD_S10_EESH_SX_SI_SJ_SK_EUlSX_E_NS1_11comp_targetILNS1_3genE8ELNS1_11target_archE1030ELNS1_3gpuE2ELNS1_3repE0EEENS1_48merge_mergepath_partition_config_static_selectorELNS0_4arch9wavefront6targetE0EEEvSJ_.num_vgpr, 15
	.set _ZN7rocprim17ROCPRIM_400000_NS6detail17trampoline_kernelINS0_14default_configENS1_38merge_sort_block_merge_config_selectorIiiEEZZNS1_27merge_sort_block_merge_implIS3_N6thrust23THRUST_200600_302600_NS6detail15normal_iteratorINS8_10device_ptrIiEEEESD_jNS1_19radix_merge_compareILb0ELb1EiNS0_19identity_decomposerEEEEE10hipError_tT0_T1_T2_jT3_P12ihipStream_tbPNSt15iterator_traitsISI_E10value_typeEPNSO_ISJ_E10value_typeEPSK_NS1_7vsmem_tEENKUlT_SI_SJ_SK_E_clISD_PiSD_S10_EESH_SX_SI_SJ_SK_EUlSX_E_NS1_11comp_targetILNS1_3genE8ELNS1_11target_archE1030ELNS1_3gpuE2ELNS1_3repE0EEENS1_48merge_mergepath_partition_config_static_selectorELNS0_4arch9wavefront6targetE0EEEvSJ_.num_agpr, 0
	.set _ZN7rocprim17ROCPRIM_400000_NS6detail17trampoline_kernelINS0_14default_configENS1_38merge_sort_block_merge_config_selectorIiiEEZZNS1_27merge_sort_block_merge_implIS3_N6thrust23THRUST_200600_302600_NS6detail15normal_iteratorINS8_10device_ptrIiEEEESD_jNS1_19radix_merge_compareILb0ELb1EiNS0_19identity_decomposerEEEEE10hipError_tT0_T1_T2_jT3_P12ihipStream_tbPNSt15iterator_traitsISI_E10value_typeEPNSO_ISJ_E10value_typeEPSK_NS1_7vsmem_tEENKUlT_SI_SJ_SK_E_clISD_PiSD_S10_EESH_SX_SI_SJ_SK_EUlSX_E_NS1_11comp_targetILNS1_3genE8ELNS1_11target_archE1030ELNS1_3gpuE2ELNS1_3repE0EEENS1_48merge_mergepath_partition_config_static_selectorELNS0_4arch9wavefront6targetE0EEEvSJ_.numbered_sgpr, 8
	.set _ZN7rocprim17ROCPRIM_400000_NS6detail17trampoline_kernelINS0_14default_configENS1_38merge_sort_block_merge_config_selectorIiiEEZZNS1_27merge_sort_block_merge_implIS3_N6thrust23THRUST_200600_302600_NS6detail15normal_iteratorINS8_10device_ptrIiEEEESD_jNS1_19radix_merge_compareILb0ELb1EiNS0_19identity_decomposerEEEEE10hipError_tT0_T1_T2_jT3_P12ihipStream_tbPNSt15iterator_traitsISI_E10value_typeEPNSO_ISJ_E10value_typeEPSK_NS1_7vsmem_tEENKUlT_SI_SJ_SK_E_clISD_PiSD_S10_EESH_SX_SI_SJ_SK_EUlSX_E_NS1_11comp_targetILNS1_3genE8ELNS1_11target_archE1030ELNS1_3gpuE2ELNS1_3repE0EEENS1_48merge_mergepath_partition_config_static_selectorELNS0_4arch9wavefront6targetE0EEEvSJ_.num_named_barrier, 0
	.set _ZN7rocprim17ROCPRIM_400000_NS6detail17trampoline_kernelINS0_14default_configENS1_38merge_sort_block_merge_config_selectorIiiEEZZNS1_27merge_sort_block_merge_implIS3_N6thrust23THRUST_200600_302600_NS6detail15normal_iteratorINS8_10device_ptrIiEEEESD_jNS1_19radix_merge_compareILb0ELb1EiNS0_19identity_decomposerEEEEE10hipError_tT0_T1_T2_jT3_P12ihipStream_tbPNSt15iterator_traitsISI_E10value_typeEPNSO_ISJ_E10value_typeEPSK_NS1_7vsmem_tEENKUlT_SI_SJ_SK_E_clISD_PiSD_S10_EESH_SX_SI_SJ_SK_EUlSX_E_NS1_11comp_targetILNS1_3genE8ELNS1_11target_archE1030ELNS1_3gpuE2ELNS1_3repE0EEENS1_48merge_mergepath_partition_config_static_selectorELNS0_4arch9wavefront6targetE0EEEvSJ_.private_seg_size, 0
	.set _ZN7rocprim17ROCPRIM_400000_NS6detail17trampoline_kernelINS0_14default_configENS1_38merge_sort_block_merge_config_selectorIiiEEZZNS1_27merge_sort_block_merge_implIS3_N6thrust23THRUST_200600_302600_NS6detail15normal_iteratorINS8_10device_ptrIiEEEESD_jNS1_19radix_merge_compareILb0ELb1EiNS0_19identity_decomposerEEEEE10hipError_tT0_T1_T2_jT3_P12ihipStream_tbPNSt15iterator_traitsISI_E10value_typeEPNSO_ISJ_E10value_typeEPSK_NS1_7vsmem_tEENKUlT_SI_SJ_SK_E_clISD_PiSD_S10_EESH_SX_SI_SJ_SK_EUlSX_E_NS1_11comp_targetILNS1_3genE8ELNS1_11target_archE1030ELNS1_3gpuE2ELNS1_3repE0EEENS1_48merge_mergepath_partition_config_static_selectorELNS0_4arch9wavefront6targetE0EEEvSJ_.uses_vcc, 1
	.set _ZN7rocprim17ROCPRIM_400000_NS6detail17trampoline_kernelINS0_14default_configENS1_38merge_sort_block_merge_config_selectorIiiEEZZNS1_27merge_sort_block_merge_implIS3_N6thrust23THRUST_200600_302600_NS6detail15normal_iteratorINS8_10device_ptrIiEEEESD_jNS1_19radix_merge_compareILb0ELb1EiNS0_19identity_decomposerEEEEE10hipError_tT0_T1_T2_jT3_P12ihipStream_tbPNSt15iterator_traitsISI_E10value_typeEPNSO_ISJ_E10value_typeEPSK_NS1_7vsmem_tEENKUlT_SI_SJ_SK_E_clISD_PiSD_S10_EESH_SX_SI_SJ_SK_EUlSX_E_NS1_11comp_targetILNS1_3genE8ELNS1_11target_archE1030ELNS1_3gpuE2ELNS1_3repE0EEENS1_48merge_mergepath_partition_config_static_selectorELNS0_4arch9wavefront6targetE0EEEvSJ_.uses_flat_scratch, 1
	.set _ZN7rocprim17ROCPRIM_400000_NS6detail17trampoline_kernelINS0_14default_configENS1_38merge_sort_block_merge_config_selectorIiiEEZZNS1_27merge_sort_block_merge_implIS3_N6thrust23THRUST_200600_302600_NS6detail15normal_iteratorINS8_10device_ptrIiEEEESD_jNS1_19radix_merge_compareILb0ELb1EiNS0_19identity_decomposerEEEEE10hipError_tT0_T1_T2_jT3_P12ihipStream_tbPNSt15iterator_traitsISI_E10value_typeEPNSO_ISJ_E10value_typeEPSK_NS1_7vsmem_tEENKUlT_SI_SJ_SK_E_clISD_PiSD_S10_EESH_SX_SI_SJ_SK_EUlSX_E_NS1_11comp_targetILNS1_3genE8ELNS1_11target_archE1030ELNS1_3gpuE2ELNS1_3repE0EEENS1_48merge_mergepath_partition_config_static_selectorELNS0_4arch9wavefront6targetE0EEEvSJ_.has_dyn_sized_stack, 0
	.set _ZN7rocprim17ROCPRIM_400000_NS6detail17trampoline_kernelINS0_14default_configENS1_38merge_sort_block_merge_config_selectorIiiEEZZNS1_27merge_sort_block_merge_implIS3_N6thrust23THRUST_200600_302600_NS6detail15normal_iteratorINS8_10device_ptrIiEEEESD_jNS1_19radix_merge_compareILb0ELb1EiNS0_19identity_decomposerEEEEE10hipError_tT0_T1_T2_jT3_P12ihipStream_tbPNSt15iterator_traitsISI_E10value_typeEPNSO_ISJ_E10value_typeEPSK_NS1_7vsmem_tEENKUlT_SI_SJ_SK_E_clISD_PiSD_S10_EESH_SX_SI_SJ_SK_EUlSX_E_NS1_11comp_targetILNS1_3genE8ELNS1_11target_archE1030ELNS1_3gpuE2ELNS1_3repE0EEENS1_48merge_mergepath_partition_config_static_selectorELNS0_4arch9wavefront6targetE0EEEvSJ_.has_recursion, 0
	.set _ZN7rocprim17ROCPRIM_400000_NS6detail17trampoline_kernelINS0_14default_configENS1_38merge_sort_block_merge_config_selectorIiiEEZZNS1_27merge_sort_block_merge_implIS3_N6thrust23THRUST_200600_302600_NS6detail15normal_iteratorINS8_10device_ptrIiEEEESD_jNS1_19radix_merge_compareILb0ELb1EiNS0_19identity_decomposerEEEEE10hipError_tT0_T1_T2_jT3_P12ihipStream_tbPNSt15iterator_traitsISI_E10value_typeEPNSO_ISJ_E10value_typeEPSK_NS1_7vsmem_tEENKUlT_SI_SJ_SK_E_clISD_PiSD_S10_EESH_SX_SI_SJ_SK_EUlSX_E_NS1_11comp_targetILNS1_3genE8ELNS1_11target_archE1030ELNS1_3gpuE2ELNS1_3repE0EEENS1_48merge_mergepath_partition_config_static_selectorELNS0_4arch9wavefront6targetE0EEEvSJ_.has_indirect_call, 0
	.section	.AMDGPU.csdata,"",@progbits
; Kernel info:
; codeLenInByte = 448
; TotalNumSgprs: 10
; NumVgprs: 15
; ScratchSize: 0
; MemoryBound: 0
; FloatMode: 240
; IeeeMode: 1
; LDSByteSize: 0 bytes/workgroup (compile time only)
; SGPRBlocks: 0
; VGPRBlocks: 1
; NumSGPRsForWavesPerEU: 10
; NumVGPRsForWavesPerEU: 15
; Occupancy: 16
; WaveLimiterHint : 0
; COMPUTE_PGM_RSRC2:SCRATCH_EN: 0
; COMPUTE_PGM_RSRC2:USER_SGPR: 6
; COMPUTE_PGM_RSRC2:TRAP_HANDLER: 0
; COMPUTE_PGM_RSRC2:TGID_X_EN: 1
; COMPUTE_PGM_RSRC2:TGID_Y_EN: 0
; COMPUTE_PGM_RSRC2:TGID_Z_EN: 0
; COMPUTE_PGM_RSRC2:TIDIG_COMP_CNT: 0
	.section	.text._ZN7rocprim17ROCPRIM_400000_NS6detail17trampoline_kernelINS0_14default_configENS1_38merge_sort_block_merge_config_selectorIiiEEZZNS1_27merge_sort_block_merge_implIS3_N6thrust23THRUST_200600_302600_NS6detail15normal_iteratorINS8_10device_ptrIiEEEESD_jNS1_19radix_merge_compareILb0ELb1EiNS0_19identity_decomposerEEEEE10hipError_tT0_T1_T2_jT3_P12ihipStream_tbPNSt15iterator_traitsISI_E10value_typeEPNSO_ISJ_E10value_typeEPSK_NS1_7vsmem_tEENKUlT_SI_SJ_SK_E_clISD_PiSD_S10_EESH_SX_SI_SJ_SK_EUlSX_E0_NS1_11comp_targetILNS1_3genE0ELNS1_11target_archE4294967295ELNS1_3gpuE0ELNS1_3repE0EEENS1_38merge_mergepath_config_static_selectorELNS0_4arch9wavefront6targetE0EEEvSJ_,"axG",@progbits,_ZN7rocprim17ROCPRIM_400000_NS6detail17trampoline_kernelINS0_14default_configENS1_38merge_sort_block_merge_config_selectorIiiEEZZNS1_27merge_sort_block_merge_implIS3_N6thrust23THRUST_200600_302600_NS6detail15normal_iteratorINS8_10device_ptrIiEEEESD_jNS1_19radix_merge_compareILb0ELb1EiNS0_19identity_decomposerEEEEE10hipError_tT0_T1_T2_jT3_P12ihipStream_tbPNSt15iterator_traitsISI_E10value_typeEPNSO_ISJ_E10value_typeEPSK_NS1_7vsmem_tEENKUlT_SI_SJ_SK_E_clISD_PiSD_S10_EESH_SX_SI_SJ_SK_EUlSX_E0_NS1_11comp_targetILNS1_3genE0ELNS1_11target_archE4294967295ELNS1_3gpuE0ELNS1_3repE0EEENS1_38merge_mergepath_config_static_selectorELNS0_4arch9wavefront6targetE0EEEvSJ_,comdat
	.protected	_ZN7rocprim17ROCPRIM_400000_NS6detail17trampoline_kernelINS0_14default_configENS1_38merge_sort_block_merge_config_selectorIiiEEZZNS1_27merge_sort_block_merge_implIS3_N6thrust23THRUST_200600_302600_NS6detail15normal_iteratorINS8_10device_ptrIiEEEESD_jNS1_19radix_merge_compareILb0ELb1EiNS0_19identity_decomposerEEEEE10hipError_tT0_T1_T2_jT3_P12ihipStream_tbPNSt15iterator_traitsISI_E10value_typeEPNSO_ISJ_E10value_typeEPSK_NS1_7vsmem_tEENKUlT_SI_SJ_SK_E_clISD_PiSD_S10_EESH_SX_SI_SJ_SK_EUlSX_E0_NS1_11comp_targetILNS1_3genE0ELNS1_11target_archE4294967295ELNS1_3gpuE0ELNS1_3repE0EEENS1_38merge_mergepath_config_static_selectorELNS0_4arch9wavefront6targetE0EEEvSJ_ ; -- Begin function _ZN7rocprim17ROCPRIM_400000_NS6detail17trampoline_kernelINS0_14default_configENS1_38merge_sort_block_merge_config_selectorIiiEEZZNS1_27merge_sort_block_merge_implIS3_N6thrust23THRUST_200600_302600_NS6detail15normal_iteratorINS8_10device_ptrIiEEEESD_jNS1_19radix_merge_compareILb0ELb1EiNS0_19identity_decomposerEEEEE10hipError_tT0_T1_T2_jT3_P12ihipStream_tbPNSt15iterator_traitsISI_E10value_typeEPNSO_ISJ_E10value_typeEPSK_NS1_7vsmem_tEENKUlT_SI_SJ_SK_E_clISD_PiSD_S10_EESH_SX_SI_SJ_SK_EUlSX_E0_NS1_11comp_targetILNS1_3genE0ELNS1_11target_archE4294967295ELNS1_3gpuE0ELNS1_3repE0EEENS1_38merge_mergepath_config_static_selectorELNS0_4arch9wavefront6targetE0EEEvSJ_
	.globl	_ZN7rocprim17ROCPRIM_400000_NS6detail17trampoline_kernelINS0_14default_configENS1_38merge_sort_block_merge_config_selectorIiiEEZZNS1_27merge_sort_block_merge_implIS3_N6thrust23THRUST_200600_302600_NS6detail15normal_iteratorINS8_10device_ptrIiEEEESD_jNS1_19radix_merge_compareILb0ELb1EiNS0_19identity_decomposerEEEEE10hipError_tT0_T1_T2_jT3_P12ihipStream_tbPNSt15iterator_traitsISI_E10value_typeEPNSO_ISJ_E10value_typeEPSK_NS1_7vsmem_tEENKUlT_SI_SJ_SK_E_clISD_PiSD_S10_EESH_SX_SI_SJ_SK_EUlSX_E0_NS1_11comp_targetILNS1_3genE0ELNS1_11target_archE4294967295ELNS1_3gpuE0ELNS1_3repE0EEENS1_38merge_mergepath_config_static_selectorELNS0_4arch9wavefront6targetE0EEEvSJ_
	.p2align	8
	.type	_ZN7rocprim17ROCPRIM_400000_NS6detail17trampoline_kernelINS0_14default_configENS1_38merge_sort_block_merge_config_selectorIiiEEZZNS1_27merge_sort_block_merge_implIS3_N6thrust23THRUST_200600_302600_NS6detail15normal_iteratorINS8_10device_ptrIiEEEESD_jNS1_19radix_merge_compareILb0ELb1EiNS0_19identity_decomposerEEEEE10hipError_tT0_T1_T2_jT3_P12ihipStream_tbPNSt15iterator_traitsISI_E10value_typeEPNSO_ISJ_E10value_typeEPSK_NS1_7vsmem_tEENKUlT_SI_SJ_SK_E_clISD_PiSD_S10_EESH_SX_SI_SJ_SK_EUlSX_E0_NS1_11comp_targetILNS1_3genE0ELNS1_11target_archE4294967295ELNS1_3gpuE0ELNS1_3repE0EEENS1_38merge_mergepath_config_static_selectorELNS0_4arch9wavefront6targetE0EEEvSJ_,@function
_ZN7rocprim17ROCPRIM_400000_NS6detail17trampoline_kernelINS0_14default_configENS1_38merge_sort_block_merge_config_selectorIiiEEZZNS1_27merge_sort_block_merge_implIS3_N6thrust23THRUST_200600_302600_NS6detail15normal_iteratorINS8_10device_ptrIiEEEESD_jNS1_19radix_merge_compareILb0ELb1EiNS0_19identity_decomposerEEEEE10hipError_tT0_T1_T2_jT3_P12ihipStream_tbPNSt15iterator_traitsISI_E10value_typeEPNSO_ISJ_E10value_typeEPSK_NS1_7vsmem_tEENKUlT_SI_SJ_SK_E_clISD_PiSD_S10_EESH_SX_SI_SJ_SK_EUlSX_E0_NS1_11comp_targetILNS1_3genE0ELNS1_11target_archE4294967295ELNS1_3gpuE0ELNS1_3repE0EEENS1_38merge_mergepath_config_static_selectorELNS0_4arch9wavefront6targetE0EEEvSJ_: ; @_ZN7rocprim17ROCPRIM_400000_NS6detail17trampoline_kernelINS0_14default_configENS1_38merge_sort_block_merge_config_selectorIiiEEZZNS1_27merge_sort_block_merge_implIS3_N6thrust23THRUST_200600_302600_NS6detail15normal_iteratorINS8_10device_ptrIiEEEESD_jNS1_19radix_merge_compareILb0ELb1EiNS0_19identity_decomposerEEEEE10hipError_tT0_T1_T2_jT3_P12ihipStream_tbPNSt15iterator_traitsISI_E10value_typeEPNSO_ISJ_E10value_typeEPSK_NS1_7vsmem_tEENKUlT_SI_SJ_SK_E_clISD_PiSD_S10_EESH_SX_SI_SJ_SK_EUlSX_E0_NS1_11comp_targetILNS1_3genE0ELNS1_11target_archE4294967295ELNS1_3gpuE0ELNS1_3repE0EEENS1_38merge_mergepath_config_static_selectorELNS0_4arch9wavefront6targetE0EEEvSJ_
; %bb.0:
	.section	.rodata,"a",@progbits
	.p2align	6, 0x0
	.amdhsa_kernel _ZN7rocprim17ROCPRIM_400000_NS6detail17trampoline_kernelINS0_14default_configENS1_38merge_sort_block_merge_config_selectorIiiEEZZNS1_27merge_sort_block_merge_implIS3_N6thrust23THRUST_200600_302600_NS6detail15normal_iteratorINS8_10device_ptrIiEEEESD_jNS1_19radix_merge_compareILb0ELb1EiNS0_19identity_decomposerEEEEE10hipError_tT0_T1_T2_jT3_P12ihipStream_tbPNSt15iterator_traitsISI_E10value_typeEPNSO_ISJ_E10value_typeEPSK_NS1_7vsmem_tEENKUlT_SI_SJ_SK_E_clISD_PiSD_S10_EESH_SX_SI_SJ_SK_EUlSX_E0_NS1_11comp_targetILNS1_3genE0ELNS1_11target_archE4294967295ELNS1_3gpuE0ELNS1_3repE0EEENS1_38merge_mergepath_config_static_selectorELNS0_4arch9wavefront6targetE0EEEvSJ_
		.amdhsa_group_segment_fixed_size 0
		.amdhsa_private_segment_fixed_size 0
		.amdhsa_kernarg_size 64
		.amdhsa_user_sgpr_count 6
		.amdhsa_user_sgpr_private_segment_buffer 1
		.amdhsa_user_sgpr_dispatch_ptr 0
		.amdhsa_user_sgpr_queue_ptr 0
		.amdhsa_user_sgpr_kernarg_segment_ptr 1
		.amdhsa_user_sgpr_dispatch_id 0
		.amdhsa_user_sgpr_flat_scratch_init 0
		.amdhsa_user_sgpr_private_segment_size 0
		.amdhsa_wavefront_size32 1
		.amdhsa_uses_dynamic_stack 0
		.amdhsa_system_sgpr_private_segment_wavefront_offset 0
		.amdhsa_system_sgpr_workgroup_id_x 1
		.amdhsa_system_sgpr_workgroup_id_y 0
		.amdhsa_system_sgpr_workgroup_id_z 0
		.amdhsa_system_sgpr_workgroup_info 0
		.amdhsa_system_vgpr_workitem_id 0
		.amdhsa_next_free_vgpr 1
		.amdhsa_next_free_sgpr 1
		.amdhsa_reserve_vcc 0
		.amdhsa_reserve_flat_scratch 0
		.amdhsa_float_round_mode_32 0
		.amdhsa_float_round_mode_16_64 0
		.amdhsa_float_denorm_mode_32 3
		.amdhsa_float_denorm_mode_16_64 3
		.amdhsa_dx10_clamp 1
		.amdhsa_ieee_mode 1
		.amdhsa_fp16_overflow 0
		.amdhsa_workgroup_processor_mode 1
		.amdhsa_memory_ordered 1
		.amdhsa_forward_progress 1
		.amdhsa_shared_vgpr_count 0
		.amdhsa_exception_fp_ieee_invalid_op 0
		.amdhsa_exception_fp_denorm_src 0
		.amdhsa_exception_fp_ieee_div_zero 0
		.amdhsa_exception_fp_ieee_overflow 0
		.amdhsa_exception_fp_ieee_underflow 0
		.amdhsa_exception_fp_ieee_inexact 0
		.amdhsa_exception_int_div_zero 0
	.end_amdhsa_kernel
	.section	.text._ZN7rocprim17ROCPRIM_400000_NS6detail17trampoline_kernelINS0_14default_configENS1_38merge_sort_block_merge_config_selectorIiiEEZZNS1_27merge_sort_block_merge_implIS3_N6thrust23THRUST_200600_302600_NS6detail15normal_iteratorINS8_10device_ptrIiEEEESD_jNS1_19radix_merge_compareILb0ELb1EiNS0_19identity_decomposerEEEEE10hipError_tT0_T1_T2_jT3_P12ihipStream_tbPNSt15iterator_traitsISI_E10value_typeEPNSO_ISJ_E10value_typeEPSK_NS1_7vsmem_tEENKUlT_SI_SJ_SK_E_clISD_PiSD_S10_EESH_SX_SI_SJ_SK_EUlSX_E0_NS1_11comp_targetILNS1_3genE0ELNS1_11target_archE4294967295ELNS1_3gpuE0ELNS1_3repE0EEENS1_38merge_mergepath_config_static_selectorELNS0_4arch9wavefront6targetE0EEEvSJ_,"axG",@progbits,_ZN7rocprim17ROCPRIM_400000_NS6detail17trampoline_kernelINS0_14default_configENS1_38merge_sort_block_merge_config_selectorIiiEEZZNS1_27merge_sort_block_merge_implIS3_N6thrust23THRUST_200600_302600_NS6detail15normal_iteratorINS8_10device_ptrIiEEEESD_jNS1_19radix_merge_compareILb0ELb1EiNS0_19identity_decomposerEEEEE10hipError_tT0_T1_T2_jT3_P12ihipStream_tbPNSt15iterator_traitsISI_E10value_typeEPNSO_ISJ_E10value_typeEPSK_NS1_7vsmem_tEENKUlT_SI_SJ_SK_E_clISD_PiSD_S10_EESH_SX_SI_SJ_SK_EUlSX_E0_NS1_11comp_targetILNS1_3genE0ELNS1_11target_archE4294967295ELNS1_3gpuE0ELNS1_3repE0EEENS1_38merge_mergepath_config_static_selectorELNS0_4arch9wavefront6targetE0EEEvSJ_,comdat
.Lfunc_end788:
	.size	_ZN7rocprim17ROCPRIM_400000_NS6detail17trampoline_kernelINS0_14default_configENS1_38merge_sort_block_merge_config_selectorIiiEEZZNS1_27merge_sort_block_merge_implIS3_N6thrust23THRUST_200600_302600_NS6detail15normal_iteratorINS8_10device_ptrIiEEEESD_jNS1_19radix_merge_compareILb0ELb1EiNS0_19identity_decomposerEEEEE10hipError_tT0_T1_T2_jT3_P12ihipStream_tbPNSt15iterator_traitsISI_E10value_typeEPNSO_ISJ_E10value_typeEPSK_NS1_7vsmem_tEENKUlT_SI_SJ_SK_E_clISD_PiSD_S10_EESH_SX_SI_SJ_SK_EUlSX_E0_NS1_11comp_targetILNS1_3genE0ELNS1_11target_archE4294967295ELNS1_3gpuE0ELNS1_3repE0EEENS1_38merge_mergepath_config_static_selectorELNS0_4arch9wavefront6targetE0EEEvSJ_, .Lfunc_end788-_ZN7rocprim17ROCPRIM_400000_NS6detail17trampoline_kernelINS0_14default_configENS1_38merge_sort_block_merge_config_selectorIiiEEZZNS1_27merge_sort_block_merge_implIS3_N6thrust23THRUST_200600_302600_NS6detail15normal_iteratorINS8_10device_ptrIiEEEESD_jNS1_19radix_merge_compareILb0ELb1EiNS0_19identity_decomposerEEEEE10hipError_tT0_T1_T2_jT3_P12ihipStream_tbPNSt15iterator_traitsISI_E10value_typeEPNSO_ISJ_E10value_typeEPSK_NS1_7vsmem_tEENKUlT_SI_SJ_SK_E_clISD_PiSD_S10_EESH_SX_SI_SJ_SK_EUlSX_E0_NS1_11comp_targetILNS1_3genE0ELNS1_11target_archE4294967295ELNS1_3gpuE0ELNS1_3repE0EEENS1_38merge_mergepath_config_static_selectorELNS0_4arch9wavefront6targetE0EEEvSJ_
                                        ; -- End function
	.set _ZN7rocprim17ROCPRIM_400000_NS6detail17trampoline_kernelINS0_14default_configENS1_38merge_sort_block_merge_config_selectorIiiEEZZNS1_27merge_sort_block_merge_implIS3_N6thrust23THRUST_200600_302600_NS6detail15normal_iteratorINS8_10device_ptrIiEEEESD_jNS1_19radix_merge_compareILb0ELb1EiNS0_19identity_decomposerEEEEE10hipError_tT0_T1_T2_jT3_P12ihipStream_tbPNSt15iterator_traitsISI_E10value_typeEPNSO_ISJ_E10value_typeEPSK_NS1_7vsmem_tEENKUlT_SI_SJ_SK_E_clISD_PiSD_S10_EESH_SX_SI_SJ_SK_EUlSX_E0_NS1_11comp_targetILNS1_3genE0ELNS1_11target_archE4294967295ELNS1_3gpuE0ELNS1_3repE0EEENS1_38merge_mergepath_config_static_selectorELNS0_4arch9wavefront6targetE0EEEvSJ_.num_vgpr, 0
	.set _ZN7rocprim17ROCPRIM_400000_NS6detail17trampoline_kernelINS0_14default_configENS1_38merge_sort_block_merge_config_selectorIiiEEZZNS1_27merge_sort_block_merge_implIS3_N6thrust23THRUST_200600_302600_NS6detail15normal_iteratorINS8_10device_ptrIiEEEESD_jNS1_19radix_merge_compareILb0ELb1EiNS0_19identity_decomposerEEEEE10hipError_tT0_T1_T2_jT3_P12ihipStream_tbPNSt15iterator_traitsISI_E10value_typeEPNSO_ISJ_E10value_typeEPSK_NS1_7vsmem_tEENKUlT_SI_SJ_SK_E_clISD_PiSD_S10_EESH_SX_SI_SJ_SK_EUlSX_E0_NS1_11comp_targetILNS1_3genE0ELNS1_11target_archE4294967295ELNS1_3gpuE0ELNS1_3repE0EEENS1_38merge_mergepath_config_static_selectorELNS0_4arch9wavefront6targetE0EEEvSJ_.num_agpr, 0
	.set _ZN7rocprim17ROCPRIM_400000_NS6detail17trampoline_kernelINS0_14default_configENS1_38merge_sort_block_merge_config_selectorIiiEEZZNS1_27merge_sort_block_merge_implIS3_N6thrust23THRUST_200600_302600_NS6detail15normal_iteratorINS8_10device_ptrIiEEEESD_jNS1_19radix_merge_compareILb0ELb1EiNS0_19identity_decomposerEEEEE10hipError_tT0_T1_T2_jT3_P12ihipStream_tbPNSt15iterator_traitsISI_E10value_typeEPNSO_ISJ_E10value_typeEPSK_NS1_7vsmem_tEENKUlT_SI_SJ_SK_E_clISD_PiSD_S10_EESH_SX_SI_SJ_SK_EUlSX_E0_NS1_11comp_targetILNS1_3genE0ELNS1_11target_archE4294967295ELNS1_3gpuE0ELNS1_3repE0EEENS1_38merge_mergepath_config_static_selectorELNS0_4arch9wavefront6targetE0EEEvSJ_.numbered_sgpr, 0
	.set _ZN7rocprim17ROCPRIM_400000_NS6detail17trampoline_kernelINS0_14default_configENS1_38merge_sort_block_merge_config_selectorIiiEEZZNS1_27merge_sort_block_merge_implIS3_N6thrust23THRUST_200600_302600_NS6detail15normal_iteratorINS8_10device_ptrIiEEEESD_jNS1_19radix_merge_compareILb0ELb1EiNS0_19identity_decomposerEEEEE10hipError_tT0_T1_T2_jT3_P12ihipStream_tbPNSt15iterator_traitsISI_E10value_typeEPNSO_ISJ_E10value_typeEPSK_NS1_7vsmem_tEENKUlT_SI_SJ_SK_E_clISD_PiSD_S10_EESH_SX_SI_SJ_SK_EUlSX_E0_NS1_11comp_targetILNS1_3genE0ELNS1_11target_archE4294967295ELNS1_3gpuE0ELNS1_3repE0EEENS1_38merge_mergepath_config_static_selectorELNS0_4arch9wavefront6targetE0EEEvSJ_.num_named_barrier, 0
	.set _ZN7rocprim17ROCPRIM_400000_NS6detail17trampoline_kernelINS0_14default_configENS1_38merge_sort_block_merge_config_selectorIiiEEZZNS1_27merge_sort_block_merge_implIS3_N6thrust23THRUST_200600_302600_NS6detail15normal_iteratorINS8_10device_ptrIiEEEESD_jNS1_19radix_merge_compareILb0ELb1EiNS0_19identity_decomposerEEEEE10hipError_tT0_T1_T2_jT3_P12ihipStream_tbPNSt15iterator_traitsISI_E10value_typeEPNSO_ISJ_E10value_typeEPSK_NS1_7vsmem_tEENKUlT_SI_SJ_SK_E_clISD_PiSD_S10_EESH_SX_SI_SJ_SK_EUlSX_E0_NS1_11comp_targetILNS1_3genE0ELNS1_11target_archE4294967295ELNS1_3gpuE0ELNS1_3repE0EEENS1_38merge_mergepath_config_static_selectorELNS0_4arch9wavefront6targetE0EEEvSJ_.private_seg_size, 0
	.set _ZN7rocprim17ROCPRIM_400000_NS6detail17trampoline_kernelINS0_14default_configENS1_38merge_sort_block_merge_config_selectorIiiEEZZNS1_27merge_sort_block_merge_implIS3_N6thrust23THRUST_200600_302600_NS6detail15normal_iteratorINS8_10device_ptrIiEEEESD_jNS1_19radix_merge_compareILb0ELb1EiNS0_19identity_decomposerEEEEE10hipError_tT0_T1_T2_jT3_P12ihipStream_tbPNSt15iterator_traitsISI_E10value_typeEPNSO_ISJ_E10value_typeEPSK_NS1_7vsmem_tEENKUlT_SI_SJ_SK_E_clISD_PiSD_S10_EESH_SX_SI_SJ_SK_EUlSX_E0_NS1_11comp_targetILNS1_3genE0ELNS1_11target_archE4294967295ELNS1_3gpuE0ELNS1_3repE0EEENS1_38merge_mergepath_config_static_selectorELNS0_4arch9wavefront6targetE0EEEvSJ_.uses_vcc, 0
	.set _ZN7rocprim17ROCPRIM_400000_NS6detail17trampoline_kernelINS0_14default_configENS1_38merge_sort_block_merge_config_selectorIiiEEZZNS1_27merge_sort_block_merge_implIS3_N6thrust23THRUST_200600_302600_NS6detail15normal_iteratorINS8_10device_ptrIiEEEESD_jNS1_19radix_merge_compareILb0ELb1EiNS0_19identity_decomposerEEEEE10hipError_tT0_T1_T2_jT3_P12ihipStream_tbPNSt15iterator_traitsISI_E10value_typeEPNSO_ISJ_E10value_typeEPSK_NS1_7vsmem_tEENKUlT_SI_SJ_SK_E_clISD_PiSD_S10_EESH_SX_SI_SJ_SK_EUlSX_E0_NS1_11comp_targetILNS1_3genE0ELNS1_11target_archE4294967295ELNS1_3gpuE0ELNS1_3repE0EEENS1_38merge_mergepath_config_static_selectorELNS0_4arch9wavefront6targetE0EEEvSJ_.uses_flat_scratch, 0
	.set _ZN7rocprim17ROCPRIM_400000_NS6detail17trampoline_kernelINS0_14default_configENS1_38merge_sort_block_merge_config_selectorIiiEEZZNS1_27merge_sort_block_merge_implIS3_N6thrust23THRUST_200600_302600_NS6detail15normal_iteratorINS8_10device_ptrIiEEEESD_jNS1_19radix_merge_compareILb0ELb1EiNS0_19identity_decomposerEEEEE10hipError_tT0_T1_T2_jT3_P12ihipStream_tbPNSt15iterator_traitsISI_E10value_typeEPNSO_ISJ_E10value_typeEPSK_NS1_7vsmem_tEENKUlT_SI_SJ_SK_E_clISD_PiSD_S10_EESH_SX_SI_SJ_SK_EUlSX_E0_NS1_11comp_targetILNS1_3genE0ELNS1_11target_archE4294967295ELNS1_3gpuE0ELNS1_3repE0EEENS1_38merge_mergepath_config_static_selectorELNS0_4arch9wavefront6targetE0EEEvSJ_.has_dyn_sized_stack, 0
	.set _ZN7rocprim17ROCPRIM_400000_NS6detail17trampoline_kernelINS0_14default_configENS1_38merge_sort_block_merge_config_selectorIiiEEZZNS1_27merge_sort_block_merge_implIS3_N6thrust23THRUST_200600_302600_NS6detail15normal_iteratorINS8_10device_ptrIiEEEESD_jNS1_19radix_merge_compareILb0ELb1EiNS0_19identity_decomposerEEEEE10hipError_tT0_T1_T2_jT3_P12ihipStream_tbPNSt15iterator_traitsISI_E10value_typeEPNSO_ISJ_E10value_typeEPSK_NS1_7vsmem_tEENKUlT_SI_SJ_SK_E_clISD_PiSD_S10_EESH_SX_SI_SJ_SK_EUlSX_E0_NS1_11comp_targetILNS1_3genE0ELNS1_11target_archE4294967295ELNS1_3gpuE0ELNS1_3repE0EEENS1_38merge_mergepath_config_static_selectorELNS0_4arch9wavefront6targetE0EEEvSJ_.has_recursion, 0
	.set _ZN7rocprim17ROCPRIM_400000_NS6detail17trampoline_kernelINS0_14default_configENS1_38merge_sort_block_merge_config_selectorIiiEEZZNS1_27merge_sort_block_merge_implIS3_N6thrust23THRUST_200600_302600_NS6detail15normal_iteratorINS8_10device_ptrIiEEEESD_jNS1_19radix_merge_compareILb0ELb1EiNS0_19identity_decomposerEEEEE10hipError_tT0_T1_T2_jT3_P12ihipStream_tbPNSt15iterator_traitsISI_E10value_typeEPNSO_ISJ_E10value_typeEPSK_NS1_7vsmem_tEENKUlT_SI_SJ_SK_E_clISD_PiSD_S10_EESH_SX_SI_SJ_SK_EUlSX_E0_NS1_11comp_targetILNS1_3genE0ELNS1_11target_archE4294967295ELNS1_3gpuE0ELNS1_3repE0EEENS1_38merge_mergepath_config_static_selectorELNS0_4arch9wavefront6targetE0EEEvSJ_.has_indirect_call, 0
	.section	.AMDGPU.csdata,"",@progbits
; Kernel info:
; codeLenInByte = 0
; TotalNumSgprs: 0
; NumVgprs: 0
; ScratchSize: 0
; MemoryBound: 0
; FloatMode: 240
; IeeeMode: 1
; LDSByteSize: 0 bytes/workgroup (compile time only)
; SGPRBlocks: 0
; VGPRBlocks: 0
; NumSGPRsForWavesPerEU: 1
; NumVGPRsForWavesPerEU: 1
; Occupancy: 16
; WaveLimiterHint : 0
; COMPUTE_PGM_RSRC2:SCRATCH_EN: 0
; COMPUTE_PGM_RSRC2:USER_SGPR: 6
; COMPUTE_PGM_RSRC2:TRAP_HANDLER: 0
; COMPUTE_PGM_RSRC2:TGID_X_EN: 1
; COMPUTE_PGM_RSRC2:TGID_Y_EN: 0
; COMPUTE_PGM_RSRC2:TGID_Z_EN: 0
; COMPUTE_PGM_RSRC2:TIDIG_COMP_CNT: 0
	.section	.text._ZN7rocprim17ROCPRIM_400000_NS6detail17trampoline_kernelINS0_14default_configENS1_38merge_sort_block_merge_config_selectorIiiEEZZNS1_27merge_sort_block_merge_implIS3_N6thrust23THRUST_200600_302600_NS6detail15normal_iteratorINS8_10device_ptrIiEEEESD_jNS1_19radix_merge_compareILb0ELb1EiNS0_19identity_decomposerEEEEE10hipError_tT0_T1_T2_jT3_P12ihipStream_tbPNSt15iterator_traitsISI_E10value_typeEPNSO_ISJ_E10value_typeEPSK_NS1_7vsmem_tEENKUlT_SI_SJ_SK_E_clISD_PiSD_S10_EESH_SX_SI_SJ_SK_EUlSX_E0_NS1_11comp_targetILNS1_3genE10ELNS1_11target_archE1201ELNS1_3gpuE5ELNS1_3repE0EEENS1_38merge_mergepath_config_static_selectorELNS0_4arch9wavefront6targetE0EEEvSJ_,"axG",@progbits,_ZN7rocprim17ROCPRIM_400000_NS6detail17trampoline_kernelINS0_14default_configENS1_38merge_sort_block_merge_config_selectorIiiEEZZNS1_27merge_sort_block_merge_implIS3_N6thrust23THRUST_200600_302600_NS6detail15normal_iteratorINS8_10device_ptrIiEEEESD_jNS1_19radix_merge_compareILb0ELb1EiNS0_19identity_decomposerEEEEE10hipError_tT0_T1_T2_jT3_P12ihipStream_tbPNSt15iterator_traitsISI_E10value_typeEPNSO_ISJ_E10value_typeEPSK_NS1_7vsmem_tEENKUlT_SI_SJ_SK_E_clISD_PiSD_S10_EESH_SX_SI_SJ_SK_EUlSX_E0_NS1_11comp_targetILNS1_3genE10ELNS1_11target_archE1201ELNS1_3gpuE5ELNS1_3repE0EEENS1_38merge_mergepath_config_static_selectorELNS0_4arch9wavefront6targetE0EEEvSJ_,comdat
	.protected	_ZN7rocprim17ROCPRIM_400000_NS6detail17trampoline_kernelINS0_14default_configENS1_38merge_sort_block_merge_config_selectorIiiEEZZNS1_27merge_sort_block_merge_implIS3_N6thrust23THRUST_200600_302600_NS6detail15normal_iteratorINS8_10device_ptrIiEEEESD_jNS1_19radix_merge_compareILb0ELb1EiNS0_19identity_decomposerEEEEE10hipError_tT0_T1_T2_jT3_P12ihipStream_tbPNSt15iterator_traitsISI_E10value_typeEPNSO_ISJ_E10value_typeEPSK_NS1_7vsmem_tEENKUlT_SI_SJ_SK_E_clISD_PiSD_S10_EESH_SX_SI_SJ_SK_EUlSX_E0_NS1_11comp_targetILNS1_3genE10ELNS1_11target_archE1201ELNS1_3gpuE5ELNS1_3repE0EEENS1_38merge_mergepath_config_static_selectorELNS0_4arch9wavefront6targetE0EEEvSJ_ ; -- Begin function _ZN7rocprim17ROCPRIM_400000_NS6detail17trampoline_kernelINS0_14default_configENS1_38merge_sort_block_merge_config_selectorIiiEEZZNS1_27merge_sort_block_merge_implIS3_N6thrust23THRUST_200600_302600_NS6detail15normal_iteratorINS8_10device_ptrIiEEEESD_jNS1_19radix_merge_compareILb0ELb1EiNS0_19identity_decomposerEEEEE10hipError_tT0_T1_T2_jT3_P12ihipStream_tbPNSt15iterator_traitsISI_E10value_typeEPNSO_ISJ_E10value_typeEPSK_NS1_7vsmem_tEENKUlT_SI_SJ_SK_E_clISD_PiSD_S10_EESH_SX_SI_SJ_SK_EUlSX_E0_NS1_11comp_targetILNS1_3genE10ELNS1_11target_archE1201ELNS1_3gpuE5ELNS1_3repE0EEENS1_38merge_mergepath_config_static_selectorELNS0_4arch9wavefront6targetE0EEEvSJ_
	.globl	_ZN7rocprim17ROCPRIM_400000_NS6detail17trampoline_kernelINS0_14default_configENS1_38merge_sort_block_merge_config_selectorIiiEEZZNS1_27merge_sort_block_merge_implIS3_N6thrust23THRUST_200600_302600_NS6detail15normal_iteratorINS8_10device_ptrIiEEEESD_jNS1_19radix_merge_compareILb0ELb1EiNS0_19identity_decomposerEEEEE10hipError_tT0_T1_T2_jT3_P12ihipStream_tbPNSt15iterator_traitsISI_E10value_typeEPNSO_ISJ_E10value_typeEPSK_NS1_7vsmem_tEENKUlT_SI_SJ_SK_E_clISD_PiSD_S10_EESH_SX_SI_SJ_SK_EUlSX_E0_NS1_11comp_targetILNS1_3genE10ELNS1_11target_archE1201ELNS1_3gpuE5ELNS1_3repE0EEENS1_38merge_mergepath_config_static_selectorELNS0_4arch9wavefront6targetE0EEEvSJ_
	.p2align	8
	.type	_ZN7rocprim17ROCPRIM_400000_NS6detail17trampoline_kernelINS0_14default_configENS1_38merge_sort_block_merge_config_selectorIiiEEZZNS1_27merge_sort_block_merge_implIS3_N6thrust23THRUST_200600_302600_NS6detail15normal_iteratorINS8_10device_ptrIiEEEESD_jNS1_19radix_merge_compareILb0ELb1EiNS0_19identity_decomposerEEEEE10hipError_tT0_T1_T2_jT3_P12ihipStream_tbPNSt15iterator_traitsISI_E10value_typeEPNSO_ISJ_E10value_typeEPSK_NS1_7vsmem_tEENKUlT_SI_SJ_SK_E_clISD_PiSD_S10_EESH_SX_SI_SJ_SK_EUlSX_E0_NS1_11comp_targetILNS1_3genE10ELNS1_11target_archE1201ELNS1_3gpuE5ELNS1_3repE0EEENS1_38merge_mergepath_config_static_selectorELNS0_4arch9wavefront6targetE0EEEvSJ_,@function
_ZN7rocprim17ROCPRIM_400000_NS6detail17trampoline_kernelINS0_14default_configENS1_38merge_sort_block_merge_config_selectorIiiEEZZNS1_27merge_sort_block_merge_implIS3_N6thrust23THRUST_200600_302600_NS6detail15normal_iteratorINS8_10device_ptrIiEEEESD_jNS1_19radix_merge_compareILb0ELb1EiNS0_19identity_decomposerEEEEE10hipError_tT0_T1_T2_jT3_P12ihipStream_tbPNSt15iterator_traitsISI_E10value_typeEPNSO_ISJ_E10value_typeEPSK_NS1_7vsmem_tEENKUlT_SI_SJ_SK_E_clISD_PiSD_S10_EESH_SX_SI_SJ_SK_EUlSX_E0_NS1_11comp_targetILNS1_3genE10ELNS1_11target_archE1201ELNS1_3gpuE5ELNS1_3repE0EEENS1_38merge_mergepath_config_static_selectorELNS0_4arch9wavefront6targetE0EEEvSJ_: ; @_ZN7rocprim17ROCPRIM_400000_NS6detail17trampoline_kernelINS0_14default_configENS1_38merge_sort_block_merge_config_selectorIiiEEZZNS1_27merge_sort_block_merge_implIS3_N6thrust23THRUST_200600_302600_NS6detail15normal_iteratorINS8_10device_ptrIiEEEESD_jNS1_19radix_merge_compareILb0ELb1EiNS0_19identity_decomposerEEEEE10hipError_tT0_T1_T2_jT3_P12ihipStream_tbPNSt15iterator_traitsISI_E10value_typeEPNSO_ISJ_E10value_typeEPSK_NS1_7vsmem_tEENKUlT_SI_SJ_SK_E_clISD_PiSD_S10_EESH_SX_SI_SJ_SK_EUlSX_E0_NS1_11comp_targetILNS1_3genE10ELNS1_11target_archE1201ELNS1_3gpuE5ELNS1_3repE0EEENS1_38merge_mergepath_config_static_selectorELNS0_4arch9wavefront6targetE0EEEvSJ_
; %bb.0:
	.section	.rodata,"a",@progbits
	.p2align	6, 0x0
	.amdhsa_kernel _ZN7rocprim17ROCPRIM_400000_NS6detail17trampoline_kernelINS0_14default_configENS1_38merge_sort_block_merge_config_selectorIiiEEZZNS1_27merge_sort_block_merge_implIS3_N6thrust23THRUST_200600_302600_NS6detail15normal_iteratorINS8_10device_ptrIiEEEESD_jNS1_19radix_merge_compareILb0ELb1EiNS0_19identity_decomposerEEEEE10hipError_tT0_T1_T2_jT3_P12ihipStream_tbPNSt15iterator_traitsISI_E10value_typeEPNSO_ISJ_E10value_typeEPSK_NS1_7vsmem_tEENKUlT_SI_SJ_SK_E_clISD_PiSD_S10_EESH_SX_SI_SJ_SK_EUlSX_E0_NS1_11comp_targetILNS1_3genE10ELNS1_11target_archE1201ELNS1_3gpuE5ELNS1_3repE0EEENS1_38merge_mergepath_config_static_selectorELNS0_4arch9wavefront6targetE0EEEvSJ_
		.amdhsa_group_segment_fixed_size 0
		.amdhsa_private_segment_fixed_size 0
		.amdhsa_kernarg_size 64
		.amdhsa_user_sgpr_count 6
		.amdhsa_user_sgpr_private_segment_buffer 1
		.amdhsa_user_sgpr_dispatch_ptr 0
		.amdhsa_user_sgpr_queue_ptr 0
		.amdhsa_user_sgpr_kernarg_segment_ptr 1
		.amdhsa_user_sgpr_dispatch_id 0
		.amdhsa_user_sgpr_flat_scratch_init 0
		.amdhsa_user_sgpr_private_segment_size 0
		.amdhsa_wavefront_size32 1
		.amdhsa_uses_dynamic_stack 0
		.amdhsa_system_sgpr_private_segment_wavefront_offset 0
		.amdhsa_system_sgpr_workgroup_id_x 1
		.amdhsa_system_sgpr_workgroup_id_y 0
		.amdhsa_system_sgpr_workgroup_id_z 0
		.amdhsa_system_sgpr_workgroup_info 0
		.amdhsa_system_vgpr_workitem_id 0
		.amdhsa_next_free_vgpr 1
		.amdhsa_next_free_sgpr 1
		.amdhsa_reserve_vcc 0
		.amdhsa_reserve_flat_scratch 0
		.amdhsa_float_round_mode_32 0
		.amdhsa_float_round_mode_16_64 0
		.amdhsa_float_denorm_mode_32 3
		.amdhsa_float_denorm_mode_16_64 3
		.amdhsa_dx10_clamp 1
		.amdhsa_ieee_mode 1
		.amdhsa_fp16_overflow 0
		.amdhsa_workgroup_processor_mode 1
		.amdhsa_memory_ordered 1
		.amdhsa_forward_progress 1
		.amdhsa_shared_vgpr_count 0
		.amdhsa_exception_fp_ieee_invalid_op 0
		.amdhsa_exception_fp_denorm_src 0
		.amdhsa_exception_fp_ieee_div_zero 0
		.amdhsa_exception_fp_ieee_overflow 0
		.amdhsa_exception_fp_ieee_underflow 0
		.amdhsa_exception_fp_ieee_inexact 0
		.amdhsa_exception_int_div_zero 0
	.end_amdhsa_kernel
	.section	.text._ZN7rocprim17ROCPRIM_400000_NS6detail17trampoline_kernelINS0_14default_configENS1_38merge_sort_block_merge_config_selectorIiiEEZZNS1_27merge_sort_block_merge_implIS3_N6thrust23THRUST_200600_302600_NS6detail15normal_iteratorINS8_10device_ptrIiEEEESD_jNS1_19radix_merge_compareILb0ELb1EiNS0_19identity_decomposerEEEEE10hipError_tT0_T1_T2_jT3_P12ihipStream_tbPNSt15iterator_traitsISI_E10value_typeEPNSO_ISJ_E10value_typeEPSK_NS1_7vsmem_tEENKUlT_SI_SJ_SK_E_clISD_PiSD_S10_EESH_SX_SI_SJ_SK_EUlSX_E0_NS1_11comp_targetILNS1_3genE10ELNS1_11target_archE1201ELNS1_3gpuE5ELNS1_3repE0EEENS1_38merge_mergepath_config_static_selectorELNS0_4arch9wavefront6targetE0EEEvSJ_,"axG",@progbits,_ZN7rocprim17ROCPRIM_400000_NS6detail17trampoline_kernelINS0_14default_configENS1_38merge_sort_block_merge_config_selectorIiiEEZZNS1_27merge_sort_block_merge_implIS3_N6thrust23THRUST_200600_302600_NS6detail15normal_iteratorINS8_10device_ptrIiEEEESD_jNS1_19radix_merge_compareILb0ELb1EiNS0_19identity_decomposerEEEEE10hipError_tT0_T1_T2_jT3_P12ihipStream_tbPNSt15iterator_traitsISI_E10value_typeEPNSO_ISJ_E10value_typeEPSK_NS1_7vsmem_tEENKUlT_SI_SJ_SK_E_clISD_PiSD_S10_EESH_SX_SI_SJ_SK_EUlSX_E0_NS1_11comp_targetILNS1_3genE10ELNS1_11target_archE1201ELNS1_3gpuE5ELNS1_3repE0EEENS1_38merge_mergepath_config_static_selectorELNS0_4arch9wavefront6targetE0EEEvSJ_,comdat
.Lfunc_end789:
	.size	_ZN7rocprim17ROCPRIM_400000_NS6detail17trampoline_kernelINS0_14default_configENS1_38merge_sort_block_merge_config_selectorIiiEEZZNS1_27merge_sort_block_merge_implIS3_N6thrust23THRUST_200600_302600_NS6detail15normal_iteratorINS8_10device_ptrIiEEEESD_jNS1_19radix_merge_compareILb0ELb1EiNS0_19identity_decomposerEEEEE10hipError_tT0_T1_T2_jT3_P12ihipStream_tbPNSt15iterator_traitsISI_E10value_typeEPNSO_ISJ_E10value_typeEPSK_NS1_7vsmem_tEENKUlT_SI_SJ_SK_E_clISD_PiSD_S10_EESH_SX_SI_SJ_SK_EUlSX_E0_NS1_11comp_targetILNS1_3genE10ELNS1_11target_archE1201ELNS1_3gpuE5ELNS1_3repE0EEENS1_38merge_mergepath_config_static_selectorELNS0_4arch9wavefront6targetE0EEEvSJ_, .Lfunc_end789-_ZN7rocprim17ROCPRIM_400000_NS6detail17trampoline_kernelINS0_14default_configENS1_38merge_sort_block_merge_config_selectorIiiEEZZNS1_27merge_sort_block_merge_implIS3_N6thrust23THRUST_200600_302600_NS6detail15normal_iteratorINS8_10device_ptrIiEEEESD_jNS1_19radix_merge_compareILb0ELb1EiNS0_19identity_decomposerEEEEE10hipError_tT0_T1_T2_jT3_P12ihipStream_tbPNSt15iterator_traitsISI_E10value_typeEPNSO_ISJ_E10value_typeEPSK_NS1_7vsmem_tEENKUlT_SI_SJ_SK_E_clISD_PiSD_S10_EESH_SX_SI_SJ_SK_EUlSX_E0_NS1_11comp_targetILNS1_3genE10ELNS1_11target_archE1201ELNS1_3gpuE5ELNS1_3repE0EEENS1_38merge_mergepath_config_static_selectorELNS0_4arch9wavefront6targetE0EEEvSJ_
                                        ; -- End function
	.set _ZN7rocprim17ROCPRIM_400000_NS6detail17trampoline_kernelINS0_14default_configENS1_38merge_sort_block_merge_config_selectorIiiEEZZNS1_27merge_sort_block_merge_implIS3_N6thrust23THRUST_200600_302600_NS6detail15normal_iteratorINS8_10device_ptrIiEEEESD_jNS1_19radix_merge_compareILb0ELb1EiNS0_19identity_decomposerEEEEE10hipError_tT0_T1_T2_jT3_P12ihipStream_tbPNSt15iterator_traitsISI_E10value_typeEPNSO_ISJ_E10value_typeEPSK_NS1_7vsmem_tEENKUlT_SI_SJ_SK_E_clISD_PiSD_S10_EESH_SX_SI_SJ_SK_EUlSX_E0_NS1_11comp_targetILNS1_3genE10ELNS1_11target_archE1201ELNS1_3gpuE5ELNS1_3repE0EEENS1_38merge_mergepath_config_static_selectorELNS0_4arch9wavefront6targetE0EEEvSJ_.num_vgpr, 0
	.set _ZN7rocprim17ROCPRIM_400000_NS6detail17trampoline_kernelINS0_14default_configENS1_38merge_sort_block_merge_config_selectorIiiEEZZNS1_27merge_sort_block_merge_implIS3_N6thrust23THRUST_200600_302600_NS6detail15normal_iteratorINS8_10device_ptrIiEEEESD_jNS1_19radix_merge_compareILb0ELb1EiNS0_19identity_decomposerEEEEE10hipError_tT0_T1_T2_jT3_P12ihipStream_tbPNSt15iterator_traitsISI_E10value_typeEPNSO_ISJ_E10value_typeEPSK_NS1_7vsmem_tEENKUlT_SI_SJ_SK_E_clISD_PiSD_S10_EESH_SX_SI_SJ_SK_EUlSX_E0_NS1_11comp_targetILNS1_3genE10ELNS1_11target_archE1201ELNS1_3gpuE5ELNS1_3repE0EEENS1_38merge_mergepath_config_static_selectorELNS0_4arch9wavefront6targetE0EEEvSJ_.num_agpr, 0
	.set _ZN7rocprim17ROCPRIM_400000_NS6detail17trampoline_kernelINS0_14default_configENS1_38merge_sort_block_merge_config_selectorIiiEEZZNS1_27merge_sort_block_merge_implIS3_N6thrust23THRUST_200600_302600_NS6detail15normal_iteratorINS8_10device_ptrIiEEEESD_jNS1_19radix_merge_compareILb0ELb1EiNS0_19identity_decomposerEEEEE10hipError_tT0_T1_T2_jT3_P12ihipStream_tbPNSt15iterator_traitsISI_E10value_typeEPNSO_ISJ_E10value_typeEPSK_NS1_7vsmem_tEENKUlT_SI_SJ_SK_E_clISD_PiSD_S10_EESH_SX_SI_SJ_SK_EUlSX_E0_NS1_11comp_targetILNS1_3genE10ELNS1_11target_archE1201ELNS1_3gpuE5ELNS1_3repE0EEENS1_38merge_mergepath_config_static_selectorELNS0_4arch9wavefront6targetE0EEEvSJ_.numbered_sgpr, 0
	.set _ZN7rocprim17ROCPRIM_400000_NS6detail17trampoline_kernelINS0_14default_configENS1_38merge_sort_block_merge_config_selectorIiiEEZZNS1_27merge_sort_block_merge_implIS3_N6thrust23THRUST_200600_302600_NS6detail15normal_iteratorINS8_10device_ptrIiEEEESD_jNS1_19radix_merge_compareILb0ELb1EiNS0_19identity_decomposerEEEEE10hipError_tT0_T1_T2_jT3_P12ihipStream_tbPNSt15iterator_traitsISI_E10value_typeEPNSO_ISJ_E10value_typeEPSK_NS1_7vsmem_tEENKUlT_SI_SJ_SK_E_clISD_PiSD_S10_EESH_SX_SI_SJ_SK_EUlSX_E0_NS1_11comp_targetILNS1_3genE10ELNS1_11target_archE1201ELNS1_3gpuE5ELNS1_3repE0EEENS1_38merge_mergepath_config_static_selectorELNS0_4arch9wavefront6targetE0EEEvSJ_.num_named_barrier, 0
	.set _ZN7rocprim17ROCPRIM_400000_NS6detail17trampoline_kernelINS0_14default_configENS1_38merge_sort_block_merge_config_selectorIiiEEZZNS1_27merge_sort_block_merge_implIS3_N6thrust23THRUST_200600_302600_NS6detail15normal_iteratorINS8_10device_ptrIiEEEESD_jNS1_19radix_merge_compareILb0ELb1EiNS0_19identity_decomposerEEEEE10hipError_tT0_T1_T2_jT3_P12ihipStream_tbPNSt15iterator_traitsISI_E10value_typeEPNSO_ISJ_E10value_typeEPSK_NS1_7vsmem_tEENKUlT_SI_SJ_SK_E_clISD_PiSD_S10_EESH_SX_SI_SJ_SK_EUlSX_E0_NS1_11comp_targetILNS1_3genE10ELNS1_11target_archE1201ELNS1_3gpuE5ELNS1_3repE0EEENS1_38merge_mergepath_config_static_selectorELNS0_4arch9wavefront6targetE0EEEvSJ_.private_seg_size, 0
	.set _ZN7rocprim17ROCPRIM_400000_NS6detail17trampoline_kernelINS0_14default_configENS1_38merge_sort_block_merge_config_selectorIiiEEZZNS1_27merge_sort_block_merge_implIS3_N6thrust23THRUST_200600_302600_NS6detail15normal_iteratorINS8_10device_ptrIiEEEESD_jNS1_19radix_merge_compareILb0ELb1EiNS0_19identity_decomposerEEEEE10hipError_tT0_T1_T2_jT3_P12ihipStream_tbPNSt15iterator_traitsISI_E10value_typeEPNSO_ISJ_E10value_typeEPSK_NS1_7vsmem_tEENKUlT_SI_SJ_SK_E_clISD_PiSD_S10_EESH_SX_SI_SJ_SK_EUlSX_E0_NS1_11comp_targetILNS1_3genE10ELNS1_11target_archE1201ELNS1_3gpuE5ELNS1_3repE0EEENS1_38merge_mergepath_config_static_selectorELNS0_4arch9wavefront6targetE0EEEvSJ_.uses_vcc, 0
	.set _ZN7rocprim17ROCPRIM_400000_NS6detail17trampoline_kernelINS0_14default_configENS1_38merge_sort_block_merge_config_selectorIiiEEZZNS1_27merge_sort_block_merge_implIS3_N6thrust23THRUST_200600_302600_NS6detail15normal_iteratorINS8_10device_ptrIiEEEESD_jNS1_19radix_merge_compareILb0ELb1EiNS0_19identity_decomposerEEEEE10hipError_tT0_T1_T2_jT3_P12ihipStream_tbPNSt15iterator_traitsISI_E10value_typeEPNSO_ISJ_E10value_typeEPSK_NS1_7vsmem_tEENKUlT_SI_SJ_SK_E_clISD_PiSD_S10_EESH_SX_SI_SJ_SK_EUlSX_E0_NS1_11comp_targetILNS1_3genE10ELNS1_11target_archE1201ELNS1_3gpuE5ELNS1_3repE0EEENS1_38merge_mergepath_config_static_selectorELNS0_4arch9wavefront6targetE0EEEvSJ_.uses_flat_scratch, 0
	.set _ZN7rocprim17ROCPRIM_400000_NS6detail17trampoline_kernelINS0_14default_configENS1_38merge_sort_block_merge_config_selectorIiiEEZZNS1_27merge_sort_block_merge_implIS3_N6thrust23THRUST_200600_302600_NS6detail15normal_iteratorINS8_10device_ptrIiEEEESD_jNS1_19radix_merge_compareILb0ELb1EiNS0_19identity_decomposerEEEEE10hipError_tT0_T1_T2_jT3_P12ihipStream_tbPNSt15iterator_traitsISI_E10value_typeEPNSO_ISJ_E10value_typeEPSK_NS1_7vsmem_tEENKUlT_SI_SJ_SK_E_clISD_PiSD_S10_EESH_SX_SI_SJ_SK_EUlSX_E0_NS1_11comp_targetILNS1_3genE10ELNS1_11target_archE1201ELNS1_3gpuE5ELNS1_3repE0EEENS1_38merge_mergepath_config_static_selectorELNS0_4arch9wavefront6targetE0EEEvSJ_.has_dyn_sized_stack, 0
	.set _ZN7rocprim17ROCPRIM_400000_NS6detail17trampoline_kernelINS0_14default_configENS1_38merge_sort_block_merge_config_selectorIiiEEZZNS1_27merge_sort_block_merge_implIS3_N6thrust23THRUST_200600_302600_NS6detail15normal_iteratorINS8_10device_ptrIiEEEESD_jNS1_19radix_merge_compareILb0ELb1EiNS0_19identity_decomposerEEEEE10hipError_tT0_T1_T2_jT3_P12ihipStream_tbPNSt15iterator_traitsISI_E10value_typeEPNSO_ISJ_E10value_typeEPSK_NS1_7vsmem_tEENKUlT_SI_SJ_SK_E_clISD_PiSD_S10_EESH_SX_SI_SJ_SK_EUlSX_E0_NS1_11comp_targetILNS1_3genE10ELNS1_11target_archE1201ELNS1_3gpuE5ELNS1_3repE0EEENS1_38merge_mergepath_config_static_selectorELNS0_4arch9wavefront6targetE0EEEvSJ_.has_recursion, 0
	.set _ZN7rocprim17ROCPRIM_400000_NS6detail17trampoline_kernelINS0_14default_configENS1_38merge_sort_block_merge_config_selectorIiiEEZZNS1_27merge_sort_block_merge_implIS3_N6thrust23THRUST_200600_302600_NS6detail15normal_iteratorINS8_10device_ptrIiEEEESD_jNS1_19radix_merge_compareILb0ELb1EiNS0_19identity_decomposerEEEEE10hipError_tT0_T1_T2_jT3_P12ihipStream_tbPNSt15iterator_traitsISI_E10value_typeEPNSO_ISJ_E10value_typeEPSK_NS1_7vsmem_tEENKUlT_SI_SJ_SK_E_clISD_PiSD_S10_EESH_SX_SI_SJ_SK_EUlSX_E0_NS1_11comp_targetILNS1_3genE10ELNS1_11target_archE1201ELNS1_3gpuE5ELNS1_3repE0EEENS1_38merge_mergepath_config_static_selectorELNS0_4arch9wavefront6targetE0EEEvSJ_.has_indirect_call, 0
	.section	.AMDGPU.csdata,"",@progbits
; Kernel info:
; codeLenInByte = 0
; TotalNumSgprs: 0
; NumVgprs: 0
; ScratchSize: 0
; MemoryBound: 0
; FloatMode: 240
; IeeeMode: 1
; LDSByteSize: 0 bytes/workgroup (compile time only)
; SGPRBlocks: 0
; VGPRBlocks: 0
; NumSGPRsForWavesPerEU: 1
; NumVGPRsForWavesPerEU: 1
; Occupancy: 16
; WaveLimiterHint : 0
; COMPUTE_PGM_RSRC2:SCRATCH_EN: 0
; COMPUTE_PGM_RSRC2:USER_SGPR: 6
; COMPUTE_PGM_RSRC2:TRAP_HANDLER: 0
; COMPUTE_PGM_RSRC2:TGID_X_EN: 1
; COMPUTE_PGM_RSRC2:TGID_Y_EN: 0
; COMPUTE_PGM_RSRC2:TGID_Z_EN: 0
; COMPUTE_PGM_RSRC2:TIDIG_COMP_CNT: 0
	.section	.text._ZN7rocprim17ROCPRIM_400000_NS6detail17trampoline_kernelINS0_14default_configENS1_38merge_sort_block_merge_config_selectorIiiEEZZNS1_27merge_sort_block_merge_implIS3_N6thrust23THRUST_200600_302600_NS6detail15normal_iteratorINS8_10device_ptrIiEEEESD_jNS1_19radix_merge_compareILb0ELb1EiNS0_19identity_decomposerEEEEE10hipError_tT0_T1_T2_jT3_P12ihipStream_tbPNSt15iterator_traitsISI_E10value_typeEPNSO_ISJ_E10value_typeEPSK_NS1_7vsmem_tEENKUlT_SI_SJ_SK_E_clISD_PiSD_S10_EESH_SX_SI_SJ_SK_EUlSX_E0_NS1_11comp_targetILNS1_3genE5ELNS1_11target_archE942ELNS1_3gpuE9ELNS1_3repE0EEENS1_38merge_mergepath_config_static_selectorELNS0_4arch9wavefront6targetE0EEEvSJ_,"axG",@progbits,_ZN7rocprim17ROCPRIM_400000_NS6detail17trampoline_kernelINS0_14default_configENS1_38merge_sort_block_merge_config_selectorIiiEEZZNS1_27merge_sort_block_merge_implIS3_N6thrust23THRUST_200600_302600_NS6detail15normal_iteratorINS8_10device_ptrIiEEEESD_jNS1_19radix_merge_compareILb0ELb1EiNS0_19identity_decomposerEEEEE10hipError_tT0_T1_T2_jT3_P12ihipStream_tbPNSt15iterator_traitsISI_E10value_typeEPNSO_ISJ_E10value_typeEPSK_NS1_7vsmem_tEENKUlT_SI_SJ_SK_E_clISD_PiSD_S10_EESH_SX_SI_SJ_SK_EUlSX_E0_NS1_11comp_targetILNS1_3genE5ELNS1_11target_archE942ELNS1_3gpuE9ELNS1_3repE0EEENS1_38merge_mergepath_config_static_selectorELNS0_4arch9wavefront6targetE0EEEvSJ_,comdat
	.protected	_ZN7rocprim17ROCPRIM_400000_NS6detail17trampoline_kernelINS0_14default_configENS1_38merge_sort_block_merge_config_selectorIiiEEZZNS1_27merge_sort_block_merge_implIS3_N6thrust23THRUST_200600_302600_NS6detail15normal_iteratorINS8_10device_ptrIiEEEESD_jNS1_19radix_merge_compareILb0ELb1EiNS0_19identity_decomposerEEEEE10hipError_tT0_T1_T2_jT3_P12ihipStream_tbPNSt15iterator_traitsISI_E10value_typeEPNSO_ISJ_E10value_typeEPSK_NS1_7vsmem_tEENKUlT_SI_SJ_SK_E_clISD_PiSD_S10_EESH_SX_SI_SJ_SK_EUlSX_E0_NS1_11comp_targetILNS1_3genE5ELNS1_11target_archE942ELNS1_3gpuE9ELNS1_3repE0EEENS1_38merge_mergepath_config_static_selectorELNS0_4arch9wavefront6targetE0EEEvSJ_ ; -- Begin function _ZN7rocprim17ROCPRIM_400000_NS6detail17trampoline_kernelINS0_14default_configENS1_38merge_sort_block_merge_config_selectorIiiEEZZNS1_27merge_sort_block_merge_implIS3_N6thrust23THRUST_200600_302600_NS6detail15normal_iteratorINS8_10device_ptrIiEEEESD_jNS1_19radix_merge_compareILb0ELb1EiNS0_19identity_decomposerEEEEE10hipError_tT0_T1_T2_jT3_P12ihipStream_tbPNSt15iterator_traitsISI_E10value_typeEPNSO_ISJ_E10value_typeEPSK_NS1_7vsmem_tEENKUlT_SI_SJ_SK_E_clISD_PiSD_S10_EESH_SX_SI_SJ_SK_EUlSX_E0_NS1_11comp_targetILNS1_3genE5ELNS1_11target_archE942ELNS1_3gpuE9ELNS1_3repE0EEENS1_38merge_mergepath_config_static_selectorELNS0_4arch9wavefront6targetE0EEEvSJ_
	.globl	_ZN7rocprim17ROCPRIM_400000_NS6detail17trampoline_kernelINS0_14default_configENS1_38merge_sort_block_merge_config_selectorIiiEEZZNS1_27merge_sort_block_merge_implIS3_N6thrust23THRUST_200600_302600_NS6detail15normal_iteratorINS8_10device_ptrIiEEEESD_jNS1_19radix_merge_compareILb0ELb1EiNS0_19identity_decomposerEEEEE10hipError_tT0_T1_T2_jT3_P12ihipStream_tbPNSt15iterator_traitsISI_E10value_typeEPNSO_ISJ_E10value_typeEPSK_NS1_7vsmem_tEENKUlT_SI_SJ_SK_E_clISD_PiSD_S10_EESH_SX_SI_SJ_SK_EUlSX_E0_NS1_11comp_targetILNS1_3genE5ELNS1_11target_archE942ELNS1_3gpuE9ELNS1_3repE0EEENS1_38merge_mergepath_config_static_selectorELNS0_4arch9wavefront6targetE0EEEvSJ_
	.p2align	8
	.type	_ZN7rocprim17ROCPRIM_400000_NS6detail17trampoline_kernelINS0_14default_configENS1_38merge_sort_block_merge_config_selectorIiiEEZZNS1_27merge_sort_block_merge_implIS3_N6thrust23THRUST_200600_302600_NS6detail15normal_iteratorINS8_10device_ptrIiEEEESD_jNS1_19radix_merge_compareILb0ELb1EiNS0_19identity_decomposerEEEEE10hipError_tT0_T1_T2_jT3_P12ihipStream_tbPNSt15iterator_traitsISI_E10value_typeEPNSO_ISJ_E10value_typeEPSK_NS1_7vsmem_tEENKUlT_SI_SJ_SK_E_clISD_PiSD_S10_EESH_SX_SI_SJ_SK_EUlSX_E0_NS1_11comp_targetILNS1_3genE5ELNS1_11target_archE942ELNS1_3gpuE9ELNS1_3repE0EEENS1_38merge_mergepath_config_static_selectorELNS0_4arch9wavefront6targetE0EEEvSJ_,@function
_ZN7rocprim17ROCPRIM_400000_NS6detail17trampoline_kernelINS0_14default_configENS1_38merge_sort_block_merge_config_selectorIiiEEZZNS1_27merge_sort_block_merge_implIS3_N6thrust23THRUST_200600_302600_NS6detail15normal_iteratorINS8_10device_ptrIiEEEESD_jNS1_19radix_merge_compareILb0ELb1EiNS0_19identity_decomposerEEEEE10hipError_tT0_T1_T2_jT3_P12ihipStream_tbPNSt15iterator_traitsISI_E10value_typeEPNSO_ISJ_E10value_typeEPSK_NS1_7vsmem_tEENKUlT_SI_SJ_SK_E_clISD_PiSD_S10_EESH_SX_SI_SJ_SK_EUlSX_E0_NS1_11comp_targetILNS1_3genE5ELNS1_11target_archE942ELNS1_3gpuE9ELNS1_3repE0EEENS1_38merge_mergepath_config_static_selectorELNS0_4arch9wavefront6targetE0EEEvSJ_: ; @_ZN7rocprim17ROCPRIM_400000_NS6detail17trampoline_kernelINS0_14default_configENS1_38merge_sort_block_merge_config_selectorIiiEEZZNS1_27merge_sort_block_merge_implIS3_N6thrust23THRUST_200600_302600_NS6detail15normal_iteratorINS8_10device_ptrIiEEEESD_jNS1_19radix_merge_compareILb0ELb1EiNS0_19identity_decomposerEEEEE10hipError_tT0_T1_T2_jT3_P12ihipStream_tbPNSt15iterator_traitsISI_E10value_typeEPNSO_ISJ_E10value_typeEPSK_NS1_7vsmem_tEENKUlT_SI_SJ_SK_E_clISD_PiSD_S10_EESH_SX_SI_SJ_SK_EUlSX_E0_NS1_11comp_targetILNS1_3genE5ELNS1_11target_archE942ELNS1_3gpuE9ELNS1_3repE0EEENS1_38merge_mergepath_config_static_selectorELNS0_4arch9wavefront6targetE0EEEvSJ_
; %bb.0:
	.section	.rodata,"a",@progbits
	.p2align	6, 0x0
	.amdhsa_kernel _ZN7rocprim17ROCPRIM_400000_NS6detail17trampoline_kernelINS0_14default_configENS1_38merge_sort_block_merge_config_selectorIiiEEZZNS1_27merge_sort_block_merge_implIS3_N6thrust23THRUST_200600_302600_NS6detail15normal_iteratorINS8_10device_ptrIiEEEESD_jNS1_19radix_merge_compareILb0ELb1EiNS0_19identity_decomposerEEEEE10hipError_tT0_T1_T2_jT3_P12ihipStream_tbPNSt15iterator_traitsISI_E10value_typeEPNSO_ISJ_E10value_typeEPSK_NS1_7vsmem_tEENKUlT_SI_SJ_SK_E_clISD_PiSD_S10_EESH_SX_SI_SJ_SK_EUlSX_E0_NS1_11comp_targetILNS1_3genE5ELNS1_11target_archE942ELNS1_3gpuE9ELNS1_3repE0EEENS1_38merge_mergepath_config_static_selectorELNS0_4arch9wavefront6targetE0EEEvSJ_
		.amdhsa_group_segment_fixed_size 0
		.amdhsa_private_segment_fixed_size 0
		.amdhsa_kernarg_size 64
		.amdhsa_user_sgpr_count 6
		.amdhsa_user_sgpr_private_segment_buffer 1
		.amdhsa_user_sgpr_dispatch_ptr 0
		.amdhsa_user_sgpr_queue_ptr 0
		.amdhsa_user_sgpr_kernarg_segment_ptr 1
		.amdhsa_user_sgpr_dispatch_id 0
		.amdhsa_user_sgpr_flat_scratch_init 0
		.amdhsa_user_sgpr_private_segment_size 0
		.amdhsa_wavefront_size32 1
		.amdhsa_uses_dynamic_stack 0
		.amdhsa_system_sgpr_private_segment_wavefront_offset 0
		.amdhsa_system_sgpr_workgroup_id_x 1
		.amdhsa_system_sgpr_workgroup_id_y 0
		.amdhsa_system_sgpr_workgroup_id_z 0
		.amdhsa_system_sgpr_workgroup_info 0
		.amdhsa_system_vgpr_workitem_id 0
		.amdhsa_next_free_vgpr 1
		.amdhsa_next_free_sgpr 1
		.amdhsa_reserve_vcc 0
		.amdhsa_reserve_flat_scratch 0
		.amdhsa_float_round_mode_32 0
		.amdhsa_float_round_mode_16_64 0
		.amdhsa_float_denorm_mode_32 3
		.amdhsa_float_denorm_mode_16_64 3
		.amdhsa_dx10_clamp 1
		.amdhsa_ieee_mode 1
		.amdhsa_fp16_overflow 0
		.amdhsa_workgroup_processor_mode 1
		.amdhsa_memory_ordered 1
		.amdhsa_forward_progress 1
		.amdhsa_shared_vgpr_count 0
		.amdhsa_exception_fp_ieee_invalid_op 0
		.amdhsa_exception_fp_denorm_src 0
		.amdhsa_exception_fp_ieee_div_zero 0
		.amdhsa_exception_fp_ieee_overflow 0
		.amdhsa_exception_fp_ieee_underflow 0
		.amdhsa_exception_fp_ieee_inexact 0
		.amdhsa_exception_int_div_zero 0
	.end_amdhsa_kernel
	.section	.text._ZN7rocprim17ROCPRIM_400000_NS6detail17trampoline_kernelINS0_14default_configENS1_38merge_sort_block_merge_config_selectorIiiEEZZNS1_27merge_sort_block_merge_implIS3_N6thrust23THRUST_200600_302600_NS6detail15normal_iteratorINS8_10device_ptrIiEEEESD_jNS1_19radix_merge_compareILb0ELb1EiNS0_19identity_decomposerEEEEE10hipError_tT0_T1_T2_jT3_P12ihipStream_tbPNSt15iterator_traitsISI_E10value_typeEPNSO_ISJ_E10value_typeEPSK_NS1_7vsmem_tEENKUlT_SI_SJ_SK_E_clISD_PiSD_S10_EESH_SX_SI_SJ_SK_EUlSX_E0_NS1_11comp_targetILNS1_3genE5ELNS1_11target_archE942ELNS1_3gpuE9ELNS1_3repE0EEENS1_38merge_mergepath_config_static_selectorELNS0_4arch9wavefront6targetE0EEEvSJ_,"axG",@progbits,_ZN7rocprim17ROCPRIM_400000_NS6detail17trampoline_kernelINS0_14default_configENS1_38merge_sort_block_merge_config_selectorIiiEEZZNS1_27merge_sort_block_merge_implIS3_N6thrust23THRUST_200600_302600_NS6detail15normal_iteratorINS8_10device_ptrIiEEEESD_jNS1_19radix_merge_compareILb0ELb1EiNS0_19identity_decomposerEEEEE10hipError_tT0_T1_T2_jT3_P12ihipStream_tbPNSt15iterator_traitsISI_E10value_typeEPNSO_ISJ_E10value_typeEPSK_NS1_7vsmem_tEENKUlT_SI_SJ_SK_E_clISD_PiSD_S10_EESH_SX_SI_SJ_SK_EUlSX_E0_NS1_11comp_targetILNS1_3genE5ELNS1_11target_archE942ELNS1_3gpuE9ELNS1_3repE0EEENS1_38merge_mergepath_config_static_selectorELNS0_4arch9wavefront6targetE0EEEvSJ_,comdat
.Lfunc_end790:
	.size	_ZN7rocprim17ROCPRIM_400000_NS6detail17trampoline_kernelINS0_14default_configENS1_38merge_sort_block_merge_config_selectorIiiEEZZNS1_27merge_sort_block_merge_implIS3_N6thrust23THRUST_200600_302600_NS6detail15normal_iteratorINS8_10device_ptrIiEEEESD_jNS1_19radix_merge_compareILb0ELb1EiNS0_19identity_decomposerEEEEE10hipError_tT0_T1_T2_jT3_P12ihipStream_tbPNSt15iterator_traitsISI_E10value_typeEPNSO_ISJ_E10value_typeEPSK_NS1_7vsmem_tEENKUlT_SI_SJ_SK_E_clISD_PiSD_S10_EESH_SX_SI_SJ_SK_EUlSX_E0_NS1_11comp_targetILNS1_3genE5ELNS1_11target_archE942ELNS1_3gpuE9ELNS1_3repE0EEENS1_38merge_mergepath_config_static_selectorELNS0_4arch9wavefront6targetE0EEEvSJ_, .Lfunc_end790-_ZN7rocprim17ROCPRIM_400000_NS6detail17trampoline_kernelINS0_14default_configENS1_38merge_sort_block_merge_config_selectorIiiEEZZNS1_27merge_sort_block_merge_implIS3_N6thrust23THRUST_200600_302600_NS6detail15normal_iteratorINS8_10device_ptrIiEEEESD_jNS1_19radix_merge_compareILb0ELb1EiNS0_19identity_decomposerEEEEE10hipError_tT0_T1_T2_jT3_P12ihipStream_tbPNSt15iterator_traitsISI_E10value_typeEPNSO_ISJ_E10value_typeEPSK_NS1_7vsmem_tEENKUlT_SI_SJ_SK_E_clISD_PiSD_S10_EESH_SX_SI_SJ_SK_EUlSX_E0_NS1_11comp_targetILNS1_3genE5ELNS1_11target_archE942ELNS1_3gpuE9ELNS1_3repE0EEENS1_38merge_mergepath_config_static_selectorELNS0_4arch9wavefront6targetE0EEEvSJ_
                                        ; -- End function
	.set _ZN7rocprim17ROCPRIM_400000_NS6detail17trampoline_kernelINS0_14default_configENS1_38merge_sort_block_merge_config_selectorIiiEEZZNS1_27merge_sort_block_merge_implIS3_N6thrust23THRUST_200600_302600_NS6detail15normal_iteratorINS8_10device_ptrIiEEEESD_jNS1_19radix_merge_compareILb0ELb1EiNS0_19identity_decomposerEEEEE10hipError_tT0_T1_T2_jT3_P12ihipStream_tbPNSt15iterator_traitsISI_E10value_typeEPNSO_ISJ_E10value_typeEPSK_NS1_7vsmem_tEENKUlT_SI_SJ_SK_E_clISD_PiSD_S10_EESH_SX_SI_SJ_SK_EUlSX_E0_NS1_11comp_targetILNS1_3genE5ELNS1_11target_archE942ELNS1_3gpuE9ELNS1_3repE0EEENS1_38merge_mergepath_config_static_selectorELNS0_4arch9wavefront6targetE0EEEvSJ_.num_vgpr, 0
	.set _ZN7rocprim17ROCPRIM_400000_NS6detail17trampoline_kernelINS0_14default_configENS1_38merge_sort_block_merge_config_selectorIiiEEZZNS1_27merge_sort_block_merge_implIS3_N6thrust23THRUST_200600_302600_NS6detail15normal_iteratorINS8_10device_ptrIiEEEESD_jNS1_19radix_merge_compareILb0ELb1EiNS0_19identity_decomposerEEEEE10hipError_tT0_T1_T2_jT3_P12ihipStream_tbPNSt15iterator_traitsISI_E10value_typeEPNSO_ISJ_E10value_typeEPSK_NS1_7vsmem_tEENKUlT_SI_SJ_SK_E_clISD_PiSD_S10_EESH_SX_SI_SJ_SK_EUlSX_E0_NS1_11comp_targetILNS1_3genE5ELNS1_11target_archE942ELNS1_3gpuE9ELNS1_3repE0EEENS1_38merge_mergepath_config_static_selectorELNS0_4arch9wavefront6targetE0EEEvSJ_.num_agpr, 0
	.set _ZN7rocprim17ROCPRIM_400000_NS6detail17trampoline_kernelINS0_14default_configENS1_38merge_sort_block_merge_config_selectorIiiEEZZNS1_27merge_sort_block_merge_implIS3_N6thrust23THRUST_200600_302600_NS6detail15normal_iteratorINS8_10device_ptrIiEEEESD_jNS1_19radix_merge_compareILb0ELb1EiNS0_19identity_decomposerEEEEE10hipError_tT0_T1_T2_jT3_P12ihipStream_tbPNSt15iterator_traitsISI_E10value_typeEPNSO_ISJ_E10value_typeEPSK_NS1_7vsmem_tEENKUlT_SI_SJ_SK_E_clISD_PiSD_S10_EESH_SX_SI_SJ_SK_EUlSX_E0_NS1_11comp_targetILNS1_3genE5ELNS1_11target_archE942ELNS1_3gpuE9ELNS1_3repE0EEENS1_38merge_mergepath_config_static_selectorELNS0_4arch9wavefront6targetE0EEEvSJ_.numbered_sgpr, 0
	.set _ZN7rocprim17ROCPRIM_400000_NS6detail17trampoline_kernelINS0_14default_configENS1_38merge_sort_block_merge_config_selectorIiiEEZZNS1_27merge_sort_block_merge_implIS3_N6thrust23THRUST_200600_302600_NS6detail15normal_iteratorINS8_10device_ptrIiEEEESD_jNS1_19radix_merge_compareILb0ELb1EiNS0_19identity_decomposerEEEEE10hipError_tT0_T1_T2_jT3_P12ihipStream_tbPNSt15iterator_traitsISI_E10value_typeEPNSO_ISJ_E10value_typeEPSK_NS1_7vsmem_tEENKUlT_SI_SJ_SK_E_clISD_PiSD_S10_EESH_SX_SI_SJ_SK_EUlSX_E0_NS1_11comp_targetILNS1_3genE5ELNS1_11target_archE942ELNS1_3gpuE9ELNS1_3repE0EEENS1_38merge_mergepath_config_static_selectorELNS0_4arch9wavefront6targetE0EEEvSJ_.num_named_barrier, 0
	.set _ZN7rocprim17ROCPRIM_400000_NS6detail17trampoline_kernelINS0_14default_configENS1_38merge_sort_block_merge_config_selectorIiiEEZZNS1_27merge_sort_block_merge_implIS3_N6thrust23THRUST_200600_302600_NS6detail15normal_iteratorINS8_10device_ptrIiEEEESD_jNS1_19radix_merge_compareILb0ELb1EiNS0_19identity_decomposerEEEEE10hipError_tT0_T1_T2_jT3_P12ihipStream_tbPNSt15iterator_traitsISI_E10value_typeEPNSO_ISJ_E10value_typeEPSK_NS1_7vsmem_tEENKUlT_SI_SJ_SK_E_clISD_PiSD_S10_EESH_SX_SI_SJ_SK_EUlSX_E0_NS1_11comp_targetILNS1_3genE5ELNS1_11target_archE942ELNS1_3gpuE9ELNS1_3repE0EEENS1_38merge_mergepath_config_static_selectorELNS0_4arch9wavefront6targetE0EEEvSJ_.private_seg_size, 0
	.set _ZN7rocprim17ROCPRIM_400000_NS6detail17trampoline_kernelINS0_14default_configENS1_38merge_sort_block_merge_config_selectorIiiEEZZNS1_27merge_sort_block_merge_implIS3_N6thrust23THRUST_200600_302600_NS6detail15normal_iteratorINS8_10device_ptrIiEEEESD_jNS1_19radix_merge_compareILb0ELb1EiNS0_19identity_decomposerEEEEE10hipError_tT0_T1_T2_jT3_P12ihipStream_tbPNSt15iterator_traitsISI_E10value_typeEPNSO_ISJ_E10value_typeEPSK_NS1_7vsmem_tEENKUlT_SI_SJ_SK_E_clISD_PiSD_S10_EESH_SX_SI_SJ_SK_EUlSX_E0_NS1_11comp_targetILNS1_3genE5ELNS1_11target_archE942ELNS1_3gpuE9ELNS1_3repE0EEENS1_38merge_mergepath_config_static_selectorELNS0_4arch9wavefront6targetE0EEEvSJ_.uses_vcc, 0
	.set _ZN7rocprim17ROCPRIM_400000_NS6detail17trampoline_kernelINS0_14default_configENS1_38merge_sort_block_merge_config_selectorIiiEEZZNS1_27merge_sort_block_merge_implIS3_N6thrust23THRUST_200600_302600_NS6detail15normal_iteratorINS8_10device_ptrIiEEEESD_jNS1_19radix_merge_compareILb0ELb1EiNS0_19identity_decomposerEEEEE10hipError_tT0_T1_T2_jT3_P12ihipStream_tbPNSt15iterator_traitsISI_E10value_typeEPNSO_ISJ_E10value_typeEPSK_NS1_7vsmem_tEENKUlT_SI_SJ_SK_E_clISD_PiSD_S10_EESH_SX_SI_SJ_SK_EUlSX_E0_NS1_11comp_targetILNS1_3genE5ELNS1_11target_archE942ELNS1_3gpuE9ELNS1_3repE0EEENS1_38merge_mergepath_config_static_selectorELNS0_4arch9wavefront6targetE0EEEvSJ_.uses_flat_scratch, 0
	.set _ZN7rocprim17ROCPRIM_400000_NS6detail17trampoline_kernelINS0_14default_configENS1_38merge_sort_block_merge_config_selectorIiiEEZZNS1_27merge_sort_block_merge_implIS3_N6thrust23THRUST_200600_302600_NS6detail15normal_iteratorINS8_10device_ptrIiEEEESD_jNS1_19radix_merge_compareILb0ELb1EiNS0_19identity_decomposerEEEEE10hipError_tT0_T1_T2_jT3_P12ihipStream_tbPNSt15iterator_traitsISI_E10value_typeEPNSO_ISJ_E10value_typeEPSK_NS1_7vsmem_tEENKUlT_SI_SJ_SK_E_clISD_PiSD_S10_EESH_SX_SI_SJ_SK_EUlSX_E0_NS1_11comp_targetILNS1_3genE5ELNS1_11target_archE942ELNS1_3gpuE9ELNS1_3repE0EEENS1_38merge_mergepath_config_static_selectorELNS0_4arch9wavefront6targetE0EEEvSJ_.has_dyn_sized_stack, 0
	.set _ZN7rocprim17ROCPRIM_400000_NS6detail17trampoline_kernelINS0_14default_configENS1_38merge_sort_block_merge_config_selectorIiiEEZZNS1_27merge_sort_block_merge_implIS3_N6thrust23THRUST_200600_302600_NS6detail15normal_iteratorINS8_10device_ptrIiEEEESD_jNS1_19radix_merge_compareILb0ELb1EiNS0_19identity_decomposerEEEEE10hipError_tT0_T1_T2_jT3_P12ihipStream_tbPNSt15iterator_traitsISI_E10value_typeEPNSO_ISJ_E10value_typeEPSK_NS1_7vsmem_tEENKUlT_SI_SJ_SK_E_clISD_PiSD_S10_EESH_SX_SI_SJ_SK_EUlSX_E0_NS1_11comp_targetILNS1_3genE5ELNS1_11target_archE942ELNS1_3gpuE9ELNS1_3repE0EEENS1_38merge_mergepath_config_static_selectorELNS0_4arch9wavefront6targetE0EEEvSJ_.has_recursion, 0
	.set _ZN7rocprim17ROCPRIM_400000_NS6detail17trampoline_kernelINS0_14default_configENS1_38merge_sort_block_merge_config_selectorIiiEEZZNS1_27merge_sort_block_merge_implIS3_N6thrust23THRUST_200600_302600_NS6detail15normal_iteratorINS8_10device_ptrIiEEEESD_jNS1_19radix_merge_compareILb0ELb1EiNS0_19identity_decomposerEEEEE10hipError_tT0_T1_T2_jT3_P12ihipStream_tbPNSt15iterator_traitsISI_E10value_typeEPNSO_ISJ_E10value_typeEPSK_NS1_7vsmem_tEENKUlT_SI_SJ_SK_E_clISD_PiSD_S10_EESH_SX_SI_SJ_SK_EUlSX_E0_NS1_11comp_targetILNS1_3genE5ELNS1_11target_archE942ELNS1_3gpuE9ELNS1_3repE0EEENS1_38merge_mergepath_config_static_selectorELNS0_4arch9wavefront6targetE0EEEvSJ_.has_indirect_call, 0
	.section	.AMDGPU.csdata,"",@progbits
; Kernel info:
; codeLenInByte = 0
; TotalNumSgprs: 0
; NumVgprs: 0
; ScratchSize: 0
; MemoryBound: 0
; FloatMode: 240
; IeeeMode: 1
; LDSByteSize: 0 bytes/workgroup (compile time only)
; SGPRBlocks: 0
; VGPRBlocks: 0
; NumSGPRsForWavesPerEU: 1
; NumVGPRsForWavesPerEU: 1
; Occupancy: 16
; WaveLimiterHint : 0
; COMPUTE_PGM_RSRC2:SCRATCH_EN: 0
; COMPUTE_PGM_RSRC2:USER_SGPR: 6
; COMPUTE_PGM_RSRC2:TRAP_HANDLER: 0
; COMPUTE_PGM_RSRC2:TGID_X_EN: 1
; COMPUTE_PGM_RSRC2:TGID_Y_EN: 0
; COMPUTE_PGM_RSRC2:TGID_Z_EN: 0
; COMPUTE_PGM_RSRC2:TIDIG_COMP_CNT: 0
	.section	.text._ZN7rocprim17ROCPRIM_400000_NS6detail17trampoline_kernelINS0_14default_configENS1_38merge_sort_block_merge_config_selectorIiiEEZZNS1_27merge_sort_block_merge_implIS3_N6thrust23THRUST_200600_302600_NS6detail15normal_iteratorINS8_10device_ptrIiEEEESD_jNS1_19radix_merge_compareILb0ELb1EiNS0_19identity_decomposerEEEEE10hipError_tT0_T1_T2_jT3_P12ihipStream_tbPNSt15iterator_traitsISI_E10value_typeEPNSO_ISJ_E10value_typeEPSK_NS1_7vsmem_tEENKUlT_SI_SJ_SK_E_clISD_PiSD_S10_EESH_SX_SI_SJ_SK_EUlSX_E0_NS1_11comp_targetILNS1_3genE4ELNS1_11target_archE910ELNS1_3gpuE8ELNS1_3repE0EEENS1_38merge_mergepath_config_static_selectorELNS0_4arch9wavefront6targetE0EEEvSJ_,"axG",@progbits,_ZN7rocprim17ROCPRIM_400000_NS6detail17trampoline_kernelINS0_14default_configENS1_38merge_sort_block_merge_config_selectorIiiEEZZNS1_27merge_sort_block_merge_implIS3_N6thrust23THRUST_200600_302600_NS6detail15normal_iteratorINS8_10device_ptrIiEEEESD_jNS1_19radix_merge_compareILb0ELb1EiNS0_19identity_decomposerEEEEE10hipError_tT0_T1_T2_jT3_P12ihipStream_tbPNSt15iterator_traitsISI_E10value_typeEPNSO_ISJ_E10value_typeEPSK_NS1_7vsmem_tEENKUlT_SI_SJ_SK_E_clISD_PiSD_S10_EESH_SX_SI_SJ_SK_EUlSX_E0_NS1_11comp_targetILNS1_3genE4ELNS1_11target_archE910ELNS1_3gpuE8ELNS1_3repE0EEENS1_38merge_mergepath_config_static_selectorELNS0_4arch9wavefront6targetE0EEEvSJ_,comdat
	.protected	_ZN7rocprim17ROCPRIM_400000_NS6detail17trampoline_kernelINS0_14default_configENS1_38merge_sort_block_merge_config_selectorIiiEEZZNS1_27merge_sort_block_merge_implIS3_N6thrust23THRUST_200600_302600_NS6detail15normal_iteratorINS8_10device_ptrIiEEEESD_jNS1_19radix_merge_compareILb0ELb1EiNS0_19identity_decomposerEEEEE10hipError_tT0_T1_T2_jT3_P12ihipStream_tbPNSt15iterator_traitsISI_E10value_typeEPNSO_ISJ_E10value_typeEPSK_NS1_7vsmem_tEENKUlT_SI_SJ_SK_E_clISD_PiSD_S10_EESH_SX_SI_SJ_SK_EUlSX_E0_NS1_11comp_targetILNS1_3genE4ELNS1_11target_archE910ELNS1_3gpuE8ELNS1_3repE0EEENS1_38merge_mergepath_config_static_selectorELNS0_4arch9wavefront6targetE0EEEvSJ_ ; -- Begin function _ZN7rocprim17ROCPRIM_400000_NS6detail17trampoline_kernelINS0_14default_configENS1_38merge_sort_block_merge_config_selectorIiiEEZZNS1_27merge_sort_block_merge_implIS3_N6thrust23THRUST_200600_302600_NS6detail15normal_iteratorINS8_10device_ptrIiEEEESD_jNS1_19radix_merge_compareILb0ELb1EiNS0_19identity_decomposerEEEEE10hipError_tT0_T1_T2_jT3_P12ihipStream_tbPNSt15iterator_traitsISI_E10value_typeEPNSO_ISJ_E10value_typeEPSK_NS1_7vsmem_tEENKUlT_SI_SJ_SK_E_clISD_PiSD_S10_EESH_SX_SI_SJ_SK_EUlSX_E0_NS1_11comp_targetILNS1_3genE4ELNS1_11target_archE910ELNS1_3gpuE8ELNS1_3repE0EEENS1_38merge_mergepath_config_static_selectorELNS0_4arch9wavefront6targetE0EEEvSJ_
	.globl	_ZN7rocprim17ROCPRIM_400000_NS6detail17trampoline_kernelINS0_14default_configENS1_38merge_sort_block_merge_config_selectorIiiEEZZNS1_27merge_sort_block_merge_implIS3_N6thrust23THRUST_200600_302600_NS6detail15normal_iteratorINS8_10device_ptrIiEEEESD_jNS1_19radix_merge_compareILb0ELb1EiNS0_19identity_decomposerEEEEE10hipError_tT0_T1_T2_jT3_P12ihipStream_tbPNSt15iterator_traitsISI_E10value_typeEPNSO_ISJ_E10value_typeEPSK_NS1_7vsmem_tEENKUlT_SI_SJ_SK_E_clISD_PiSD_S10_EESH_SX_SI_SJ_SK_EUlSX_E0_NS1_11comp_targetILNS1_3genE4ELNS1_11target_archE910ELNS1_3gpuE8ELNS1_3repE0EEENS1_38merge_mergepath_config_static_selectorELNS0_4arch9wavefront6targetE0EEEvSJ_
	.p2align	8
	.type	_ZN7rocprim17ROCPRIM_400000_NS6detail17trampoline_kernelINS0_14default_configENS1_38merge_sort_block_merge_config_selectorIiiEEZZNS1_27merge_sort_block_merge_implIS3_N6thrust23THRUST_200600_302600_NS6detail15normal_iteratorINS8_10device_ptrIiEEEESD_jNS1_19radix_merge_compareILb0ELb1EiNS0_19identity_decomposerEEEEE10hipError_tT0_T1_T2_jT3_P12ihipStream_tbPNSt15iterator_traitsISI_E10value_typeEPNSO_ISJ_E10value_typeEPSK_NS1_7vsmem_tEENKUlT_SI_SJ_SK_E_clISD_PiSD_S10_EESH_SX_SI_SJ_SK_EUlSX_E0_NS1_11comp_targetILNS1_3genE4ELNS1_11target_archE910ELNS1_3gpuE8ELNS1_3repE0EEENS1_38merge_mergepath_config_static_selectorELNS0_4arch9wavefront6targetE0EEEvSJ_,@function
_ZN7rocprim17ROCPRIM_400000_NS6detail17trampoline_kernelINS0_14default_configENS1_38merge_sort_block_merge_config_selectorIiiEEZZNS1_27merge_sort_block_merge_implIS3_N6thrust23THRUST_200600_302600_NS6detail15normal_iteratorINS8_10device_ptrIiEEEESD_jNS1_19radix_merge_compareILb0ELb1EiNS0_19identity_decomposerEEEEE10hipError_tT0_T1_T2_jT3_P12ihipStream_tbPNSt15iterator_traitsISI_E10value_typeEPNSO_ISJ_E10value_typeEPSK_NS1_7vsmem_tEENKUlT_SI_SJ_SK_E_clISD_PiSD_S10_EESH_SX_SI_SJ_SK_EUlSX_E0_NS1_11comp_targetILNS1_3genE4ELNS1_11target_archE910ELNS1_3gpuE8ELNS1_3repE0EEENS1_38merge_mergepath_config_static_selectorELNS0_4arch9wavefront6targetE0EEEvSJ_: ; @_ZN7rocprim17ROCPRIM_400000_NS6detail17trampoline_kernelINS0_14default_configENS1_38merge_sort_block_merge_config_selectorIiiEEZZNS1_27merge_sort_block_merge_implIS3_N6thrust23THRUST_200600_302600_NS6detail15normal_iteratorINS8_10device_ptrIiEEEESD_jNS1_19radix_merge_compareILb0ELb1EiNS0_19identity_decomposerEEEEE10hipError_tT0_T1_T2_jT3_P12ihipStream_tbPNSt15iterator_traitsISI_E10value_typeEPNSO_ISJ_E10value_typeEPSK_NS1_7vsmem_tEENKUlT_SI_SJ_SK_E_clISD_PiSD_S10_EESH_SX_SI_SJ_SK_EUlSX_E0_NS1_11comp_targetILNS1_3genE4ELNS1_11target_archE910ELNS1_3gpuE8ELNS1_3repE0EEENS1_38merge_mergepath_config_static_selectorELNS0_4arch9wavefront6targetE0EEEvSJ_
; %bb.0:
	.section	.rodata,"a",@progbits
	.p2align	6, 0x0
	.amdhsa_kernel _ZN7rocprim17ROCPRIM_400000_NS6detail17trampoline_kernelINS0_14default_configENS1_38merge_sort_block_merge_config_selectorIiiEEZZNS1_27merge_sort_block_merge_implIS3_N6thrust23THRUST_200600_302600_NS6detail15normal_iteratorINS8_10device_ptrIiEEEESD_jNS1_19radix_merge_compareILb0ELb1EiNS0_19identity_decomposerEEEEE10hipError_tT0_T1_T2_jT3_P12ihipStream_tbPNSt15iterator_traitsISI_E10value_typeEPNSO_ISJ_E10value_typeEPSK_NS1_7vsmem_tEENKUlT_SI_SJ_SK_E_clISD_PiSD_S10_EESH_SX_SI_SJ_SK_EUlSX_E0_NS1_11comp_targetILNS1_3genE4ELNS1_11target_archE910ELNS1_3gpuE8ELNS1_3repE0EEENS1_38merge_mergepath_config_static_selectorELNS0_4arch9wavefront6targetE0EEEvSJ_
		.amdhsa_group_segment_fixed_size 0
		.amdhsa_private_segment_fixed_size 0
		.amdhsa_kernarg_size 64
		.amdhsa_user_sgpr_count 6
		.amdhsa_user_sgpr_private_segment_buffer 1
		.amdhsa_user_sgpr_dispatch_ptr 0
		.amdhsa_user_sgpr_queue_ptr 0
		.amdhsa_user_sgpr_kernarg_segment_ptr 1
		.amdhsa_user_sgpr_dispatch_id 0
		.amdhsa_user_sgpr_flat_scratch_init 0
		.amdhsa_user_sgpr_private_segment_size 0
		.amdhsa_wavefront_size32 1
		.amdhsa_uses_dynamic_stack 0
		.amdhsa_system_sgpr_private_segment_wavefront_offset 0
		.amdhsa_system_sgpr_workgroup_id_x 1
		.amdhsa_system_sgpr_workgroup_id_y 0
		.amdhsa_system_sgpr_workgroup_id_z 0
		.amdhsa_system_sgpr_workgroup_info 0
		.amdhsa_system_vgpr_workitem_id 0
		.amdhsa_next_free_vgpr 1
		.amdhsa_next_free_sgpr 1
		.amdhsa_reserve_vcc 0
		.amdhsa_reserve_flat_scratch 0
		.amdhsa_float_round_mode_32 0
		.amdhsa_float_round_mode_16_64 0
		.amdhsa_float_denorm_mode_32 3
		.amdhsa_float_denorm_mode_16_64 3
		.amdhsa_dx10_clamp 1
		.amdhsa_ieee_mode 1
		.amdhsa_fp16_overflow 0
		.amdhsa_workgroup_processor_mode 1
		.amdhsa_memory_ordered 1
		.amdhsa_forward_progress 1
		.amdhsa_shared_vgpr_count 0
		.amdhsa_exception_fp_ieee_invalid_op 0
		.amdhsa_exception_fp_denorm_src 0
		.amdhsa_exception_fp_ieee_div_zero 0
		.amdhsa_exception_fp_ieee_overflow 0
		.amdhsa_exception_fp_ieee_underflow 0
		.amdhsa_exception_fp_ieee_inexact 0
		.amdhsa_exception_int_div_zero 0
	.end_amdhsa_kernel
	.section	.text._ZN7rocprim17ROCPRIM_400000_NS6detail17trampoline_kernelINS0_14default_configENS1_38merge_sort_block_merge_config_selectorIiiEEZZNS1_27merge_sort_block_merge_implIS3_N6thrust23THRUST_200600_302600_NS6detail15normal_iteratorINS8_10device_ptrIiEEEESD_jNS1_19radix_merge_compareILb0ELb1EiNS0_19identity_decomposerEEEEE10hipError_tT0_T1_T2_jT3_P12ihipStream_tbPNSt15iterator_traitsISI_E10value_typeEPNSO_ISJ_E10value_typeEPSK_NS1_7vsmem_tEENKUlT_SI_SJ_SK_E_clISD_PiSD_S10_EESH_SX_SI_SJ_SK_EUlSX_E0_NS1_11comp_targetILNS1_3genE4ELNS1_11target_archE910ELNS1_3gpuE8ELNS1_3repE0EEENS1_38merge_mergepath_config_static_selectorELNS0_4arch9wavefront6targetE0EEEvSJ_,"axG",@progbits,_ZN7rocprim17ROCPRIM_400000_NS6detail17trampoline_kernelINS0_14default_configENS1_38merge_sort_block_merge_config_selectorIiiEEZZNS1_27merge_sort_block_merge_implIS3_N6thrust23THRUST_200600_302600_NS6detail15normal_iteratorINS8_10device_ptrIiEEEESD_jNS1_19radix_merge_compareILb0ELb1EiNS0_19identity_decomposerEEEEE10hipError_tT0_T1_T2_jT3_P12ihipStream_tbPNSt15iterator_traitsISI_E10value_typeEPNSO_ISJ_E10value_typeEPSK_NS1_7vsmem_tEENKUlT_SI_SJ_SK_E_clISD_PiSD_S10_EESH_SX_SI_SJ_SK_EUlSX_E0_NS1_11comp_targetILNS1_3genE4ELNS1_11target_archE910ELNS1_3gpuE8ELNS1_3repE0EEENS1_38merge_mergepath_config_static_selectorELNS0_4arch9wavefront6targetE0EEEvSJ_,comdat
.Lfunc_end791:
	.size	_ZN7rocprim17ROCPRIM_400000_NS6detail17trampoline_kernelINS0_14default_configENS1_38merge_sort_block_merge_config_selectorIiiEEZZNS1_27merge_sort_block_merge_implIS3_N6thrust23THRUST_200600_302600_NS6detail15normal_iteratorINS8_10device_ptrIiEEEESD_jNS1_19radix_merge_compareILb0ELb1EiNS0_19identity_decomposerEEEEE10hipError_tT0_T1_T2_jT3_P12ihipStream_tbPNSt15iterator_traitsISI_E10value_typeEPNSO_ISJ_E10value_typeEPSK_NS1_7vsmem_tEENKUlT_SI_SJ_SK_E_clISD_PiSD_S10_EESH_SX_SI_SJ_SK_EUlSX_E0_NS1_11comp_targetILNS1_3genE4ELNS1_11target_archE910ELNS1_3gpuE8ELNS1_3repE0EEENS1_38merge_mergepath_config_static_selectorELNS0_4arch9wavefront6targetE0EEEvSJ_, .Lfunc_end791-_ZN7rocprim17ROCPRIM_400000_NS6detail17trampoline_kernelINS0_14default_configENS1_38merge_sort_block_merge_config_selectorIiiEEZZNS1_27merge_sort_block_merge_implIS3_N6thrust23THRUST_200600_302600_NS6detail15normal_iteratorINS8_10device_ptrIiEEEESD_jNS1_19radix_merge_compareILb0ELb1EiNS0_19identity_decomposerEEEEE10hipError_tT0_T1_T2_jT3_P12ihipStream_tbPNSt15iterator_traitsISI_E10value_typeEPNSO_ISJ_E10value_typeEPSK_NS1_7vsmem_tEENKUlT_SI_SJ_SK_E_clISD_PiSD_S10_EESH_SX_SI_SJ_SK_EUlSX_E0_NS1_11comp_targetILNS1_3genE4ELNS1_11target_archE910ELNS1_3gpuE8ELNS1_3repE0EEENS1_38merge_mergepath_config_static_selectorELNS0_4arch9wavefront6targetE0EEEvSJ_
                                        ; -- End function
	.set _ZN7rocprim17ROCPRIM_400000_NS6detail17trampoline_kernelINS0_14default_configENS1_38merge_sort_block_merge_config_selectorIiiEEZZNS1_27merge_sort_block_merge_implIS3_N6thrust23THRUST_200600_302600_NS6detail15normal_iteratorINS8_10device_ptrIiEEEESD_jNS1_19radix_merge_compareILb0ELb1EiNS0_19identity_decomposerEEEEE10hipError_tT0_T1_T2_jT3_P12ihipStream_tbPNSt15iterator_traitsISI_E10value_typeEPNSO_ISJ_E10value_typeEPSK_NS1_7vsmem_tEENKUlT_SI_SJ_SK_E_clISD_PiSD_S10_EESH_SX_SI_SJ_SK_EUlSX_E0_NS1_11comp_targetILNS1_3genE4ELNS1_11target_archE910ELNS1_3gpuE8ELNS1_3repE0EEENS1_38merge_mergepath_config_static_selectorELNS0_4arch9wavefront6targetE0EEEvSJ_.num_vgpr, 0
	.set _ZN7rocprim17ROCPRIM_400000_NS6detail17trampoline_kernelINS0_14default_configENS1_38merge_sort_block_merge_config_selectorIiiEEZZNS1_27merge_sort_block_merge_implIS3_N6thrust23THRUST_200600_302600_NS6detail15normal_iteratorINS8_10device_ptrIiEEEESD_jNS1_19radix_merge_compareILb0ELb1EiNS0_19identity_decomposerEEEEE10hipError_tT0_T1_T2_jT3_P12ihipStream_tbPNSt15iterator_traitsISI_E10value_typeEPNSO_ISJ_E10value_typeEPSK_NS1_7vsmem_tEENKUlT_SI_SJ_SK_E_clISD_PiSD_S10_EESH_SX_SI_SJ_SK_EUlSX_E0_NS1_11comp_targetILNS1_3genE4ELNS1_11target_archE910ELNS1_3gpuE8ELNS1_3repE0EEENS1_38merge_mergepath_config_static_selectorELNS0_4arch9wavefront6targetE0EEEvSJ_.num_agpr, 0
	.set _ZN7rocprim17ROCPRIM_400000_NS6detail17trampoline_kernelINS0_14default_configENS1_38merge_sort_block_merge_config_selectorIiiEEZZNS1_27merge_sort_block_merge_implIS3_N6thrust23THRUST_200600_302600_NS6detail15normal_iteratorINS8_10device_ptrIiEEEESD_jNS1_19radix_merge_compareILb0ELb1EiNS0_19identity_decomposerEEEEE10hipError_tT0_T1_T2_jT3_P12ihipStream_tbPNSt15iterator_traitsISI_E10value_typeEPNSO_ISJ_E10value_typeEPSK_NS1_7vsmem_tEENKUlT_SI_SJ_SK_E_clISD_PiSD_S10_EESH_SX_SI_SJ_SK_EUlSX_E0_NS1_11comp_targetILNS1_3genE4ELNS1_11target_archE910ELNS1_3gpuE8ELNS1_3repE0EEENS1_38merge_mergepath_config_static_selectorELNS0_4arch9wavefront6targetE0EEEvSJ_.numbered_sgpr, 0
	.set _ZN7rocprim17ROCPRIM_400000_NS6detail17trampoline_kernelINS0_14default_configENS1_38merge_sort_block_merge_config_selectorIiiEEZZNS1_27merge_sort_block_merge_implIS3_N6thrust23THRUST_200600_302600_NS6detail15normal_iteratorINS8_10device_ptrIiEEEESD_jNS1_19radix_merge_compareILb0ELb1EiNS0_19identity_decomposerEEEEE10hipError_tT0_T1_T2_jT3_P12ihipStream_tbPNSt15iterator_traitsISI_E10value_typeEPNSO_ISJ_E10value_typeEPSK_NS1_7vsmem_tEENKUlT_SI_SJ_SK_E_clISD_PiSD_S10_EESH_SX_SI_SJ_SK_EUlSX_E0_NS1_11comp_targetILNS1_3genE4ELNS1_11target_archE910ELNS1_3gpuE8ELNS1_3repE0EEENS1_38merge_mergepath_config_static_selectorELNS0_4arch9wavefront6targetE0EEEvSJ_.num_named_barrier, 0
	.set _ZN7rocprim17ROCPRIM_400000_NS6detail17trampoline_kernelINS0_14default_configENS1_38merge_sort_block_merge_config_selectorIiiEEZZNS1_27merge_sort_block_merge_implIS3_N6thrust23THRUST_200600_302600_NS6detail15normal_iteratorINS8_10device_ptrIiEEEESD_jNS1_19radix_merge_compareILb0ELb1EiNS0_19identity_decomposerEEEEE10hipError_tT0_T1_T2_jT3_P12ihipStream_tbPNSt15iterator_traitsISI_E10value_typeEPNSO_ISJ_E10value_typeEPSK_NS1_7vsmem_tEENKUlT_SI_SJ_SK_E_clISD_PiSD_S10_EESH_SX_SI_SJ_SK_EUlSX_E0_NS1_11comp_targetILNS1_3genE4ELNS1_11target_archE910ELNS1_3gpuE8ELNS1_3repE0EEENS1_38merge_mergepath_config_static_selectorELNS0_4arch9wavefront6targetE0EEEvSJ_.private_seg_size, 0
	.set _ZN7rocprim17ROCPRIM_400000_NS6detail17trampoline_kernelINS0_14default_configENS1_38merge_sort_block_merge_config_selectorIiiEEZZNS1_27merge_sort_block_merge_implIS3_N6thrust23THRUST_200600_302600_NS6detail15normal_iteratorINS8_10device_ptrIiEEEESD_jNS1_19radix_merge_compareILb0ELb1EiNS0_19identity_decomposerEEEEE10hipError_tT0_T1_T2_jT3_P12ihipStream_tbPNSt15iterator_traitsISI_E10value_typeEPNSO_ISJ_E10value_typeEPSK_NS1_7vsmem_tEENKUlT_SI_SJ_SK_E_clISD_PiSD_S10_EESH_SX_SI_SJ_SK_EUlSX_E0_NS1_11comp_targetILNS1_3genE4ELNS1_11target_archE910ELNS1_3gpuE8ELNS1_3repE0EEENS1_38merge_mergepath_config_static_selectorELNS0_4arch9wavefront6targetE0EEEvSJ_.uses_vcc, 0
	.set _ZN7rocprim17ROCPRIM_400000_NS6detail17trampoline_kernelINS0_14default_configENS1_38merge_sort_block_merge_config_selectorIiiEEZZNS1_27merge_sort_block_merge_implIS3_N6thrust23THRUST_200600_302600_NS6detail15normal_iteratorINS8_10device_ptrIiEEEESD_jNS1_19radix_merge_compareILb0ELb1EiNS0_19identity_decomposerEEEEE10hipError_tT0_T1_T2_jT3_P12ihipStream_tbPNSt15iterator_traitsISI_E10value_typeEPNSO_ISJ_E10value_typeEPSK_NS1_7vsmem_tEENKUlT_SI_SJ_SK_E_clISD_PiSD_S10_EESH_SX_SI_SJ_SK_EUlSX_E0_NS1_11comp_targetILNS1_3genE4ELNS1_11target_archE910ELNS1_3gpuE8ELNS1_3repE0EEENS1_38merge_mergepath_config_static_selectorELNS0_4arch9wavefront6targetE0EEEvSJ_.uses_flat_scratch, 0
	.set _ZN7rocprim17ROCPRIM_400000_NS6detail17trampoline_kernelINS0_14default_configENS1_38merge_sort_block_merge_config_selectorIiiEEZZNS1_27merge_sort_block_merge_implIS3_N6thrust23THRUST_200600_302600_NS6detail15normal_iteratorINS8_10device_ptrIiEEEESD_jNS1_19radix_merge_compareILb0ELb1EiNS0_19identity_decomposerEEEEE10hipError_tT0_T1_T2_jT3_P12ihipStream_tbPNSt15iterator_traitsISI_E10value_typeEPNSO_ISJ_E10value_typeEPSK_NS1_7vsmem_tEENKUlT_SI_SJ_SK_E_clISD_PiSD_S10_EESH_SX_SI_SJ_SK_EUlSX_E0_NS1_11comp_targetILNS1_3genE4ELNS1_11target_archE910ELNS1_3gpuE8ELNS1_3repE0EEENS1_38merge_mergepath_config_static_selectorELNS0_4arch9wavefront6targetE0EEEvSJ_.has_dyn_sized_stack, 0
	.set _ZN7rocprim17ROCPRIM_400000_NS6detail17trampoline_kernelINS0_14default_configENS1_38merge_sort_block_merge_config_selectorIiiEEZZNS1_27merge_sort_block_merge_implIS3_N6thrust23THRUST_200600_302600_NS6detail15normal_iteratorINS8_10device_ptrIiEEEESD_jNS1_19radix_merge_compareILb0ELb1EiNS0_19identity_decomposerEEEEE10hipError_tT0_T1_T2_jT3_P12ihipStream_tbPNSt15iterator_traitsISI_E10value_typeEPNSO_ISJ_E10value_typeEPSK_NS1_7vsmem_tEENKUlT_SI_SJ_SK_E_clISD_PiSD_S10_EESH_SX_SI_SJ_SK_EUlSX_E0_NS1_11comp_targetILNS1_3genE4ELNS1_11target_archE910ELNS1_3gpuE8ELNS1_3repE0EEENS1_38merge_mergepath_config_static_selectorELNS0_4arch9wavefront6targetE0EEEvSJ_.has_recursion, 0
	.set _ZN7rocprim17ROCPRIM_400000_NS6detail17trampoline_kernelINS0_14default_configENS1_38merge_sort_block_merge_config_selectorIiiEEZZNS1_27merge_sort_block_merge_implIS3_N6thrust23THRUST_200600_302600_NS6detail15normal_iteratorINS8_10device_ptrIiEEEESD_jNS1_19radix_merge_compareILb0ELb1EiNS0_19identity_decomposerEEEEE10hipError_tT0_T1_T2_jT3_P12ihipStream_tbPNSt15iterator_traitsISI_E10value_typeEPNSO_ISJ_E10value_typeEPSK_NS1_7vsmem_tEENKUlT_SI_SJ_SK_E_clISD_PiSD_S10_EESH_SX_SI_SJ_SK_EUlSX_E0_NS1_11comp_targetILNS1_3genE4ELNS1_11target_archE910ELNS1_3gpuE8ELNS1_3repE0EEENS1_38merge_mergepath_config_static_selectorELNS0_4arch9wavefront6targetE0EEEvSJ_.has_indirect_call, 0
	.section	.AMDGPU.csdata,"",@progbits
; Kernel info:
; codeLenInByte = 0
; TotalNumSgprs: 0
; NumVgprs: 0
; ScratchSize: 0
; MemoryBound: 0
; FloatMode: 240
; IeeeMode: 1
; LDSByteSize: 0 bytes/workgroup (compile time only)
; SGPRBlocks: 0
; VGPRBlocks: 0
; NumSGPRsForWavesPerEU: 1
; NumVGPRsForWavesPerEU: 1
; Occupancy: 16
; WaveLimiterHint : 0
; COMPUTE_PGM_RSRC2:SCRATCH_EN: 0
; COMPUTE_PGM_RSRC2:USER_SGPR: 6
; COMPUTE_PGM_RSRC2:TRAP_HANDLER: 0
; COMPUTE_PGM_RSRC2:TGID_X_EN: 1
; COMPUTE_PGM_RSRC2:TGID_Y_EN: 0
; COMPUTE_PGM_RSRC2:TGID_Z_EN: 0
; COMPUTE_PGM_RSRC2:TIDIG_COMP_CNT: 0
	.section	.text._ZN7rocprim17ROCPRIM_400000_NS6detail17trampoline_kernelINS0_14default_configENS1_38merge_sort_block_merge_config_selectorIiiEEZZNS1_27merge_sort_block_merge_implIS3_N6thrust23THRUST_200600_302600_NS6detail15normal_iteratorINS8_10device_ptrIiEEEESD_jNS1_19radix_merge_compareILb0ELb1EiNS0_19identity_decomposerEEEEE10hipError_tT0_T1_T2_jT3_P12ihipStream_tbPNSt15iterator_traitsISI_E10value_typeEPNSO_ISJ_E10value_typeEPSK_NS1_7vsmem_tEENKUlT_SI_SJ_SK_E_clISD_PiSD_S10_EESH_SX_SI_SJ_SK_EUlSX_E0_NS1_11comp_targetILNS1_3genE3ELNS1_11target_archE908ELNS1_3gpuE7ELNS1_3repE0EEENS1_38merge_mergepath_config_static_selectorELNS0_4arch9wavefront6targetE0EEEvSJ_,"axG",@progbits,_ZN7rocprim17ROCPRIM_400000_NS6detail17trampoline_kernelINS0_14default_configENS1_38merge_sort_block_merge_config_selectorIiiEEZZNS1_27merge_sort_block_merge_implIS3_N6thrust23THRUST_200600_302600_NS6detail15normal_iteratorINS8_10device_ptrIiEEEESD_jNS1_19radix_merge_compareILb0ELb1EiNS0_19identity_decomposerEEEEE10hipError_tT0_T1_T2_jT3_P12ihipStream_tbPNSt15iterator_traitsISI_E10value_typeEPNSO_ISJ_E10value_typeEPSK_NS1_7vsmem_tEENKUlT_SI_SJ_SK_E_clISD_PiSD_S10_EESH_SX_SI_SJ_SK_EUlSX_E0_NS1_11comp_targetILNS1_3genE3ELNS1_11target_archE908ELNS1_3gpuE7ELNS1_3repE0EEENS1_38merge_mergepath_config_static_selectorELNS0_4arch9wavefront6targetE0EEEvSJ_,comdat
	.protected	_ZN7rocprim17ROCPRIM_400000_NS6detail17trampoline_kernelINS0_14default_configENS1_38merge_sort_block_merge_config_selectorIiiEEZZNS1_27merge_sort_block_merge_implIS3_N6thrust23THRUST_200600_302600_NS6detail15normal_iteratorINS8_10device_ptrIiEEEESD_jNS1_19radix_merge_compareILb0ELb1EiNS0_19identity_decomposerEEEEE10hipError_tT0_T1_T2_jT3_P12ihipStream_tbPNSt15iterator_traitsISI_E10value_typeEPNSO_ISJ_E10value_typeEPSK_NS1_7vsmem_tEENKUlT_SI_SJ_SK_E_clISD_PiSD_S10_EESH_SX_SI_SJ_SK_EUlSX_E0_NS1_11comp_targetILNS1_3genE3ELNS1_11target_archE908ELNS1_3gpuE7ELNS1_3repE0EEENS1_38merge_mergepath_config_static_selectorELNS0_4arch9wavefront6targetE0EEEvSJ_ ; -- Begin function _ZN7rocprim17ROCPRIM_400000_NS6detail17trampoline_kernelINS0_14default_configENS1_38merge_sort_block_merge_config_selectorIiiEEZZNS1_27merge_sort_block_merge_implIS3_N6thrust23THRUST_200600_302600_NS6detail15normal_iteratorINS8_10device_ptrIiEEEESD_jNS1_19radix_merge_compareILb0ELb1EiNS0_19identity_decomposerEEEEE10hipError_tT0_T1_T2_jT3_P12ihipStream_tbPNSt15iterator_traitsISI_E10value_typeEPNSO_ISJ_E10value_typeEPSK_NS1_7vsmem_tEENKUlT_SI_SJ_SK_E_clISD_PiSD_S10_EESH_SX_SI_SJ_SK_EUlSX_E0_NS1_11comp_targetILNS1_3genE3ELNS1_11target_archE908ELNS1_3gpuE7ELNS1_3repE0EEENS1_38merge_mergepath_config_static_selectorELNS0_4arch9wavefront6targetE0EEEvSJ_
	.globl	_ZN7rocprim17ROCPRIM_400000_NS6detail17trampoline_kernelINS0_14default_configENS1_38merge_sort_block_merge_config_selectorIiiEEZZNS1_27merge_sort_block_merge_implIS3_N6thrust23THRUST_200600_302600_NS6detail15normal_iteratorINS8_10device_ptrIiEEEESD_jNS1_19radix_merge_compareILb0ELb1EiNS0_19identity_decomposerEEEEE10hipError_tT0_T1_T2_jT3_P12ihipStream_tbPNSt15iterator_traitsISI_E10value_typeEPNSO_ISJ_E10value_typeEPSK_NS1_7vsmem_tEENKUlT_SI_SJ_SK_E_clISD_PiSD_S10_EESH_SX_SI_SJ_SK_EUlSX_E0_NS1_11comp_targetILNS1_3genE3ELNS1_11target_archE908ELNS1_3gpuE7ELNS1_3repE0EEENS1_38merge_mergepath_config_static_selectorELNS0_4arch9wavefront6targetE0EEEvSJ_
	.p2align	8
	.type	_ZN7rocprim17ROCPRIM_400000_NS6detail17trampoline_kernelINS0_14default_configENS1_38merge_sort_block_merge_config_selectorIiiEEZZNS1_27merge_sort_block_merge_implIS3_N6thrust23THRUST_200600_302600_NS6detail15normal_iteratorINS8_10device_ptrIiEEEESD_jNS1_19radix_merge_compareILb0ELb1EiNS0_19identity_decomposerEEEEE10hipError_tT0_T1_T2_jT3_P12ihipStream_tbPNSt15iterator_traitsISI_E10value_typeEPNSO_ISJ_E10value_typeEPSK_NS1_7vsmem_tEENKUlT_SI_SJ_SK_E_clISD_PiSD_S10_EESH_SX_SI_SJ_SK_EUlSX_E0_NS1_11comp_targetILNS1_3genE3ELNS1_11target_archE908ELNS1_3gpuE7ELNS1_3repE0EEENS1_38merge_mergepath_config_static_selectorELNS0_4arch9wavefront6targetE0EEEvSJ_,@function
_ZN7rocprim17ROCPRIM_400000_NS6detail17trampoline_kernelINS0_14default_configENS1_38merge_sort_block_merge_config_selectorIiiEEZZNS1_27merge_sort_block_merge_implIS3_N6thrust23THRUST_200600_302600_NS6detail15normal_iteratorINS8_10device_ptrIiEEEESD_jNS1_19radix_merge_compareILb0ELb1EiNS0_19identity_decomposerEEEEE10hipError_tT0_T1_T2_jT3_P12ihipStream_tbPNSt15iterator_traitsISI_E10value_typeEPNSO_ISJ_E10value_typeEPSK_NS1_7vsmem_tEENKUlT_SI_SJ_SK_E_clISD_PiSD_S10_EESH_SX_SI_SJ_SK_EUlSX_E0_NS1_11comp_targetILNS1_3genE3ELNS1_11target_archE908ELNS1_3gpuE7ELNS1_3repE0EEENS1_38merge_mergepath_config_static_selectorELNS0_4arch9wavefront6targetE0EEEvSJ_: ; @_ZN7rocprim17ROCPRIM_400000_NS6detail17trampoline_kernelINS0_14default_configENS1_38merge_sort_block_merge_config_selectorIiiEEZZNS1_27merge_sort_block_merge_implIS3_N6thrust23THRUST_200600_302600_NS6detail15normal_iteratorINS8_10device_ptrIiEEEESD_jNS1_19radix_merge_compareILb0ELb1EiNS0_19identity_decomposerEEEEE10hipError_tT0_T1_T2_jT3_P12ihipStream_tbPNSt15iterator_traitsISI_E10value_typeEPNSO_ISJ_E10value_typeEPSK_NS1_7vsmem_tEENKUlT_SI_SJ_SK_E_clISD_PiSD_S10_EESH_SX_SI_SJ_SK_EUlSX_E0_NS1_11comp_targetILNS1_3genE3ELNS1_11target_archE908ELNS1_3gpuE7ELNS1_3repE0EEENS1_38merge_mergepath_config_static_selectorELNS0_4arch9wavefront6targetE0EEEvSJ_
; %bb.0:
	.section	.rodata,"a",@progbits
	.p2align	6, 0x0
	.amdhsa_kernel _ZN7rocprim17ROCPRIM_400000_NS6detail17trampoline_kernelINS0_14default_configENS1_38merge_sort_block_merge_config_selectorIiiEEZZNS1_27merge_sort_block_merge_implIS3_N6thrust23THRUST_200600_302600_NS6detail15normal_iteratorINS8_10device_ptrIiEEEESD_jNS1_19radix_merge_compareILb0ELb1EiNS0_19identity_decomposerEEEEE10hipError_tT0_T1_T2_jT3_P12ihipStream_tbPNSt15iterator_traitsISI_E10value_typeEPNSO_ISJ_E10value_typeEPSK_NS1_7vsmem_tEENKUlT_SI_SJ_SK_E_clISD_PiSD_S10_EESH_SX_SI_SJ_SK_EUlSX_E0_NS1_11comp_targetILNS1_3genE3ELNS1_11target_archE908ELNS1_3gpuE7ELNS1_3repE0EEENS1_38merge_mergepath_config_static_selectorELNS0_4arch9wavefront6targetE0EEEvSJ_
		.amdhsa_group_segment_fixed_size 0
		.amdhsa_private_segment_fixed_size 0
		.amdhsa_kernarg_size 64
		.amdhsa_user_sgpr_count 6
		.amdhsa_user_sgpr_private_segment_buffer 1
		.amdhsa_user_sgpr_dispatch_ptr 0
		.amdhsa_user_sgpr_queue_ptr 0
		.amdhsa_user_sgpr_kernarg_segment_ptr 1
		.amdhsa_user_sgpr_dispatch_id 0
		.amdhsa_user_sgpr_flat_scratch_init 0
		.amdhsa_user_sgpr_private_segment_size 0
		.amdhsa_wavefront_size32 1
		.amdhsa_uses_dynamic_stack 0
		.amdhsa_system_sgpr_private_segment_wavefront_offset 0
		.amdhsa_system_sgpr_workgroup_id_x 1
		.amdhsa_system_sgpr_workgroup_id_y 0
		.amdhsa_system_sgpr_workgroup_id_z 0
		.amdhsa_system_sgpr_workgroup_info 0
		.amdhsa_system_vgpr_workitem_id 0
		.amdhsa_next_free_vgpr 1
		.amdhsa_next_free_sgpr 1
		.amdhsa_reserve_vcc 0
		.amdhsa_reserve_flat_scratch 0
		.amdhsa_float_round_mode_32 0
		.amdhsa_float_round_mode_16_64 0
		.amdhsa_float_denorm_mode_32 3
		.amdhsa_float_denorm_mode_16_64 3
		.amdhsa_dx10_clamp 1
		.amdhsa_ieee_mode 1
		.amdhsa_fp16_overflow 0
		.amdhsa_workgroup_processor_mode 1
		.amdhsa_memory_ordered 1
		.amdhsa_forward_progress 1
		.amdhsa_shared_vgpr_count 0
		.amdhsa_exception_fp_ieee_invalid_op 0
		.amdhsa_exception_fp_denorm_src 0
		.amdhsa_exception_fp_ieee_div_zero 0
		.amdhsa_exception_fp_ieee_overflow 0
		.amdhsa_exception_fp_ieee_underflow 0
		.amdhsa_exception_fp_ieee_inexact 0
		.amdhsa_exception_int_div_zero 0
	.end_amdhsa_kernel
	.section	.text._ZN7rocprim17ROCPRIM_400000_NS6detail17trampoline_kernelINS0_14default_configENS1_38merge_sort_block_merge_config_selectorIiiEEZZNS1_27merge_sort_block_merge_implIS3_N6thrust23THRUST_200600_302600_NS6detail15normal_iteratorINS8_10device_ptrIiEEEESD_jNS1_19radix_merge_compareILb0ELb1EiNS0_19identity_decomposerEEEEE10hipError_tT0_T1_T2_jT3_P12ihipStream_tbPNSt15iterator_traitsISI_E10value_typeEPNSO_ISJ_E10value_typeEPSK_NS1_7vsmem_tEENKUlT_SI_SJ_SK_E_clISD_PiSD_S10_EESH_SX_SI_SJ_SK_EUlSX_E0_NS1_11comp_targetILNS1_3genE3ELNS1_11target_archE908ELNS1_3gpuE7ELNS1_3repE0EEENS1_38merge_mergepath_config_static_selectorELNS0_4arch9wavefront6targetE0EEEvSJ_,"axG",@progbits,_ZN7rocprim17ROCPRIM_400000_NS6detail17trampoline_kernelINS0_14default_configENS1_38merge_sort_block_merge_config_selectorIiiEEZZNS1_27merge_sort_block_merge_implIS3_N6thrust23THRUST_200600_302600_NS6detail15normal_iteratorINS8_10device_ptrIiEEEESD_jNS1_19radix_merge_compareILb0ELb1EiNS0_19identity_decomposerEEEEE10hipError_tT0_T1_T2_jT3_P12ihipStream_tbPNSt15iterator_traitsISI_E10value_typeEPNSO_ISJ_E10value_typeEPSK_NS1_7vsmem_tEENKUlT_SI_SJ_SK_E_clISD_PiSD_S10_EESH_SX_SI_SJ_SK_EUlSX_E0_NS1_11comp_targetILNS1_3genE3ELNS1_11target_archE908ELNS1_3gpuE7ELNS1_3repE0EEENS1_38merge_mergepath_config_static_selectorELNS0_4arch9wavefront6targetE0EEEvSJ_,comdat
.Lfunc_end792:
	.size	_ZN7rocprim17ROCPRIM_400000_NS6detail17trampoline_kernelINS0_14default_configENS1_38merge_sort_block_merge_config_selectorIiiEEZZNS1_27merge_sort_block_merge_implIS3_N6thrust23THRUST_200600_302600_NS6detail15normal_iteratorINS8_10device_ptrIiEEEESD_jNS1_19radix_merge_compareILb0ELb1EiNS0_19identity_decomposerEEEEE10hipError_tT0_T1_T2_jT3_P12ihipStream_tbPNSt15iterator_traitsISI_E10value_typeEPNSO_ISJ_E10value_typeEPSK_NS1_7vsmem_tEENKUlT_SI_SJ_SK_E_clISD_PiSD_S10_EESH_SX_SI_SJ_SK_EUlSX_E0_NS1_11comp_targetILNS1_3genE3ELNS1_11target_archE908ELNS1_3gpuE7ELNS1_3repE0EEENS1_38merge_mergepath_config_static_selectorELNS0_4arch9wavefront6targetE0EEEvSJ_, .Lfunc_end792-_ZN7rocprim17ROCPRIM_400000_NS6detail17trampoline_kernelINS0_14default_configENS1_38merge_sort_block_merge_config_selectorIiiEEZZNS1_27merge_sort_block_merge_implIS3_N6thrust23THRUST_200600_302600_NS6detail15normal_iteratorINS8_10device_ptrIiEEEESD_jNS1_19radix_merge_compareILb0ELb1EiNS0_19identity_decomposerEEEEE10hipError_tT0_T1_T2_jT3_P12ihipStream_tbPNSt15iterator_traitsISI_E10value_typeEPNSO_ISJ_E10value_typeEPSK_NS1_7vsmem_tEENKUlT_SI_SJ_SK_E_clISD_PiSD_S10_EESH_SX_SI_SJ_SK_EUlSX_E0_NS1_11comp_targetILNS1_3genE3ELNS1_11target_archE908ELNS1_3gpuE7ELNS1_3repE0EEENS1_38merge_mergepath_config_static_selectorELNS0_4arch9wavefront6targetE0EEEvSJ_
                                        ; -- End function
	.set _ZN7rocprim17ROCPRIM_400000_NS6detail17trampoline_kernelINS0_14default_configENS1_38merge_sort_block_merge_config_selectorIiiEEZZNS1_27merge_sort_block_merge_implIS3_N6thrust23THRUST_200600_302600_NS6detail15normal_iteratorINS8_10device_ptrIiEEEESD_jNS1_19radix_merge_compareILb0ELb1EiNS0_19identity_decomposerEEEEE10hipError_tT0_T1_T2_jT3_P12ihipStream_tbPNSt15iterator_traitsISI_E10value_typeEPNSO_ISJ_E10value_typeEPSK_NS1_7vsmem_tEENKUlT_SI_SJ_SK_E_clISD_PiSD_S10_EESH_SX_SI_SJ_SK_EUlSX_E0_NS1_11comp_targetILNS1_3genE3ELNS1_11target_archE908ELNS1_3gpuE7ELNS1_3repE0EEENS1_38merge_mergepath_config_static_selectorELNS0_4arch9wavefront6targetE0EEEvSJ_.num_vgpr, 0
	.set _ZN7rocprim17ROCPRIM_400000_NS6detail17trampoline_kernelINS0_14default_configENS1_38merge_sort_block_merge_config_selectorIiiEEZZNS1_27merge_sort_block_merge_implIS3_N6thrust23THRUST_200600_302600_NS6detail15normal_iteratorINS8_10device_ptrIiEEEESD_jNS1_19radix_merge_compareILb0ELb1EiNS0_19identity_decomposerEEEEE10hipError_tT0_T1_T2_jT3_P12ihipStream_tbPNSt15iterator_traitsISI_E10value_typeEPNSO_ISJ_E10value_typeEPSK_NS1_7vsmem_tEENKUlT_SI_SJ_SK_E_clISD_PiSD_S10_EESH_SX_SI_SJ_SK_EUlSX_E0_NS1_11comp_targetILNS1_3genE3ELNS1_11target_archE908ELNS1_3gpuE7ELNS1_3repE0EEENS1_38merge_mergepath_config_static_selectorELNS0_4arch9wavefront6targetE0EEEvSJ_.num_agpr, 0
	.set _ZN7rocprim17ROCPRIM_400000_NS6detail17trampoline_kernelINS0_14default_configENS1_38merge_sort_block_merge_config_selectorIiiEEZZNS1_27merge_sort_block_merge_implIS3_N6thrust23THRUST_200600_302600_NS6detail15normal_iteratorINS8_10device_ptrIiEEEESD_jNS1_19radix_merge_compareILb0ELb1EiNS0_19identity_decomposerEEEEE10hipError_tT0_T1_T2_jT3_P12ihipStream_tbPNSt15iterator_traitsISI_E10value_typeEPNSO_ISJ_E10value_typeEPSK_NS1_7vsmem_tEENKUlT_SI_SJ_SK_E_clISD_PiSD_S10_EESH_SX_SI_SJ_SK_EUlSX_E0_NS1_11comp_targetILNS1_3genE3ELNS1_11target_archE908ELNS1_3gpuE7ELNS1_3repE0EEENS1_38merge_mergepath_config_static_selectorELNS0_4arch9wavefront6targetE0EEEvSJ_.numbered_sgpr, 0
	.set _ZN7rocprim17ROCPRIM_400000_NS6detail17trampoline_kernelINS0_14default_configENS1_38merge_sort_block_merge_config_selectorIiiEEZZNS1_27merge_sort_block_merge_implIS3_N6thrust23THRUST_200600_302600_NS6detail15normal_iteratorINS8_10device_ptrIiEEEESD_jNS1_19radix_merge_compareILb0ELb1EiNS0_19identity_decomposerEEEEE10hipError_tT0_T1_T2_jT3_P12ihipStream_tbPNSt15iterator_traitsISI_E10value_typeEPNSO_ISJ_E10value_typeEPSK_NS1_7vsmem_tEENKUlT_SI_SJ_SK_E_clISD_PiSD_S10_EESH_SX_SI_SJ_SK_EUlSX_E0_NS1_11comp_targetILNS1_3genE3ELNS1_11target_archE908ELNS1_3gpuE7ELNS1_3repE0EEENS1_38merge_mergepath_config_static_selectorELNS0_4arch9wavefront6targetE0EEEvSJ_.num_named_barrier, 0
	.set _ZN7rocprim17ROCPRIM_400000_NS6detail17trampoline_kernelINS0_14default_configENS1_38merge_sort_block_merge_config_selectorIiiEEZZNS1_27merge_sort_block_merge_implIS3_N6thrust23THRUST_200600_302600_NS6detail15normal_iteratorINS8_10device_ptrIiEEEESD_jNS1_19radix_merge_compareILb0ELb1EiNS0_19identity_decomposerEEEEE10hipError_tT0_T1_T2_jT3_P12ihipStream_tbPNSt15iterator_traitsISI_E10value_typeEPNSO_ISJ_E10value_typeEPSK_NS1_7vsmem_tEENKUlT_SI_SJ_SK_E_clISD_PiSD_S10_EESH_SX_SI_SJ_SK_EUlSX_E0_NS1_11comp_targetILNS1_3genE3ELNS1_11target_archE908ELNS1_3gpuE7ELNS1_3repE0EEENS1_38merge_mergepath_config_static_selectorELNS0_4arch9wavefront6targetE0EEEvSJ_.private_seg_size, 0
	.set _ZN7rocprim17ROCPRIM_400000_NS6detail17trampoline_kernelINS0_14default_configENS1_38merge_sort_block_merge_config_selectorIiiEEZZNS1_27merge_sort_block_merge_implIS3_N6thrust23THRUST_200600_302600_NS6detail15normal_iteratorINS8_10device_ptrIiEEEESD_jNS1_19radix_merge_compareILb0ELb1EiNS0_19identity_decomposerEEEEE10hipError_tT0_T1_T2_jT3_P12ihipStream_tbPNSt15iterator_traitsISI_E10value_typeEPNSO_ISJ_E10value_typeEPSK_NS1_7vsmem_tEENKUlT_SI_SJ_SK_E_clISD_PiSD_S10_EESH_SX_SI_SJ_SK_EUlSX_E0_NS1_11comp_targetILNS1_3genE3ELNS1_11target_archE908ELNS1_3gpuE7ELNS1_3repE0EEENS1_38merge_mergepath_config_static_selectorELNS0_4arch9wavefront6targetE0EEEvSJ_.uses_vcc, 0
	.set _ZN7rocprim17ROCPRIM_400000_NS6detail17trampoline_kernelINS0_14default_configENS1_38merge_sort_block_merge_config_selectorIiiEEZZNS1_27merge_sort_block_merge_implIS3_N6thrust23THRUST_200600_302600_NS6detail15normal_iteratorINS8_10device_ptrIiEEEESD_jNS1_19radix_merge_compareILb0ELb1EiNS0_19identity_decomposerEEEEE10hipError_tT0_T1_T2_jT3_P12ihipStream_tbPNSt15iterator_traitsISI_E10value_typeEPNSO_ISJ_E10value_typeEPSK_NS1_7vsmem_tEENKUlT_SI_SJ_SK_E_clISD_PiSD_S10_EESH_SX_SI_SJ_SK_EUlSX_E0_NS1_11comp_targetILNS1_3genE3ELNS1_11target_archE908ELNS1_3gpuE7ELNS1_3repE0EEENS1_38merge_mergepath_config_static_selectorELNS0_4arch9wavefront6targetE0EEEvSJ_.uses_flat_scratch, 0
	.set _ZN7rocprim17ROCPRIM_400000_NS6detail17trampoline_kernelINS0_14default_configENS1_38merge_sort_block_merge_config_selectorIiiEEZZNS1_27merge_sort_block_merge_implIS3_N6thrust23THRUST_200600_302600_NS6detail15normal_iteratorINS8_10device_ptrIiEEEESD_jNS1_19radix_merge_compareILb0ELb1EiNS0_19identity_decomposerEEEEE10hipError_tT0_T1_T2_jT3_P12ihipStream_tbPNSt15iterator_traitsISI_E10value_typeEPNSO_ISJ_E10value_typeEPSK_NS1_7vsmem_tEENKUlT_SI_SJ_SK_E_clISD_PiSD_S10_EESH_SX_SI_SJ_SK_EUlSX_E0_NS1_11comp_targetILNS1_3genE3ELNS1_11target_archE908ELNS1_3gpuE7ELNS1_3repE0EEENS1_38merge_mergepath_config_static_selectorELNS0_4arch9wavefront6targetE0EEEvSJ_.has_dyn_sized_stack, 0
	.set _ZN7rocprim17ROCPRIM_400000_NS6detail17trampoline_kernelINS0_14default_configENS1_38merge_sort_block_merge_config_selectorIiiEEZZNS1_27merge_sort_block_merge_implIS3_N6thrust23THRUST_200600_302600_NS6detail15normal_iteratorINS8_10device_ptrIiEEEESD_jNS1_19radix_merge_compareILb0ELb1EiNS0_19identity_decomposerEEEEE10hipError_tT0_T1_T2_jT3_P12ihipStream_tbPNSt15iterator_traitsISI_E10value_typeEPNSO_ISJ_E10value_typeEPSK_NS1_7vsmem_tEENKUlT_SI_SJ_SK_E_clISD_PiSD_S10_EESH_SX_SI_SJ_SK_EUlSX_E0_NS1_11comp_targetILNS1_3genE3ELNS1_11target_archE908ELNS1_3gpuE7ELNS1_3repE0EEENS1_38merge_mergepath_config_static_selectorELNS0_4arch9wavefront6targetE0EEEvSJ_.has_recursion, 0
	.set _ZN7rocprim17ROCPRIM_400000_NS6detail17trampoline_kernelINS0_14default_configENS1_38merge_sort_block_merge_config_selectorIiiEEZZNS1_27merge_sort_block_merge_implIS3_N6thrust23THRUST_200600_302600_NS6detail15normal_iteratorINS8_10device_ptrIiEEEESD_jNS1_19radix_merge_compareILb0ELb1EiNS0_19identity_decomposerEEEEE10hipError_tT0_T1_T2_jT3_P12ihipStream_tbPNSt15iterator_traitsISI_E10value_typeEPNSO_ISJ_E10value_typeEPSK_NS1_7vsmem_tEENKUlT_SI_SJ_SK_E_clISD_PiSD_S10_EESH_SX_SI_SJ_SK_EUlSX_E0_NS1_11comp_targetILNS1_3genE3ELNS1_11target_archE908ELNS1_3gpuE7ELNS1_3repE0EEENS1_38merge_mergepath_config_static_selectorELNS0_4arch9wavefront6targetE0EEEvSJ_.has_indirect_call, 0
	.section	.AMDGPU.csdata,"",@progbits
; Kernel info:
; codeLenInByte = 0
; TotalNumSgprs: 0
; NumVgprs: 0
; ScratchSize: 0
; MemoryBound: 0
; FloatMode: 240
; IeeeMode: 1
; LDSByteSize: 0 bytes/workgroup (compile time only)
; SGPRBlocks: 0
; VGPRBlocks: 0
; NumSGPRsForWavesPerEU: 1
; NumVGPRsForWavesPerEU: 1
; Occupancy: 16
; WaveLimiterHint : 0
; COMPUTE_PGM_RSRC2:SCRATCH_EN: 0
; COMPUTE_PGM_RSRC2:USER_SGPR: 6
; COMPUTE_PGM_RSRC2:TRAP_HANDLER: 0
; COMPUTE_PGM_RSRC2:TGID_X_EN: 1
; COMPUTE_PGM_RSRC2:TGID_Y_EN: 0
; COMPUTE_PGM_RSRC2:TGID_Z_EN: 0
; COMPUTE_PGM_RSRC2:TIDIG_COMP_CNT: 0
	.section	.text._ZN7rocprim17ROCPRIM_400000_NS6detail17trampoline_kernelINS0_14default_configENS1_38merge_sort_block_merge_config_selectorIiiEEZZNS1_27merge_sort_block_merge_implIS3_N6thrust23THRUST_200600_302600_NS6detail15normal_iteratorINS8_10device_ptrIiEEEESD_jNS1_19radix_merge_compareILb0ELb1EiNS0_19identity_decomposerEEEEE10hipError_tT0_T1_T2_jT3_P12ihipStream_tbPNSt15iterator_traitsISI_E10value_typeEPNSO_ISJ_E10value_typeEPSK_NS1_7vsmem_tEENKUlT_SI_SJ_SK_E_clISD_PiSD_S10_EESH_SX_SI_SJ_SK_EUlSX_E0_NS1_11comp_targetILNS1_3genE2ELNS1_11target_archE906ELNS1_3gpuE6ELNS1_3repE0EEENS1_38merge_mergepath_config_static_selectorELNS0_4arch9wavefront6targetE0EEEvSJ_,"axG",@progbits,_ZN7rocprim17ROCPRIM_400000_NS6detail17trampoline_kernelINS0_14default_configENS1_38merge_sort_block_merge_config_selectorIiiEEZZNS1_27merge_sort_block_merge_implIS3_N6thrust23THRUST_200600_302600_NS6detail15normal_iteratorINS8_10device_ptrIiEEEESD_jNS1_19radix_merge_compareILb0ELb1EiNS0_19identity_decomposerEEEEE10hipError_tT0_T1_T2_jT3_P12ihipStream_tbPNSt15iterator_traitsISI_E10value_typeEPNSO_ISJ_E10value_typeEPSK_NS1_7vsmem_tEENKUlT_SI_SJ_SK_E_clISD_PiSD_S10_EESH_SX_SI_SJ_SK_EUlSX_E0_NS1_11comp_targetILNS1_3genE2ELNS1_11target_archE906ELNS1_3gpuE6ELNS1_3repE0EEENS1_38merge_mergepath_config_static_selectorELNS0_4arch9wavefront6targetE0EEEvSJ_,comdat
	.protected	_ZN7rocprim17ROCPRIM_400000_NS6detail17trampoline_kernelINS0_14default_configENS1_38merge_sort_block_merge_config_selectorIiiEEZZNS1_27merge_sort_block_merge_implIS3_N6thrust23THRUST_200600_302600_NS6detail15normal_iteratorINS8_10device_ptrIiEEEESD_jNS1_19radix_merge_compareILb0ELb1EiNS0_19identity_decomposerEEEEE10hipError_tT0_T1_T2_jT3_P12ihipStream_tbPNSt15iterator_traitsISI_E10value_typeEPNSO_ISJ_E10value_typeEPSK_NS1_7vsmem_tEENKUlT_SI_SJ_SK_E_clISD_PiSD_S10_EESH_SX_SI_SJ_SK_EUlSX_E0_NS1_11comp_targetILNS1_3genE2ELNS1_11target_archE906ELNS1_3gpuE6ELNS1_3repE0EEENS1_38merge_mergepath_config_static_selectorELNS0_4arch9wavefront6targetE0EEEvSJ_ ; -- Begin function _ZN7rocprim17ROCPRIM_400000_NS6detail17trampoline_kernelINS0_14default_configENS1_38merge_sort_block_merge_config_selectorIiiEEZZNS1_27merge_sort_block_merge_implIS3_N6thrust23THRUST_200600_302600_NS6detail15normal_iteratorINS8_10device_ptrIiEEEESD_jNS1_19radix_merge_compareILb0ELb1EiNS0_19identity_decomposerEEEEE10hipError_tT0_T1_T2_jT3_P12ihipStream_tbPNSt15iterator_traitsISI_E10value_typeEPNSO_ISJ_E10value_typeEPSK_NS1_7vsmem_tEENKUlT_SI_SJ_SK_E_clISD_PiSD_S10_EESH_SX_SI_SJ_SK_EUlSX_E0_NS1_11comp_targetILNS1_3genE2ELNS1_11target_archE906ELNS1_3gpuE6ELNS1_3repE0EEENS1_38merge_mergepath_config_static_selectorELNS0_4arch9wavefront6targetE0EEEvSJ_
	.globl	_ZN7rocprim17ROCPRIM_400000_NS6detail17trampoline_kernelINS0_14default_configENS1_38merge_sort_block_merge_config_selectorIiiEEZZNS1_27merge_sort_block_merge_implIS3_N6thrust23THRUST_200600_302600_NS6detail15normal_iteratorINS8_10device_ptrIiEEEESD_jNS1_19radix_merge_compareILb0ELb1EiNS0_19identity_decomposerEEEEE10hipError_tT0_T1_T2_jT3_P12ihipStream_tbPNSt15iterator_traitsISI_E10value_typeEPNSO_ISJ_E10value_typeEPSK_NS1_7vsmem_tEENKUlT_SI_SJ_SK_E_clISD_PiSD_S10_EESH_SX_SI_SJ_SK_EUlSX_E0_NS1_11comp_targetILNS1_3genE2ELNS1_11target_archE906ELNS1_3gpuE6ELNS1_3repE0EEENS1_38merge_mergepath_config_static_selectorELNS0_4arch9wavefront6targetE0EEEvSJ_
	.p2align	8
	.type	_ZN7rocprim17ROCPRIM_400000_NS6detail17trampoline_kernelINS0_14default_configENS1_38merge_sort_block_merge_config_selectorIiiEEZZNS1_27merge_sort_block_merge_implIS3_N6thrust23THRUST_200600_302600_NS6detail15normal_iteratorINS8_10device_ptrIiEEEESD_jNS1_19radix_merge_compareILb0ELb1EiNS0_19identity_decomposerEEEEE10hipError_tT0_T1_T2_jT3_P12ihipStream_tbPNSt15iterator_traitsISI_E10value_typeEPNSO_ISJ_E10value_typeEPSK_NS1_7vsmem_tEENKUlT_SI_SJ_SK_E_clISD_PiSD_S10_EESH_SX_SI_SJ_SK_EUlSX_E0_NS1_11comp_targetILNS1_3genE2ELNS1_11target_archE906ELNS1_3gpuE6ELNS1_3repE0EEENS1_38merge_mergepath_config_static_selectorELNS0_4arch9wavefront6targetE0EEEvSJ_,@function
_ZN7rocprim17ROCPRIM_400000_NS6detail17trampoline_kernelINS0_14default_configENS1_38merge_sort_block_merge_config_selectorIiiEEZZNS1_27merge_sort_block_merge_implIS3_N6thrust23THRUST_200600_302600_NS6detail15normal_iteratorINS8_10device_ptrIiEEEESD_jNS1_19radix_merge_compareILb0ELb1EiNS0_19identity_decomposerEEEEE10hipError_tT0_T1_T2_jT3_P12ihipStream_tbPNSt15iterator_traitsISI_E10value_typeEPNSO_ISJ_E10value_typeEPSK_NS1_7vsmem_tEENKUlT_SI_SJ_SK_E_clISD_PiSD_S10_EESH_SX_SI_SJ_SK_EUlSX_E0_NS1_11comp_targetILNS1_3genE2ELNS1_11target_archE906ELNS1_3gpuE6ELNS1_3repE0EEENS1_38merge_mergepath_config_static_selectorELNS0_4arch9wavefront6targetE0EEEvSJ_: ; @_ZN7rocprim17ROCPRIM_400000_NS6detail17trampoline_kernelINS0_14default_configENS1_38merge_sort_block_merge_config_selectorIiiEEZZNS1_27merge_sort_block_merge_implIS3_N6thrust23THRUST_200600_302600_NS6detail15normal_iteratorINS8_10device_ptrIiEEEESD_jNS1_19radix_merge_compareILb0ELb1EiNS0_19identity_decomposerEEEEE10hipError_tT0_T1_T2_jT3_P12ihipStream_tbPNSt15iterator_traitsISI_E10value_typeEPNSO_ISJ_E10value_typeEPSK_NS1_7vsmem_tEENKUlT_SI_SJ_SK_E_clISD_PiSD_S10_EESH_SX_SI_SJ_SK_EUlSX_E0_NS1_11comp_targetILNS1_3genE2ELNS1_11target_archE906ELNS1_3gpuE6ELNS1_3repE0EEENS1_38merge_mergepath_config_static_selectorELNS0_4arch9wavefront6targetE0EEEvSJ_
; %bb.0:
	.section	.rodata,"a",@progbits
	.p2align	6, 0x0
	.amdhsa_kernel _ZN7rocprim17ROCPRIM_400000_NS6detail17trampoline_kernelINS0_14default_configENS1_38merge_sort_block_merge_config_selectorIiiEEZZNS1_27merge_sort_block_merge_implIS3_N6thrust23THRUST_200600_302600_NS6detail15normal_iteratorINS8_10device_ptrIiEEEESD_jNS1_19radix_merge_compareILb0ELb1EiNS0_19identity_decomposerEEEEE10hipError_tT0_T1_T2_jT3_P12ihipStream_tbPNSt15iterator_traitsISI_E10value_typeEPNSO_ISJ_E10value_typeEPSK_NS1_7vsmem_tEENKUlT_SI_SJ_SK_E_clISD_PiSD_S10_EESH_SX_SI_SJ_SK_EUlSX_E0_NS1_11comp_targetILNS1_3genE2ELNS1_11target_archE906ELNS1_3gpuE6ELNS1_3repE0EEENS1_38merge_mergepath_config_static_selectorELNS0_4arch9wavefront6targetE0EEEvSJ_
		.amdhsa_group_segment_fixed_size 0
		.amdhsa_private_segment_fixed_size 0
		.amdhsa_kernarg_size 64
		.amdhsa_user_sgpr_count 6
		.amdhsa_user_sgpr_private_segment_buffer 1
		.amdhsa_user_sgpr_dispatch_ptr 0
		.amdhsa_user_sgpr_queue_ptr 0
		.amdhsa_user_sgpr_kernarg_segment_ptr 1
		.amdhsa_user_sgpr_dispatch_id 0
		.amdhsa_user_sgpr_flat_scratch_init 0
		.amdhsa_user_sgpr_private_segment_size 0
		.amdhsa_wavefront_size32 1
		.amdhsa_uses_dynamic_stack 0
		.amdhsa_system_sgpr_private_segment_wavefront_offset 0
		.amdhsa_system_sgpr_workgroup_id_x 1
		.amdhsa_system_sgpr_workgroup_id_y 0
		.amdhsa_system_sgpr_workgroup_id_z 0
		.amdhsa_system_sgpr_workgroup_info 0
		.amdhsa_system_vgpr_workitem_id 0
		.amdhsa_next_free_vgpr 1
		.amdhsa_next_free_sgpr 1
		.amdhsa_reserve_vcc 0
		.amdhsa_reserve_flat_scratch 0
		.amdhsa_float_round_mode_32 0
		.amdhsa_float_round_mode_16_64 0
		.amdhsa_float_denorm_mode_32 3
		.amdhsa_float_denorm_mode_16_64 3
		.amdhsa_dx10_clamp 1
		.amdhsa_ieee_mode 1
		.amdhsa_fp16_overflow 0
		.amdhsa_workgroup_processor_mode 1
		.amdhsa_memory_ordered 1
		.amdhsa_forward_progress 1
		.amdhsa_shared_vgpr_count 0
		.amdhsa_exception_fp_ieee_invalid_op 0
		.amdhsa_exception_fp_denorm_src 0
		.amdhsa_exception_fp_ieee_div_zero 0
		.amdhsa_exception_fp_ieee_overflow 0
		.amdhsa_exception_fp_ieee_underflow 0
		.amdhsa_exception_fp_ieee_inexact 0
		.amdhsa_exception_int_div_zero 0
	.end_amdhsa_kernel
	.section	.text._ZN7rocprim17ROCPRIM_400000_NS6detail17trampoline_kernelINS0_14default_configENS1_38merge_sort_block_merge_config_selectorIiiEEZZNS1_27merge_sort_block_merge_implIS3_N6thrust23THRUST_200600_302600_NS6detail15normal_iteratorINS8_10device_ptrIiEEEESD_jNS1_19radix_merge_compareILb0ELb1EiNS0_19identity_decomposerEEEEE10hipError_tT0_T1_T2_jT3_P12ihipStream_tbPNSt15iterator_traitsISI_E10value_typeEPNSO_ISJ_E10value_typeEPSK_NS1_7vsmem_tEENKUlT_SI_SJ_SK_E_clISD_PiSD_S10_EESH_SX_SI_SJ_SK_EUlSX_E0_NS1_11comp_targetILNS1_3genE2ELNS1_11target_archE906ELNS1_3gpuE6ELNS1_3repE0EEENS1_38merge_mergepath_config_static_selectorELNS0_4arch9wavefront6targetE0EEEvSJ_,"axG",@progbits,_ZN7rocprim17ROCPRIM_400000_NS6detail17trampoline_kernelINS0_14default_configENS1_38merge_sort_block_merge_config_selectorIiiEEZZNS1_27merge_sort_block_merge_implIS3_N6thrust23THRUST_200600_302600_NS6detail15normal_iteratorINS8_10device_ptrIiEEEESD_jNS1_19radix_merge_compareILb0ELb1EiNS0_19identity_decomposerEEEEE10hipError_tT0_T1_T2_jT3_P12ihipStream_tbPNSt15iterator_traitsISI_E10value_typeEPNSO_ISJ_E10value_typeEPSK_NS1_7vsmem_tEENKUlT_SI_SJ_SK_E_clISD_PiSD_S10_EESH_SX_SI_SJ_SK_EUlSX_E0_NS1_11comp_targetILNS1_3genE2ELNS1_11target_archE906ELNS1_3gpuE6ELNS1_3repE0EEENS1_38merge_mergepath_config_static_selectorELNS0_4arch9wavefront6targetE0EEEvSJ_,comdat
.Lfunc_end793:
	.size	_ZN7rocprim17ROCPRIM_400000_NS6detail17trampoline_kernelINS0_14default_configENS1_38merge_sort_block_merge_config_selectorIiiEEZZNS1_27merge_sort_block_merge_implIS3_N6thrust23THRUST_200600_302600_NS6detail15normal_iteratorINS8_10device_ptrIiEEEESD_jNS1_19radix_merge_compareILb0ELb1EiNS0_19identity_decomposerEEEEE10hipError_tT0_T1_T2_jT3_P12ihipStream_tbPNSt15iterator_traitsISI_E10value_typeEPNSO_ISJ_E10value_typeEPSK_NS1_7vsmem_tEENKUlT_SI_SJ_SK_E_clISD_PiSD_S10_EESH_SX_SI_SJ_SK_EUlSX_E0_NS1_11comp_targetILNS1_3genE2ELNS1_11target_archE906ELNS1_3gpuE6ELNS1_3repE0EEENS1_38merge_mergepath_config_static_selectorELNS0_4arch9wavefront6targetE0EEEvSJ_, .Lfunc_end793-_ZN7rocprim17ROCPRIM_400000_NS6detail17trampoline_kernelINS0_14default_configENS1_38merge_sort_block_merge_config_selectorIiiEEZZNS1_27merge_sort_block_merge_implIS3_N6thrust23THRUST_200600_302600_NS6detail15normal_iteratorINS8_10device_ptrIiEEEESD_jNS1_19radix_merge_compareILb0ELb1EiNS0_19identity_decomposerEEEEE10hipError_tT0_T1_T2_jT3_P12ihipStream_tbPNSt15iterator_traitsISI_E10value_typeEPNSO_ISJ_E10value_typeEPSK_NS1_7vsmem_tEENKUlT_SI_SJ_SK_E_clISD_PiSD_S10_EESH_SX_SI_SJ_SK_EUlSX_E0_NS1_11comp_targetILNS1_3genE2ELNS1_11target_archE906ELNS1_3gpuE6ELNS1_3repE0EEENS1_38merge_mergepath_config_static_selectorELNS0_4arch9wavefront6targetE0EEEvSJ_
                                        ; -- End function
	.set _ZN7rocprim17ROCPRIM_400000_NS6detail17trampoline_kernelINS0_14default_configENS1_38merge_sort_block_merge_config_selectorIiiEEZZNS1_27merge_sort_block_merge_implIS3_N6thrust23THRUST_200600_302600_NS6detail15normal_iteratorINS8_10device_ptrIiEEEESD_jNS1_19radix_merge_compareILb0ELb1EiNS0_19identity_decomposerEEEEE10hipError_tT0_T1_T2_jT3_P12ihipStream_tbPNSt15iterator_traitsISI_E10value_typeEPNSO_ISJ_E10value_typeEPSK_NS1_7vsmem_tEENKUlT_SI_SJ_SK_E_clISD_PiSD_S10_EESH_SX_SI_SJ_SK_EUlSX_E0_NS1_11comp_targetILNS1_3genE2ELNS1_11target_archE906ELNS1_3gpuE6ELNS1_3repE0EEENS1_38merge_mergepath_config_static_selectorELNS0_4arch9wavefront6targetE0EEEvSJ_.num_vgpr, 0
	.set _ZN7rocprim17ROCPRIM_400000_NS6detail17trampoline_kernelINS0_14default_configENS1_38merge_sort_block_merge_config_selectorIiiEEZZNS1_27merge_sort_block_merge_implIS3_N6thrust23THRUST_200600_302600_NS6detail15normal_iteratorINS8_10device_ptrIiEEEESD_jNS1_19radix_merge_compareILb0ELb1EiNS0_19identity_decomposerEEEEE10hipError_tT0_T1_T2_jT3_P12ihipStream_tbPNSt15iterator_traitsISI_E10value_typeEPNSO_ISJ_E10value_typeEPSK_NS1_7vsmem_tEENKUlT_SI_SJ_SK_E_clISD_PiSD_S10_EESH_SX_SI_SJ_SK_EUlSX_E0_NS1_11comp_targetILNS1_3genE2ELNS1_11target_archE906ELNS1_3gpuE6ELNS1_3repE0EEENS1_38merge_mergepath_config_static_selectorELNS0_4arch9wavefront6targetE0EEEvSJ_.num_agpr, 0
	.set _ZN7rocprim17ROCPRIM_400000_NS6detail17trampoline_kernelINS0_14default_configENS1_38merge_sort_block_merge_config_selectorIiiEEZZNS1_27merge_sort_block_merge_implIS3_N6thrust23THRUST_200600_302600_NS6detail15normal_iteratorINS8_10device_ptrIiEEEESD_jNS1_19radix_merge_compareILb0ELb1EiNS0_19identity_decomposerEEEEE10hipError_tT0_T1_T2_jT3_P12ihipStream_tbPNSt15iterator_traitsISI_E10value_typeEPNSO_ISJ_E10value_typeEPSK_NS1_7vsmem_tEENKUlT_SI_SJ_SK_E_clISD_PiSD_S10_EESH_SX_SI_SJ_SK_EUlSX_E0_NS1_11comp_targetILNS1_3genE2ELNS1_11target_archE906ELNS1_3gpuE6ELNS1_3repE0EEENS1_38merge_mergepath_config_static_selectorELNS0_4arch9wavefront6targetE0EEEvSJ_.numbered_sgpr, 0
	.set _ZN7rocprim17ROCPRIM_400000_NS6detail17trampoline_kernelINS0_14default_configENS1_38merge_sort_block_merge_config_selectorIiiEEZZNS1_27merge_sort_block_merge_implIS3_N6thrust23THRUST_200600_302600_NS6detail15normal_iteratorINS8_10device_ptrIiEEEESD_jNS1_19radix_merge_compareILb0ELb1EiNS0_19identity_decomposerEEEEE10hipError_tT0_T1_T2_jT3_P12ihipStream_tbPNSt15iterator_traitsISI_E10value_typeEPNSO_ISJ_E10value_typeEPSK_NS1_7vsmem_tEENKUlT_SI_SJ_SK_E_clISD_PiSD_S10_EESH_SX_SI_SJ_SK_EUlSX_E0_NS1_11comp_targetILNS1_3genE2ELNS1_11target_archE906ELNS1_3gpuE6ELNS1_3repE0EEENS1_38merge_mergepath_config_static_selectorELNS0_4arch9wavefront6targetE0EEEvSJ_.num_named_barrier, 0
	.set _ZN7rocprim17ROCPRIM_400000_NS6detail17trampoline_kernelINS0_14default_configENS1_38merge_sort_block_merge_config_selectorIiiEEZZNS1_27merge_sort_block_merge_implIS3_N6thrust23THRUST_200600_302600_NS6detail15normal_iteratorINS8_10device_ptrIiEEEESD_jNS1_19radix_merge_compareILb0ELb1EiNS0_19identity_decomposerEEEEE10hipError_tT0_T1_T2_jT3_P12ihipStream_tbPNSt15iterator_traitsISI_E10value_typeEPNSO_ISJ_E10value_typeEPSK_NS1_7vsmem_tEENKUlT_SI_SJ_SK_E_clISD_PiSD_S10_EESH_SX_SI_SJ_SK_EUlSX_E0_NS1_11comp_targetILNS1_3genE2ELNS1_11target_archE906ELNS1_3gpuE6ELNS1_3repE0EEENS1_38merge_mergepath_config_static_selectorELNS0_4arch9wavefront6targetE0EEEvSJ_.private_seg_size, 0
	.set _ZN7rocprim17ROCPRIM_400000_NS6detail17trampoline_kernelINS0_14default_configENS1_38merge_sort_block_merge_config_selectorIiiEEZZNS1_27merge_sort_block_merge_implIS3_N6thrust23THRUST_200600_302600_NS6detail15normal_iteratorINS8_10device_ptrIiEEEESD_jNS1_19radix_merge_compareILb0ELb1EiNS0_19identity_decomposerEEEEE10hipError_tT0_T1_T2_jT3_P12ihipStream_tbPNSt15iterator_traitsISI_E10value_typeEPNSO_ISJ_E10value_typeEPSK_NS1_7vsmem_tEENKUlT_SI_SJ_SK_E_clISD_PiSD_S10_EESH_SX_SI_SJ_SK_EUlSX_E0_NS1_11comp_targetILNS1_3genE2ELNS1_11target_archE906ELNS1_3gpuE6ELNS1_3repE0EEENS1_38merge_mergepath_config_static_selectorELNS0_4arch9wavefront6targetE0EEEvSJ_.uses_vcc, 0
	.set _ZN7rocprim17ROCPRIM_400000_NS6detail17trampoline_kernelINS0_14default_configENS1_38merge_sort_block_merge_config_selectorIiiEEZZNS1_27merge_sort_block_merge_implIS3_N6thrust23THRUST_200600_302600_NS6detail15normal_iteratorINS8_10device_ptrIiEEEESD_jNS1_19radix_merge_compareILb0ELb1EiNS0_19identity_decomposerEEEEE10hipError_tT0_T1_T2_jT3_P12ihipStream_tbPNSt15iterator_traitsISI_E10value_typeEPNSO_ISJ_E10value_typeEPSK_NS1_7vsmem_tEENKUlT_SI_SJ_SK_E_clISD_PiSD_S10_EESH_SX_SI_SJ_SK_EUlSX_E0_NS1_11comp_targetILNS1_3genE2ELNS1_11target_archE906ELNS1_3gpuE6ELNS1_3repE0EEENS1_38merge_mergepath_config_static_selectorELNS0_4arch9wavefront6targetE0EEEvSJ_.uses_flat_scratch, 0
	.set _ZN7rocprim17ROCPRIM_400000_NS6detail17trampoline_kernelINS0_14default_configENS1_38merge_sort_block_merge_config_selectorIiiEEZZNS1_27merge_sort_block_merge_implIS3_N6thrust23THRUST_200600_302600_NS6detail15normal_iteratorINS8_10device_ptrIiEEEESD_jNS1_19radix_merge_compareILb0ELb1EiNS0_19identity_decomposerEEEEE10hipError_tT0_T1_T2_jT3_P12ihipStream_tbPNSt15iterator_traitsISI_E10value_typeEPNSO_ISJ_E10value_typeEPSK_NS1_7vsmem_tEENKUlT_SI_SJ_SK_E_clISD_PiSD_S10_EESH_SX_SI_SJ_SK_EUlSX_E0_NS1_11comp_targetILNS1_3genE2ELNS1_11target_archE906ELNS1_3gpuE6ELNS1_3repE0EEENS1_38merge_mergepath_config_static_selectorELNS0_4arch9wavefront6targetE0EEEvSJ_.has_dyn_sized_stack, 0
	.set _ZN7rocprim17ROCPRIM_400000_NS6detail17trampoline_kernelINS0_14default_configENS1_38merge_sort_block_merge_config_selectorIiiEEZZNS1_27merge_sort_block_merge_implIS3_N6thrust23THRUST_200600_302600_NS6detail15normal_iteratorINS8_10device_ptrIiEEEESD_jNS1_19radix_merge_compareILb0ELb1EiNS0_19identity_decomposerEEEEE10hipError_tT0_T1_T2_jT3_P12ihipStream_tbPNSt15iterator_traitsISI_E10value_typeEPNSO_ISJ_E10value_typeEPSK_NS1_7vsmem_tEENKUlT_SI_SJ_SK_E_clISD_PiSD_S10_EESH_SX_SI_SJ_SK_EUlSX_E0_NS1_11comp_targetILNS1_3genE2ELNS1_11target_archE906ELNS1_3gpuE6ELNS1_3repE0EEENS1_38merge_mergepath_config_static_selectorELNS0_4arch9wavefront6targetE0EEEvSJ_.has_recursion, 0
	.set _ZN7rocprim17ROCPRIM_400000_NS6detail17trampoline_kernelINS0_14default_configENS1_38merge_sort_block_merge_config_selectorIiiEEZZNS1_27merge_sort_block_merge_implIS3_N6thrust23THRUST_200600_302600_NS6detail15normal_iteratorINS8_10device_ptrIiEEEESD_jNS1_19radix_merge_compareILb0ELb1EiNS0_19identity_decomposerEEEEE10hipError_tT0_T1_T2_jT3_P12ihipStream_tbPNSt15iterator_traitsISI_E10value_typeEPNSO_ISJ_E10value_typeEPSK_NS1_7vsmem_tEENKUlT_SI_SJ_SK_E_clISD_PiSD_S10_EESH_SX_SI_SJ_SK_EUlSX_E0_NS1_11comp_targetILNS1_3genE2ELNS1_11target_archE906ELNS1_3gpuE6ELNS1_3repE0EEENS1_38merge_mergepath_config_static_selectorELNS0_4arch9wavefront6targetE0EEEvSJ_.has_indirect_call, 0
	.section	.AMDGPU.csdata,"",@progbits
; Kernel info:
; codeLenInByte = 0
; TotalNumSgprs: 0
; NumVgprs: 0
; ScratchSize: 0
; MemoryBound: 0
; FloatMode: 240
; IeeeMode: 1
; LDSByteSize: 0 bytes/workgroup (compile time only)
; SGPRBlocks: 0
; VGPRBlocks: 0
; NumSGPRsForWavesPerEU: 1
; NumVGPRsForWavesPerEU: 1
; Occupancy: 16
; WaveLimiterHint : 0
; COMPUTE_PGM_RSRC2:SCRATCH_EN: 0
; COMPUTE_PGM_RSRC2:USER_SGPR: 6
; COMPUTE_PGM_RSRC2:TRAP_HANDLER: 0
; COMPUTE_PGM_RSRC2:TGID_X_EN: 1
; COMPUTE_PGM_RSRC2:TGID_Y_EN: 0
; COMPUTE_PGM_RSRC2:TGID_Z_EN: 0
; COMPUTE_PGM_RSRC2:TIDIG_COMP_CNT: 0
	.section	.text._ZN7rocprim17ROCPRIM_400000_NS6detail17trampoline_kernelINS0_14default_configENS1_38merge_sort_block_merge_config_selectorIiiEEZZNS1_27merge_sort_block_merge_implIS3_N6thrust23THRUST_200600_302600_NS6detail15normal_iteratorINS8_10device_ptrIiEEEESD_jNS1_19radix_merge_compareILb0ELb1EiNS0_19identity_decomposerEEEEE10hipError_tT0_T1_T2_jT3_P12ihipStream_tbPNSt15iterator_traitsISI_E10value_typeEPNSO_ISJ_E10value_typeEPSK_NS1_7vsmem_tEENKUlT_SI_SJ_SK_E_clISD_PiSD_S10_EESH_SX_SI_SJ_SK_EUlSX_E0_NS1_11comp_targetILNS1_3genE9ELNS1_11target_archE1100ELNS1_3gpuE3ELNS1_3repE0EEENS1_38merge_mergepath_config_static_selectorELNS0_4arch9wavefront6targetE0EEEvSJ_,"axG",@progbits,_ZN7rocprim17ROCPRIM_400000_NS6detail17trampoline_kernelINS0_14default_configENS1_38merge_sort_block_merge_config_selectorIiiEEZZNS1_27merge_sort_block_merge_implIS3_N6thrust23THRUST_200600_302600_NS6detail15normal_iteratorINS8_10device_ptrIiEEEESD_jNS1_19radix_merge_compareILb0ELb1EiNS0_19identity_decomposerEEEEE10hipError_tT0_T1_T2_jT3_P12ihipStream_tbPNSt15iterator_traitsISI_E10value_typeEPNSO_ISJ_E10value_typeEPSK_NS1_7vsmem_tEENKUlT_SI_SJ_SK_E_clISD_PiSD_S10_EESH_SX_SI_SJ_SK_EUlSX_E0_NS1_11comp_targetILNS1_3genE9ELNS1_11target_archE1100ELNS1_3gpuE3ELNS1_3repE0EEENS1_38merge_mergepath_config_static_selectorELNS0_4arch9wavefront6targetE0EEEvSJ_,comdat
	.protected	_ZN7rocprim17ROCPRIM_400000_NS6detail17trampoline_kernelINS0_14default_configENS1_38merge_sort_block_merge_config_selectorIiiEEZZNS1_27merge_sort_block_merge_implIS3_N6thrust23THRUST_200600_302600_NS6detail15normal_iteratorINS8_10device_ptrIiEEEESD_jNS1_19radix_merge_compareILb0ELb1EiNS0_19identity_decomposerEEEEE10hipError_tT0_T1_T2_jT3_P12ihipStream_tbPNSt15iterator_traitsISI_E10value_typeEPNSO_ISJ_E10value_typeEPSK_NS1_7vsmem_tEENKUlT_SI_SJ_SK_E_clISD_PiSD_S10_EESH_SX_SI_SJ_SK_EUlSX_E0_NS1_11comp_targetILNS1_3genE9ELNS1_11target_archE1100ELNS1_3gpuE3ELNS1_3repE0EEENS1_38merge_mergepath_config_static_selectorELNS0_4arch9wavefront6targetE0EEEvSJ_ ; -- Begin function _ZN7rocprim17ROCPRIM_400000_NS6detail17trampoline_kernelINS0_14default_configENS1_38merge_sort_block_merge_config_selectorIiiEEZZNS1_27merge_sort_block_merge_implIS3_N6thrust23THRUST_200600_302600_NS6detail15normal_iteratorINS8_10device_ptrIiEEEESD_jNS1_19radix_merge_compareILb0ELb1EiNS0_19identity_decomposerEEEEE10hipError_tT0_T1_T2_jT3_P12ihipStream_tbPNSt15iterator_traitsISI_E10value_typeEPNSO_ISJ_E10value_typeEPSK_NS1_7vsmem_tEENKUlT_SI_SJ_SK_E_clISD_PiSD_S10_EESH_SX_SI_SJ_SK_EUlSX_E0_NS1_11comp_targetILNS1_3genE9ELNS1_11target_archE1100ELNS1_3gpuE3ELNS1_3repE0EEENS1_38merge_mergepath_config_static_selectorELNS0_4arch9wavefront6targetE0EEEvSJ_
	.globl	_ZN7rocprim17ROCPRIM_400000_NS6detail17trampoline_kernelINS0_14default_configENS1_38merge_sort_block_merge_config_selectorIiiEEZZNS1_27merge_sort_block_merge_implIS3_N6thrust23THRUST_200600_302600_NS6detail15normal_iteratorINS8_10device_ptrIiEEEESD_jNS1_19radix_merge_compareILb0ELb1EiNS0_19identity_decomposerEEEEE10hipError_tT0_T1_T2_jT3_P12ihipStream_tbPNSt15iterator_traitsISI_E10value_typeEPNSO_ISJ_E10value_typeEPSK_NS1_7vsmem_tEENKUlT_SI_SJ_SK_E_clISD_PiSD_S10_EESH_SX_SI_SJ_SK_EUlSX_E0_NS1_11comp_targetILNS1_3genE9ELNS1_11target_archE1100ELNS1_3gpuE3ELNS1_3repE0EEENS1_38merge_mergepath_config_static_selectorELNS0_4arch9wavefront6targetE0EEEvSJ_
	.p2align	8
	.type	_ZN7rocprim17ROCPRIM_400000_NS6detail17trampoline_kernelINS0_14default_configENS1_38merge_sort_block_merge_config_selectorIiiEEZZNS1_27merge_sort_block_merge_implIS3_N6thrust23THRUST_200600_302600_NS6detail15normal_iteratorINS8_10device_ptrIiEEEESD_jNS1_19radix_merge_compareILb0ELb1EiNS0_19identity_decomposerEEEEE10hipError_tT0_T1_T2_jT3_P12ihipStream_tbPNSt15iterator_traitsISI_E10value_typeEPNSO_ISJ_E10value_typeEPSK_NS1_7vsmem_tEENKUlT_SI_SJ_SK_E_clISD_PiSD_S10_EESH_SX_SI_SJ_SK_EUlSX_E0_NS1_11comp_targetILNS1_3genE9ELNS1_11target_archE1100ELNS1_3gpuE3ELNS1_3repE0EEENS1_38merge_mergepath_config_static_selectorELNS0_4arch9wavefront6targetE0EEEvSJ_,@function
_ZN7rocprim17ROCPRIM_400000_NS6detail17trampoline_kernelINS0_14default_configENS1_38merge_sort_block_merge_config_selectorIiiEEZZNS1_27merge_sort_block_merge_implIS3_N6thrust23THRUST_200600_302600_NS6detail15normal_iteratorINS8_10device_ptrIiEEEESD_jNS1_19radix_merge_compareILb0ELb1EiNS0_19identity_decomposerEEEEE10hipError_tT0_T1_T2_jT3_P12ihipStream_tbPNSt15iterator_traitsISI_E10value_typeEPNSO_ISJ_E10value_typeEPSK_NS1_7vsmem_tEENKUlT_SI_SJ_SK_E_clISD_PiSD_S10_EESH_SX_SI_SJ_SK_EUlSX_E0_NS1_11comp_targetILNS1_3genE9ELNS1_11target_archE1100ELNS1_3gpuE3ELNS1_3repE0EEENS1_38merge_mergepath_config_static_selectorELNS0_4arch9wavefront6targetE0EEEvSJ_: ; @_ZN7rocprim17ROCPRIM_400000_NS6detail17trampoline_kernelINS0_14default_configENS1_38merge_sort_block_merge_config_selectorIiiEEZZNS1_27merge_sort_block_merge_implIS3_N6thrust23THRUST_200600_302600_NS6detail15normal_iteratorINS8_10device_ptrIiEEEESD_jNS1_19radix_merge_compareILb0ELb1EiNS0_19identity_decomposerEEEEE10hipError_tT0_T1_T2_jT3_P12ihipStream_tbPNSt15iterator_traitsISI_E10value_typeEPNSO_ISJ_E10value_typeEPSK_NS1_7vsmem_tEENKUlT_SI_SJ_SK_E_clISD_PiSD_S10_EESH_SX_SI_SJ_SK_EUlSX_E0_NS1_11comp_targetILNS1_3genE9ELNS1_11target_archE1100ELNS1_3gpuE3ELNS1_3repE0EEENS1_38merge_mergepath_config_static_selectorELNS0_4arch9wavefront6targetE0EEEvSJ_
; %bb.0:
	.section	.rodata,"a",@progbits
	.p2align	6, 0x0
	.amdhsa_kernel _ZN7rocprim17ROCPRIM_400000_NS6detail17trampoline_kernelINS0_14default_configENS1_38merge_sort_block_merge_config_selectorIiiEEZZNS1_27merge_sort_block_merge_implIS3_N6thrust23THRUST_200600_302600_NS6detail15normal_iteratorINS8_10device_ptrIiEEEESD_jNS1_19radix_merge_compareILb0ELb1EiNS0_19identity_decomposerEEEEE10hipError_tT0_T1_T2_jT3_P12ihipStream_tbPNSt15iterator_traitsISI_E10value_typeEPNSO_ISJ_E10value_typeEPSK_NS1_7vsmem_tEENKUlT_SI_SJ_SK_E_clISD_PiSD_S10_EESH_SX_SI_SJ_SK_EUlSX_E0_NS1_11comp_targetILNS1_3genE9ELNS1_11target_archE1100ELNS1_3gpuE3ELNS1_3repE0EEENS1_38merge_mergepath_config_static_selectorELNS0_4arch9wavefront6targetE0EEEvSJ_
		.amdhsa_group_segment_fixed_size 0
		.amdhsa_private_segment_fixed_size 0
		.amdhsa_kernarg_size 64
		.amdhsa_user_sgpr_count 6
		.amdhsa_user_sgpr_private_segment_buffer 1
		.amdhsa_user_sgpr_dispatch_ptr 0
		.amdhsa_user_sgpr_queue_ptr 0
		.amdhsa_user_sgpr_kernarg_segment_ptr 1
		.amdhsa_user_sgpr_dispatch_id 0
		.amdhsa_user_sgpr_flat_scratch_init 0
		.amdhsa_user_sgpr_private_segment_size 0
		.amdhsa_wavefront_size32 1
		.amdhsa_uses_dynamic_stack 0
		.amdhsa_system_sgpr_private_segment_wavefront_offset 0
		.amdhsa_system_sgpr_workgroup_id_x 1
		.amdhsa_system_sgpr_workgroup_id_y 0
		.amdhsa_system_sgpr_workgroup_id_z 0
		.amdhsa_system_sgpr_workgroup_info 0
		.amdhsa_system_vgpr_workitem_id 0
		.amdhsa_next_free_vgpr 1
		.amdhsa_next_free_sgpr 1
		.amdhsa_reserve_vcc 0
		.amdhsa_reserve_flat_scratch 0
		.amdhsa_float_round_mode_32 0
		.amdhsa_float_round_mode_16_64 0
		.amdhsa_float_denorm_mode_32 3
		.amdhsa_float_denorm_mode_16_64 3
		.amdhsa_dx10_clamp 1
		.amdhsa_ieee_mode 1
		.amdhsa_fp16_overflow 0
		.amdhsa_workgroup_processor_mode 1
		.amdhsa_memory_ordered 1
		.amdhsa_forward_progress 1
		.amdhsa_shared_vgpr_count 0
		.amdhsa_exception_fp_ieee_invalid_op 0
		.amdhsa_exception_fp_denorm_src 0
		.amdhsa_exception_fp_ieee_div_zero 0
		.amdhsa_exception_fp_ieee_overflow 0
		.amdhsa_exception_fp_ieee_underflow 0
		.amdhsa_exception_fp_ieee_inexact 0
		.amdhsa_exception_int_div_zero 0
	.end_amdhsa_kernel
	.section	.text._ZN7rocprim17ROCPRIM_400000_NS6detail17trampoline_kernelINS0_14default_configENS1_38merge_sort_block_merge_config_selectorIiiEEZZNS1_27merge_sort_block_merge_implIS3_N6thrust23THRUST_200600_302600_NS6detail15normal_iteratorINS8_10device_ptrIiEEEESD_jNS1_19radix_merge_compareILb0ELb1EiNS0_19identity_decomposerEEEEE10hipError_tT0_T1_T2_jT3_P12ihipStream_tbPNSt15iterator_traitsISI_E10value_typeEPNSO_ISJ_E10value_typeEPSK_NS1_7vsmem_tEENKUlT_SI_SJ_SK_E_clISD_PiSD_S10_EESH_SX_SI_SJ_SK_EUlSX_E0_NS1_11comp_targetILNS1_3genE9ELNS1_11target_archE1100ELNS1_3gpuE3ELNS1_3repE0EEENS1_38merge_mergepath_config_static_selectorELNS0_4arch9wavefront6targetE0EEEvSJ_,"axG",@progbits,_ZN7rocprim17ROCPRIM_400000_NS6detail17trampoline_kernelINS0_14default_configENS1_38merge_sort_block_merge_config_selectorIiiEEZZNS1_27merge_sort_block_merge_implIS3_N6thrust23THRUST_200600_302600_NS6detail15normal_iteratorINS8_10device_ptrIiEEEESD_jNS1_19radix_merge_compareILb0ELb1EiNS0_19identity_decomposerEEEEE10hipError_tT0_T1_T2_jT3_P12ihipStream_tbPNSt15iterator_traitsISI_E10value_typeEPNSO_ISJ_E10value_typeEPSK_NS1_7vsmem_tEENKUlT_SI_SJ_SK_E_clISD_PiSD_S10_EESH_SX_SI_SJ_SK_EUlSX_E0_NS1_11comp_targetILNS1_3genE9ELNS1_11target_archE1100ELNS1_3gpuE3ELNS1_3repE0EEENS1_38merge_mergepath_config_static_selectorELNS0_4arch9wavefront6targetE0EEEvSJ_,comdat
.Lfunc_end794:
	.size	_ZN7rocprim17ROCPRIM_400000_NS6detail17trampoline_kernelINS0_14default_configENS1_38merge_sort_block_merge_config_selectorIiiEEZZNS1_27merge_sort_block_merge_implIS3_N6thrust23THRUST_200600_302600_NS6detail15normal_iteratorINS8_10device_ptrIiEEEESD_jNS1_19radix_merge_compareILb0ELb1EiNS0_19identity_decomposerEEEEE10hipError_tT0_T1_T2_jT3_P12ihipStream_tbPNSt15iterator_traitsISI_E10value_typeEPNSO_ISJ_E10value_typeEPSK_NS1_7vsmem_tEENKUlT_SI_SJ_SK_E_clISD_PiSD_S10_EESH_SX_SI_SJ_SK_EUlSX_E0_NS1_11comp_targetILNS1_3genE9ELNS1_11target_archE1100ELNS1_3gpuE3ELNS1_3repE0EEENS1_38merge_mergepath_config_static_selectorELNS0_4arch9wavefront6targetE0EEEvSJ_, .Lfunc_end794-_ZN7rocprim17ROCPRIM_400000_NS6detail17trampoline_kernelINS0_14default_configENS1_38merge_sort_block_merge_config_selectorIiiEEZZNS1_27merge_sort_block_merge_implIS3_N6thrust23THRUST_200600_302600_NS6detail15normal_iteratorINS8_10device_ptrIiEEEESD_jNS1_19radix_merge_compareILb0ELb1EiNS0_19identity_decomposerEEEEE10hipError_tT0_T1_T2_jT3_P12ihipStream_tbPNSt15iterator_traitsISI_E10value_typeEPNSO_ISJ_E10value_typeEPSK_NS1_7vsmem_tEENKUlT_SI_SJ_SK_E_clISD_PiSD_S10_EESH_SX_SI_SJ_SK_EUlSX_E0_NS1_11comp_targetILNS1_3genE9ELNS1_11target_archE1100ELNS1_3gpuE3ELNS1_3repE0EEENS1_38merge_mergepath_config_static_selectorELNS0_4arch9wavefront6targetE0EEEvSJ_
                                        ; -- End function
	.set _ZN7rocprim17ROCPRIM_400000_NS6detail17trampoline_kernelINS0_14default_configENS1_38merge_sort_block_merge_config_selectorIiiEEZZNS1_27merge_sort_block_merge_implIS3_N6thrust23THRUST_200600_302600_NS6detail15normal_iteratorINS8_10device_ptrIiEEEESD_jNS1_19radix_merge_compareILb0ELb1EiNS0_19identity_decomposerEEEEE10hipError_tT0_T1_T2_jT3_P12ihipStream_tbPNSt15iterator_traitsISI_E10value_typeEPNSO_ISJ_E10value_typeEPSK_NS1_7vsmem_tEENKUlT_SI_SJ_SK_E_clISD_PiSD_S10_EESH_SX_SI_SJ_SK_EUlSX_E0_NS1_11comp_targetILNS1_3genE9ELNS1_11target_archE1100ELNS1_3gpuE3ELNS1_3repE0EEENS1_38merge_mergepath_config_static_selectorELNS0_4arch9wavefront6targetE0EEEvSJ_.num_vgpr, 0
	.set _ZN7rocprim17ROCPRIM_400000_NS6detail17trampoline_kernelINS0_14default_configENS1_38merge_sort_block_merge_config_selectorIiiEEZZNS1_27merge_sort_block_merge_implIS3_N6thrust23THRUST_200600_302600_NS6detail15normal_iteratorINS8_10device_ptrIiEEEESD_jNS1_19radix_merge_compareILb0ELb1EiNS0_19identity_decomposerEEEEE10hipError_tT0_T1_T2_jT3_P12ihipStream_tbPNSt15iterator_traitsISI_E10value_typeEPNSO_ISJ_E10value_typeEPSK_NS1_7vsmem_tEENKUlT_SI_SJ_SK_E_clISD_PiSD_S10_EESH_SX_SI_SJ_SK_EUlSX_E0_NS1_11comp_targetILNS1_3genE9ELNS1_11target_archE1100ELNS1_3gpuE3ELNS1_3repE0EEENS1_38merge_mergepath_config_static_selectorELNS0_4arch9wavefront6targetE0EEEvSJ_.num_agpr, 0
	.set _ZN7rocprim17ROCPRIM_400000_NS6detail17trampoline_kernelINS0_14default_configENS1_38merge_sort_block_merge_config_selectorIiiEEZZNS1_27merge_sort_block_merge_implIS3_N6thrust23THRUST_200600_302600_NS6detail15normal_iteratorINS8_10device_ptrIiEEEESD_jNS1_19radix_merge_compareILb0ELb1EiNS0_19identity_decomposerEEEEE10hipError_tT0_T1_T2_jT3_P12ihipStream_tbPNSt15iterator_traitsISI_E10value_typeEPNSO_ISJ_E10value_typeEPSK_NS1_7vsmem_tEENKUlT_SI_SJ_SK_E_clISD_PiSD_S10_EESH_SX_SI_SJ_SK_EUlSX_E0_NS1_11comp_targetILNS1_3genE9ELNS1_11target_archE1100ELNS1_3gpuE3ELNS1_3repE0EEENS1_38merge_mergepath_config_static_selectorELNS0_4arch9wavefront6targetE0EEEvSJ_.numbered_sgpr, 0
	.set _ZN7rocprim17ROCPRIM_400000_NS6detail17trampoline_kernelINS0_14default_configENS1_38merge_sort_block_merge_config_selectorIiiEEZZNS1_27merge_sort_block_merge_implIS3_N6thrust23THRUST_200600_302600_NS6detail15normal_iteratorINS8_10device_ptrIiEEEESD_jNS1_19radix_merge_compareILb0ELb1EiNS0_19identity_decomposerEEEEE10hipError_tT0_T1_T2_jT3_P12ihipStream_tbPNSt15iterator_traitsISI_E10value_typeEPNSO_ISJ_E10value_typeEPSK_NS1_7vsmem_tEENKUlT_SI_SJ_SK_E_clISD_PiSD_S10_EESH_SX_SI_SJ_SK_EUlSX_E0_NS1_11comp_targetILNS1_3genE9ELNS1_11target_archE1100ELNS1_3gpuE3ELNS1_3repE0EEENS1_38merge_mergepath_config_static_selectorELNS0_4arch9wavefront6targetE0EEEvSJ_.num_named_barrier, 0
	.set _ZN7rocprim17ROCPRIM_400000_NS6detail17trampoline_kernelINS0_14default_configENS1_38merge_sort_block_merge_config_selectorIiiEEZZNS1_27merge_sort_block_merge_implIS3_N6thrust23THRUST_200600_302600_NS6detail15normal_iteratorINS8_10device_ptrIiEEEESD_jNS1_19radix_merge_compareILb0ELb1EiNS0_19identity_decomposerEEEEE10hipError_tT0_T1_T2_jT3_P12ihipStream_tbPNSt15iterator_traitsISI_E10value_typeEPNSO_ISJ_E10value_typeEPSK_NS1_7vsmem_tEENKUlT_SI_SJ_SK_E_clISD_PiSD_S10_EESH_SX_SI_SJ_SK_EUlSX_E0_NS1_11comp_targetILNS1_3genE9ELNS1_11target_archE1100ELNS1_3gpuE3ELNS1_3repE0EEENS1_38merge_mergepath_config_static_selectorELNS0_4arch9wavefront6targetE0EEEvSJ_.private_seg_size, 0
	.set _ZN7rocprim17ROCPRIM_400000_NS6detail17trampoline_kernelINS0_14default_configENS1_38merge_sort_block_merge_config_selectorIiiEEZZNS1_27merge_sort_block_merge_implIS3_N6thrust23THRUST_200600_302600_NS6detail15normal_iteratorINS8_10device_ptrIiEEEESD_jNS1_19radix_merge_compareILb0ELb1EiNS0_19identity_decomposerEEEEE10hipError_tT0_T1_T2_jT3_P12ihipStream_tbPNSt15iterator_traitsISI_E10value_typeEPNSO_ISJ_E10value_typeEPSK_NS1_7vsmem_tEENKUlT_SI_SJ_SK_E_clISD_PiSD_S10_EESH_SX_SI_SJ_SK_EUlSX_E0_NS1_11comp_targetILNS1_3genE9ELNS1_11target_archE1100ELNS1_3gpuE3ELNS1_3repE0EEENS1_38merge_mergepath_config_static_selectorELNS0_4arch9wavefront6targetE0EEEvSJ_.uses_vcc, 0
	.set _ZN7rocprim17ROCPRIM_400000_NS6detail17trampoline_kernelINS0_14default_configENS1_38merge_sort_block_merge_config_selectorIiiEEZZNS1_27merge_sort_block_merge_implIS3_N6thrust23THRUST_200600_302600_NS6detail15normal_iteratorINS8_10device_ptrIiEEEESD_jNS1_19radix_merge_compareILb0ELb1EiNS0_19identity_decomposerEEEEE10hipError_tT0_T1_T2_jT3_P12ihipStream_tbPNSt15iterator_traitsISI_E10value_typeEPNSO_ISJ_E10value_typeEPSK_NS1_7vsmem_tEENKUlT_SI_SJ_SK_E_clISD_PiSD_S10_EESH_SX_SI_SJ_SK_EUlSX_E0_NS1_11comp_targetILNS1_3genE9ELNS1_11target_archE1100ELNS1_3gpuE3ELNS1_3repE0EEENS1_38merge_mergepath_config_static_selectorELNS0_4arch9wavefront6targetE0EEEvSJ_.uses_flat_scratch, 0
	.set _ZN7rocprim17ROCPRIM_400000_NS6detail17trampoline_kernelINS0_14default_configENS1_38merge_sort_block_merge_config_selectorIiiEEZZNS1_27merge_sort_block_merge_implIS3_N6thrust23THRUST_200600_302600_NS6detail15normal_iteratorINS8_10device_ptrIiEEEESD_jNS1_19radix_merge_compareILb0ELb1EiNS0_19identity_decomposerEEEEE10hipError_tT0_T1_T2_jT3_P12ihipStream_tbPNSt15iterator_traitsISI_E10value_typeEPNSO_ISJ_E10value_typeEPSK_NS1_7vsmem_tEENKUlT_SI_SJ_SK_E_clISD_PiSD_S10_EESH_SX_SI_SJ_SK_EUlSX_E0_NS1_11comp_targetILNS1_3genE9ELNS1_11target_archE1100ELNS1_3gpuE3ELNS1_3repE0EEENS1_38merge_mergepath_config_static_selectorELNS0_4arch9wavefront6targetE0EEEvSJ_.has_dyn_sized_stack, 0
	.set _ZN7rocprim17ROCPRIM_400000_NS6detail17trampoline_kernelINS0_14default_configENS1_38merge_sort_block_merge_config_selectorIiiEEZZNS1_27merge_sort_block_merge_implIS3_N6thrust23THRUST_200600_302600_NS6detail15normal_iteratorINS8_10device_ptrIiEEEESD_jNS1_19radix_merge_compareILb0ELb1EiNS0_19identity_decomposerEEEEE10hipError_tT0_T1_T2_jT3_P12ihipStream_tbPNSt15iterator_traitsISI_E10value_typeEPNSO_ISJ_E10value_typeEPSK_NS1_7vsmem_tEENKUlT_SI_SJ_SK_E_clISD_PiSD_S10_EESH_SX_SI_SJ_SK_EUlSX_E0_NS1_11comp_targetILNS1_3genE9ELNS1_11target_archE1100ELNS1_3gpuE3ELNS1_3repE0EEENS1_38merge_mergepath_config_static_selectorELNS0_4arch9wavefront6targetE0EEEvSJ_.has_recursion, 0
	.set _ZN7rocprim17ROCPRIM_400000_NS6detail17trampoline_kernelINS0_14default_configENS1_38merge_sort_block_merge_config_selectorIiiEEZZNS1_27merge_sort_block_merge_implIS3_N6thrust23THRUST_200600_302600_NS6detail15normal_iteratorINS8_10device_ptrIiEEEESD_jNS1_19radix_merge_compareILb0ELb1EiNS0_19identity_decomposerEEEEE10hipError_tT0_T1_T2_jT3_P12ihipStream_tbPNSt15iterator_traitsISI_E10value_typeEPNSO_ISJ_E10value_typeEPSK_NS1_7vsmem_tEENKUlT_SI_SJ_SK_E_clISD_PiSD_S10_EESH_SX_SI_SJ_SK_EUlSX_E0_NS1_11comp_targetILNS1_3genE9ELNS1_11target_archE1100ELNS1_3gpuE3ELNS1_3repE0EEENS1_38merge_mergepath_config_static_selectorELNS0_4arch9wavefront6targetE0EEEvSJ_.has_indirect_call, 0
	.section	.AMDGPU.csdata,"",@progbits
; Kernel info:
; codeLenInByte = 0
; TotalNumSgprs: 0
; NumVgprs: 0
; ScratchSize: 0
; MemoryBound: 0
; FloatMode: 240
; IeeeMode: 1
; LDSByteSize: 0 bytes/workgroup (compile time only)
; SGPRBlocks: 0
; VGPRBlocks: 0
; NumSGPRsForWavesPerEU: 1
; NumVGPRsForWavesPerEU: 1
; Occupancy: 16
; WaveLimiterHint : 0
; COMPUTE_PGM_RSRC2:SCRATCH_EN: 0
; COMPUTE_PGM_RSRC2:USER_SGPR: 6
; COMPUTE_PGM_RSRC2:TRAP_HANDLER: 0
; COMPUTE_PGM_RSRC2:TGID_X_EN: 1
; COMPUTE_PGM_RSRC2:TGID_Y_EN: 0
; COMPUTE_PGM_RSRC2:TGID_Z_EN: 0
; COMPUTE_PGM_RSRC2:TIDIG_COMP_CNT: 0
	.section	.text._ZN7rocprim17ROCPRIM_400000_NS6detail17trampoline_kernelINS0_14default_configENS1_38merge_sort_block_merge_config_selectorIiiEEZZNS1_27merge_sort_block_merge_implIS3_N6thrust23THRUST_200600_302600_NS6detail15normal_iteratorINS8_10device_ptrIiEEEESD_jNS1_19radix_merge_compareILb0ELb1EiNS0_19identity_decomposerEEEEE10hipError_tT0_T1_T2_jT3_P12ihipStream_tbPNSt15iterator_traitsISI_E10value_typeEPNSO_ISJ_E10value_typeEPSK_NS1_7vsmem_tEENKUlT_SI_SJ_SK_E_clISD_PiSD_S10_EESH_SX_SI_SJ_SK_EUlSX_E0_NS1_11comp_targetILNS1_3genE8ELNS1_11target_archE1030ELNS1_3gpuE2ELNS1_3repE0EEENS1_38merge_mergepath_config_static_selectorELNS0_4arch9wavefront6targetE0EEEvSJ_,"axG",@progbits,_ZN7rocprim17ROCPRIM_400000_NS6detail17trampoline_kernelINS0_14default_configENS1_38merge_sort_block_merge_config_selectorIiiEEZZNS1_27merge_sort_block_merge_implIS3_N6thrust23THRUST_200600_302600_NS6detail15normal_iteratorINS8_10device_ptrIiEEEESD_jNS1_19radix_merge_compareILb0ELb1EiNS0_19identity_decomposerEEEEE10hipError_tT0_T1_T2_jT3_P12ihipStream_tbPNSt15iterator_traitsISI_E10value_typeEPNSO_ISJ_E10value_typeEPSK_NS1_7vsmem_tEENKUlT_SI_SJ_SK_E_clISD_PiSD_S10_EESH_SX_SI_SJ_SK_EUlSX_E0_NS1_11comp_targetILNS1_3genE8ELNS1_11target_archE1030ELNS1_3gpuE2ELNS1_3repE0EEENS1_38merge_mergepath_config_static_selectorELNS0_4arch9wavefront6targetE0EEEvSJ_,comdat
	.protected	_ZN7rocprim17ROCPRIM_400000_NS6detail17trampoline_kernelINS0_14default_configENS1_38merge_sort_block_merge_config_selectorIiiEEZZNS1_27merge_sort_block_merge_implIS3_N6thrust23THRUST_200600_302600_NS6detail15normal_iteratorINS8_10device_ptrIiEEEESD_jNS1_19radix_merge_compareILb0ELb1EiNS0_19identity_decomposerEEEEE10hipError_tT0_T1_T2_jT3_P12ihipStream_tbPNSt15iterator_traitsISI_E10value_typeEPNSO_ISJ_E10value_typeEPSK_NS1_7vsmem_tEENKUlT_SI_SJ_SK_E_clISD_PiSD_S10_EESH_SX_SI_SJ_SK_EUlSX_E0_NS1_11comp_targetILNS1_3genE8ELNS1_11target_archE1030ELNS1_3gpuE2ELNS1_3repE0EEENS1_38merge_mergepath_config_static_selectorELNS0_4arch9wavefront6targetE0EEEvSJ_ ; -- Begin function _ZN7rocprim17ROCPRIM_400000_NS6detail17trampoline_kernelINS0_14default_configENS1_38merge_sort_block_merge_config_selectorIiiEEZZNS1_27merge_sort_block_merge_implIS3_N6thrust23THRUST_200600_302600_NS6detail15normal_iteratorINS8_10device_ptrIiEEEESD_jNS1_19radix_merge_compareILb0ELb1EiNS0_19identity_decomposerEEEEE10hipError_tT0_T1_T2_jT3_P12ihipStream_tbPNSt15iterator_traitsISI_E10value_typeEPNSO_ISJ_E10value_typeEPSK_NS1_7vsmem_tEENKUlT_SI_SJ_SK_E_clISD_PiSD_S10_EESH_SX_SI_SJ_SK_EUlSX_E0_NS1_11comp_targetILNS1_3genE8ELNS1_11target_archE1030ELNS1_3gpuE2ELNS1_3repE0EEENS1_38merge_mergepath_config_static_selectorELNS0_4arch9wavefront6targetE0EEEvSJ_
	.globl	_ZN7rocprim17ROCPRIM_400000_NS6detail17trampoline_kernelINS0_14default_configENS1_38merge_sort_block_merge_config_selectorIiiEEZZNS1_27merge_sort_block_merge_implIS3_N6thrust23THRUST_200600_302600_NS6detail15normal_iteratorINS8_10device_ptrIiEEEESD_jNS1_19radix_merge_compareILb0ELb1EiNS0_19identity_decomposerEEEEE10hipError_tT0_T1_T2_jT3_P12ihipStream_tbPNSt15iterator_traitsISI_E10value_typeEPNSO_ISJ_E10value_typeEPSK_NS1_7vsmem_tEENKUlT_SI_SJ_SK_E_clISD_PiSD_S10_EESH_SX_SI_SJ_SK_EUlSX_E0_NS1_11comp_targetILNS1_3genE8ELNS1_11target_archE1030ELNS1_3gpuE2ELNS1_3repE0EEENS1_38merge_mergepath_config_static_selectorELNS0_4arch9wavefront6targetE0EEEvSJ_
	.p2align	8
	.type	_ZN7rocprim17ROCPRIM_400000_NS6detail17trampoline_kernelINS0_14default_configENS1_38merge_sort_block_merge_config_selectorIiiEEZZNS1_27merge_sort_block_merge_implIS3_N6thrust23THRUST_200600_302600_NS6detail15normal_iteratorINS8_10device_ptrIiEEEESD_jNS1_19radix_merge_compareILb0ELb1EiNS0_19identity_decomposerEEEEE10hipError_tT0_T1_T2_jT3_P12ihipStream_tbPNSt15iterator_traitsISI_E10value_typeEPNSO_ISJ_E10value_typeEPSK_NS1_7vsmem_tEENKUlT_SI_SJ_SK_E_clISD_PiSD_S10_EESH_SX_SI_SJ_SK_EUlSX_E0_NS1_11comp_targetILNS1_3genE8ELNS1_11target_archE1030ELNS1_3gpuE2ELNS1_3repE0EEENS1_38merge_mergepath_config_static_selectorELNS0_4arch9wavefront6targetE0EEEvSJ_,@function
_ZN7rocprim17ROCPRIM_400000_NS6detail17trampoline_kernelINS0_14default_configENS1_38merge_sort_block_merge_config_selectorIiiEEZZNS1_27merge_sort_block_merge_implIS3_N6thrust23THRUST_200600_302600_NS6detail15normal_iteratorINS8_10device_ptrIiEEEESD_jNS1_19radix_merge_compareILb0ELb1EiNS0_19identity_decomposerEEEEE10hipError_tT0_T1_T2_jT3_P12ihipStream_tbPNSt15iterator_traitsISI_E10value_typeEPNSO_ISJ_E10value_typeEPSK_NS1_7vsmem_tEENKUlT_SI_SJ_SK_E_clISD_PiSD_S10_EESH_SX_SI_SJ_SK_EUlSX_E0_NS1_11comp_targetILNS1_3genE8ELNS1_11target_archE1030ELNS1_3gpuE2ELNS1_3repE0EEENS1_38merge_mergepath_config_static_selectorELNS0_4arch9wavefront6targetE0EEEvSJ_: ; @_ZN7rocprim17ROCPRIM_400000_NS6detail17trampoline_kernelINS0_14default_configENS1_38merge_sort_block_merge_config_selectorIiiEEZZNS1_27merge_sort_block_merge_implIS3_N6thrust23THRUST_200600_302600_NS6detail15normal_iteratorINS8_10device_ptrIiEEEESD_jNS1_19radix_merge_compareILb0ELb1EiNS0_19identity_decomposerEEEEE10hipError_tT0_T1_T2_jT3_P12ihipStream_tbPNSt15iterator_traitsISI_E10value_typeEPNSO_ISJ_E10value_typeEPSK_NS1_7vsmem_tEENKUlT_SI_SJ_SK_E_clISD_PiSD_S10_EESH_SX_SI_SJ_SK_EUlSX_E0_NS1_11comp_targetILNS1_3genE8ELNS1_11target_archE1030ELNS1_3gpuE2ELNS1_3repE0EEENS1_38merge_mergepath_config_static_selectorELNS0_4arch9wavefront6targetE0EEEvSJ_
; %bb.0:
	s_clause 0x1
	s_load_dwordx2 s[0:1], s[4:5], 0x40
	s_load_dwordx2 s[2:3], s[4:5], 0x30
	s_waitcnt lgkmcnt(0)
	s_mul_i32 s1, s1, s8
	s_add_i32 s1, s1, s7
	s_mul_i32 s0, s1, s0
	s_add_i32 s0, s0, s6
	s_cmp_ge_u32 s0, s2
	s_cbranch_scc1 .LBB795_34
; %bb.1:
	s_clause 0x1
	s_load_dwordx8 s[8:15], s[4:5], 0x10
	s_load_dwordx2 s[6:7], s[4:5], 0x38
	s_mov_b32 s1, 0
	s_load_dwordx2 s[24:25], s[4:5], 0x8
	v_lshlrev_b32_e32 v3, 2, v0
                                        ; implicit-def: $vgpr1_vgpr2
	s_waitcnt lgkmcnt(0)
	s_lshr_b32 s23, s14, 10
	s_cmp_lg_u32 s0, s23
	s_cselect_b32 s18, -1, 0
	s_lshl_b64 s[16:17], s[0:1], 2
	s_add_u32 s6, s6, s16
	s_addc_u32 s7, s7, s17
	s_lshr_b32 s2, s15, 9
	s_load_dwordx2 s[6:7], s[6:7], 0x0
	s_and_b32 s2, s2, 0x7ffffe
	s_sub_i32 s4, 0, s2
	s_lshl_b32 s2, s0, 10
	s_and_b32 s5, s0, s4
	s_or_b32 s4, s0, s4
	s_lshl_b32 s16, s5, 11
	s_lshl_b32 s5, s5, 10
	s_add_i32 s16, s16, s15
	s_sub_i32 s17, s2, s5
	s_sub_i32 s5, s16, s5
	s_add_i32 s16, s16, s17
	s_min_u32 s19, s14, s5
	s_add_i32 s5, s5, s15
	s_waitcnt lgkmcnt(0)
	s_sub_i32 s15, s16, s6
	s_sub_i32 s17, s16, s7
	s_min_u32 s16, s14, s15
	s_add_i32 s15, s17, 0x400
	s_cmp_eq_u32 s4, -1
	s_mov_b32 s17, s1
	s_cselect_b32 s4, s5, s15
	s_cselect_b32 s15, s19, s7
	s_mov_b32 s7, s1
	s_min_u32 s22, s4, s14
	s_lshl_b64 s[4:5], s[6:7], 2
	s_sub_i32 s15, s15, s6
	s_add_u32 s20, s24, s4
	s_addc_u32 s21, s25, s5
	s_lshl_b64 s[6:7], s[16:17], 2
	s_add_u32 s17, s24, s6
	s_addc_u32 s19, s25, s7
	s_cmp_eq_u32 s0, s23
	s_mov_b32 s0, -1
	s_cbranch_scc0 .LBB795_7
; %bb.2:
	s_andn2_b32 vcc_lo, exec_lo, s0
	s_sub_i32 s16, s22, s16
	s_cbranch_vccz .LBB795_8
.LBB795_3:
                                        ; implicit-def: $vgpr4
	s_and_saveexec_b32 s0, s1
	s_cbranch_execz .LBB795_5
.LBB795_4:
	global_load_dword v4, v[1:2], off
.LBB795_5:
	s_or_b32 exec_lo, exec_lo, s0
	v_mov_b32_e32 v2, 0
	s_add_u32 s17, s10, s4
	s_addc_u32 s19, s11, s5
	s_add_u32 s5, s10, s6
	s_addc_u32 s6, s11, s7
	s_andn2_b32 vcc_lo, exec_lo, s18
	s_waitcnt vmcnt(0)
	ds_write_b32 v3, v4
	s_cbranch_vccnz .LBB795_11
; %bb.6:
	v_sub_co_u32 v1, vcc_lo, v0, s15
	v_add_co_u32 v5, s0, s17, v3
	v_add_co_ci_u32_e64 v6, null, s19, 0, s0
	v_lshlrev_b64 v[1:2], 2, v[1:2]
	s_add_i32 s1, s16, s15
	s_mov_b32 s4, -1
	v_add_co_u32 v1, s0, s5, v1
	v_add_co_ci_u32_e64 v2, null, s6, v2, s0
	v_cndmask_b32_e32 v1, v1, v5, vcc_lo
	v_cndmask_b32_e32 v2, v2, v6, vcc_lo
	s_cbranch_execz .LBB795_12
	s_branch .LBB795_15
.LBB795_7:
	v_sub_co_u32 v1, vcc_lo, v0, s15
	v_mov_b32_e32 v2, 0
	v_add_co_u32 v4, s0, s20, v3
	v_add_co_ci_u32_e64 v5, null, s21, 0, s0
	v_lshlrev_b64 v[1:2], 2, v[1:2]
	s_mov_b32 s1, -1
	v_add_co_u32 v1, s0, s17, v1
	v_add_co_ci_u32_e64 v2, null, s19, v2, s0
	v_cndmask_b32_e32 v1, v1, v4, vcc_lo
	v_cndmask_b32_e32 v2, v2, v5, vcc_lo
	s_sub_i32 s16, s22, s16
	s_cbranch_execnz .LBB795_3
.LBB795_8:
	s_add_i32 s0, s16, s15
	s_mov_b32 s22, exec_lo
                                        ; implicit-def: $vgpr1_vgpr2
	v_cmpx_gt_u32_e64 s0, v0
	s_cbranch_execz .LBB795_10
; %bb.9:
	v_sub_co_u32 v1, vcc_lo, v0, s15
	v_mov_b32_e32 v2, 0
	v_add_co_u32 v4, s0, s20, v3
	v_add_co_ci_u32_e64 v5, null, s21, 0, s0
	v_lshlrev_b64 v[1:2], 2, v[1:2]
	s_or_b32 s1, s1, exec_lo
	v_add_co_u32 v1, s0, s17, v1
	v_add_co_ci_u32_e64 v2, null, s19, v2, s0
	v_cndmask_b32_e32 v1, v1, v4, vcc_lo
	v_cndmask_b32_e32 v2, v2, v5, vcc_lo
.LBB795_10:
	s_or_b32 exec_lo, exec_lo, s22
                                        ; implicit-def: $vgpr4
	s_and_saveexec_b32 s0, s1
	s_cbranch_execnz .LBB795_4
	s_branch .LBB795_5
.LBB795_11:
	s_mov_b32 s4, 0
                                        ; implicit-def: $vgpr1_vgpr2
                                        ; implicit-def: $sgpr1
.LBB795_12:
	s_add_i32 s1, s16, s15
	s_mov_b32 s7, exec_lo
                                        ; implicit-def: $vgpr1_vgpr2
	v_cmpx_gt_u32_e64 s1, v0
	s_cbranch_execz .LBB795_14
; %bb.13:
	v_sub_co_u32 v1, vcc_lo, v0, s15
	v_mov_b32_e32 v2, 0
	v_add_co_u32 v5, s0, s17, v3
	v_add_co_ci_u32_e64 v6, null, s19, 0, s0
	v_lshlrev_b64 v[1:2], 2, v[1:2]
	s_or_b32 s4, s4, exec_lo
	v_add_co_u32 v1, s0, s5, v1
	v_add_co_ci_u32_e64 v2, null, s6, v2, s0
	v_cndmask_b32_e32 v1, v1, v5, vcc_lo
	v_cndmask_b32_e32 v2, v2, v6, vcc_lo
.LBB795_14:
	s_or_b32 exec_lo, exec_lo, s7
.LBB795_15:
	v_mov_b32_e32 v6, s1
                                        ; implicit-def: $vgpr5
	s_and_saveexec_b32 s0, s4
	s_cbranch_execz .LBB795_17
; %bb.16:
	global_load_dword v5, v[1:2], off
	v_mov_b32_e32 v6, s1
.LBB795_17:
	s_or_b32 exec_lo, exec_lo, s0
	v_min_u32_e32 v2, v6, v0
	s_mov_b32 s0, exec_lo
	s_waitcnt vmcnt(0) lgkmcnt(0)
	s_barrier
	buffer_gl0_inv
	v_sub_nc_u32_e64 v1, v2, s16 clamp
	v_min_u32_e32 v7, s15, v2
	v_cmpx_lt_u32_e64 v1, v7
	s_cbranch_execz .LBB795_21
; %bb.18:
	v_lshlrev_b32_e32 v8, 2, v2
	s_mov_b32 s1, 0
	v_lshl_add_u32 v8, s15, 2, v8
	.p2align	6
.LBB795_19:                             ; =>This Inner Loop Header: Depth=1
	v_add_nc_u32_e32 v9, v7, v1
	v_lshrrev_b32_e32 v9, 1, v9
	v_not_b32_e32 v10, v9
	v_lshlrev_b32_e32 v11, 2, v9
	v_add_nc_u32_e32 v12, 1, v9
	v_lshl_add_u32 v10, v10, 2, v8
	ds_read_b32 v11, v11
	ds_read_b32 v10, v10
	s_waitcnt lgkmcnt(1)
	v_and_b32_e32 v11, s3, v11
	s_waitcnt lgkmcnt(0)
	v_and_b32_e32 v10, s3, v10
	v_cmp_gt_i32_e32 vcc_lo, v11, v10
	v_cndmask_b32_e32 v7, v7, v9, vcc_lo
	v_cndmask_b32_e32 v1, v12, v1, vcc_lo
	v_cmp_ge_u32_e32 vcc_lo, v1, v7
	s_or_b32 s1, vcc_lo, s1
	s_andn2_b32 exec_lo, exec_lo, s1
	s_cbranch_execnz .LBB795_19
; %bb.20:
	s_or_b32 exec_lo, exec_lo, s1
.LBB795_21:
	s_or_b32 exec_lo, exec_lo, s0
	v_sub_nc_u32_e32 v2, v2, v1
	v_cmp_ge_u32_e32 vcc_lo, s15, v1
	v_mov_b32_e32 v7, 0
	v_add_nc_u32_e32 v2, s15, v2
	v_cmp_le_u32_e64 s0, v2, v6
	s_or_b32 s0, vcc_lo, s0
	s_and_saveexec_b32 s4, s0
	s_cbranch_execz .LBB795_27
; %bb.22:
	v_cmp_gt_u32_e32 vcc_lo, s15, v1
                                        ; implicit-def: $vgpr4
	s_and_saveexec_b32 s0, vcc_lo
; %bb.23:
	v_lshlrev_b32_e32 v4, 2, v1
	ds_read_b32 v4, v4
; %bb.24:
	s_or_b32 exec_lo, exec_lo, s0
	v_cmp_ge_u32_e64 s0, v2, v6
	v_cmp_lt_u32_e64 s1, v2, v6
                                        ; implicit-def: $vgpr6
	s_and_saveexec_b32 s5, s1
; %bb.25:
	v_lshlrev_b32_e32 v6, 2, v2
	ds_read_b32 v6, v6
; %bb.26:
	s_or_b32 exec_lo, exec_lo, s5
	s_waitcnt lgkmcnt(0)
	v_and_b32_e32 v7, s3, v6
	v_and_b32_e32 v8, s3, v4
	v_cmp_le_i32_e64 s1, v8, v7
	s_and_b32 s1, vcc_lo, s1
	s_or_b32 vcc_lo, s0, s1
	v_cndmask_b32_e32 v7, v2, v1, vcc_lo
	v_cndmask_b32_e32 v4, v6, v4, vcc_lo
.LBB795_27:
	s_or_b32 exec_lo, exec_lo, s4
	v_lshlrev_b32_e32 v1, 2, v7
	s_barrier
	buffer_gl0_inv
	ds_write_b32 v3, v5
	s_waitcnt lgkmcnt(0)
	s_barrier
	buffer_gl0_inv
	ds_read_b32 v1, v1
	s_mov_b32 s3, 0
	s_and_b32 vcc_lo, exec_lo, s18
	s_mov_b32 s0, -1
	s_waitcnt lgkmcnt(0)
	s_barrier
	buffer_gl0_inv
	s_barrier
	buffer_gl0_inv
	ds_write_b32 v3, v4
	s_waitcnt lgkmcnt(0)
	s_cbranch_vccz .LBB795_29
; %bb.28:
	s_barrier
	buffer_gl0_inv
	ds_read_b32 v2, v3
	s_lshl_b64 s[0:1], s[2:3], 2
	s_add_u32 s4, s8, s0
	s_addc_u32 s5, s9, s1
	s_waitcnt lgkmcnt(0)
	global_store_dword v3, v2, s[4:5]
	s_waitcnt_vscnt null, 0x0
	s_barrier
	buffer_gl0_inv
	ds_write_b32 v3, v1
	s_waitcnt lgkmcnt(0)
	s_barrier
	buffer_gl0_inv
	ds_read_b32 v2, v3
	s_add_u32 s4, s12, s0
	s_addc_u32 s5, s13, s1
	s_mov_b32 s0, s3
	s_waitcnt lgkmcnt(0)
	global_store_dword v3, v2, s[4:5]
.LBB795_29:
	s_andn2_b32 vcc_lo, exec_lo, s0
	s_cbranch_vccnz .LBB795_34
; %bb.30:
	s_sub_i32 s0, s14, s2
	s_barrier
	v_cmp_gt_u32_e32 vcc_lo, s0, v0
	s_waitcnt_vscnt null, 0x0
	buffer_gl0_inv
	s_and_saveexec_b32 s0, vcc_lo
	s_cbranch_execz .LBB795_32
; %bb.31:
	ds_read_b32 v0, v3
	s_lshl_b64 s[4:5], s[2:3], 2
	s_add_u32 s4, s8, s4
	s_addc_u32 s5, s9, s5
	s_waitcnt lgkmcnt(0)
	global_store_dword v3, v0, s[4:5]
.LBB795_32:
	s_or_b32 exec_lo, exec_lo, s0
	s_waitcnt_vscnt null, 0x0
	s_barrier
	buffer_gl0_inv
	ds_write_b32 v3, v1
	s_waitcnt lgkmcnt(0)
	s_barrier
	buffer_gl0_inv
	s_and_saveexec_b32 s0, vcc_lo
	s_cbranch_execz .LBB795_34
; %bb.33:
	ds_read_b32 v0, v3
	s_lshl_b64 s[0:1], s[2:3], 2
	s_add_u32 s0, s12, s0
	s_addc_u32 s1, s13, s1
	s_waitcnt lgkmcnt(0)
	global_store_dword v3, v0, s[0:1]
.LBB795_34:
	s_endpgm
	.section	.rodata,"a",@progbits
	.p2align	6, 0x0
	.amdhsa_kernel _ZN7rocprim17ROCPRIM_400000_NS6detail17trampoline_kernelINS0_14default_configENS1_38merge_sort_block_merge_config_selectorIiiEEZZNS1_27merge_sort_block_merge_implIS3_N6thrust23THRUST_200600_302600_NS6detail15normal_iteratorINS8_10device_ptrIiEEEESD_jNS1_19radix_merge_compareILb0ELb1EiNS0_19identity_decomposerEEEEE10hipError_tT0_T1_T2_jT3_P12ihipStream_tbPNSt15iterator_traitsISI_E10value_typeEPNSO_ISJ_E10value_typeEPSK_NS1_7vsmem_tEENKUlT_SI_SJ_SK_E_clISD_PiSD_S10_EESH_SX_SI_SJ_SK_EUlSX_E0_NS1_11comp_targetILNS1_3genE8ELNS1_11target_archE1030ELNS1_3gpuE2ELNS1_3repE0EEENS1_38merge_mergepath_config_static_selectorELNS0_4arch9wavefront6targetE0EEEvSJ_
		.amdhsa_group_segment_fixed_size 4112
		.amdhsa_private_segment_fixed_size 0
		.amdhsa_kernarg_size 320
		.amdhsa_user_sgpr_count 6
		.amdhsa_user_sgpr_private_segment_buffer 1
		.amdhsa_user_sgpr_dispatch_ptr 0
		.amdhsa_user_sgpr_queue_ptr 0
		.amdhsa_user_sgpr_kernarg_segment_ptr 1
		.amdhsa_user_sgpr_dispatch_id 0
		.amdhsa_user_sgpr_flat_scratch_init 0
		.amdhsa_user_sgpr_private_segment_size 0
		.amdhsa_wavefront_size32 1
		.amdhsa_uses_dynamic_stack 0
		.amdhsa_system_sgpr_private_segment_wavefront_offset 0
		.amdhsa_system_sgpr_workgroup_id_x 1
		.amdhsa_system_sgpr_workgroup_id_y 1
		.amdhsa_system_sgpr_workgroup_id_z 1
		.amdhsa_system_sgpr_workgroup_info 0
		.amdhsa_system_vgpr_workitem_id 0
		.amdhsa_next_free_vgpr 13
		.amdhsa_next_free_sgpr 26
		.amdhsa_reserve_vcc 1
		.amdhsa_reserve_flat_scratch 0
		.amdhsa_float_round_mode_32 0
		.amdhsa_float_round_mode_16_64 0
		.amdhsa_float_denorm_mode_32 3
		.amdhsa_float_denorm_mode_16_64 3
		.amdhsa_dx10_clamp 1
		.amdhsa_ieee_mode 1
		.amdhsa_fp16_overflow 0
		.amdhsa_workgroup_processor_mode 1
		.amdhsa_memory_ordered 1
		.amdhsa_forward_progress 1
		.amdhsa_shared_vgpr_count 0
		.amdhsa_exception_fp_ieee_invalid_op 0
		.amdhsa_exception_fp_denorm_src 0
		.amdhsa_exception_fp_ieee_div_zero 0
		.amdhsa_exception_fp_ieee_overflow 0
		.amdhsa_exception_fp_ieee_underflow 0
		.amdhsa_exception_fp_ieee_inexact 0
		.amdhsa_exception_int_div_zero 0
	.end_amdhsa_kernel
	.section	.text._ZN7rocprim17ROCPRIM_400000_NS6detail17trampoline_kernelINS0_14default_configENS1_38merge_sort_block_merge_config_selectorIiiEEZZNS1_27merge_sort_block_merge_implIS3_N6thrust23THRUST_200600_302600_NS6detail15normal_iteratorINS8_10device_ptrIiEEEESD_jNS1_19radix_merge_compareILb0ELb1EiNS0_19identity_decomposerEEEEE10hipError_tT0_T1_T2_jT3_P12ihipStream_tbPNSt15iterator_traitsISI_E10value_typeEPNSO_ISJ_E10value_typeEPSK_NS1_7vsmem_tEENKUlT_SI_SJ_SK_E_clISD_PiSD_S10_EESH_SX_SI_SJ_SK_EUlSX_E0_NS1_11comp_targetILNS1_3genE8ELNS1_11target_archE1030ELNS1_3gpuE2ELNS1_3repE0EEENS1_38merge_mergepath_config_static_selectorELNS0_4arch9wavefront6targetE0EEEvSJ_,"axG",@progbits,_ZN7rocprim17ROCPRIM_400000_NS6detail17trampoline_kernelINS0_14default_configENS1_38merge_sort_block_merge_config_selectorIiiEEZZNS1_27merge_sort_block_merge_implIS3_N6thrust23THRUST_200600_302600_NS6detail15normal_iteratorINS8_10device_ptrIiEEEESD_jNS1_19radix_merge_compareILb0ELb1EiNS0_19identity_decomposerEEEEE10hipError_tT0_T1_T2_jT3_P12ihipStream_tbPNSt15iterator_traitsISI_E10value_typeEPNSO_ISJ_E10value_typeEPSK_NS1_7vsmem_tEENKUlT_SI_SJ_SK_E_clISD_PiSD_S10_EESH_SX_SI_SJ_SK_EUlSX_E0_NS1_11comp_targetILNS1_3genE8ELNS1_11target_archE1030ELNS1_3gpuE2ELNS1_3repE0EEENS1_38merge_mergepath_config_static_selectorELNS0_4arch9wavefront6targetE0EEEvSJ_,comdat
.Lfunc_end795:
	.size	_ZN7rocprim17ROCPRIM_400000_NS6detail17trampoline_kernelINS0_14default_configENS1_38merge_sort_block_merge_config_selectorIiiEEZZNS1_27merge_sort_block_merge_implIS3_N6thrust23THRUST_200600_302600_NS6detail15normal_iteratorINS8_10device_ptrIiEEEESD_jNS1_19radix_merge_compareILb0ELb1EiNS0_19identity_decomposerEEEEE10hipError_tT0_T1_T2_jT3_P12ihipStream_tbPNSt15iterator_traitsISI_E10value_typeEPNSO_ISJ_E10value_typeEPSK_NS1_7vsmem_tEENKUlT_SI_SJ_SK_E_clISD_PiSD_S10_EESH_SX_SI_SJ_SK_EUlSX_E0_NS1_11comp_targetILNS1_3genE8ELNS1_11target_archE1030ELNS1_3gpuE2ELNS1_3repE0EEENS1_38merge_mergepath_config_static_selectorELNS0_4arch9wavefront6targetE0EEEvSJ_, .Lfunc_end795-_ZN7rocprim17ROCPRIM_400000_NS6detail17trampoline_kernelINS0_14default_configENS1_38merge_sort_block_merge_config_selectorIiiEEZZNS1_27merge_sort_block_merge_implIS3_N6thrust23THRUST_200600_302600_NS6detail15normal_iteratorINS8_10device_ptrIiEEEESD_jNS1_19radix_merge_compareILb0ELb1EiNS0_19identity_decomposerEEEEE10hipError_tT0_T1_T2_jT3_P12ihipStream_tbPNSt15iterator_traitsISI_E10value_typeEPNSO_ISJ_E10value_typeEPSK_NS1_7vsmem_tEENKUlT_SI_SJ_SK_E_clISD_PiSD_S10_EESH_SX_SI_SJ_SK_EUlSX_E0_NS1_11comp_targetILNS1_3genE8ELNS1_11target_archE1030ELNS1_3gpuE2ELNS1_3repE0EEENS1_38merge_mergepath_config_static_selectorELNS0_4arch9wavefront6targetE0EEEvSJ_
                                        ; -- End function
	.set _ZN7rocprim17ROCPRIM_400000_NS6detail17trampoline_kernelINS0_14default_configENS1_38merge_sort_block_merge_config_selectorIiiEEZZNS1_27merge_sort_block_merge_implIS3_N6thrust23THRUST_200600_302600_NS6detail15normal_iteratorINS8_10device_ptrIiEEEESD_jNS1_19radix_merge_compareILb0ELb1EiNS0_19identity_decomposerEEEEE10hipError_tT0_T1_T2_jT3_P12ihipStream_tbPNSt15iterator_traitsISI_E10value_typeEPNSO_ISJ_E10value_typeEPSK_NS1_7vsmem_tEENKUlT_SI_SJ_SK_E_clISD_PiSD_S10_EESH_SX_SI_SJ_SK_EUlSX_E0_NS1_11comp_targetILNS1_3genE8ELNS1_11target_archE1030ELNS1_3gpuE2ELNS1_3repE0EEENS1_38merge_mergepath_config_static_selectorELNS0_4arch9wavefront6targetE0EEEvSJ_.num_vgpr, 13
	.set _ZN7rocprim17ROCPRIM_400000_NS6detail17trampoline_kernelINS0_14default_configENS1_38merge_sort_block_merge_config_selectorIiiEEZZNS1_27merge_sort_block_merge_implIS3_N6thrust23THRUST_200600_302600_NS6detail15normal_iteratorINS8_10device_ptrIiEEEESD_jNS1_19radix_merge_compareILb0ELb1EiNS0_19identity_decomposerEEEEE10hipError_tT0_T1_T2_jT3_P12ihipStream_tbPNSt15iterator_traitsISI_E10value_typeEPNSO_ISJ_E10value_typeEPSK_NS1_7vsmem_tEENKUlT_SI_SJ_SK_E_clISD_PiSD_S10_EESH_SX_SI_SJ_SK_EUlSX_E0_NS1_11comp_targetILNS1_3genE8ELNS1_11target_archE1030ELNS1_3gpuE2ELNS1_3repE0EEENS1_38merge_mergepath_config_static_selectorELNS0_4arch9wavefront6targetE0EEEvSJ_.num_agpr, 0
	.set _ZN7rocprim17ROCPRIM_400000_NS6detail17trampoline_kernelINS0_14default_configENS1_38merge_sort_block_merge_config_selectorIiiEEZZNS1_27merge_sort_block_merge_implIS3_N6thrust23THRUST_200600_302600_NS6detail15normal_iteratorINS8_10device_ptrIiEEEESD_jNS1_19radix_merge_compareILb0ELb1EiNS0_19identity_decomposerEEEEE10hipError_tT0_T1_T2_jT3_P12ihipStream_tbPNSt15iterator_traitsISI_E10value_typeEPNSO_ISJ_E10value_typeEPSK_NS1_7vsmem_tEENKUlT_SI_SJ_SK_E_clISD_PiSD_S10_EESH_SX_SI_SJ_SK_EUlSX_E0_NS1_11comp_targetILNS1_3genE8ELNS1_11target_archE1030ELNS1_3gpuE2ELNS1_3repE0EEENS1_38merge_mergepath_config_static_selectorELNS0_4arch9wavefront6targetE0EEEvSJ_.numbered_sgpr, 26
	.set _ZN7rocprim17ROCPRIM_400000_NS6detail17trampoline_kernelINS0_14default_configENS1_38merge_sort_block_merge_config_selectorIiiEEZZNS1_27merge_sort_block_merge_implIS3_N6thrust23THRUST_200600_302600_NS6detail15normal_iteratorINS8_10device_ptrIiEEEESD_jNS1_19radix_merge_compareILb0ELb1EiNS0_19identity_decomposerEEEEE10hipError_tT0_T1_T2_jT3_P12ihipStream_tbPNSt15iterator_traitsISI_E10value_typeEPNSO_ISJ_E10value_typeEPSK_NS1_7vsmem_tEENKUlT_SI_SJ_SK_E_clISD_PiSD_S10_EESH_SX_SI_SJ_SK_EUlSX_E0_NS1_11comp_targetILNS1_3genE8ELNS1_11target_archE1030ELNS1_3gpuE2ELNS1_3repE0EEENS1_38merge_mergepath_config_static_selectorELNS0_4arch9wavefront6targetE0EEEvSJ_.num_named_barrier, 0
	.set _ZN7rocprim17ROCPRIM_400000_NS6detail17trampoline_kernelINS0_14default_configENS1_38merge_sort_block_merge_config_selectorIiiEEZZNS1_27merge_sort_block_merge_implIS3_N6thrust23THRUST_200600_302600_NS6detail15normal_iteratorINS8_10device_ptrIiEEEESD_jNS1_19radix_merge_compareILb0ELb1EiNS0_19identity_decomposerEEEEE10hipError_tT0_T1_T2_jT3_P12ihipStream_tbPNSt15iterator_traitsISI_E10value_typeEPNSO_ISJ_E10value_typeEPSK_NS1_7vsmem_tEENKUlT_SI_SJ_SK_E_clISD_PiSD_S10_EESH_SX_SI_SJ_SK_EUlSX_E0_NS1_11comp_targetILNS1_3genE8ELNS1_11target_archE1030ELNS1_3gpuE2ELNS1_3repE0EEENS1_38merge_mergepath_config_static_selectorELNS0_4arch9wavefront6targetE0EEEvSJ_.private_seg_size, 0
	.set _ZN7rocprim17ROCPRIM_400000_NS6detail17trampoline_kernelINS0_14default_configENS1_38merge_sort_block_merge_config_selectorIiiEEZZNS1_27merge_sort_block_merge_implIS3_N6thrust23THRUST_200600_302600_NS6detail15normal_iteratorINS8_10device_ptrIiEEEESD_jNS1_19radix_merge_compareILb0ELb1EiNS0_19identity_decomposerEEEEE10hipError_tT0_T1_T2_jT3_P12ihipStream_tbPNSt15iterator_traitsISI_E10value_typeEPNSO_ISJ_E10value_typeEPSK_NS1_7vsmem_tEENKUlT_SI_SJ_SK_E_clISD_PiSD_S10_EESH_SX_SI_SJ_SK_EUlSX_E0_NS1_11comp_targetILNS1_3genE8ELNS1_11target_archE1030ELNS1_3gpuE2ELNS1_3repE0EEENS1_38merge_mergepath_config_static_selectorELNS0_4arch9wavefront6targetE0EEEvSJ_.uses_vcc, 1
	.set _ZN7rocprim17ROCPRIM_400000_NS6detail17trampoline_kernelINS0_14default_configENS1_38merge_sort_block_merge_config_selectorIiiEEZZNS1_27merge_sort_block_merge_implIS3_N6thrust23THRUST_200600_302600_NS6detail15normal_iteratorINS8_10device_ptrIiEEEESD_jNS1_19radix_merge_compareILb0ELb1EiNS0_19identity_decomposerEEEEE10hipError_tT0_T1_T2_jT3_P12ihipStream_tbPNSt15iterator_traitsISI_E10value_typeEPNSO_ISJ_E10value_typeEPSK_NS1_7vsmem_tEENKUlT_SI_SJ_SK_E_clISD_PiSD_S10_EESH_SX_SI_SJ_SK_EUlSX_E0_NS1_11comp_targetILNS1_3genE8ELNS1_11target_archE1030ELNS1_3gpuE2ELNS1_3repE0EEENS1_38merge_mergepath_config_static_selectorELNS0_4arch9wavefront6targetE0EEEvSJ_.uses_flat_scratch, 0
	.set _ZN7rocprim17ROCPRIM_400000_NS6detail17trampoline_kernelINS0_14default_configENS1_38merge_sort_block_merge_config_selectorIiiEEZZNS1_27merge_sort_block_merge_implIS3_N6thrust23THRUST_200600_302600_NS6detail15normal_iteratorINS8_10device_ptrIiEEEESD_jNS1_19radix_merge_compareILb0ELb1EiNS0_19identity_decomposerEEEEE10hipError_tT0_T1_T2_jT3_P12ihipStream_tbPNSt15iterator_traitsISI_E10value_typeEPNSO_ISJ_E10value_typeEPSK_NS1_7vsmem_tEENKUlT_SI_SJ_SK_E_clISD_PiSD_S10_EESH_SX_SI_SJ_SK_EUlSX_E0_NS1_11comp_targetILNS1_3genE8ELNS1_11target_archE1030ELNS1_3gpuE2ELNS1_3repE0EEENS1_38merge_mergepath_config_static_selectorELNS0_4arch9wavefront6targetE0EEEvSJ_.has_dyn_sized_stack, 0
	.set _ZN7rocprim17ROCPRIM_400000_NS6detail17trampoline_kernelINS0_14default_configENS1_38merge_sort_block_merge_config_selectorIiiEEZZNS1_27merge_sort_block_merge_implIS3_N6thrust23THRUST_200600_302600_NS6detail15normal_iteratorINS8_10device_ptrIiEEEESD_jNS1_19radix_merge_compareILb0ELb1EiNS0_19identity_decomposerEEEEE10hipError_tT0_T1_T2_jT3_P12ihipStream_tbPNSt15iterator_traitsISI_E10value_typeEPNSO_ISJ_E10value_typeEPSK_NS1_7vsmem_tEENKUlT_SI_SJ_SK_E_clISD_PiSD_S10_EESH_SX_SI_SJ_SK_EUlSX_E0_NS1_11comp_targetILNS1_3genE8ELNS1_11target_archE1030ELNS1_3gpuE2ELNS1_3repE0EEENS1_38merge_mergepath_config_static_selectorELNS0_4arch9wavefront6targetE0EEEvSJ_.has_recursion, 0
	.set _ZN7rocprim17ROCPRIM_400000_NS6detail17trampoline_kernelINS0_14default_configENS1_38merge_sort_block_merge_config_selectorIiiEEZZNS1_27merge_sort_block_merge_implIS3_N6thrust23THRUST_200600_302600_NS6detail15normal_iteratorINS8_10device_ptrIiEEEESD_jNS1_19radix_merge_compareILb0ELb1EiNS0_19identity_decomposerEEEEE10hipError_tT0_T1_T2_jT3_P12ihipStream_tbPNSt15iterator_traitsISI_E10value_typeEPNSO_ISJ_E10value_typeEPSK_NS1_7vsmem_tEENKUlT_SI_SJ_SK_E_clISD_PiSD_S10_EESH_SX_SI_SJ_SK_EUlSX_E0_NS1_11comp_targetILNS1_3genE8ELNS1_11target_archE1030ELNS1_3gpuE2ELNS1_3repE0EEENS1_38merge_mergepath_config_static_selectorELNS0_4arch9wavefront6targetE0EEEvSJ_.has_indirect_call, 0
	.section	.AMDGPU.csdata,"",@progbits
; Kernel info:
; codeLenInByte = 1380
; TotalNumSgprs: 28
; NumVgprs: 13
; ScratchSize: 0
; MemoryBound: 0
; FloatMode: 240
; IeeeMode: 1
; LDSByteSize: 4112 bytes/workgroup (compile time only)
; SGPRBlocks: 0
; VGPRBlocks: 1
; NumSGPRsForWavesPerEU: 28
; NumVGPRsForWavesPerEU: 13
; Occupancy: 16
; WaveLimiterHint : 0
; COMPUTE_PGM_RSRC2:SCRATCH_EN: 0
; COMPUTE_PGM_RSRC2:USER_SGPR: 6
; COMPUTE_PGM_RSRC2:TRAP_HANDLER: 0
; COMPUTE_PGM_RSRC2:TGID_X_EN: 1
; COMPUTE_PGM_RSRC2:TGID_Y_EN: 1
; COMPUTE_PGM_RSRC2:TGID_Z_EN: 1
; COMPUTE_PGM_RSRC2:TIDIG_COMP_CNT: 0
	.section	.text._ZN7rocprim17ROCPRIM_400000_NS6detail17trampoline_kernelINS0_14default_configENS1_38merge_sort_block_merge_config_selectorIiiEEZZNS1_27merge_sort_block_merge_implIS3_N6thrust23THRUST_200600_302600_NS6detail15normal_iteratorINS8_10device_ptrIiEEEESD_jNS1_19radix_merge_compareILb0ELb1EiNS0_19identity_decomposerEEEEE10hipError_tT0_T1_T2_jT3_P12ihipStream_tbPNSt15iterator_traitsISI_E10value_typeEPNSO_ISJ_E10value_typeEPSK_NS1_7vsmem_tEENKUlT_SI_SJ_SK_E_clISD_PiSD_S10_EESH_SX_SI_SJ_SK_EUlSX_E1_NS1_11comp_targetILNS1_3genE0ELNS1_11target_archE4294967295ELNS1_3gpuE0ELNS1_3repE0EEENS1_36merge_oddeven_config_static_selectorELNS0_4arch9wavefront6targetE0EEEvSJ_,"axG",@progbits,_ZN7rocprim17ROCPRIM_400000_NS6detail17trampoline_kernelINS0_14default_configENS1_38merge_sort_block_merge_config_selectorIiiEEZZNS1_27merge_sort_block_merge_implIS3_N6thrust23THRUST_200600_302600_NS6detail15normal_iteratorINS8_10device_ptrIiEEEESD_jNS1_19radix_merge_compareILb0ELb1EiNS0_19identity_decomposerEEEEE10hipError_tT0_T1_T2_jT3_P12ihipStream_tbPNSt15iterator_traitsISI_E10value_typeEPNSO_ISJ_E10value_typeEPSK_NS1_7vsmem_tEENKUlT_SI_SJ_SK_E_clISD_PiSD_S10_EESH_SX_SI_SJ_SK_EUlSX_E1_NS1_11comp_targetILNS1_3genE0ELNS1_11target_archE4294967295ELNS1_3gpuE0ELNS1_3repE0EEENS1_36merge_oddeven_config_static_selectorELNS0_4arch9wavefront6targetE0EEEvSJ_,comdat
	.protected	_ZN7rocprim17ROCPRIM_400000_NS6detail17trampoline_kernelINS0_14default_configENS1_38merge_sort_block_merge_config_selectorIiiEEZZNS1_27merge_sort_block_merge_implIS3_N6thrust23THRUST_200600_302600_NS6detail15normal_iteratorINS8_10device_ptrIiEEEESD_jNS1_19radix_merge_compareILb0ELb1EiNS0_19identity_decomposerEEEEE10hipError_tT0_T1_T2_jT3_P12ihipStream_tbPNSt15iterator_traitsISI_E10value_typeEPNSO_ISJ_E10value_typeEPSK_NS1_7vsmem_tEENKUlT_SI_SJ_SK_E_clISD_PiSD_S10_EESH_SX_SI_SJ_SK_EUlSX_E1_NS1_11comp_targetILNS1_3genE0ELNS1_11target_archE4294967295ELNS1_3gpuE0ELNS1_3repE0EEENS1_36merge_oddeven_config_static_selectorELNS0_4arch9wavefront6targetE0EEEvSJ_ ; -- Begin function _ZN7rocprim17ROCPRIM_400000_NS6detail17trampoline_kernelINS0_14default_configENS1_38merge_sort_block_merge_config_selectorIiiEEZZNS1_27merge_sort_block_merge_implIS3_N6thrust23THRUST_200600_302600_NS6detail15normal_iteratorINS8_10device_ptrIiEEEESD_jNS1_19radix_merge_compareILb0ELb1EiNS0_19identity_decomposerEEEEE10hipError_tT0_T1_T2_jT3_P12ihipStream_tbPNSt15iterator_traitsISI_E10value_typeEPNSO_ISJ_E10value_typeEPSK_NS1_7vsmem_tEENKUlT_SI_SJ_SK_E_clISD_PiSD_S10_EESH_SX_SI_SJ_SK_EUlSX_E1_NS1_11comp_targetILNS1_3genE0ELNS1_11target_archE4294967295ELNS1_3gpuE0ELNS1_3repE0EEENS1_36merge_oddeven_config_static_selectorELNS0_4arch9wavefront6targetE0EEEvSJ_
	.globl	_ZN7rocprim17ROCPRIM_400000_NS6detail17trampoline_kernelINS0_14default_configENS1_38merge_sort_block_merge_config_selectorIiiEEZZNS1_27merge_sort_block_merge_implIS3_N6thrust23THRUST_200600_302600_NS6detail15normal_iteratorINS8_10device_ptrIiEEEESD_jNS1_19radix_merge_compareILb0ELb1EiNS0_19identity_decomposerEEEEE10hipError_tT0_T1_T2_jT3_P12ihipStream_tbPNSt15iterator_traitsISI_E10value_typeEPNSO_ISJ_E10value_typeEPSK_NS1_7vsmem_tEENKUlT_SI_SJ_SK_E_clISD_PiSD_S10_EESH_SX_SI_SJ_SK_EUlSX_E1_NS1_11comp_targetILNS1_3genE0ELNS1_11target_archE4294967295ELNS1_3gpuE0ELNS1_3repE0EEENS1_36merge_oddeven_config_static_selectorELNS0_4arch9wavefront6targetE0EEEvSJ_
	.p2align	8
	.type	_ZN7rocprim17ROCPRIM_400000_NS6detail17trampoline_kernelINS0_14default_configENS1_38merge_sort_block_merge_config_selectorIiiEEZZNS1_27merge_sort_block_merge_implIS3_N6thrust23THRUST_200600_302600_NS6detail15normal_iteratorINS8_10device_ptrIiEEEESD_jNS1_19radix_merge_compareILb0ELb1EiNS0_19identity_decomposerEEEEE10hipError_tT0_T1_T2_jT3_P12ihipStream_tbPNSt15iterator_traitsISI_E10value_typeEPNSO_ISJ_E10value_typeEPSK_NS1_7vsmem_tEENKUlT_SI_SJ_SK_E_clISD_PiSD_S10_EESH_SX_SI_SJ_SK_EUlSX_E1_NS1_11comp_targetILNS1_3genE0ELNS1_11target_archE4294967295ELNS1_3gpuE0ELNS1_3repE0EEENS1_36merge_oddeven_config_static_selectorELNS0_4arch9wavefront6targetE0EEEvSJ_,@function
_ZN7rocprim17ROCPRIM_400000_NS6detail17trampoline_kernelINS0_14default_configENS1_38merge_sort_block_merge_config_selectorIiiEEZZNS1_27merge_sort_block_merge_implIS3_N6thrust23THRUST_200600_302600_NS6detail15normal_iteratorINS8_10device_ptrIiEEEESD_jNS1_19radix_merge_compareILb0ELb1EiNS0_19identity_decomposerEEEEE10hipError_tT0_T1_T2_jT3_P12ihipStream_tbPNSt15iterator_traitsISI_E10value_typeEPNSO_ISJ_E10value_typeEPSK_NS1_7vsmem_tEENKUlT_SI_SJ_SK_E_clISD_PiSD_S10_EESH_SX_SI_SJ_SK_EUlSX_E1_NS1_11comp_targetILNS1_3genE0ELNS1_11target_archE4294967295ELNS1_3gpuE0ELNS1_3repE0EEENS1_36merge_oddeven_config_static_selectorELNS0_4arch9wavefront6targetE0EEEvSJ_: ; @_ZN7rocprim17ROCPRIM_400000_NS6detail17trampoline_kernelINS0_14default_configENS1_38merge_sort_block_merge_config_selectorIiiEEZZNS1_27merge_sort_block_merge_implIS3_N6thrust23THRUST_200600_302600_NS6detail15normal_iteratorINS8_10device_ptrIiEEEESD_jNS1_19radix_merge_compareILb0ELb1EiNS0_19identity_decomposerEEEEE10hipError_tT0_T1_T2_jT3_P12ihipStream_tbPNSt15iterator_traitsISI_E10value_typeEPNSO_ISJ_E10value_typeEPSK_NS1_7vsmem_tEENKUlT_SI_SJ_SK_E_clISD_PiSD_S10_EESH_SX_SI_SJ_SK_EUlSX_E1_NS1_11comp_targetILNS1_3genE0ELNS1_11target_archE4294967295ELNS1_3gpuE0ELNS1_3repE0EEENS1_36merge_oddeven_config_static_selectorELNS0_4arch9wavefront6targetE0EEEvSJ_
; %bb.0:
	.section	.rodata,"a",@progbits
	.p2align	6, 0x0
	.amdhsa_kernel _ZN7rocprim17ROCPRIM_400000_NS6detail17trampoline_kernelINS0_14default_configENS1_38merge_sort_block_merge_config_selectorIiiEEZZNS1_27merge_sort_block_merge_implIS3_N6thrust23THRUST_200600_302600_NS6detail15normal_iteratorINS8_10device_ptrIiEEEESD_jNS1_19radix_merge_compareILb0ELb1EiNS0_19identity_decomposerEEEEE10hipError_tT0_T1_T2_jT3_P12ihipStream_tbPNSt15iterator_traitsISI_E10value_typeEPNSO_ISJ_E10value_typeEPSK_NS1_7vsmem_tEENKUlT_SI_SJ_SK_E_clISD_PiSD_S10_EESH_SX_SI_SJ_SK_EUlSX_E1_NS1_11comp_targetILNS1_3genE0ELNS1_11target_archE4294967295ELNS1_3gpuE0ELNS1_3repE0EEENS1_36merge_oddeven_config_static_selectorELNS0_4arch9wavefront6targetE0EEEvSJ_
		.amdhsa_group_segment_fixed_size 0
		.amdhsa_private_segment_fixed_size 0
		.amdhsa_kernarg_size 48
		.amdhsa_user_sgpr_count 6
		.amdhsa_user_sgpr_private_segment_buffer 1
		.amdhsa_user_sgpr_dispatch_ptr 0
		.amdhsa_user_sgpr_queue_ptr 0
		.amdhsa_user_sgpr_kernarg_segment_ptr 1
		.amdhsa_user_sgpr_dispatch_id 0
		.amdhsa_user_sgpr_flat_scratch_init 0
		.amdhsa_user_sgpr_private_segment_size 0
		.amdhsa_wavefront_size32 1
		.amdhsa_uses_dynamic_stack 0
		.amdhsa_system_sgpr_private_segment_wavefront_offset 0
		.amdhsa_system_sgpr_workgroup_id_x 1
		.amdhsa_system_sgpr_workgroup_id_y 0
		.amdhsa_system_sgpr_workgroup_id_z 0
		.amdhsa_system_sgpr_workgroup_info 0
		.amdhsa_system_vgpr_workitem_id 0
		.amdhsa_next_free_vgpr 1
		.amdhsa_next_free_sgpr 1
		.amdhsa_reserve_vcc 0
		.amdhsa_reserve_flat_scratch 0
		.amdhsa_float_round_mode_32 0
		.amdhsa_float_round_mode_16_64 0
		.amdhsa_float_denorm_mode_32 3
		.amdhsa_float_denorm_mode_16_64 3
		.amdhsa_dx10_clamp 1
		.amdhsa_ieee_mode 1
		.amdhsa_fp16_overflow 0
		.amdhsa_workgroup_processor_mode 1
		.amdhsa_memory_ordered 1
		.amdhsa_forward_progress 1
		.amdhsa_shared_vgpr_count 0
		.amdhsa_exception_fp_ieee_invalid_op 0
		.amdhsa_exception_fp_denorm_src 0
		.amdhsa_exception_fp_ieee_div_zero 0
		.amdhsa_exception_fp_ieee_overflow 0
		.amdhsa_exception_fp_ieee_underflow 0
		.amdhsa_exception_fp_ieee_inexact 0
		.amdhsa_exception_int_div_zero 0
	.end_amdhsa_kernel
	.section	.text._ZN7rocprim17ROCPRIM_400000_NS6detail17trampoline_kernelINS0_14default_configENS1_38merge_sort_block_merge_config_selectorIiiEEZZNS1_27merge_sort_block_merge_implIS3_N6thrust23THRUST_200600_302600_NS6detail15normal_iteratorINS8_10device_ptrIiEEEESD_jNS1_19radix_merge_compareILb0ELb1EiNS0_19identity_decomposerEEEEE10hipError_tT0_T1_T2_jT3_P12ihipStream_tbPNSt15iterator_traitsISI_E10value_typeEPNSO_ISJ_E10value_typeEPSK_NS1_7vsmem_tEENKUlT_SI_SJ_SK_E_clISD_PiSD_S10_EESH_SX_SI_SJ_SK_EUlSX_E1_NS1_11comp_targetILNS1_3genE0ELNS1_11target_archE4294967295ELNS1_3gpuE0ELNS1_3repE0EEENS1_36merge_oddeven_config_static_selectorELNS0_4arch9wavefront6targetE0EEEvSJ_,"axG",@progbits,_ZN7rocprim17ROCPRIM_400000_NS6detail17trampoline_kernelINS0_14default_configENS1_38merge_sort_block_merge_config_selectorIiiEEZZNS1_27merge_sort_block_merge_implIS3_N6thrust23THRUST_200600_302600_NS6detail15normal_iteratorINS8_10device_ptrIiEEEESD_jNS1_19radix_merge_compareILb0ELb1EiNS0_19identity_decomposerEEEEE10hipError_tT0_T1_T2_jT3_P12ihipStream_tbPNSt15iterator_traitsISI_E10value_typeEPNSO_ISJ_E10value_typeEPSK_NS1_7vsmem_tEENKUlT_SI_SJ_SK_E_clISD_PiSD_S10_EESH_SX_SI_SJ_SK_EUlSX_E1_NS1_11comp_targetILNS1_3genE0ELNS1_11target_archE4294967295ELNS1_3gpuE0ELNS1_3repE0EEENS1_36merge_oddeven_config_static_selectorELNS0_4arch9wavefront6targetE0EEEvSJ_,comdat
.Lfunc_end796:
	.size	_ZN7rocprim17ROCPRIM_400000_NS6detail17trampoline_kernelINS0_14default_configENS1_38merge_sort_block_merge_config_selectorIiiEEZZNS1_27merge_sort_block_merge_implIS3_N6thrust23THRUST_200600_302600_NS6detail15normal_iteratorINS8_10device_ptrIiEEEESD_jNS1_19radix_merge_compareILb0ELb1EiNS0_19identity_decomposerEEEEE10hipError_tT0_T1_T2_jT3_P12ihipStream_tbPNSt15iterator_traitsISI_E10value_typeEPNSO_ISJ_E10value_typeEPSK_NS1_7vsmem_tEENKUlT_SI_SJ_SK_E_clISD_PiSD_S10_EESH_SX_SI_SJ_SK_EUlSX_E1_NS1_11comp_targetILNS1_3genE0ELNS1_11target_archE4294967295ELNS1_3gpuE0ELNS1_3repE0EEENS1_36merge_oddeven_config_static_selectorELNS0_4arch9wavefront6targetE0EEEvSJ_, .Lfunc_end796-_ZN7rocprim17ROCPRIM_400000_NS6detail17trampoline_kernelINS0_14default_configENS1_38merge_sort_block_merge_config_selectorIiiEEZZNS1_27merge_sort_block_merge_implIS3_N6thrust23THRUST_200600_302600_NS6detail15normal_iteratorINS8_10device_ptrIiEEEESD_jNS1_19radix_merge_compareILb0ELb1EiNS0_19identity_decomposerEEEEE10hipError_tT0_T1_T2_jT3_P12ihipStream_tbPNSt15iterator_traitsISI_E10value_typeEPNSO_ISJ_E10value_typeEPSK_NS1_7vsmem_tEENKUlT_SI_SJ_SK_E_clISD_PiSD_S10_EESH_SX_SI_SJ_SK_EUlSX_E1_NS1_11comp_targetILNS1_3genE0ELNS1_11target_archE4294967295ELNS1_3gpuE0ELNS1_3repE0EEENS1_36merge_oddeven_config_static_selectorELNS0_4arch9wavefront6targetE0EEEvSJ_
                                        ; -- End function
	.set _ZN7rocprim17ROCPRIM_400000_NS6detail17trampoline_kernelINS0_14default_configENS1_38merge_sort_block_merge_config_selectorIiiEEZZNS1_27merge_sort_block_merge_implIS3_N6thrust23THRUST_200600_302600_NS6detail15normal_iteratorINS8_10device_ptrIiEEEESD_jNS1_19radix_merge_compareILb0ELb1EiNS0_19identity_decomposerEEEEE10hipError_tT0_T1_T2_jT3_P12ihipStream_tbPNSt15iterator_traitsISI_E10value_typeEPNSO_ISJ_E10value_typeEPSK_NS1_7vsmem_tEENKUlT_SI_SJ_SK_E_clISD_PiSD_S10_EESH_SX_SI_SJ_SK_EUlSX_E1_NS1_11comp_targetILNS1_3genE0ELNS1_11target_archE4294967295ELNS1_3gpuE0ELNS1_3repE0EEENS1_36merge_oddeven_config_static_selectorELNS0_4arch9wavefront6targetE0EEEvSJ_.num_vgpr, 0
	.set _ZN7rocprim17ROCPRIM_400000_NS6detail17trampoline_kernelINS0_14default_configENS1_38merge_sort_block_merge_config_selectorIiiEEZZNS1_27merge_sort_block_merge_implIS3_N6thrust23THRUST_200600_302600_NS6detail15normal_iteratorINS8_10device_ptrIiEEEESD_jNS1_19radix_merge_compareILb0ELb1EiNS0_19identity_decomposerEEEEE10hipError_tT0_T1_T2_jT3_P12ihipStream_tbPNSt15iterator_traitsISI_E10value_typeEPNSO_ISJ_E10value_typeEPSK_NS1_7vsmem_tEENKUlT_SI_SJ_SK_E_clISD_PiSD_S10_EESH_SX_SI_SJ_SK_EUlSX_E1_NS1_11comp_targetILNS1_3genE0ELNS1_11target_archE4294967295ELNS1_3gpuE0ELNS1_3repE0EEENS1_36merge_oddeven_config_static_selectorELNS0_4arch9wavefront6targetE0EEEvSJ_.num_agpr, 0
	.set _ZN7rocprim17ROCPRIM_400000_NS6detail17trampoline_kernelINS0_14default_configENS1_38merge_sort_block_merge_config_selectorIiiEEZZNS1_27merge_sort_block_merge_implIS3_N6thrust23THRUST_200600_302600_NS6detail15normal_iteratorINS8_10device_ptrIiEEEESD_jNS1_19radix_merge_compareILb0ELb1EiNS0_19identity_decomposerEEEEE10hipError_tT0_T1_T2_jT3_P12ihipStream_tbPNSt15iterator_traitsISI_E10value_typeEPNSO_ISJ_E10value_typeEPSK_NS1_7vsmem_tEENKUlT_SI_SJ_SK_E_clISD_PiSD_S10_EESH_SX_SI_SJ_SK_EUlSX_E1_NS1_11comp_targetILNS1_3genE0ELNS1_11target_archE4294967295ELNS1_3gpuE0ELNS1_3repE0EEENS1_36merge_oddeven_config_static_selectorELNS0_4arch9wavefront6targetE0EEEvSJ_.numbered_sgpr, 0
	.set _ZN7rocprim17ROCPRIM_400000_NS6detail17trampoline_kernelINS0_14default_configENS1_38merge_sort_block_merge_config_selectorIiiEEZZNS1_27merge_sort_block_merge_implIS3_N6thrust23THRUST_200600_302600_NS6detail15normal_iteratorINS8_10device_ptrIiEEEESD_jNS1_19radix_merge_compareILb0ELb1EiNS0_19identity_decomposerEEEEE10hipError_tT0_T1_T2_jT3_P12ihipStream_tbPNSt15iterator_traitsISI_E10value_typeEPNSO_ISJ_E10value_typeEPSK_NS1_7vsmem_tEENKUlT_SI_SJ_SK_E_clISD_PiSD_S10_EESH_SX_SI_SJ_SK_EUlSX_E1_NS1_11comp_targetILNS1_3genE0ELNS1_11target_archE4294967295ELNS1_3gpuE0ELNS1_3repE0EEENS1_36merge_oddeven_config_static_selectorELNS0_4arch9wavefront6targetE0EEEvSJ_.num_named_barrier, 0
	.set _ZN7rocprim17ROCPRIM_400000_NS6detail17trampoline_kernelINS0_14default_configENS1_38merge_sort_block_merge_config_selectorIiiEEZZNS1_27merge_sort_block_merge_implIS3_N6thrust23THRUST_200600_302600_NS6detail15normal_iteratorINS8_10device_ptrIiEEEESD_jNS1_19radix_merge_compareILb0ELb1EiNS0_19identity_decomposerEEEEE10hipError_tT0_T1_T2_jT3_P12ihipStream_tbPNSt15iterator_traitsISI_E10value_typeEPNSO_ISJ_E10value_typeEPSK_NS1_7vsmem_tEENKUlT_SI_SJ_SK_E_clISD_PiSD_S10_EESH_SX_SI_SJ_SK_EUlSX_E1_NS1_11comp_targetILNS1_3genE0ELNS1_11target_archE4294967295ELNS1_3gpuE0ELNS1_3repE0EEENS1_36merge_oddeven_config_static_selectorELNS0_4arch9wavefront6targetE0EEEvSJ_.private_seg_size, 0
	.set _ZN7rocprim17ROCPRIM_400000_NS6detail17trampoline_kernelINS0_14default_configENS1_38merge_sort_block_merge_config_selectorIiiEEZZNS1_27merge_sort_block_merge_implIS3_N6thrust23THRUST_200600_302600_NS6detail15normal_iteratorINS8_10device_ptrIiEEEESD_jNS1_19radix_merge_compareILb0ELb1EiNS0_19identity_decomposerEEEEE10hipError_tT0_T1_T2_jT3_P12ihipStream_tbPNSt15iterator_traitsISI_E10value_typeEPNSO_ISJ_E10value_typeEPSK_NS1_7vsmem_tEENKUlT_SI_SJ_SK_E_clISD_PiSD_S10_EESH_SX_SI_SJ_SK_EUlSX_E1_NS1_11comp_targetILNS1_3genE0ELNS1_11target_archE4294967295ELNS1_3gpuE0ELNS1_3repE0EEENS1_36merge_oddeven_config_static_selectorELNS0_4arch9wavefront6targetE0EEEvSJ_.uses_vcc, 0
	.set _ZN7rocprim17ROCPRIM_400000_NS6detail17trampoline_kernelINS0_14default_configENS1_38merge_sort_block_merge_config_selectorIiiEEZZNS1_27merge_sort_block_merge_implIS3_N6thrust23THRUST_200600_302600_NS6detail15normal_iteratorINS8_10device_ptrIiEEEESD_jNS1_19radix_merge_compareILb0ELb1EiNS0_19identity_decomposerEEEEE10hipError_tT0_T1_T2_jT3_P12ihipStream_tbPNSt15iterator_traitsISI_E10value_typeEPNSO_ISJ_E10value_typeEPSK_NS1_7vsmem_tEENKUlT_SI_SJ_SK_E_clISD_PiSD_S10_EESH_SX_SI_SJ_SK_EUlSX_E1_NS1_11comp_targetILNS1_3genE0ELNS1_11target_archE4294967295ELNS1_3gpuE0ELNS1_3repE0EEENS1_36merge_oddeven_config_static_selectorELNS0_4arch9wavefront6targetE0EEEvSJ_.uses_flat_scratch, 0
	.set _ZN7rocprim17ROCPRIM_400000_NS6detail17trampoline_kernelINS0_14default_configENS1_38merge_sort_block_merge_config_selectorIiiEEZZNS1_27merge_sort_block_merge_implIS3_N6thrust23THRUST_200600_302600_NS6detail15normal_iteratorINS8_10device_ptrIiEEEESD_jNS1_19radix_merge_compareILb0ELb1EiNS0_19identity_decomposerEEEEE10hipError_tT0_T1_T2_jT3_P12ihipStream_tbPNSt15iterator_traitsISI_E10value_typeEPNSO_ISJ_E10value_typeEPSK_NS1_7vsmem_tEENKUlT_SI_SJ_SK_E_clISD_PiSD_S10_EESH_SX_SI_SJ_SK_EUlSX_E1_NS1_11comp_targetILNS1_3genE0ELNS1_11target_archE4294967295ELNS1_3gpuE0ELNS1_3repE0EEENS1_36merge_oddeven_config_static_selectorELNS0_4arch9wavefront6targetE0EEEvSJ_.has_dyn_sized_stack, 0
	.set _ZN7rocprim17ROCPRIM_400000_NS6detail17trampoline_kernelINS0_14default_configENS1_38merge_sort_block_merge_config_selectorIiiEEZZNS1_27merge_sort_block_merge_implIS3_N6thrust23THRUST_200600_302600_NS6detail15normal_iteratorINS8_10device_ptrIiEEEESD_jNS1_19radix_merge_compareILb0ELb1EiNS0_19identity_decomposerEEEEE10hipError_tT0_T1_T2_jT3_P12ihipStream_tbPNSt15iterator_traitsISI_E10value_typeEPNSO_ISJ_E10value_typeEPSK_NS1_7vsmem_tEENKUlT_SI_SJ_SK_E_clISD_PiSD_S10_EESH_SX_SI_SJ_SK_EUlSX_E1_NS1_11comp_targetILNS1_3genE0ELNS1_11target_archE4294967295ELNS1_3gpuE0ELNS1_3repE0EEENS1_36merge_oddeven_config_static_selectorELNS0_4arch9wavefront6targetE0EEEvSJ_.has_recursion, 0
	.set _ZN7rocprim17ROCPRIM_400000_NS6detail17trampoline_kernelINS0_14default_configENS1_38merge_sort_block_merge_config_selectorIiiEEZZNS1_27merge_sort_block_merge_implIS3_N6thrust23THRUST_200600_302600_NS6detail15normal_iteratorINS8_10device_ptrIiEEEESD_jNS1_19radix_merge_compareILb0ELb1EiNS0_19identity_decomposerEEEEE10hipError_tT0_T1_T2_jT3_P12ihipStream_tbPNSt15iterator_traitsISI_E10value_typeEPNSO_ISJ_E10value_typeEPSK_NS1_7vsmem_tEENKUlT_SI_SJ_SK_E_clISD_PiSD_S10_EESH_SX_SI_SJ_SK_EUlSX_E1_NS1_11comp_targetILNS1_3genE0ELNS1_11target_archE4294967295ELNS1_3gpuE0ELNS1_3repE0EEENS1_36merge_oddeven_config_static_selectorELNS0_4arch9wavefront6targetE0EEEvSJ_.has_indirect_call, 0
	.section	.AMDGPU.csdata,"",@progbits
; Kernel info:
; codeLenInByte = 0
; TotalNumSgprs: 0
; NumVgprs: 0
; ScratchSize: 0
; MemoryBound: 0
; FloatMode: 240
; IeeeMode: 1
; LDSByteSize: 0 bytes/workgroup (compile time only)
; SGPRBlocks: 0
; VGPRBlocks: 0
; NumSGPRsForWavesPerEU: 1
; NumVGPRsForWavesPerEU: 1
; Occupancy: 16
; WaveLimiterHint : 0
; COMPUTE_PGM_RSRC2:SCRATCH_EN: 0
; COMPUTE_PGM_RSRC2:USER_SGPR: 6
; COMPUTE_PGM_RSRC2:TRAP_HANDLER: 0
; COMPUTE_PGM_RSRC2:TGID_X_EN: 1
; COMPUTE_PGM_RSRC2:TGID_Y_EN: 0
; COMPUTE_PGM_RSRC2:TGID_Z_EN: 0
; COMPUTE_PGM_RSRC2:TIDIG_COMP_CNT: 0
	.section	.text._ZN7rocprim17ROCPRIM_400000_NS6detail17trampoline_kernelINS0_14default_configENS1_38merge_sort_block_merge_config_selectorIiiEEZZNS1_27merge_sort_block_merge_implIS3_N6thrust23THRUST_200600_302600_NS6detail15normal_iteratorINS8_10device_ptrIiEEEESD_jNS1_19radix_merge_compareILb0ELb1EiNS0_19identity_decomposerEEEEE10hipError_tT0_T1_T2_jT3_P12ihipStream_tbPNSt15iterator_traitsISI_E10value_typeEPNSO_ISJ_E10value_typeEPSK_NS1_7vsmem_tEENKUlT_SI_SJ_SK_E_clISD_PiSD_S10_EESH_SX_SI_SJ_SK_EUlSX_E1_NS1_11comp_targetILNS1_3genE10ELNS1_11target_archE1201ELNS1_3gpuE5ELNS1_3repE0EEENS1_36merge_oddeven_config_static_selectorELNS0_4arch9wavefront6targetE0EEEvSJ_,"axG",@progbits,_ZN7rocprim17ROCPRIM_400000_NS6detail17trampoline_kernelINS0_14default_configENS1_38merge_sort_block_merge_config_selectorIiiEEZZNS1_27merge_sort_block_merge_implIS3_N6thrust23THRUST_200600_302600_NS6detail15normal_iteratorINS8_10device_ptrIiEEEESD_jNS1_19radix_merge_compareILb0ELb1EiNS0_19identity_decomposerEEEEE10hipError_tT0_T1_T2_jT3_P12ihipStream_tbPNSt15iterator_traitsISI_E10value_typeEPNSO_ISJ_E10value_typeEPSK_NS1_7vsmem_tEENKUlT_SI_SJ_SK_E_clISD_PiSD_S10_EESH_SX_SI_SJ_SK_EUlSX_E1_NS1_11comp_targetILNS1_3genE10ELNS1_11target_archE1201ELNS1_3gpuE5ELNS1_3repE0EEENS1_36merge_oddeven_config_static_selectorELNS0_4arch9wavefront6targetE0EEEvSJ_,comdat
	.protected	_ZN7rocprim17ROCPRIM_400000_NS6detail17trampoline_kernelINS0_14default_configENS1_38merge_sort_block_merge_config_selectorIiiEEZZNS1_27merge_sort_block_merge_implIS3_N6thrust23THRUST_200600_302600_NS6detail15normal_iteratorINS8_10device_ptrIiEEEESD_jNS1_19radix_merge_compareILb0ELb1EiNS0_19identity_decomposerEEEEE10hipError_tT0_T1_T2_jT3_P12ihipStream_tbPNSt15iterator_traitsISI_E10value_typeEPNSO_ISJ_E10value_typeEPSK_NS1_7vsmem_tEENKUlT_SI_SJ_SK_E_clISD_PiSD_S10_EESH_SX_SI_SJ_SK_EUlSX_E1_NS1_11comp_targetILNS1_3genE10ELNS1_11target_archE1201ELNS1_3gpuE5ELNS1_3repE0EEENS1_36merge_oddeven_config_static_selectorELNS0_4arch9wavefront6targetE0EEEvSJ_ ; -- Begin function _ZN7rocprim17ROCPRIM_400000_NS6detail17trampoline_kernelINS0_14default_configENS1_38merge_sort_block_merge_config_selectorIiiEEZZNS1_27merge_sort_block_merge_implIS3_N6thrust23THRUST_200600_302600_NS6detail15normal_iteratorINS8_10device_ptrIiEEEESD_jNS1_19radix_merge_compareILb0ELb1EiNS0_19identity_decomposerEEEEE10hipError_tT0_T1_T2_jT3_P12ihipStream_tbPNSt15iterator_traitsISI_E10value_typeEPNSO_ISJ_E10value_typeEPSK_NS1_7vsmem_tEENKUlT_SI_SJ_SK_E_clISD_PiSD_S10_EESH_SX_SI_SJ_SK_EUlSX_E1_NS1_11comp_targetILNS1_3genE10ELNS1_11target_archE1201ELNS1_3gpuE5ELNS1_3repE0EEENS1_36merge_oddeven_config_static_selectorELNS0_4arch9wavefront6targetE0EEEvSJ_
	.globl	_ZN7rocprim17ROCPRIM_400000_NS6detail17trampoline_kernelINS0_14default_configENS1_38merge_sort_block_merge_config_selectorIiiEEZZNS1_27merge_sort_block_merge_implIS3_N6thrust23THRUST_200600_302600_NS6detail15normal_iteratorINS8_10device_ptrIiEEEESD_jNS1_19radix_merge_compareILb0ELb1EiNS0_19identity_decomposerEEEEE10hipError_tT0_T1_T2_jT3_P12ihipStream_tbPNSt15iterator_traitsISI_E10value_typeEPNSO_ISJ_E10value_typeEPSK_NS1_7vsmem_tEENKUlT_SI_SJ_SK_E_clISD_PiSD_S10_EESH_SX_SI_SJ_SK_EUlSX_E1_NS1_11comp_targetILNS1_3genE10ELNS1_11target_archE1201ELNS1_3gpuE5ELNS1_3repE0EEENS1_36merge_oddeven_config_static_selectorELNS0_4arch9wavefront6targetE0EEEvSJ_
	.p2align	8
	.type	_ZN7rocprim17ROCPRIM_400000_NS6detail17trampoline_kernelINS0_14default_configENS1_38merge_sort_block_merge_config_selectorIiiEEZZNS1_27merge_sort_block_merge_implIS3_N6thrust23THRUST_200600_302600_NS6detail15normal_iteratorINS8_10device_ptrIiEEEESD_jNS1_19radix_merge_compareILb0ELb1EiNS0_19identity_decomposerEEEEE10hipError_tT0_T1_T2_jT3_P12ihipStream_tbPNSt15iterator_traitsISI_E10value_typeEPNSO_ISJ_E10value_typeEPSK_NS1_7vsmem_tEENKUlT_SI_SJ_SK_E_clISD_PiSD_S10_EESH_SX_SI_SJ_SK_EUlSX_E1_NS1_11comp_targetILNS1_3genE10ELNS1_11target_archE1201ELNS1_3gpuE5ELNS1_3repE0EEENS1_36merge_oddeven_config_static_selectorELNS0_4arch9wavefront6targetE0EEEvSJ_,@function
_ZN7rocprim17ROCPRIM_400000_NS6detail17trampoline_kernelINS0_14default_configENS1_38merge_sort_block_merge_config_selectorIiiEEZZNS1_27merge_sort_block_merge_implIS3_N6thrust23THRUST_200600_302600_NS6detail15normal_iteratorINS8_10device_ptrIiEEEESD_jNS1_19radix_merge_compareILb0ELb1EiNS0_19identity_decomposerEEEEE10hipError_tT0_T1_T2_jT3_P12ihipStream_tbPNSt15iterator_traitsISI_E10value_typeEPNSO_ISJ_E10value_typeEPSK_NS1_7vsmem_tEENKUlT_SI_SJ_SK_E_clISD_PiSD_S10_EESH_SX_SI_SJ_SK_EUlSX_E1_NS1_11comp_targetILNS1_3genE10ELNS1_11target_archE1201ELNS1_3gpuE5ELNS1_3repE0EEENS1_36merge_oddeven_config_static_selectorELNS0_4arch9wavefront6targetE0EEEvSJ_: ; @_ZN7rocprim17ROCPRIM_400000_NS6detail17trampoline_kernelINS0_14default_configENS1_38merge_sort_block_merge_config_selectorIiiEEZZNS1_27merge_sort_block_merge_implIS3_N6thrust23THRUST_200600_302600_NS6detail15normal_iteratorINS8_10device_ptrIiEEEESD_jNS1_19radix_merge_compareILb0ELb1EiNS0_19identity_decomposerEEEEE10hipError_tT0_T1_T2_jT3_P12ihipStream_tbPNSt15iterator_traitsISI_E10value_typeEPNSO_ISJ_E10value_typeEPSK_NS1_7vsmem_tEENKUlT_SI_SJ_SK_E_clISD_PiSD_S10_EESH_SX_SI_SJ_SK_EUlSX_E1_NS1_11comp_targetILNS1_3genE10ELNS1_11target_archE1201ELNS1_3gpuE5ELNS1_3repE0EEENS1_36merge_oddeven_config_static_selectorELNS0_4arch9wavefront6targetE0EEEvSJ_
; %bb.0:
	.section	.rodata,"a",@progbits
	.p2align	6, 0x0
	.amdhsa_kernel _ZN7rocprim17ROCPRIM_400000_NS6detail17trampoline_kernelINS0_14default_configENS1_38merge_sort_block_merge_config_selectorIiiEEZZNS1_27merge_sort_block_merge_implIS3_N6thrust23THRUST_200600_302600_NS6detail15normal_iteratorINS8_10device_ptrIiEEEESD_jNS1_19radix_merge_compareILb0ELb1EiNS0_19identity_decomposerEEEEE10hipError_tT0_T1_T2_jT3_P12ihipStream_tbPNSt15iterator_traitsISI_E10value_typeEPNSO_ISJ_E10value_typeEPSK_NS1_7vsmem_tEENKUlT_SI_SJ_SK_E_clISD_PiSD_S10_EESH_SX_SI_SJ_SK_EUlSX_E1_NS1_11comp_targetILNS1_3genE10ELNS1_11target_archE1201ELNS1_3gpuE5ELNS1_3repE0EEENS1_36merge_oddeven_config_static_selectorELNS0_4arch9wavefront6targetE0EEEvSJ_
		.amdhsa_group_segment_fixed_size 0
		.amdhsa_private_segment_fixed_size 0
		.amdhsa_kernarg_size 48
		.amdhsa_user_sgpr_count 6
		.amdhsa_user_sgpr_private_segment_buffer 1
		.amdhsa_user_sgpr_dispatch_ptr 0
		.amdhsa_user_sgpr_queue_ptr 0
		.amdhsa_user_sgpr_kernarg_segment_ptr 1
		.amdhsa_user_sgpr_dispatch_id 0
		.amdhsa_user_sgpr_flat_scratch_init 0
		.amdhsa_user_sgpr_private_segment_size 0
		.amdhsa_wavefront_size32 1
		.amdhsa_uses_dynamic_stack 0
		.amdhsa_system_sgpr_private_segment_wavefront_offset 0
		.amdhsa_system_sgpr_workgroup_id_x 1
		.amdhsa_system_sgpr_workgroup_id_y 0
		.amdhsa_system_sgpr_workgroup_id_z 0
		.amdhsa_system_sgpr_workgroup_info 0
		.amdhsa_system_vgpr_workitem_id 0
		.amdhsa_next_free_vgpr 1
		.amdhsa_next_free_sgpr 1
		.amdhsa_reserve_vcc 0
		.amdhsa_reserve_flat_scratch 0
		.amdhsa_float_round_mode_32 0
		.amdhsa_float_round_mode_16_64 0
		.amdhsa_float_denorm_mode_32 3
		.amdhsa_float_denorm_mode_16_64 3
		.amdhsa_dx10_clamp 1
		.amdhsa_ieee_mode 1
		.amdhsa_fp16_overflow 0
		.amdhsa_workgroup_processor_mode 1
		.amdhsa_memory_ordered 1
		.amdhsa_forward_progress 1
		.amdhsa_shared_vgpr_count 0
		.amdhsa_exception_fp_ieee_invalid_op 0
		.amdhsa_exception_fp_denorm_src 0
		.amdhsa_exception_fp_ieee_div_zero 0
		.amdhsa_exception_fp_ieee_overflow 0
		.amdhsa_exception_fp_ieee_underflow 0
		.amdhsa_exception_fp_ieee_inexact 0
		.amdhsa_exception_int_div_zero 0
	.end_amdhsa_kernel
	.section	.text._ZN7rocprim17ROCPRIM_400000_NS6detail17trampoline_kernelINS0_14default_configENS1_38merge_sort_block_merge_config_selectorIiiEEZZNS1_27merge_sort_block_merge_implIS3_N6thrust23THRUST_200600_302600_NS6detail15normal_iteratorINS8_10device_ptrIiEEEESD_jNS1_19radix_merge_compareILb0ELb1EiNS0_19identity_decomposerEEEEE10hipError_tT0_T1_T2_jT3_P12ihipStream_tbPNSt15iterator_traitsISI_E10value_typeEPNSO_ISJ_E10value_typeEPSK_NS1_7vsmem_tEENKUlT_SI_SJ_SK_E_clISD_PiSD_S10_EESH_SX_SI_SJ_SK_EUlSX_E1_NS1_11comp_targetILNS1_3genE10ELNS1_11target_archE1201ELNS1_3gpuE5ELNS1_3repE0EEENS1_36merge_oddeven_config_static_selectorELNS0_4arch9wavefront6targetE0EEEvSJ_,"axG",@progbits,_ZN7rocprim17ROCPRIM_400000_NS6detail17trampoline_kernelINS0_14default_configENS1_38merge_sort_block_merge_config_selectorIiiEEZZNS1_27merge_sort_block_merge_implIS3_N6thrust23THRUST_200600_302600_NS6detail15normal_iteratorINS8_10device_ptrIiEEEESD_jNS1_19radix_merge_compareILb0ELb1EiNS0_19identity_decomposerEEEEE10hipError_tT0_T1_T2_jT3_P12ihipStream_tbPNSt15iterator_traitsISI_E10value_typeEPNSO_ISJ_E10value_typeEPSK_NS1_7vsmem_tEENKUlT_SI_SJ_SK_E_clISD_PiSD_S10_EESH_SX_SI_SJ_SK_EUlSX_E1_NS1_11comp_targetILNS1_3genE10ELNS1_11target_archE1201ELNS1_3gpuE5ELNS1_3repE0EEENS1_36merge_oddeven_config_static_selectorELNS0_4arch9wavefront6targetE0EEEvSJ_,comdat
.Lfunc_end797:
	.size	_ZN7rocprim17ROCPRIM_400000_NS6detail17trampoline_kernelINS0_14default_configENS1_38merge_sort_block_merge_config_selectorIiiEEZZNS1_27merge_sort_block_merge_implIS3_N6thrust23THRUST_200600_302600_NS6detail15normal_iteratorINS8_10device_ptrIiEEEESD_jNS1_19radix_merge_compareILb0ELb1EiNS0_19identity_decomposerEEEEE10hipError_tT0_T1_T2_jT3_P12ihipStream_tbPNSt15iterator_traitsISI_E10value_typeEPNSO_ISJ_E10value_typeEPSK_NS1_7vsmem_tEENKUlT_SI_SJ_SK_E_clISD_PiSD_S10_EESH_SX_SI_SJ_SK_EUlSX_E1_NS1_11comp_targetILNS1_3genE10ELNS1_11target_archE1201ELNS1_3gpuE5ELNS1_3repE0EEENS1_36merge_oddeven_config_static_selectorELNS0_4arch9wavefront6targetE0EEEvSJ_, .Lfunc_end797-_ZN7rocprim17ROCPRIM_400000_NS6detail17trampoline_kernelINS0_14default_configENS1_38merge_sort_block_merge_config_selectorIiiEEZZNS1_27merge_sort_block_merge_implIS3_N6thrust23THRUST_200600_302600_NS6detail15normal_iteratorINS8_10device_ptrIiEEEESD_jNS1_19radix_merge_compareILb0ELb1EiNS0_19identity_decomposerEEEEE10hipError_tT0_T1_T2_jT3_P12ihipStream_tbPNSt15iterator_traitsISI_E10value_typeEPNSO_ISJ_E10value_typeEPSK_NS1_7vsmem_tEENKUlT_SI_SJ_SK_E_clISD_PiSD_S10_EESH_SX_SI_SJ_SK_EUlSX_E1_NS1_11comp_targetILNS1_3genE10ELNS1_11target_archE1201ELNS1_3gpuE5ELNS1_3repE0EEENS1_36merge_oddeven_config_static_selectorELNS0_4arch9wavefront6targetE0EEEvSJ_
                                        ; -- End function
	.set _ZN7rocprim17ROCPRIM_400000_NS6detail17trampoline_kernelINS0_14default_configENS1_38merge_sort_block_merge_config_selectorIiiEEZZNS1_27merge_sort_block_merge_implIS3_N6thrust23THRUST_200600_302600_NS6detail15normal_iteratorINS8_10device_ptrIiEEEESD_jNS1_19radix_merge_compareILb0ELb1EiNS0_19identity_decomposerEEEEE10hipError_tT0_T1_T2_jT3_P12ihipStream_tbPNSt15iterator_traitsISI_E10value_typeEPNSO_ISJ_E10value_typeEPSK_NS1_7vsmem_tEENKUlT_SI_SJ_SK_E_clISD_PiSD_S10_EESH_SX_SI_SJ_SK_EUlSX_E1_NS1_11comp_targetILNS1_3genE10ELNS1_11target_archE1201ELNS1_3gpuE5ELNS1_3repE0EEENS1_36merge_oddeven_config_static_selectorELNS0_4arch9wavefront6targetE0EEEvSJ_.num_vgpr, 0
	.set _ZN7rocprim17ROCPRIM_400000_NS6detail17trampoline_kernelINS0_14default_configENS1_38merge_sort_block_merge_config_selectorIiiEEZZNS1_27merge_sort_block_merge_implIS3_N6thrust23THRUST_200600_302600_NS6detail15normal_iteratorINS8_10device_ptrIiEEEESD_jNS1_19radix_merge_compareILb0ELb1EiNS0_19identity_decomposerEEEEE10hipError_tT0_T1_T2_jT3_P12ihipStream_tbPNSt15iterator_traitsISI_E10value_typeEPNSO_ISJ_E10value_typeEPSK_NS1_7vsmem_tEENKUlT_SI_SJ_SK_E_clISD_PiSD_S10_EESH_SX_SI_SJ_SK_EUlSX_E1_NS1_11comp_targetILNS1_3genE10ELNS1_11target_archE1201ELNS1_3gpuE5ELNS1_3repE0EEENS1_36merge_oddeven_config_static_selectorELNS0_4arch9wavefront6targetE0EEEvSJ_.num_agpr, 0
	.set _ZN7rocprim17ROCPRIM_400000_NS6detail17trampoline_kernelINS0_14default_configENS1_38merge_sort_block_merge_config_selectorIiiEEZZNS1_27merge_sort_block_merge_implIS3_N6thrust23THRUST_200600_302600_NS6detail15normal_iteratorINS8_10device_ptrIiEEEESD_jNS1_19radix_merge_compareILb0ELb1EiNS0_19identity_decomposerEEEEE10hipError_tT0_T1_T2_jT3_P12ihipStream_tbPNSt15iterator_traitsISI_E10value_typeEPNSO_ISJ_E10value_typeEPSK_NS1_7vsmem_tEENKUlT_SI_SJ_SK_E_clISD_PiSD_S10_EESH_SX_SI_SJ_SK_EUlSX_E1_NS1_11comp_targetILNS1_3genE10ELNS1_11target_archE1201ELNS1_3gpuE5ELNS1_3repE0EEENS1_36merge_oddeven_config_static_selectorELNS0_4arch9wavefront6targetE0EEEvSJ_.numbered_sgpr, 0
	.set _ZN7rocprim17ROCPRIM_400000_NS6detail17trampoline_kernelINS0_14default_configENS1_38merge_sort_block_merge_config_selectorIiiEEZZNS1_27merge_sort_block_merge_implIS3_N6thrust23THRUST_200600_302600_NS6detail15normal_iteratorINS8_10device_ptrIiEEEESD_jNS1_19radix_merge_compareILb0ELb1EiNS0_19identity_decomposerEEEEE10hipError_tT0_T1_T2_jT3_P12ihipStream_tbPNSt15iterator_traitsISI_E10value_typeEPNSO_ISJ_E10value_typeEPSK_NS1_7vsmem_tEENKUlT_SI_SJ_SK_E_clISD_PiSD_S10_EESH_SX_SI_SJ_SK_EUlSX_E1_NS1_11comp_targetILNS1_3genE10ELNS1_11target_archE1201ELNS1_3gpuE5ELNS1_3repE0EEENS1_36merge_oddeven_config_static_selectorELNS0_4arch9wavefront6targetE0EEEvSJ_.num_named_barrier, 0
	.set _ZN7rocprim17ROCPRIM_400000_NS6detail17trampoline_kernelINS0_14default_configENS1_38merge_sort_block_merge_config_selectorIiiEEZZNS1_27merge_sort_block_merge_implIS3_N6thrust23THRUST_200600_302600_NS6detail15normal_iteratorINS8_10device_ptrIiEEEESD_jNS1_19radix_merge_compareILb0ELb1EiNS0_19identity_decomposerEEEEE10hipError_tT0_T1_T2_jT3_P12ihipStream_tbPNSt15iterator_traitsISI_E10value_typeEPNSO_ISJ_E10value_typeEPSK_NS1_7vsmem_tEENKUlT_SI_SJ_SK_E_clISD_PiSD_S10_EESH_SX_SI_SJ_SK_EUlSX_E1_NS1_11comp_targetILNS1_3genE10ELNS1_11target_archE1201ELNS1_3gpuE5ELNS1_3repE0EEENS1_36merge_oddeven_config_static_selectorELNS0_4arch9wavefront6targetE0EEEvSJ_.private_seg_size, 0
	.set _ZN7rocprim17ROCPRIM_400000_NS6detail17trampoline_kernelINS0_14default_configENS1_38merge_sort_block_merge_config_selectorIiiEEZZNS1_27merge_sort_block_merge_implIS3_N6thrust23THRUST_200600_302600_NS6detail15normal_iteratorINS8_10device_ptrIiEEEESD_jNS1_19radix_merge_compareILb0ELb1EiNS0_19identity_decomposerEEEEE10hipError_tT0_T1_T2_jT3_P12ihipStream_tbPNSt15iterator_traitsISI_E10value_typeEPNSO_ISJ_E10value_typeEPSK_NS1_7vsmem_tEENKUlT_SI_SJ_SK_E_clISD_PiSD_S10_EESH_SX_SI_SJ_SK_EUlSX_E1_NS1_11comp_targetILNS1_3genE10ELNS1_11target_archE1201ELNS1_3gpuE5ELNS1_3repE0EEENS1_36merge_oddeven_config_static_selectorELNS0_4arch9wavefront6targetE0EEEvSJ_.uses_vcc, 0
	.set _ZN7rocprim17ROCPRIM_400000_NS6detail17trampoline_kernelINS0_14default_configENS1_38merge_sort_block_merge_config_selectorIiiEEZZNS1_27merge_sort_block_merge_implIS3_N6thrust23THRUST_200600_302600_NS6detail15normal_iteratorINS8_10device_ptrIiEEEESD_jNS1_19radix_merge_compareILb0ELb1EiNS0_19identity_decomposerEEEEE10hipError_tT0_T1_T2_jT3_P12ihipStream_tbPNSt15iterator_traitsISI_E10value_typeEPNSO_ISJ_E10value_typeEPSK_NS1_7vsmem_tEENKUlT_SI_SJ_SK_E_clISD_PiSD_S10_EESH_SX_SI_SJ_SK_EUlSX_E1_NS1_11comp_targetILNS1_3genE10ELNS1_11target_archE1201ELNS1_3gpuE5ELNS1_3repE0EEENS1_36merge_oddeven_config_static_selectorELNS0_4arch9wavefront6targetE0EEEvSJ_.uses_flat_scratch, 0
	.set _ZN7rocprim17ROCPRIM_400000_NS6detail17trampoline_kernelINS0_14default_configENS1_38merge_sort_block_merge_config_selectorIiiEEZZNS1_27merge_sort_block_merge_implIS3_N6thrust23THRUST_200600_302600_NS6detail15normal_iteratorINS8_10device_ptrIiEEEESD_jNS1_19radix_merge_compareILb0ELb1EiNS0_19identity_decomposerEEEEE10hipError_tT0_T1_T2_jT3_P12ihipStream_tbPNSt15iterator_traitsISI_E10value_typeEPNSO_ISJ_E10value_typeEPSK_NS1_7vsmem_tEENKUlT_SI_SJ_SK_E_clISD_PiSD_S10_EESH_SX_SI_SJ_SK_EUlSX_E1_NS1_11comp_targetILNS1_3genE10ELNS1_11target_archE1201ELNS1_3gpuE5ELNS1_3repE0EEENS1_36merge_oddeven_config_static_selectorELNS0_4arch9wavefront6targetE0EEEvSJ_.has_dyn_sized_stack, 0
	.set _ZN7rocprim17ROCPRIM_400000_NS6detail17trampoline_kernelINS0_14default_configENS1_38merge_sort_block_merge_config_selectorIiiEEZZNS1_27merge_sort_block_merge_implIS3_N6thrust23THRUST_200600_302600_NS6detail15normal_iteratorINS8_10device_ptrIiEEEESD_jNS1_19radix_merge_compareILb0ELb1EiNS0_19identity_decomposerEEEEE10hipError_tT0_T1_T2_jT3_P12ihipStream_tbPNSt15iterator_traitsISI_E10value_typeEPNSO_ISJ_E10value_typeEPSK_NS1_7vsmem_tEENKUlT_SI_SJ_SK_E_clISD_PiSD_S10_EESH_SX_SI_SJ_SK_EUlSX_E1_NS1_11comp_targetILNS1_3genE10ELNS1_11target_archE1201ELNS1_3gpuE5ELNS1_3repE0EEENS1_36merge_oddeven_config_static_selectorELNS0_4arch9wavefront6targetE0EEEvSJ_.has_recursion, 0
	.set _ZN7rocprim17ROCPRIM_400000_NS6detail17trampoline_kernelINS0_14default_configENS1_38merge_sort_block_merge_config_selectorIiiEEZZNS1_27merge_sort_block_merge_implIS3_N6thrust23THRUST_200600_302600_NS6detail15normal_iteratorINS8_10device_ptrIiEEEESD_jNS1_19radix_merge_compareILb0ELb1EiNS0_19identity_decomposerEEEEE10hipError_tT0_T1_T2_jT3_P12ihipStream_tbPNSt15iterator_traitsISI_E10value_typeEPNSO_ISJ_E10value_typeEPSK_NS1_7vsmem_tEENKUlT_SI_SJ_SK_E_clISD_PiSD_S10_EESH_SX_SI_SJ_SK_EUlSX_E1_NS1_11comp_targetILNS1_3genE10ELNS1_11target_archE1201ELNS1_3gpuE5ELNS1_3repE0EEENS1_36merge_oddeven_config_static_selectorELNS0_4arch9wavefront6targetE0EEEvSJ_.has_indirect_call, 0
	.section	.AMDGPU.csdata,"",@progbits
; Kernel info:
; codeLenInByte = 0
; TotalNumSgprs: 0
; NumVgprs: 0
; ScratchSize: 0
; MemoryBound: 0
; FloatMode: 240
; IeeeMode: 1
; LDSByteSize: 0 bytes/workgroup (compile time only)
; SGPRBlocks: 0
; VGPRBlocks: 0
; NumSGPRsForWavesPerEU: 1
; NumVGPRsForWavesPerEU: 1
; Occupancy: 16
; WaveLimiterHint : 0
; COMPUTE_PGM_RSRC2:SCRATCH_EN: 0
; COMPUTE_PGM_RSRC2:USER_SGPR: 6
; COMPUTE_PGM_RSRC2:TRAP_HANDLER: 0
; COMPUTE_PGM_RSRC2:TGID_X_EN: 1
; COMPUTE_PGM_RSRC2:TGID_Y_EN: 0
; COMPUTE_PGM_RSRC2:TGID_Z_EN: 0
; COMPUTE_PGM_RSRC2:TIDIG_COMP_CNT: 0
	.section	.text._ZN7rocprim17ROCPRIM_400000_NS6detail17trampoline_kernelINS0_14default_configENS1_38merge_sort_block_merge_config_selectorIiiEEZZNS1_27merge_sort_block_merge_implIS3_N6thrust23THRUST_200600_302600_NS6detail15normal_iteratorINS8_10device_ptrIiEEEESD_jNS1_19radix_merge_compareILb0ELb1EiNS0_19identity_decomposerEEEEE10hipError_tT0_T1_T2_jT3_P12ihipStream_tbPNSt15iterator_traitsISI_E10value_typeEPNSO_ISJ_E10value_typeEPSK_NS1_7vsmem_tEENKUlT_SI_SJ_SK_E_clISD_PiSD_S10_EESH_SX_SI_SJ_SK_EUlSX_E1_NS1_11comp_targetILNS1_3genE5ELNS1_11target_archE942ELNS1_3gpuE9ELNS1_3repE0EEENS1_36merge_oddeven_config_static_selectorELNS0_4arch9wavefront6targetE0EEEvSJ_,"axG",@progbits,_ZN7rocprim17ROCPRIM_400000_NS6detail17trampoline_kernelINS0_14default_configENS1_38merge_sort_block_merge_config_selectorIiiEEZZNS1_27merge_sort_block_merge_implIS3_N6thrust23THRUST_200600_302600_NS6detail15normal_iteratorINS8_10device_ptrIiEEEESD_jNS1_19radix_merge_compareILb0ELb1EiNS0_19identity_decomposerEEEEE10hipError_tT0_T1_T2_jT3_P12ihipStream_tbPNSt15iterator_traitsISI_E10value_typeEPNSO_ISJ_E10value_typeEPSK_NS1_7vsmem_tEENKUlT_SI_SJ_SK_E_clISD_PiSD_S10_EESH_SX_SI_SJ_SK_EUlSX_E1_NS1_11comp_targetILNS1_3genE5ELNS1_11target_archE942ELNS1_3gpuE9ELNS1_3repE0EEENS1_36merge_oddeven_config_static_selectorELNS0_4arch9wavefront6targetE0EEEvSJ_,comdat
	.protected	_ZN7rocprim17ROCPRIM_400000_NS6detail17trampoline_kernelINS0_14default_configENS1_38merge_sort_block_merge_config_selectorIiiEEZZNS1_27merge_sort_block_merge_implIS3_N6thrust23THRUST_200600_302600_NS6detail15normal_iteratorINS8_10device_ptrIiEEEESD_jNS1_19radix_merge_compareILb0ELb1EiNS0_19identity_decomposerEEEEE10hipError_tT0_T1_T2_jT3_P12ihipStream_tbPNSt15iterator_traitsISI_E10value_typeEPNSO_ISJ_E10value_typeEPSK_NS1_7vsmem_tEENKUlT_SI_SJ_SK_E_clISD_PiSD_S10_EESH_SX_SI_SJ_SK_EUlSX_E1_NS1_11comp_targetILNS1_3genE5ELNS1_11target_archE942ELNS1_3gpuE9ELNS1_3repE0EEENS1_36merge_oddeven_config_static_selectorELNS0_4arch9wavefront6targetE0EEEvSJ_ ; -- Begin function _ZN7rocprim17ROCPRIM_400000_NS6detail17trampoline_kernelINS0_14default_configENS1_38merge_sort_block_merge_config_selectorIiiEEZZNS1_27merge_sort_block_merge_implIS3_N6thrust23THRUST_200600_302600_NS6detail15normal_iteratorINS8_10device_ptrIiEEEESD_jNS1_19radix_merge_compareILb0ELb1EiNS0_19identity_decomposerEEEEE10hipError_tT0_T1_T2_jT3_P12ihipStream_tbPNSt15iterator_traitsISI_E10value_typeEPNSO_ISJ_E10value_typeEPSK_NS1_7vsmem_tEENKUlT_SI_SJ_SK_E_clISD_PiSD_S10_EESH_SX_SI_SJ_SK_EUlSX_E1_NS1_11comp_targetILNS1_3genE5ELNS1_11target_archE942ELNS1_3gpuE9ELNS1_3repE0EEENS1_36merge_oddeven_config_static_selectorELNS0_4arch9wavefront6targetE0EEEvSJ_
	.globl	_ZN7rocprim17ROCPRIM_400000_NS6detail17trampoline_kernelINS0_14default_configENS1_38merge_sort_block_merge_config_selectorIiiEEZZNS1_27merge_sort_block_merge_implIS3_N6thrust23THRUST_200600_302600_NS6detail15normal_iteratorINS8_10device_ptrIiEEEESD_jNS1_19radix_merge_compareILb0ELb1EiNS0_19identity_decomposerEEEEE10hipError_tT0_T1_T2_jT3_P12ihipStream_tbPNSt15iterator_traitsISI_E10value_typeEPNSO_ISJ_E10value_typeEPSK_NS1_7vsmem_tEENKUlT_SI_SJ_SK_E_clISD_PiSD_S10_EESH_SX_SI_SJ_SK_EUlSX_E1_NS1_11comp_targetILNS1_3genE5ELNS1_11target_archE942ELNS1_3gpuE9ELNS1_3repE0EEENS1_36merge_oddeven_config_static_selectorELNS0_4arch9wavefront6targetE0EEEvSJ_
	.p2align	8
	.type	_ZN7rocprim17ROCPRIM_400000_NS6detail17trampoline_kernelINS0_14default_configENS1_38merge_sort_block_merge_config_selectorIiiEEZZNS1_27merge_sort_block_merge_implIS3_N6thrust23THRUST_200600_302600_NS6detail15normal_iteratorINS8_10device_ptrIiEEEESD_jNS1_19radix_merge_compareILb0ELb1EiNS0_19identity_decomposerEEEEE10hipError_tT0_T1_T2_jT3_P12ihipStream_tbPNSt15iterator_traitsISI_E10value_typeEPNSO_ISJ_E10value_typeEPSK_NS1_7vsmem_tEENKUlT_SI_SJ_SK_E_clISD_PiSD_S10_EESH_SX_SI_SJ_SK_EUlSX_E1_NS1_11comp_targetILNS1_3genE5ELNS1_11target_archE942ELNS1_3gpuE9ELNS1_3repE0EEENS1_36merge_oddeven_config_static_selectorELNS0_4arch9wavefront6targetE0EEEvSJ_,@function
_ZN7rocprim17ROCPRIM_400000_NS6detail17trampoline_kernelINS0_14default_configENS1_38merge_sort_block_merge_config_selectorIiiEEZZNS1_27merge_sort_block_merge_implIS3_N6thrust23THRUST_200600_302600_NS6detail15normal_iteratorINS8_10device_ptrIiEEEESD_jNS1_19radix_merge_compareILb0ELb1EiNS0_19identity_decomposerEEEEE10hipError_tT0_T1_T2_jT3_P12ihipStream_tbPNSt15iterator_traitsISI_E10value_typeEPNSO_ISJ_E10value_typeEPSK_NS1_7vsmem_tEENKUlT_SI_SJ_SK_E_clISD_PiSD_S10_EESH_SX_SI_SJ_SK_EUlSX_E1_NS1_11comp_targetILNS1_3genE5ELNS1_11target_archE942ELNS1_3gpuE9ELNS1_3repE0EEENS1_36merge_oddeven_config_static_selectorELNS0_4arch9wavefront6targetE0EEEvSJ_: ; @_ZN7rocprim17ROCPRIM_400000_NS6detail17trampoline_kernelINS0_14default_configENS1_38merge_sort_block_merge_config_selectorIiiEEZZNS1_27merge_sort_block_merge_implIS3_N6thrust23THRUST_200600_302600_NS6detail15normal_iteratorINS8_10device_ptrIiEEEESD_jNS1_19radix_merge_compareILb0ELb1EiNS0_19identity_decomposerEEEEE10hipError_tT0_T1_T2_jT3_P12ihipStream_tbPNSt15iterator_traitsISI_E10value_typeEPNSO_ISJ_E10value_typeEPSK_NS1_7vsmem_tEENKUlT_SI_SJ_SK_E_clISD_PiSD_S10_EESH_SX_SI_SJ_SK_EUlSX_E1_NS1_11comp_targetILNS1_3genE5ELNS1_11target_archE942ELNS1_3gpuE9ELNS1_3repE0EEENS1_36merge_oddeven_config_static_selectorELNS0_4arch9wavefront6targetE0EEEvSJ_
; %bb.0:
	.section	.rodata,"a",@progbits
	.p2align	6, 0x0
	.amdhsa_kernel _ZN7rocprim17ROCPRIM_400000_NS6detail17trampoline_kernelINS0_14default_configENS1_38merge_sort_block_merge_config_selectorIiiEEZZNS1_27merge_sort_block_merge_implIS3_N6thrust23THRUST_200600_302600_NS6detail15normal_iteratorINS8_10device_ptrIiEEEESD_jNS1_19radix_merge_compareILb0ELb1EiNS0_19identity_decomposerEEEEE10hipError_tT0_T1_T2_jT3_P12ihipStream_tbPNSt15iterator_traitsISI_E10value_typeEPNSO_ISJ_E10value_typeEPSK_NS1_7vsmem_tEENKUlT_SI_SJ_SK_E_clISD_PiSD_S10_EESH_SX_SI_SJ_SK_EUlSX_E1_NS1_11comp_targetILNS1_3genE5ELNS1_11target_archE942ELNS1_3gpuE9ELNS1_3repE0EEENS1_36merge_oddeven_config_static_selectorELNS0_4arch9wavefront6targetE0EEEvSJ_
		.amdhsa_group_segment_fixed_size 0
		.amdhsa_private_segment_fixed_size 0
		.amdhsa_kernarg_size 48
		.amdhsa_user_sgpr_count 6
		.amdhsa_user_sgpr_private_segment_buffer 1
		.amdhsa_user_sgpr_dispatch_ptr 0
		.amdhsa_user_sgpr_queue_ptr 0
		.amdhsa_user_sgpr_kernarg_segment_ptr 1
		.amdhsa_user_sgpr_dispatch_id 0
		.amdhsa_user_sgpr_flat_scratch_init 0
		.amdhsa_user_sgpr_private_segment_size 0
		.amdhsa_wavefront_size32 1
		.amdhsa_uses_dynamic_stack 0
		.amdhsa_system_sgpr_private_segment_wavefront_offset 0
		.amdhsa_system_sgpr_workgroup_id_x 1
		.amdhsa_system_sgpr_workgroup_id_y 0
		.amdhsa_system_sgpr_workgroup_id_z 0
		.amdhsa_system_sgpr_workgroup_info 0
		.amdhsa_system_vgpr_workitem_id 0
		.amdhsa_next_free_vgpr 1
		.amdhsa_next_free_sgpr 1
		.amdhsa_reserve_vcc 0
		.amdhsa_reserve_flat_scratch 0
		.amdhsa_float_round_mode_32 0
		.amdhsa_float_round_mode_16_64 0
		.amdhsa_float_denorm_mode_32 3
		.amdhsa_float_denorm_mode_16_64 3
		.amdhsa_dx10_clamp 1
		.amdhsa_ieee_mode 1
		.amdhsa_fp16_overflow 0
		.amdhsa_workgroup_processor_mode 1
		.amdhsa_memory_ordered 1
		.amdhsa_forward_progress 1
		.amdhsa_shared_vgpr_count 0
		.amdhsa_exception_fp_ieee_invalid_op 0
		.amdhsa_exception_fp_denorm_src 0
		.amdhsa_exception_fp_ieee_div_zero 0
		.amdhsa_exception_fp_ieee_overflow 0
		.amdhsa_exception_fp_ieee_underflow 0
		.amdhsa_exception_fp_ieee_inexact 0
		.amdhsa_exception_int_div_zero 0
	.end_amdhsa_kernel
	.section	.text._ZN7rocprim17ROCPRIM_400000_NS6detail17trampoline_kernelINS0_14default_configENS1_38merge_sort_block_merge_config_selectorIiiEEZZNS1_27merge_sort_block_merge_implIS3_N6thrust23THRUST_200600_302600_NS6detail15normal_iteratorINS8_10device_ptrIiEEEESD_jNS1_19radix_merge_compareILb0ELb1EiNS0_19identity_decomposerEEEEE10hipError_tT0_T1_T2_jT3_P12ihipStream_tbPNSt15iterator_traitsISI_E10value_typeEPNSO_ISJ_E10value_typeEPSK_NS1_7vsmem_tEENKUlT_SI_SJ_SK_E_clISD_PiSD_S10_EESH_SX_SI_SJ_SK_EUlSX_E1_NS1_11comp_targetILNS1_3genE5ELNS1_11target_archE942ELNS1_3gpuE9ELNS1_3repE0EEENS1_36merge_oddeven_config_static_selectorELNS0_4arch9wavefront6targetE0EEEvSJ_,"axG",@progbits,_ZN7rocprim17ROCPRIM_400000_NS6detail17trampoline_kernelINS0_14default_configENS1_38merge_sort_block_merge_config_selectorIiiEEZZNS1_27merge_sort_block_merge_implIS3_N6thrust23THRUST_200600_302600_NS6detail15normal_iteratorINS8_10device_ptrIiEEEESD_jNS1_19radix_merge_compareILb0ELb1EiNS0_19identity_decomposerEEEEE10hipError_tT0_T1_T2_jT3_P12ihipStream_tbPNSt15iterator_traitsISI_E10value_typeEPNSO_ISJ_E10value_typeEPSK_NS1_7vsmem_tEENKUlT_SI_SJ_SK_E_clISD_PiSD_S10_EESH_SX_SI_SJ_SK_EUlSX_E1_NS1_11comp_targetILNS1_3genE5ELNS1_11target_archE942ELNS1_3gpuE9ELNS1_3repE0EEENS1_36merge_oddeven_config_static_selectorELNS0_4arch9wavefront6targetE0EEEvSJ_,comdat
.Lfunc_end798:
	.size	_ZN7rocprim17ROCPRIM_400000_NS6detail17trampoline_kernelINS0_14default_configENS1_38merge_sort_block_merge_config_selectorIiiEEZZNS1_27merge_sort_block_merge_implIS3_N6thrust23THRUST_200600_302600_NS6detail15normal_iteratorINS8_10device_ptrIiEEEESD_jNS1_19radix_merge_compareILb0ELb1EiNS0_19identity_decomposerEEEEE10hipError_tT0_T1_T2_jT3_P12ihipStream_tbPNSt15iterator_traitsISI_E10value_typeEPNSO_ISJ_E10value_typeEPSK_NS1_7vsmem_tEENKUlT_SI_SJ_SK_E_clISD_PiSD_S10_EESH_SX_SI_SJ_SK_EUlSX_E1_NS1_11comp_targetILNS1_3genE5ELNS1_11target_archE942ELNS1_3gpuE9ELNS1_3repE0EEENS1_36merge_oddeven_config_static_selectorELNS0_4arch9wavefront6targetE0EEEvSJ_, .Lfunc_end798-_ZN7rocprim17ROCPRIM_400000_NS6detail17trampoline_kernelINS0_14default_configENS1_38merge_sort_block_merge_config_selectorIiiEEZZNS1_27merge_sort_block_merge_implIS3_N6thrust23THRUST_200600_302600_NS6detail15normal_iteratorINS8_10device_ptrIiEEEESD_jNS1_19radix_merge_compareILb0ELb1EiNS0_19identity_decomposerEEEEE10hipError_tT0_T1_T2_jT3_P12ihipStream_tbPNSt15iterator_traitsISI_E10value_typeEPNSO_ISJ_E10value_typeEPSK_NS1_7vsmem_tEENKUlT_SI_SJ_SK_E_clISD_PiSD_S10_EESH_SX_SI_SJ_SK_EUlSX_E1_NS1_11comp_targetILNS1_3genE5ELNS1_11target_archE942ELNS1_3gpuE9ELNS1_3repE0EEENS1_36merge_oddeven_config_static_selectorELNS0_4arch9wavefront6targetE0EEEvSJ_
                                        ; -- End function
	.set _ZN7rocprim17ROCPRIM_400000_NS6detail17trampoline_kernelINS0_14default_configENS1_38merge_sort_block_merge_config_selectorIiiEEZZNS1_27merge_sort_block_merge_implIS3_N6thrust23THRUST_200600_302600_NS6detail15normal_iteratorINS8_10device_ptrIiEEEESD_jNS1_19radix_merge_compareILb0ELb1EiNS0_19identity_decomposerEEEEE10hipError_tT0_T1_T2_jT3_P12ihipStream_tbPNSt15iterator_traitsISI_E10value_typeEPNSO_ISJ_E10value_typeEPSK_NS1_7vsmem_tEENKUlT_SI_SJ_SK_E_clISD_PiSD_S10_EESH_SX_SI_SJ_SK_EUlSX_E1_NS1_11comp_targetILNS1_3genE5ELNS1_11target_archE942ELNS1_3gpuE9ELNS1_3repE0EEENS1_36merge_oddeven_config_static_selectorELNS0_4arch9wavefront6targetE0EEEvSJ_.num_vgpr, 0
	.set _ZN7rocprim17ROCPRIM_400000_NS6detail17trampoline_kernelINS0_14default_configENS1_38merge_sort_block_merge_config_selectorIiiEEZZNS1_27merge_sort_block_merge_implIS3_N6thrust23THRUST_200600_302600_NS6detail15normal_iteratorINS8_10device_ptrIiEEEESD_jNS1_19radix_merge_compareILb0ELb1EiNS0_19identity_decomposerEEEEE10hipError_tT0_T1_T2_jT3_P12ihipStream_tbPNSt15iterator_traitsISI_E10value_typeEPNSO_ISJ_E10value_typeEPSK_NS1_7vsmem_tEENKUlT_SI_SJ_SK_E_clISD_PiSD_S10_EESH_SX_SI_SJ_SK_EUlSX_E1_NS1_11comp_targetILNS1_3genE5ELNS1_11target_archE942ELNS1_3gpuE9ELNS1_3repE0EEENS1_36merge_oddeven_config_static_selectorELNS0_4arch9wavefront6targetE0EEEvSJ_.num_agpr, 0
	.set _ZN7rocprim17ROCPRIM_400000_NS6detail17trampoline_kernelINS0_14default_configENS1_38merge_sort_block_merge_config_selectorIiiEEZZNS1_27merge_sort_block_merge_implIS3_N6thrust23THRUST_200600_302600_NS6detail15normal_iteratorINS8_10device_ptrIiEEEESD_jNS1_19radix_merge_compareILb0ELb1EiNS0_19identity_decomposerEEEEE10hipError_tT0_T1_T2_jT3_P12ihipStream_tbPNSt15iterator_traitsISI_E10value_typeEPNSO_ISJ_E10value_typeEPSK_NS1_7vsmem_tEENKUlT_SI_SJ_SK_E_clISD_PiSD_S10_EESH_SX_SI_SJ_SK_EUlSX_E1_NS1_11comp_targetILNS1_3genE5ELNS1_11target_archE942ELNS1_3gpuE9ELNS1_3repE0EEENS1_36merge_oddeven_config_static_selectorELNS0_4arch9wavefront6targetE0EEEvSJ_.numbered_sgpr, 0
	.set _ZN7rocprim17ROCPRIM_400000_NS6detail17trampoline_kernelINS0_14default_configENS1_38merge_sort_block_merge_config_selectorIiiEEZZNS1_27merge_sort_block_merge_implIS3_N6thrust23THRUST_200600_302600_NS6detail15normal_iteratorINS8_10device_ptrIiEEEESD_jNS1_19radix_merge_compareILb0ELb1EiNS0_19identity_decomposerEEEEE10hipError_tT0_T1_T2_jT3_P12ihipStream_tbPNSt15iterator_traitsISI_E10value_typeEPNSO_ISJ_E10value_typeEPSK_NS1_7vsmem_tEENKUlT_SI_SJ_SK_E_clISD_PiSD_S10_EESH_SX_SI_SJ_SK_EUlSX_E1_NS1_11comp_targetILNS1_3genE5ELNS1_11target_archE942ELNS1_3gpuE9ELNS1_3repE0EEENS1_36merge_oddeven_config_static_selectorELNS0_4arch9wavefront6targetE0EEEvSJ_.num_named_barrier, 0
	.set _ZN7rocprim17ROCPRIM_400000_NS6detail17trampoline_kernelINS0_14default_configENS1_38merge_sort_block_merge_config_selectorIiiEEZZNS1_27merge_sort_block_merge_implIS3_N6thrust23THRUST_200600_302600_NS6detail15normal_iteratorINS8_10device_ptrIiEEEESD_jNS1_19radix_merge_compareILb0ELb1EiNS0_19identity_decomposerEEEEE10hipError_tT0_T1_T2_jT3_P12ihipStream_tbPNSt15iterator_traitsISI_E10value_typeEPNSO_ISJ_E10value_typeEPSK_NS1_7vsmem_tEENKUlT_SI_SJ_SK_E_clISD_PiSD_S10_EESH_SX_SI_SJ_SK_EUlSX_E1_NS1_11comp_targetILNS1_3genE5ELNS1_11target_archE942ELNS1_3gpuE9ELNS1_3repE0EEENS1_36merge_oddeven_config_static_selectorELNS0_4arch9wavefront6targetE0EEEvSJ_.private_seg_size, 0
	.set _ZN7rocprim17ROCPRIM_400000_NS6detail17trampoline_kernelINS0_14default_configENS1_38merge_sort_block_merge_config_selectorIiiEEZZNS1_27merge_sort_block_merge_implIS3_N6thrust23THRUST_200600_302600_NS6detail15normal_iteratorINS8_10device_ptrIiEEEESD_jNS1_19radix_merge_compareILb0ELb1EiNS0_19identity_decomposerEEEEE10hipError_tT0_T1_T2_jT3_P12ihipStream_tbPNSt15iterator_traitsISI_E10value_typeEPNSO_ISJ_E10value_typeEPSK_NS1_7vsmem_tEENKUlT_SI_SJ_SK_E_clISD_PiSD_S10_EESH_SX_SI_SJ_SK_EUlSX_E1_NS1_11comp_targetILNS1_3genE5ELNS1_11target_archE942ELNS1_3gpuE9ELNS1_3repE0EEENS1_36merge_oddeven_config_static_selectorELNS0_4arch9wavefront6targetE0EEEvSJ_.uses_vcc, 0
	.set _ZN7rocprim17ROCPRIM_400000_NS6detail17trampoline_kernelINS0_14default_configENS1_38merge_sort_block_merge_config_selectorIiiEEZZNS1_27merge_sort_block_merge_implIS3_N6thrust23THRUST_200600_302600_NS6detail15normal_iteratorINS8_10device_ptrIiEEEESD_jNS1_19radix_merge_compareILb0ELb1EiNS0_19identity_decomposerEEEEE10hipError_tT0_T1_T2_jT3_P12ihipStream_tbPNSt15iterator_traitsISI_E10value_typeEPNSO_ISJ_E10value_typeEPSK_NS1_7vsmem_tEENKUlT_SI_SJ_SK_E_clISD_PiSD_S10_EESH_SX_SI_SJ_SK_EUlSX_E1_NS1_11comp_targetILNS1_3genE5ELNS1_11target_archE942ELNS1_3gpuE9ELNS1_3repE0EEENS1_36merge_oddeven_config_static_selectorELNS0_4arch9wavefront6targetE0EEEvSJ_.uses_flat_scratch, 0
	.set _ZN7rocprim17ROCPRIM_400000_NS6detail17trampoline_kernelINS0_14default_configENS1_38merge_sort_block_merge_config_selectorIiiEEZZNS1_27merge_sort_block_merge_implIS3_N6thrust23THRUST_200600_302600_NS6detail15normal_iteratorINS8_10device_ptrIiEEEESD_jNS1_19radix_merge_compareILb0ELb1EiNS0_19identity_decomposerEEEEE10hipError_tT0_T1_T2_jT3_P12ihipStream_tbPNSt15iterator_traitsISI_E10value_typeEPNSO_ISJ_E10value_typeEPSK_NS1_7vsmem_tEENKUlT_SI_SJ_SK_E_clISD_PiSD_S10_EESH_SX_SI_SJ_SK_EUlSX_E1_NS1_11comp_targetILNS1_3genE5ELNS1_11target_archE942ELNS1_3gpuE9ELNS1_3repE0EEENS1_36merge_oddeven_config_static_selectorELNS0_4arch9wavefront6targetE0EEEvSJ_.has_dyn_sized_stack, 0
	.set _ZN7rocprim17ROCPRIM_400000_NS6detail17trampoline_kernelINS0_14default_configENS1_38merge_sort_block_merge_config_selectorIiiEEZZNS1_27merge_sort_block_merge_implIS3_N6thrust23THRUST_200600_302600_NS6detail15normal_iteratorINS8_10device_ptrIiEEEESD_jNS1_19radix_merge_compareILb0ELb1EiNS0_19identity_decomposerEEEEE10hipError_tT0_T1_T2_jT3_P12ihipStream_tbPNSt15iterator_traitsISI_E10value_typeEPNSO_ISJ_E10value_typeEPSK_NS1_7vsmem_tEENKUlT_SI_SJ_SK_E_clISD_PiSD_S10_EESH_SX_SI_SJ_SK_EUlSX_E1_NS1_11comp_targetILNS1_3genE5ELNS1_11target_archE942ELNS1_3gpuE9ELNS1_3repE0EEENS1_36merge_oddeven_config_static_selectorELNS0_4arch9wavefront6targetE0EEEvSJ_.has_recursion, 0
	.set _ZN7rocprim17ROCPRIM_400000_NS6detail17trampoline_kernelINS0_14default_configENS1_38merge_sort_block_merge_config_selectorIiiEEZZNS1_27merge_sort_block_merge_implIS3_N6thrust23THRUST_200600_302600_NS6detail15normal_iteratorINS8_10device_ptrIiEEEESD_jNS1_19radix_merge_compareILb0ELb1EiNS0_19identity_decomposerEEEEE10hipError_tT0_T1_T2_jT3_P12ihipStream_tbPNSt15iterator_traitsISI_E10value_typeEPNSO_ISJ_E10value_typeEPSK_NS1_7vsmem_tEENKUlT_SI_SJ_SK_E_clISD_PiSD_S10_EESH_SX_SI_SJ_SK_EUlSX_E1_NS1_11comp_targetILNS1_3genE5ELNS1_11target_archE942ELNS1_3gpuE9ELNS1_3repE0EEENS1_36merge_oddeven_config_static_selectorELNS0_4arch9wavefront6targetE0EEEvSJ_.has_indirect_call, 0
	.section	.AMDGPU.csdata,"",@progbits
; Kernel info:
; codeLenInByte = 0
; TotalNumSgprs: 0
; NumVgprs: 0
; ScratchSize: 0
; MemoryBound: 0
; FloatMode: 240
; IeeeMode: 1
; LDSByteSize: 0 bytes/workgroup (compile time only)
; SGPRBlocks: 0
; VGPRBlocks: 0
; NumSGPRsForWavesPerEU: 1
; NumVGPRsForWavesPerEU: 1
; Occupancy: 16
; WaveLimiterHint : 0
; COMPUTE_PGM_RSRC2:SCRATCH_EN: 0
; COMPUTE_PGM_RSRC2:USER_SGPR: 6
; COMPUTE_PGM_RSRC2:TRAP_HANDLER: 0
; COMPUTE_PGM_RSRC2:TGID_X_EN: 1
; COMPUTE_PGM_RSRC2:TGID_Y_EN: 0
; COMPUTE_PGM_RSRC2:TGID_Z_EN: 0
; COMPUTE_PGM_RSRC2:TIDIG_COMP_CNT: 0
	.section	.text._ZN7rocprim17ROCPRIM_400000_NS6detail17trampoline_kernelINS0_14default_configENS1_38merge_sort_block_merge_config_selectorIiiEEZZNS1_27merge_sort_block_merge_implIS3_N6thrust23THRUST_200600_302600_NS6detail15normal_iteratorINS8_10device_ptrIiEEEESD_jNS1_19radix_merge_compareILb0ELb1EiNS0_19identity_decomposerEEEEE10hipError_tT0_T1_T2_jT3_P12ihipStream_tbPNSt15iterator_traitsISI_E10value_typeEPNSO_ISJ_E10value_typeEPSK_NS1_7vsmem_tEENKUlT_SI_SJ_SK_E_clISD_PiSD_S10_EESH_SX_SI_SJ_SK_EUlSX_E1_NS1_11comp_targetILNS1_3genE4ELNS1_11target_archE910ELNS1_3gpuE8ELNS1_3repE0EEENS1_36merge_oddeven_config_static_selectorELNS0_4arch9wavefront6targetE0EEEvSJ_,"axG",@progbits,_ZN7rocprim17ROCPRIM_400000_NS6detail17trampoline_kernelINS0_14default_configENS1_38merge_sort_block_merge_config_selectorIiiEEZZNS1_27merge_sort_block_merge_implIS3_N6thrust23THRUST_200600_302600_NS6detail15normal_iteratorINS8_10device_ptrIiEEEESD_jNS1_19radix_merge_compareILb0ELb1EiNS0_19identity_decomposerEEEEE10hipError_tT0_T1_T2_jT3_P12ihipStream_tbPNSt15iterator_traitsISI_E10value_typeEPNSO_ISJ_E10value_typeEPSK_NS1_7vsmem_tEENKUlT_SI_SJ_SK_E_clISD_PiSD_S10_EESH_SX_SI_SJ_SK_EUlSX_E1_NS1_11comp_targetILNS1_3genE4ELNS1_11target_archE910ELNS1_3gpuE8ELNS1_3repE0EEENS1_36merge_oddeven_config_static_selectorELNS0_4arch9wavefront6targetE0EEEvSJ_,comdat
	.protected	_ZN7rocprim17ROCPRIM_400000_NS6detail17trampoline_kernelINS0_14default_configENS1_38merge_sort_block_merge_config_selectorIiiEEZZNS1_27merge_sort_block_merge_implIS3_N6thrust23THRUST_200600_302600_NS6detail15normal_iteratorINS8_10device_ptrIiEEEESD_jNS1_19radix_merge_compareILb0ELb1EiNS0_19identity_decomposerEEEEE10hipError_tT0_T1_T2_jT3_P12ihipStream_tbPNSt15iterator_traitsISI_E10value_typeEPNSO_ISJ_E10value_typeEPSK_NS1_7vsmem_tEENKUlT_SI_SJ_SK_E_clISD_PiSD_S10_EESH_SX_SI_SJ_SK_EUlSX_E1_NS1_11comp_targetILNS1_3genE4ELNS1_11target_archE910ELNS1_3gpuE8ELNS1_3repE0EEENS1_36merge_oddeven_config_static_selectorELNS0_4arch9wavefront6targetE0EEEvSJ_ ; -- Begin function _ZN7rocprim17ROCPRIM_400000_NS6detail17trampoline_kernelINS0_14default_configENS1_38merge_sort_block_merge_config_selectorIiiEEZZNS1_27merge_sort_block_merge_implIS3_N6thrust23THRUST_200600_302600_NS6detail15normal_iteratorINS8_10device_ptrIiEEEESD_jNS1_19radix_merge_compareILb0ELb1EiNS0_19identity_decomposerEEEEE10hipError_tT0_T1_T2_jT3_P12ihipStream_tbPNSt15iterator_traitsISI_E10value_typeEPNSO_ISJ_E10value_typeEPSK_NS1_7vsmem_tEENKUlT_SI_SJ_SK_E_clISD_PiSD_S10_EESH_SX_SI_SJ_SK_EUlSX_E1_NS1_11comp_targetILNS1_3genE4ELNS1_11target_archE910ELNS1_3gpuE8ELNS1_3repE0EEENS1_36merge_oddeven_config_static_selectorELNS0_4arch9wavefront6targetE0EEEvSJ_
	.globl	_ZN7rocprim17ROCPRIM_400000_NS6detail17trampoline_kernelINS0_14default_configENS1_38merge_sort_block_merge_config_selectorIiiEEZZNS1_27merge_sort_block_merge_implIS3_N6thrust23THRUST_200600_302600_NS6detail15normal_iteratorINS8_10device_ptrIiEEEESD_jNS1_19radix_merge_compareILb0ELb1EiNS0_19identity_decomposerEEEEE10hipError_tT0_T1_T2_jT3_P12ihipStream_tbPNSt15iterator_traitsISI_E10value_typeEPNSO_ISJ_E10value_typeEPSK_NS1_7vsmem_tEENKUlT_SI_SJ_SK_E_clISD_PiSD_S10_EESH_SX_SI_SJ_SK_EUlSX_E1_NS1_11comp_targetILNS1_3genE4ELNS1_11target_archE910ELNS1_3gpuE8ELNS1_3repE0EEENS1_36merge_oddeven_config_static_selectorELNS0_4arch9wavefront6targetE0EEEvSJ_
	.p2align	8
	.type	_ZN7rocprim17ROCPRIM_400000_NS6detail17trampoline_kernelINS0_14default_configENS1_38merge_sort_block_merge_config_selectorIiiEEZZNS1_27merge_sort_block_merge_implIS3_N6thrust23THRUST_200600_302600_NS6detail15normal_iteratorINS8_10device_ptrIiEEEESD_jNS1_19radix_merge_compareILb0ELb1EiNS0_19identity_decomposerEEEEE10hipError_tT0_T1_T2_jT3_P12ihipStream_tbPNSt15iterator_traitsISI_E10value_typeEPNSO_ISJ_E10value_typeEPSK_NS1_7vsmem_tEENKUlT_SI_SJ_SK_E_clISD_PiSD_S10_EESH_SX_SI_SJ_SK_EUlSX_E1_NS1_11comp_targetILNS1_3genE4ELNS1_11target_archE910ELNS1_3gpuE8ELNS1_3repE0EEENS1_36merge_oddeven_config_static_selectorELNS0_4arch9wavefront6targetE0EEEvSJ_,@function
_ZN7rocprim17ROCPRIM_400000_NS6detail17trampoline_kernelINS0_14default_configENS1_38merge_sort_block_merge_config_selectorIiiEEZZNS1_27merge_sort_block_merge_implIS3_N6thrust23THRUST_200600_302600_NS6detail15normal_iteratorINS8_10device_ptrIiEEEESD_jNS1_19radix_merge_compareILb0ELb1EiNS0_19identity_decomposerEEEEE10hipError_tT0_T1_T2_jT3_P12ihipStream_tbPNSt15iterator_traitsISI_E10value_typeEPNSO_ISJ_E10value_typeEPSK_NS1_7vsmem_tEENKUlT_SI_SJ_SK_E_clISD_PiSD_S10_EESH_SX_SI_SJ_SK_EUlSX_E1_NS1_11comp_targetILNS1_3genE4ELNS1_11target_archE910ELNS1_3gpuE8ELNS1_3repE0EEENS1_36merge_oddeven_config_static_selectorELNS0_4arch9wavefront6targetE0EEEvSJ_: ; @_ZN7rocprim17ROCPRIM_400000_NS6detail17trampoline_kernelINS0_14default_configENS1_38merge_sort_block_merge_config_selectorIiiEEZZNS1_27merge_sort_block_merge_implIS3_N6thrust23THRUST_200600_302600_NS6detail15normal_iteratorINS8_10device_ptrIiEEEESD_jNS1_19radix_merge_compareILb0ELb1EiNS0_19identity_decomposerEEEEE10hipError_tT0_T1_T2_jT3_P12ihipStream_tbPNSt15iterator_traitsISI_E10value_typeEPNSO_ISJ_E10value_typeEPSK_NS1_7vsmem_tEENKUlT_SI_SJ_SK_E_clISD_PiSD_S10_EESH_SX_SI_SJ_SK_EUlSX_E1_NS1_11comp_targetILNS1_3genE4ELNS1_11target_archE910ELNS1_3gpuE8ELNS1_3repE0EEENS1_36merge_oddeven_config_static_selectorELNS0_4arch9wavefront6targetE0EEEvSJ_
; %bb.0:
	.section	.rodata,"a",@progbits
	.p2align	6, 0x0
	.amdhsa_kernel _ZN7rocprim17ROCPRIM_400000_NS6detail17trampoline_kernelINS0_14default_configENS1_38merge_sort_block_merge_config_selectorIiiEEZZNS1_27merge_sort_block_merge_implIS3_N6thrust23THRUST_200600_302600_NS6detail15normal_iteratorINS8_10device_ptrIiEEEESD_jNS1_19radix_merge_compareILb0ELb1EiNS0_19identity_decomposerEEEEE10hipError_tT0_T1_T2_jT3_P12ihipStream_tbPNSt15iterator_traitsISI_E10value_typeEPNSO_ISJ_E10value_typeEPSK_NS1_7vsmem_tEENKUlT_SI_SJ_SK_E_clISD_PiSD_S10_EESH_SX_SI_SJ_SK_EUlSX_E1_NS1_11comp_targetILNS1_3genE4ELNS1_11target_archE910ELNS1_3gpuE8ELNS1_3repE0EEENS1_36merge_oddeven_config_static_selectorELNS0_4arch9wavefront6targetE0EEEvSJ_
		.amdhsa_group_segment_fixed_size 0
		.amdhsa_private_segment_fixed_size 0
		.amdhsa_kernarg_size 48
		.amdhsa_user_sgpr_count 6
		.amdhsa_user_sgpr_private_segment_buffer 1
		.amdhsa_user_sgpr_dispatch_ptr 0
		.amdhsa_user_sgpr_queue_ptr 0
		.amdhsa_user_sgpr_kernarg_segment_ptr 1
		.amdhsa_user_sgpr_dispatch_id 0
		.amdhsa_user_sgpr_flat_scratch_init 0
		.amdhsa_user_sgpr_private_segment_size 0
		.amdhsa_wavefront_size32 1
		.amdhsa_uses_dynamic_stack 0
		.amdhsa_system_sgpr_private_segment_wavefront_offset 0
		.amdhsa_system_sgpr_workgroup_id_x 1
		.amdhsa_system_sgpr_workgroup_id_y 0
		.amdhsa_system_sgpr_workgroup_id_z 0
		.amdhsa_system_sgpr_workgroup_info 0
		.amdhsa_system_vgpr_workitem_id 0
		.amdhsa_next_free_vgpr 1
		.amdhsa_next_free_sgpr 1
		.amdhsa_reserve_vcc 0
		.amdhsa_reserve_flat_scratch 0
		.amdhsa_float_round_mode_32 0
		.amdhsa_float_round_mode_16_64 0
		.amdhsa_float_denorm_mode_32 3
		.amdhsa_float_denorm_mode_16_64 3
		.amdhsa_dx10_clamp 1
		.amdhsa_ieee_mode 1
		.amdhsa_fp16_overflow 0
		.amdhsa_workgroup_processor_mode 1
		.amdhsa_memory_ordered 1
		.amdhsa_forward_progress 1
		.amdhsa_shared_vgpr_count 0
		.amdhsa_exception_fp_ieee_invalid_op 0
		.amdhsa_exception_fp_denorm_src 0
		.amdhsa_exception_fp_ieee_div_zero 0
		.amdhsa_exception_fp_ieee_overflow 0
		.amdhsa_exception_fp_ieee_underflow 0
		.amdhsa_exception_fp_ieee_inexact 0
		.amdhsa_exception_int_div_zero 0
	.end_amdhsa_kernel
	.section	.text._ZN7rocprim17ROCPRIM_400000_NS6detail17trampoline_kernelINS0_14default_configENS1_38merge_sort_block_merge_config_selectorIiiEEZZNS1_27merge_sort_block_merge_implIS3_N6thrust23THRUST_200600_302600_NS6detail15normal_iteratorINS8_10device_ptrIiEEEESD_jNS1_19radix_merge_compareILb0ELb1EiNS0_19identity_decomposerEEEEE10hipError_tT0_T1_T2_jT3_P12ihipStream_tbPNSt15iterator_traitsISI_E10value_typeEPNSO_ISJ_E10value_typeEPSK_NS1_7vsmem_tEENKUlT_SI_SJ_SK_E_clISD_PiSD_S10_EESH_SX_SI_SJ_SK_EUlSX_E1_NS1_11comp_targetILNS1_3genE4ELNS1_11target_archE910ELNS1_3gpuE8ELNS1_3repE0EEENS1_36merge_oddeven_config_static_selectorELNS0_4arch9wavefront6targetE0EEEvSJ_,"axG",@progbits,_ZN7rocprim17ROCPRIM_400000_NS6detail17trampoline_kernelINS0_14default_configENS1_38merge_sort_block_merge_config_selectorIiiEEZZNS1_27merge_sort_block_merge_implIS3_N6thrust23THRUST_200600_302600_NS6detail15normal_iteratorINS8_10device_ptrIiEEEESD_jNS1_19radix_merge_compareILb0ELb1EiNS0_19identity_decomposerEEEEE10hipError_tT0_T1_T2_jT3_P12ihipStream_tbPNSt15iterator_traitsISI_E10value_typeEPNSO_ISJ_E10value_typeEPSK_NS1_7vsmem_tEENKUlT_SI_SJ_SK_E_clISD_PiSD_S10_EESH_SX_SI_SJ_SK_EUlSX_E1_NS1_11comp_targetILNS1_3genE4ELNS1_11target_archE910ELNS1_3gpuE8ELNS1_3repE0EEENS1_36merge_oddeven_config_static_selectorELNS0_4arch9wavefront6targetE0EEEvSJ_,comdat
.Lfunc_end799:
	.size	_ZN7rocprim17ROCPRIM_400000_NS6detail17trampoline_kernelINS0_14default_configENS1_38merge_sort_block_merge_config_selectorIiiEEZZNS1_27merge_sort_block_merge_implIS3_N6thrust23THRUST_200600_302600_NS6detail15normal_iteratorINS8_10device_ptrIiEEEESD_jNS1_19radix_merge_compareILb0ELb1EiNS0_19identity_decomposerEEEEE10hipError_tT0_T1_T2_jT3_P12ihipStream_tbPNSt15iterator_traitsISI_E10value_typeEPNSO_ISJ_E10value_typeEPSK_NS1_7vsmem_tEENKUlT_SI_SJ_SK_E_clISD_PiSD_S10_EESH_SX_SI_SJ_SK_EUlSX_E1_NS1_11comp_targetILNS1_3genE4ELNS1_11target_archE910ELNS1_3gpuE8ELNS1_3repE0EEENS1_36merge_oddeven_config_static_selectorELNS0_4arch9wavefront6targetE0EEEvSJ_, .Lfunc_end799-_ZN7rocprim17ROCPRIM_400000_NS6detail17trampoline_kernelINS0_14default_configENS1_38merge_sort_block_merge_config_selectorIiiEEZZNS1_27merge_sort_block_merge_implIS3_N6thrust23THRUST_200600_302600_NS6detail15normal_iteratorINS8_10device_ptrIiEEEESD_jNS1_19radix_merge_compareILb0ELb1EiNS0_19identity_decomposerEEEEE10hipError_tT0_T1_T2_jT3_P12ihipStream_tbPNSt15iterator_traitsISI_E10value_typeEPNSO_ISJ_E10value_typeEPSK_NS1_7vsmem_tEENKUlT_SI_SJ_SK_E_clISD_PiSD_S10_EESH_SX_SI_SJ_SK_EUlSX_E1_NS1_11comp_targetILNS1_3genE4ELNS1_11target_archE910ELNS1_3gpuE8ELNS1_3repE0EEENS1_36merge_oddeven_config_static_selectorELNS0_4arch9wavefront6targetE0EEEvSJ_
                                        ; -- End function
	.set _ZN7rocprim17ROCPRIM_400000_NS6detail17trampoline_kernelINS0_14default_configENS1_38merge_sort_block_merge_config_selectorIiiEEZZNS1_27merge_sort_block_merge_implIS3_N6thrust23THRUST_200600_302600_NS6detail15normal_iteratorINS8_10device_ptrIiEEEESD_jNS1_19radix_merge_compareILb0ELb1EiNS0_19identity_decomposerEEEEE10hipError_tT0_T1_T2_jT3_P12ihipStream_tbPNSt15iterator_traitsISI_E10value_typeEPNSO_ISJ_E10value_typeEPSK_NS1_7vsmem_tEENKUlT_SI_SJ_SK_E_clISD_PiSD_S10_EESH_SX_SI_SJ_SK_EUlSX_E1_NS1_11comp_targetILNS1_3genE4ELNS1_11target_archE910ELNS1_3gpuE8ELNS1_3repE0EEENS1_36merge_oddeven_config_static_selectorELNS0_4arch9wavefront6targetE0EEEvSJ_.num_vgpr, 0
	.set _ZN7rocprim17ROCPRIM_400000_NS6detail17trampoline_kernelINS0_14default_configENS1_38merge_sort_block_merge_config_selectorIiiEEZZNS1_27merge_sort_block_merge_implIS3_N6thrust23THRUST_200600_302600_NS6detail15normal_iteratorINS8_10device_ptrIiEEEESD_jNS1_19radix_merge_compareILb0ELb1EiNS0_19identity_decomposerEEEEE10hipError_tT0_T1_T2_jT3_P12ihipStream_tbPNSt15iterator_traitsISI_E10value_typeEPNSO_ISJ_E10value_typeEPSK_NS1_7vsmem_tEENKUlT_SI_SJ_SK_E_clISD_PiSD_S10_EESH_SX_SI_SJ_SK_EUlSX_E1_NS1_11comp_targetILNS1_3genE4ELNS1_11target_archE910ELNS1_3gpuE8ELNS1_3repE0EEENS1_36merge_oddeven_config_static_selectorELNS0_4arch9wavefront6targetE0EEEvSJ_.num_agpr, 0
	.set _ZN7rocprim17ROCPRIM_400000_NS6detail17trampoline_kernelINS0_14default_configENS1_38merge_sort_block_merge_config_selectorIiiEEZZNS1_27merge_sort_block_merge_implIS3_N6thrust23THRUST_200600_302600_NS6detail15normal_iteratorINS8_10device_ptrIiEEEESD_jNS1_19radix_merge_compareILb0ELb1EiNS0_19identity_decomposerEEEEE10hipError_tT0_T1_T2_jT3_P12ihipStream_tbPNSt15iterator_traitsISI_E10value_typeEPNSO_ISJ_E10value_typeEPSK_NS1_7vsmem_tEENKUlT_SI_SJ_SK_E_clISD_PiSD_S10_EESH_SX_SI_SJ_SK_EUlSX_E1_NS1_11comp_targetILNS1_3genE4ELNS1_11target_archE910ELNS1_3gpuE8ELNS1_3repE0EEENS1_36merge_oddeven_config_static_selectorELNS0_4arch9wavefront6targetE0EEEvSJ_.numbered_sgpr, 0
	.set _ZN7rocprim17ROCPRIM_400000_NS6detail17trampoline_kernelINS0_14default_configENS1_38merge_sort_block_merge_config_selectorIiiEEZZNS1_27merge_sort_block_merge_implIS3_N6thrust23THRUST_200600_302600_NS6detail15normal_iteratorINS8_10device_ptrIiEEEESD_jNS1_19radix_merge_compareILb0ELb1EiNS0_19identity_decomposerEEEEE10hipError_tT0_T1_T2_jT3_P12ihipStream_tbPNSt15iterator_traitsISI_E10value_typeEPNSO_ISJ_E10value_typeEPSK_NS1_7vsmem_tEENKUlT_SI_SJ_SK_E_clISD_PiSD_S10_EESH_SX_SI_SJ_SK_EUlSX_E1_NS1_11comp_targetILNS1_3genE4ELNS1_11target_archE910ELNS1_3gpuE8ELNS1_3repE0EEENS1_36merge_oddeven_config_static_selectorELNS0_4arch9wavefront6targetE0EEEvSJ_.num_named_barrier, 0
	.set _ZN7rocprim17ROCPRIM_400000_NS6detail17trampoline_kernelINS0_14default_configENS1_38merge_sort_block_merge_config_selectorIiiEEZZNS1_27merge_sort_block_merge_implIS3_N6thrust23THRUST_200600_302600_NS6detail15normal_iteratorINS8_10device_ptrIiEEEESD_jNS1_19radix_merge_compareILb0ELb1EiNS0_19identity_decomposerEEEEE10hipError_tT0_T1_T2_jT3_P12ihipStream_tbPNSt15iterator_traitsISI_E10value_typeEPNSO_ISJ_E10value_typeEPSK_NS1_7vsmem_tEENKUlT_SI_SJ_SK_E_clISD_PiSD_S10_EESH_SX_SI_SJ_SK_EUlSX_E1_NS1_11comp_targetILNS1_3genE4ELNS1_11target_archE910ELNS1_3gpuE8ELNS1_3repE0EEENS1_36merge_oddeven_config_static_selectorELNS0_4arch9wavefront6targetE0EEEvSJ_.private_seg_size, 0
	.set _ZN7rocprim17ROCPRIM_400000_NS6detail17trampoline_kernelINS0_14default_configENS1_38merge_sort_block_merge_config_selectorIiiEEZZNS1_27merge_sort_block_merge_implIS3_N6thrust23THRUST_200600_302600_NS6detail15normal_iteratorINS8_10device_ptrIiEEEESD_jNS1_19radix_merge_compareILb0ELb1EiNS0_19identity_decomposerEEEEE10hipError_tT0_T1_T2_jT3_P12ihipStream_tbPNSt15iterator_traitsISI_E10value_typeEPNSO_ISJ_E10value_typeEPSK_NS1_7vsmem_tEENKUlT_SI_SJ_SK_E_clISD_PiSD_S10_EESH_SX_SI_SJ_SK_EUlSX_E1_NS1_11comp_targetILNS1_3genE4ELNS1_11target_archE910ELNS1_3gpuE8ELNS1_3repE0EEENS1_36merge_oddeven_config_static_selectorELNS0_4arch9wavefront6targetE0EEEvSJ_.uses_vcc, 0
	.set _ZN7rocprim17ROCPRIM_400000_NS6detail17trampoline_kernelINS0_14default_configENS1_38merge_sort_block_merge_config_selectorIiiEEZZNS1_27merge_sort_block_merge_implIS3_N6thrust23THRUST_200600_302600_NS6detail15normal_iteratorINS8_10device_ptrIiEEEESD_jNS1_19radix_merge_compareILb0ELb1EiNS0_19identity_decomposerEEEEE10hipError_tT0_T1_T2_jT3_P12ihipStream_tbPNSt15iterator_traitsISI_E10value_typeEPNSO_ISJ_E10value_typeEPSK_NS1_7vsmem_tEENKUlT_SI_SJ_SK_E_clISD_PiSD_S10_EESH_SX_SI_SJ_SK_EUlSX_E1_NS1_11comp_targetILNS1_3genE4ELNS1_11target_archE910ELNS1_3gpuE8ELNS1_3repE0EEENS1_36merge_oddeven_config_static_selectorELNS0_4arch9wavefront6targetE0EEEvSJ_.uses_flat_scratch, 0
	.set _ZN7rocprim17ROCPRIM_400000_NS6detail17trampoline_kernelINS0_14default_configENS1_38merge_sort_block_merge_config_selectorIiiEEZZNS1_27merge_sort_block_merge_implIS3_N6thrust23THRUST_200600_302600_NS6detail15normal_iteratorINS8_10device_ptrIiEEEESD_jNS1_19radix_merge_compareILb0ELb1EiNS0_19identity_decomposerEEEEE10hipError_tT0_T1_T2_jT3_P12ihipStream_tbPNSt15iterator_traitsISI_E10value_typeEPNSO_ISJ_E10value_typeEPSK_NS1_7vsmem_tEENKUlT_SI_SJ_SK_E_clISD_PiSD_S10_EESH_SX_SI_SJ_SK_EUlSX_E1_NS1_11comp_targetILNS1_3genE4ELNS1_11target_archE910ELNS1_3gpuE8ELNS1_3repE0EEENS1_36merge_oddeven_config_static_selectorELNS0_4arch9wavefront6targetE0EEEvSJ_.has_dyn_sized_stack, 0
	.set _ZN7rocprim17ROCPRIM_400000_NS6detail17trampoline_kernelINS0_14default_configENS1_38merge_sort_block_merge_config_selectorIiiEEZZNS1_27merge_sort_block_merge_implIS3_N6thrust23THRUST_200600_302600_NS6detail15normal_iteratorINS8_10device_ptrIiEEEESD_jNS1_19radix_merge_compareILb0ELb1EiNS0_19identity_decomposerEEEEE10hipError_tT0_T1_T2_jT3_P12ihipStream_tbPNSt15iterator_traitsISI_E10value_typeEPNSO_ISJ_E10value_typeEPSK_NS1_7vsmem_tEENKUlT_SI_SJ_SK_E_clISD_PiSD_S10_EESH_SX_SI_SJ_SK_EUlSX_E1_NS1_11comp_targetILNS1_3genE4ELNS1_11target_archE910ELNS1_3gpuE8ELNS1_3repE0EEENS1_36merge_oddeven_config_static_selectorELNS0_4arch9wavefront6targetE0EEEvSJ_.has_recursion, 0
	.set _ZN7rocprim17ROCPRIM_400000_NS6detail17trampoline_kernelINS0_14default_configENS1_38merge_sort_block_merge_config_selectorIiiEEZZNS1_27merge_sort_block_merge_implIS3_N6thrust23THRUST_200600_302600_NS6detail15normal_iteratorINS8_10device_ptrIiEEEESD_jNS1_19radix_merge_compareILb0ELb1EiNS0_19identity_decomposerEEEEE10hipError_tT0_T1_T2_jT3_P12ihipStream_tbPNSt15iterator_traitsISI_E10value_typeEPNSO_ISJ_E10value_typeEPSK_NS1_7vsmem_tEENKUlT_SI_SJ_SK_E_clISD_PiSD_S10_EESH_SX_SI_SJ_SK_EUlSX_E1_NS1_11comp_targetILNS1_3genE4ELNS1_11target_archE910ELNS1_3gpuE8ELNS1_3repE0EEENS1_36merge_oddeven_config_static_selectorELNS0_4arch9wavefront6targetE0EEEvSJ_.has_indirect_call, 0
	.section	.AMDGPU.csdata,"",@progbits
; Kernel info:
; codeLenInByte = 0
; TotalNumSgprs: 0
; NumVgprs: 0
; ScratchSize: 0
; MemoryBound: 0
; FloatMode: 240
; IeeeMode: 1
; LDSByteSize: 0 bytes/workgroup (compile time only)
; SGPRBlocks: 0
; VGPRBlocks: 0
; NumSGPRsForWavesPerEU: 1
; NumVGPRsForWavesPerEU: 1
; Occupancy: 16
; WaveLimiterHint : 0
; COMPUTE_PGM_RSRC2:SCRATCH_EN: 0
; COMPUTE_PGM_RSRC2:USER_SGPR: 6
; COMPUTE_PGM_RSRC2:TRAP_HANDLER: 0
; COMPUTE_PGM_RSRC2:TGID_X_EN: 1
; COMPUTE_PGM_RSRC2:TGID_Y_EN: 0
; COMPUTE_PGM_RSRC2:TGID_Z_EN: 0
; COMPUTE_PGM_RSRC2:TIDIG_COMP_CNT: 0
	.section	.text._ZN7rocprim17ROCPRIM_400000_NS6detail17trampoline_kernelINS0_14default_configENS1_38merge_sort_block_merge_config_selectorIiiEEZZNS1_27merge_sort_block_merge_implIS3_N6thrust23THRUST_200600_302600_NS6detail15normal_iteratorINS8_10device_ptrIiEEEESD_jNS1_19radix_merge_compareILb0ELb1EiNS0_19identity_decomposerEEEEE10hipError_tT0_T1_T2_jT3_P12ihipStream_tbPNSt15iterator_traitsISI_E10value_typeEPNSO_ISJ_E10value_typeEPSK_NS1_7vsmem_tEENKUlT_SI_SJ_SK_E_clISD_PiSD_S10_EESH_SX_SI_SJ_SK_EUlSX_E1_NS1_11comp_targetILNS1_3genE3ELNS1_11target_archE908ELNS1_3gpuE7ELNS1_3repE0EEENS1_36merge_oddeven_config_static_selectorELNS0_4arch9wavefront6targetE0EEEvSJ_,"axG",@progbits,_ZN7rocprim17ROCPRIM_400000_NS6detail17trampoline_kernelINS0_14default_configENS1_38merge_sort_block_merge_config_selectorIiiEEZZNS1_27merge_sort_block_merge_implIS3_N6thrust23THRUST_200600_302600_NS6detail15normal_iteratorINS8_10device_ptrIiEEEESD_jNS1_19radix_merge_compareILb0ELb1EiNS0_19identity_decomposerEEEEE10hipError_tT0_T1_T2_jT3_P12ihipStream_tbPNSt15iterator_traitsISI_E10value_typeEPNSO_ISJ_E10value_typeEPSK_NS1_7vsmem_tEENKUlT_SI_SJ_SK_E_clISD_PiSD_S10_EESH_SX_SI_SJ_SK_EUlSX_E1_NS1_11comp_targetILNS1_3genE3ELNS1_11target_archE908ELNS1_3gpuE7ELNS1_3repE0EEENS1_36merge_oddeven_config_static_selectorELNS0_4arch9wavefront6targetE0EEEvSJ_,comdat
	.protected	_ZN7rocprim17ROCPRIM_400000_NS6detail17trampoline_kernelINS0_14default_configENS1_38merge_sort_block_merge_config_selectorIiiEEZZNS1_27merge_sort_block_merge_implIS3_N6thrust23THRUST_200600_302600_NS6detail15normal_iteratorINS8_10device_ptrIiEEEESD_jNS1_19radix_merge_compareILb0ELb1EiNS0_19identity_decomposerEEEEE10hipError_tT0_T1_T2_jT3_P12ihipStream_tbPNSt15iterator_traitsISI_E10value_typeEPNSO_ISJ_E10value_typeEPSK_NS1_7vsmem_tEENKUlT_SI_SJ_SK_E_clISD_PiSD_S10_EESH_SX_SI_SJ_SK_EUlSX_E1_NS1_11comp_targetILNS1_3genE3ELNS1_11target_archE908ELNS1_3gpuE7ELNS1_3repE0EEENS1_36merge_oddeven_config_static_selectorELNS0_4arch9wavefront6targetE0EEEvSJ_ ; -- Begin function _ZN7rocprim17ROCPRIM_400000_NS6detail17trampoline_kernelINS0_14default_configENS1_38merge_sort_block_merge_config_selectorIiiEEZZNS1_27merge_sort_block_merge_implIS3_N6thrust23THRUST_200600_302600_NS6detail15normal_iteratorINS8_10device_ptrIiEEEESD_jNS1_19radix_merge_compareILb0ELb1EiNS0_19identity_decomposerEEEEE10hipError_tT0_T1_T2_jT3_P12ihipStream_tbPNSt15iterator_traitsISI_E10value_typeEPNSO_ISJ_E10value_typeEPSK_NS1_7vsmem_tEENKUlT_SI_SJ_SK_E_clISD_PiSD_S10_EESH_SX_SI_SJ_SK_EUlSX_E1_NS1_11comp_targetILNS1_3genE3ELNS1_11target_archE908ELNS1_3gpuE7ELNS1_3repE0EEENS1_36merge_oddeven_config_static_selectorELNS0_4arch9wavefront6targetE0EEEvSJ_
	.globl	_ZN7rocprim17ROCPRIM_400000_NS6detail17trampoline_kernelINS0_14default_configENS1_38merge_sort_block_merge_config_selectorIiiEEZZNS1_27merge_sort_block_merge_implIS3_N6thrust23THRUST_200600_302600_NS6detail15normal_iteratorINS8_10device_ptrIiEEEESD_jNS1_19radix_merge_compareILb0ELb1EiNS0_19identity_decomposerEEEEE10hipError_tT0_T1_T2_jT3_P12ihipStream_tbPNSt15iterator_traitsISI_E10value_typeEPNSO_ISJ_E10value_typeEPSK_NS1_7vsmem_tEENKUlT_SI_SJ_SK_E_clISD_PiSD_S10_EESH_SX_SI_SJ_SK_EUlSX_E1_NS1_11comp_targetILNS1_3genE3ELNS1_11target_archE908ELNS1_3gpuE7ELNS1_3repE0EEENS1_36merge_oddeven_config_static_selectorELNS0_4arch9wavefront6targetE0EEEvSJ_
	.p2align	8
	.type	_ZN7rocprim17ROCPRIM_400000_NS6detail17trampoline_kernelINS0_14default_configENS1_38merge_sort_block_merge_config_selectorIiiEEZZNS1_27merge_sort_block_merge_implIS3_N6thrust23THRUST_200600_302600_NS6detail15normal_iteratorINS8_10device_ptrIiEEEESD_jNS1_19radix_merge_compareILb0ELb1EiNS0_19identity_decomposerEEEEE10hipError_tT0_T1_T2_jT3_P12ihipStream_tbPNSt15iterator_traitsISI_E10value_typeEPNSO_ISJ_E10value_typeEPSK_NS1_7vsmem_tEENKUlT_SI_SJ_SK_E_clISD_PiSD_S10_EESH_SX_SI_SJ_SK_EUlSX_E1_NS1_11comp_targetILNS1_3genE3ELNS1_11target_archE908ELNS1_3gpuE7ELNS1_3repE0EEENS1_36merge_oddeven_config_static_selectorELNS0_4arch9wavefront6targetE0EEEvSJ_,@function
_ZN7rocprim17ROCPRIM_400000_NS6detail17trampoline_kernelINS0_14default_configENS1_38merge_sort_block_merge_config_selectorIiiEEZZNS1_27merge_sort_block_merge_implIS3_N6thrust23THRUST_200600_302600_NS6detail15normal_iteratorINS8_10device_ptrIiEEEESD_jNS1_19radix_merge_compareILb0ELb1EiNS0_19identity_decomposerEEEEE10hipError_tT0_T1_T2_jT3_P12ihipStream_tbPNSt15iterator_traitsISI_E10value_typeEPNSO_ISJ_E10value_typeEPSK_NS1_7vsmem_tEENKUlT_SI_SJ_SK_E_clISD_PiSD_S10_EESH_SX_SI_SJ_SK_EUlSX_E1_NS1_11comp_targetILNS1_3genE3ELNS1_11target_archE908ELNS1_3gpuE7ELNS1_3repE0EEENS1_36merge_oddeven_config_static_selectorELNS0_4arch9wavefront6targetE0EEEvSJ_: ; @_ZN7rocprim17ROCPRIM_400000_NS6detail17trampoline_kernelINS0_14default_configENS1_38merge_sort_block_merge_config_selectorIiiEEZZNS1_27merge_sort_block_merge_implIS3_N6thrust23THRUST_200600_302600_NS6detail15normal_iteratorINS8_10device_ptrIiEEEESD_jNS1_19radix_merge_compareILb0ELb1EiNS0_19identity_decomposerEEEEE10hipError_tT0_T1_T2_jT3_P12ihipStream_tbPNSt15iterator_traitsISI_E10value_typeEPNSO_ISJ_E10value_typeEPSK_NS1_7vsmem_tEENKUlT_SI_SJ_SK_E_clISD_PiSD_S10_EESH_SX_SI_SJ_SK_EUlSX_E1_NS1_11comp_targetILNS1_3genE3ELNS1_11target_archE908ELNS1_3gpuE7ELNS1_3repE0EEENS1_36merge_oddeven_config_static_selectorELNS0_4arch9wavefront6targetE0EEEvSJ_
; %bb.0:
	.section	.rodata,"a",@progbits
	.p2align	6, 0x0
	.amdhsa_kernel _ZN7rocprim17ROCPRIM_400000_NS6detail17trampoline_kernelINS0_14default_configENS1_38merge_sort_block_merge_config_selectorIiiEEZZNS1_27merge_sort_block_merge_implIS3_N6thrust23THRUST_200600_302600_NS6detail15normal_iteratorINS8_10device_ptrIiEEEESD_jNS1_19radix_merge_compareILb0ELb1EiNS0_19identity_decomposerEEEEE10hipError_tT0_T1_T2_jT3_P12ihipStream_tbPNSt15iterator_traitsISI_E10value_typeEPNSO_ISJ_E10value_typeEPSK_NS1_7vsmem_tEENKUlT_SI_SJ_SK_E_clISD_PiSD_S10_EESH_SX_SI_SJ_SK_EUlSX_E1_NS1_11comp_targetILNS1_3genE3ELNS1_11target_archE908ELNS1_3gpuE7ELNS1_3repE0EEENS1_36merge_oddeven_config_static_selectorELNS0_4arch9wavefront6targetE0EEEvSJ_
		.amdhsa_group_segment_fixed_size 0
		.amdhsa_private_segment_fixed_size 0
		.amdhsa_kernarg_size 48
		.amdhsa_user_sgpr_count 6
		.amdhsa_user_sgpr_private_segment_buffer 1
		.amdhsa_user_sgpr_dispatch_ptr 0
		.amdhsa_user_sgpr_queue_ptr 0
		.amdhsa_user_sgpr_kernarg_segment_ptr 1
		.amdhsa_user_sgpr_dispatch_id 0
		.amdhsa_user_sgpr_flat_scratch_init 0
		.amdhsa_user_sgpr_private_segment_size 0
		.amdhsa_wavefront_size32 1
		.amdhsa_uses_dynamic_stack 0
		.amdhsa_system_sgpr_private_segment_wavefront_offset 0
		.amdhsa_system_sgpr_workgroup_id_x 1
		.amdhsa_system_sgpr_workgroup_id_y 0
		.amdhsa_system_sgpr_workgroup_id_z 0
		.amdhsa_system_sgpr_workgroup_info 0
		.amdhsa_system_vgpr_workitem_id 0
		.amdhsa_next_free_vgpr 1
		.amdhsa_next_free_sgpr 1
		.amdhsa_reserve_vcc 0
		.amdhsa_reserve_flat_scratch 0
		.amdhsa_float_round_mode_32 0
		.amdhsa_float_round_mode_16_64 0
		.amdhsa_float_denorm_mode_32 3
		.amdhsa_float_denorm_mode_16_64 3
		.amdhsa_dx10_clamp 1
		.amdhsa_ieee_mode 1
		.amdhsa_fp16_overflow 0
		.amdhsa_workgroup_processor_mode 1
		.amdhsa_memory_ordered 1
		.amdhsa_forward_progress 1
		.amdhsa_shared_vgpr_count 0
		.amdhsa_exception_fp_ieee_invalid_op 0
		.amdhsa_exception_fp_denorm_src 0
		.amdhsa_exception_fp_ieee_div_zero 0
		.amdhsa_exception_fp_ieee_overflow 0
		.amdhsa_exception_fp_ieee_underflow 0
		.amdhsa_exception_fp_ieee_inexact 0
		.amdhsa_exception_int_div_zero 0
	.end_amdhsa_kernel
	.section	.text._ZN7rocprim17ROCPRIM_400000_NS6detail17trampoline_kernelINS0_14default_configENS1_38merge_sort_block_merge_config_selectorIiiEEZZNS1_27merge_sort_block_merge_implIS3_N6thrust23THRUST_200600_302600_NS6detail15normal_iteratorINS8_10device_ptrIiEEEESD_jNS1_19radix_merge_compareILb0ELb1EiNS0_19identity_decomposerEEEEE10hipError_tT0_T1_T2_jT3_P12ihipStream_tbPNSt15iterator_traitsISI_E10value_typeEPNSO_ISJ_E10value_typeEPSK_NS1_7vsmem_tEENKUlT_SI_SJ_SK_E_clISD_PiSD_S10_EESH_SX_SI_SJ_SK_EUlSX_E1_NS1_11comp_targetILNS1_3genE3ELNS1_11target_archE908ELNS1_3gpuE7ELNS1_3repE0EEENS1_36merge_oddeven_config_static_selectorELNS0_4arch9wavefront6targetE0EEEvSJ_,"axG",@progbits,_ZN7rocprim17ROCPRIM_400000_NS6detail17trampoline_kernelINS0_14default_configENS1_38merge_sort_block_merge_config_selectorIiiEEZZNS1_27merge_sort_block_merge_implIS3_N6thrust23THRUST_200600_302600_NS6detail15normal_iteratorINS8_10device_ptrIiEEEESD_jNS1_19radix_merge_compareILb0ELb1EiNS0_19identity_decomposerEEEEE10hipError_tT0_T1_T2_jT3_P12ihipStream_tbPNSt15iterator_traitsISI_E10value_typeEPNSO_ISJ_E10value_typeEPSK_NS1_7vsmem_tEENKUlT_SI_SJ_SK_E_clISD_PiSD_S10_EESH_SX_SI_SJ_SK_EUlSX_E1_NS1_11comp_targetILNS1_3genE3ELNS1_11target_archE908ELNS1_3gpuE7ELNS1_3repE0EEENS1_36merge_oddeven_config_static_selectorELNS0_4arch9wavefront6targetE0EEEvSJ_,comdat
.Lfunc_end800:
	.size	_ZN7rocprim17ROCPRIM_400000_NS6detail17trampoline_kernelINS0_14default_configENS1_38merge_sort_block_merge_config_selectorIiiEEZZNS1_27merge_sort_block_merge_implIS3_N6thrust23THRUST_200600_302600_NS6detail15normal_iteratorINS8_10device_ptrIiEEEESD_jNS1_19radix_merge_compareILb0ELb1EiNS0_19identity_decomposerEEEEE10hipError_tT0_T1_T2_jT3_P12ihipStream_tbPNSt15iterator_traitsISI_E10value_typeEPNSO_ISJ_E10value_typeEPSK_NS1_7vsmem_tEENKUlT_SI_SJ_SK_E_clISD_PiSD_S10_EESH_SX_SI_SJ_SK_EUlSX_E1_NS1_11comp_targetILNS1_3genE3ELNS1_11target_archE908ELNS1_3gpuE7ELNS1_3repE0EEENS1_36merge_oddeven_config_static_selectorELNS0_4arch9wavefront6targetE0EEEvSJ_, .Lfunc_end800-_ZN7rocprim17ROCPRIM_400000_NS6detail17trampoline_kernelINS0_14default_configENS1_38merge_sort_block_merge_config_selectorIiiEEZZNS1_27merge_sort_block_merge_implIS3_N6thrust23THRUST_200600_302600_NS6detail15normal_iteratorINS8_10device_ptrIiEEEESD_jNS1_19radix_merge_compareILb0ELb1EiNS0_19identity_decomposerEEEEE10hipError_tT0_T1_T2_jT3_P12ihipStream_tbPNSt15iterator_traitsISI_E10value_typeEPNSO_ISJ_E10value_typeEPSK_NS1_7vsmem_tEENKUlT_SI_SJ_SK_E_clISD_PiSD_S10_EESH_SX_SI_SJ_SK_EUlSX_E1_NS1_11comp_targetILNS1_3genE3ELNS1_11target_archE908ELNS1_3gpuE7ELNS1_3repE0EEENS1_36merge_oddeven_config_static_selectorELNS0_4arch9wavefront6targetE0EEEvSJ_
                                        ; -- End function
	.set _ZN7rocprim17ROCPRIM_400000_NS6detail17trampoline_kernelINS0_14default_configENS1_38merge_sort_block_merge_config_selectorIiiEEZZNS1_27merge_sort_block_merge_implIS3_N6thrust23THRUST_200600_302600_NS6detail15normal_iteratorINS8_10device_ptrIiEEEESD_jNS1_19radix_merge_compareILb0ELb1EiNS0_19identity_decomposerEEEEE10hipError_tT0_T1_T2_jT3_P12ihipStream_tbPNSt15iterator_traitsISI_E10value_typeEPNSO_ISJ_E10value_typeEPSK_NS1_7vsmem_tEENKUlT_SI_SJ_SK_E_clISD_PiSD_S10_EESH_SX_SI_SJ_SK_EUlSX_E1_NS1_11comp_targetILNS1_3genE3ELNS1_11target_archE908ELNS1_3gpuE7ELNS1_3repE0EEENS1_36merge_oddeven_config_static_selectorELNS0_4arch9wavefront6targetE0EEEvSJ_.num_vgpr, 0
	.set _ZN7rocprim17ROCPRIM_400000_NS6detail17trampoline_kernelINS0_14default_configENS1_38merge_sort_block_merge_config_selectorIiiEEZZNS1_27merge_sort_block_merge_implIS3_N6thrust23THRUST_200600_302600_NS6detail15normal_iteratorINS8_10device_ptrIiEEEESD_jNS1_19radix_merge_compareILb0ELb1EiNS0_19identity_decomposerEEEEE10hipError_tT0_T1_T2_jT3_P12ihipStream_tbPNSt15iterator_traitsISI_E10value_typeEPNSO_ISJ_E10value_typeEPSK_NS1_7vsmem_tEENKUlT_SI_SJ_SK_E_clISD_PiSD_S10_EESH_SX_SI_SJ_SK_EUlSX_E1_NS1_11comp_targetILNS1_3genE3ELNS1_11target_archE908ELNS1_3gpuE7ELNS1_3repE0EEENS1_36merge_oddeven_config_static_selectorELNS0_4arch9wavefront6targetE0EEEvSJ_.num_agpr, 0
	.set _ZN7rocprim17ROCPRIM_400000_NS6detail17trampoline_kernelINS0_14default_configENS1_38merge_sort_block_merge_config_selectorIiiEEZZNS1_27merge_sort_block_merge_implIS3_N6thrust23THRUST_200600_302600_NS6detail15normal_iteratorINS8_10device_ptrIiEEEESD_jNS1_19radix_merge_compareILb0ELb1EiNS0_19identity_decomposerEEEEE10hipError_tT0_T1_T2_jT3_P12ihipStream_tbPNSt15iterator_traitsISI_E10value_typeEPNSO_ISJ_E10value_typeEPSK_NS1_7vsmem_tEENKUlT_SI_SJ_SK_E_clISD_PiSD_S10_EESH_SX_SI_SJ_SK_EUlSX_E1_NS1_11comp_targetILNS1_3genE3ELNS1_11target_archE908ELNS1_3gpuE7ELNS1_3repE0EEENS1_36merge_oddeven_config_static_selectorELNS0_4arch9wavefront6targetE0EEEvSJ_.numbered_sgpr, 0
	.set _ZN7rocprim17ROCPRIM_400000_NS6detail17trampoline_kernelINS0_14default_configENS1_38merge_sort_block_merge_config_selectorIiiEEZZNS1_27merge_sort_block_merge_implIS3_N6thrust23THRUST_200600_302600_NS6detail15normal_iteratorINS8_10device_ptrIiEEEESD_jNS1_19radix_merge_compareILb0ELb1EiNS0_19identity_decomposerEEEEE10hipError_tT0_T1_T2_jT3_P12ihipStream_tbPNSt15iterator_traitsISI_E10value_typeEPNSO_ISJ_E10value_typeEPSK_NS1_7vsmem_tEENKUlT_SI_SJ_SK_E_clISD_PiSD_S10_EESH_SX_SI_SJ_SK_EUlSX_E1_NS1_11comp_targetILNS1_3genE3ELNS1_11target_archE908ELNS1_3gpuE7ELNS1_3repE0EEENS1_36merge_oddeven_config_static_selectorELNS0_4arch9wavefront6targetE0EEEvSJ_.num_named_barrier, 0
	.set _ZN7rocprim17ROCPRIM_400000_NS6detail17trampoline_kernelINS0_14default_configENS1_38merge_sort_block_merge_config_selectorIiiEEZZNS1_27merge_sort_block_merge_implIS3_N6thrust23THRUST_200600_302600_NS6detail15normal_iteratorINS8_10device_ptrIiEEEESD_jNS1_19radix_merge_compareILb0ELb1EiNS0_19identity_decomposerEEEEE10hipError_tT0_T1_T2_jT3_P12ihipStream_tbPNSt15iterator_traitsISI_E10value_typeEPNSO_ISJ_E10value_typeEPSK_NS1_7vsmem_tEENKUlT_SI_SJ_SK_E_clISD_PiSD_S10_EESH_SX_SI_SJ_SK_EUlSX_E1_NS1_11comp_targetILNS1_3genE3ELNS1_11target_archE908ELNS1_3gpuE7ELNS1_3repE0EEENS1_36merge_oddeven_config_static_selectorELNS0_4arch9wavefront6targetE0EEEvSJ_.private_seg_size, 0
	.set _ZN7rocprim17ROCPRIM_400000_NS6detail17trampoline_kernelINS0_14default_configENS1_38merge_sort_block_merge_config_selectorIiiEEZZNS1_27merge_sort_block_merge_implIS3_N6thrust23THRUST_200600_302600_NS6detail15normal_iteratorINS8_10device_ptrIiEEEESD_jNS1_19radix_merge_compareILb0ELb1EiNS0_19identity_decomposerEEEEE10hipError_tT0_T1_T2_jT3_P12ihipStream_tbPNSt15iterator_traitsISI_E10value_typeEPNSO_ISJ_E10value_typeEPSK_NS1_7vsmem_tEENKUlT_SI_SJ_SK_E_clISD_PiSD_S10_EESH_SX_SI_SJ_SK_EUlSX_E1_NS1_11comp_targetILNS1_3genE3ELNS1_11target_archE908ELNS1_3gpuE7ELNS1_3repE0EEENS1_36merge_oddeven_config_static_selectorELNS0_4arch9wavefront6targetE0EEEvSJ_.uses_vcc, 0
	.set _ZN7rocprim17ROCPRIM_400000_NS6detail17trampoline_kernelINS0_14default_configENS1_38merge_sort_block_merge_config_selectorIiiEEZZNS1_27merge_sort_block_merge_implIS3_N6thrust23THRUST_200600_302600_NS6detail15normal_iteratorINS8_10device_ptrIiEEEESD_jNS1_19radix_merge_compareILb0ELb1EiNS0_19identity_decomposerEEEEE10hipError_tT0_T1_T2_jT3_P12ihipStream_tbPNSt15iterator_traitsISI_E10value_typeEPNSO_ISJ_E10value_typeEPSK_NS1_7vsmem_tEENKUlT_SI_SJ_SK_E_clISD_PiSD_S10_EESH_SX_SI_SJ_SK_EUlSX_E1_NS1_11comp_targetILNS1_3genE3ELNS1_11target_archE908ELNS1_3gpuE7ELNS1_3repE0EEENS1_36merge_oddeven_config_static_selectorELNS0_4arch9wavefront6targetE0EEEvSJ_.uses_flat_scratch, 0
	.set _ZN7rocprim17ROCPRIM_400000_NS6detail17trampoline_kernelINS0_14default_configENS1_38merge_sort_block_merge_config_selectorIiiEEZZNS1_27merge_sort_block_merge_implIS3_N6thrust23THRUST_200600_302600_NS6detail15normal_iteratorINS8_10device_ptrIiEEEESD_jNS1_19radix_merge_compareILb0ELb1EiNS0_19identity_decomposerEEEEE10hipError_tT0_T1_T2_jT3_P12ihipStream_tbPNSt15iterator_traitsISI_E10value_typeEPNSO_ISJ_E10value_typeEPSK_NS1_7vsmem_tEENKUlT_SI_SJ_SK_E_clISD_PiSD_S10_EESH_SX_SI_SJ_SK_EUlSX_E1_NS1_11comp_targetILNS1_3genE3ELNS1_11target_archE908ELNS1_3gpuE7ELNS1_3repE0EEENS1_36merge_oddeven_config_static_selectorELNS0_4arch9wavefront6targetE0EEEvSJ_.has_dyn_sized_stack, 0
	.set _ZN7rocprim17ROCPRIM_400000_NS6detail17trampoline_kernelINS0_14default_configENS1_38merge_sort_block_merge_config_selectorIiiEEZZNS1_27merge_sort_block_merge_implIS3_N6thrust23THRUST_200600_302600_NS6detail15normal_iteratorINS8_10device_ptrIiEEEESD_jNS1_19radix_merge_compareILb0ELb1EiNS0_19identity_decomposerEEEEE10hipError_tT0_T1_T2_jT3_P12ihipStream_tbPNSt15iterator_traitsISI_E10value_typeEPNSO_ISJ_E10value_typeEPSK_NS1_7vsmem_tEENKUlT_SI_SJ_SK_E_clISD_PiSD_S10_EESH_SX_SI_SJ_SK_EUlSX_E1_NS1_11comp_targetILNS1_3genE3ELNS1_11target_archE908ELNS1_3gpuE7ELNS1_3repE0EEENS1_36merge_oddeven_config_static_selectorELNS0_4arch9wavefront6targetE0EEEvSJ_.has_recursion, 0
	.set _ZN7rocprim17ROCPRIM_400000_NS6detail17trampoline_kernelINS0_14default_configENS1_38merge_sort_block_merge_config_selectorIiiEEZZNS1_27merge_sort_block_merge_implIS3_N6thrust23THRUST_200600_302600_NS6detail15normal_iteratorINS8_10device_ptrIiEEEESD_jNS1_19radix_merge_compareILb0ELb1EiNS0_19identity_decomposerEEEEE10hipError_tT0_T1_T2_jT3_P12ihipStream_tbPNSt15iterator_traitsISI_E10value_typeEPNSO_ISJ_E10value_typeEPSK_NS1_7vsmem_tEENKUlT_SI_SJ_SK_E_clISD_PiSD_S10_EESH_SX_SI_SJ_SK_EUlSX_E1_NS1_11comp_targetILNS1_3genE3ELNS1_11target_archE908ELNS1_3gpuE7ELNS1_3repE0EEENS1_36merge_oddeven_config_static_selectorELNS0_4arch9wavefront6targetE0EEEvSJ_.has_indirect_call, 0
	.section	.AMDGPU.csdata,"",@progbits
; Kernel info:
; codeLenInByte = 0
; TotalNumSgprs: 0
; NumVgprs: 0
; ScratchSize: 0
; MemoryBound: 0
; FloatMode: 240
; IeeeMode: 1
; LDSByteSize: 0 bytes/workgroup (compile time only)
; SGPRBlocks: 0
; VGPRBlocks: 0
; NumSGPRsForWavesPerEU: 1
; NumVGPRsForWavesPerEU: 1
; Occupancy: 16
; WaveLimiterHint : 0
; COMPUTE_PGM_RSRC2:SCRATCH_EN: 0
; COMPUTE_PGM_RSRC2:USER_SGPR: 6
; COMPUTE_PGM_RSRC2:TRAP_HANDLER: 0
; COMPUTE_PGM_RSRC2:TGID_X_EN: 1
; COMPUTE_PGM_RSRC2:TGID_Y_EN: 0
; COMPUTE_PGM_RSRC2:TGID_Z_EN: 0
; COMPUTE_PGM_RSRC2:TIDIG_COMP_CNT: 0
	.section	.text._ZN7rocprim17ROCPRIM_400000_NS6detail17trampoline_kernelINS0_14default_configENS1_38merge_sort_block_merge_config_selectorIiiEEZZNS1_27merge_sort_block_merge_implIS3_N6thrust23THRUST_200600_302600_NS6detail15normal_iteratorINS8_10device_ptrIiEEEESD_jNS1_19radix_merge_compareILb0ELb1EiNS0_19identity_decomposerEEEEE10hipError_tT0_T1_T2_jT3_P12ihipStream_tbPNSt15iterator_traitsISI_E10value_typeEPNSO_ISJ_E10value_typeEPSK_NS1_7vsmem_tEENKUlT_SI_SJ_SK_E_clISD_PiSD_S10_EESH_SX_SI_SJ_SK_EUlSX_E1_NS1_11comp_targetILNS1_3genE2ELNS1_11target_archE906ELNS1_3gpuE6ELNS1_3repE0EEENS1_36merge_oddeven_config_static_selectorELNS0_4arch9wavefront6targetE0EEEvSJ_,"axG",@progbits,_ZN7rocprim17ROCPRIM_400000_NS6detail17trampoline_kernelINS0_14default_configENS1_38merge_sort_block_merge_config_selectorIiiEEZZNS1_27merge_sort_block_merge_implIS3_N6thrust23THRUST_200600_302600_NS6detail15normal_iteratorINS8_10device_ptrIiEEEESD_jNS1_19radix_merge_compareILb0ELb1EiNS0_19identity_decomposerEEEEE10hipError_tT0_T1_T2_jT3_P12ihipStream_tbPNSt15iterator_traitsISI_E10value_typeEPNSO_ISJ_E10value_typeEPSK_NS1_7vsmem_tEENKUlT_SI_SJ_SK_E_clISD_PiSD_S10_EESH_SX_SI_SJ_SK_EUlSX_E1_NS1_11comp_targetILNS1_3genE2ELNS1_11target_archE906ELNS1_3gpuE6ELNS1_3repE0EEENS1_36merge_oddeven_config_static_selectorELNS0_4arch9wavefront6targetE0EEEvSJ_,comdat
	.protected	_ZN7rocprim17ROCPRIM_400000_NS6detail17trampoline_kernelINS0_14default_configENS1_38merge_sort_block_merge_config_selectorIiiEEZZNS1_27merge_sort_block_merge_implIS3_N6thrust23THRUST_200600_302600_NS6detail15normal_iteratorINS8_10device_ptrIiEEEESD_jNS1_19radix_merge_compareILb0ELb1EiNS0_19identity_decomposerEEEEE10hipError_tT0_T1_T2_jT3_P12ihipStream_tbPNSt15iterator_traitsISI_E10value_typeEPNSO_ISJ_E10value_typeEPSK_NS1_7vsmem_tEENKUlT_SI_SJ_SK_E_clISD_PiSD_S10_EESH_SX_SI_SJ_SK_EUlSX_E1_NS1_11comp_targetILNS1_3genE2ELNS1_11target_archE906ELNS1_3gpuE6ELNS1_3repE0EEENS1_36merge_oddeven_config_static_selectorELNS0_4arch9wavefront6targetE0EEEvSJ_ ; -- Begin function _ZN7rocprim17ROCPRIM_400000_NS6detail17trampoline_kernelINS0_14default_configENS1_38merge_sort_block_merge_config_selectorIiiEEZZNS1_27merge_sort_block_merge_implIS3_N6thrust23THRUST_200600_302600_NS6detail15normal_iteratorINS8_10device_ptrIiEEEESD_jNS1_19radix_merge_compareILb0ELb1EiNS0_19identity_decomposerEEEEE10hipError_tT0_T1_T2_jT3_P12ihipStream_tbPNSt15iterator_traitsISI_E10value_typeEPNSO_ISJ_E10value_typeEPSK_NS1_7vsmem_tEENKUlT_SI_SJ_SK_E_clISD_PiSD_S10_EESH_SX_SI_SJ_SK_EUlSX_E1_NS1_11comp_targetILNS1_3genE2ELNS1_11target_archE906ELNS1_3gpuE6ELNS1_3repE0EEENS1_36merge_oddeven_config_static_selectorELNS0_4arch9wavefront6targetE0EEEvSJ_
	.globl	_ZN7rocprim17ROCPRIM_400000_NS6detail17trampoline_kernelINS0_14default_configENS1_38merge_sort_block_merge_config_selectorIiiEEZZNS1_27merge_sort_block_merge_implIS3_N6thrust23THRUST_200600_302600_NS6detail15normal_iteratorINS8_10device_ptrIiEEEESD_jNS1_19radix_merge_compareILb0ELb1EiNS0_19identity_decomposerEEEEE10hipError_tT0_T1_T2_jT3_P12ihipStream_tbPNSt15iterator_traitsISI_E10value_typeEPNSO_ISJ_E10value_typeEPSK_NS1_7vsmem_tEENKUlT_SI_SJ_SK_E_clISD_PiSD_S10_EESH_SX_SI_SJ_SK_EUlSX_E1_NS1_11comp_targetILNS1_3genE2ELNS1_11target_archE906ELNS1_3gpuE6ELNS1_3repE0EEENS1_36merge_oddeven_config_static_selectorELNS0_4arch9wavefront6targetE0EEEvSJ_
	.p2align	8
	.type	_ZN7rocprim17ROCPRIM_400000_NS6detail17trampoline_kernelINS0_14default_configENS1_38merge_sort_block_merge_config_selectorIiiEEZZNS1_27merge_sort_block_merge_implIS3_N6thrust23THRUST_200600_302600_NS6detail15normal_iteratorINS8_10device_ptrIiEEEESD_jNS1_19radix_merge_compareILb0ELb1EiNS0_19identity_decomposerEEEEE10hipError_tT0_T1_T2_jT3_P12ihipStream_tbPNSt15iterator_traitsISI_E10value_typeEPNSO_ISJ_E10value_typeEPSK_NS1_7vsmem_tEENKUlT_SI_SJ_SK_E_clISD_PiSD_S10_EESH_SX_SI_SJ_SK_EUlSX_E1_NS1_11comp_targetILNS1_3genE2ELNS1_11target_archE906ELNS1_3gpuE6ELNS1_3repE0EEENS1_36merge_oddeven_config_static_selectorELNS0_4arch9wavefront6targetE0EEEvSJ_,@function
_ZN7rocprim17ROCPRIM_400000_NS6detail17trampoline_kernelINS0_14default_configENS1_38merge_sort_block_merge_config_selectorIiiEEZZNS1_27merge_sort_block_merge_implIS3_N6thrust23THRUST_200600_302600_NS6detail15normal_iteratorINS8_10device_ptrIiEEEESD_jNS1_19radix_merge_compareILb0ELb1EiNS0_19identity_decomposerEEEEE10hipError_tT0_T1_T2_jT3_P12ihipStream_tbPNSt15iterator_traitsISI_E10value_typeEPNSO_ISJ_E10value_typeEPSK_NS1_7vsmem_tEENKUlT_SI_SJ_SK_E_clISD_PiSD_S10_EESH_SX_SI_SJ_SK_EUlSX_E1_NS1_11comp_targetILNS1_3genE2ELNS1_11target_archE906ELNS1_3gpuE6ELNS1_3repE0EEENS1_36merge_oddeven_config_static_selectorELNS0_4arch9wavefront6targetE0EEEvSJ_: ; @_ZN7rocprim17ROCPRIM_400000_NS6detail17trampoline_kernelINS0_14default_configENS1_38merge_sort_block_merge_config_selectorIiiEEZZNS1_27merge_sort_block_merge_implIS3_N6thrust23THRUST_200600_302600_NS6detail15normal_iteratorINS8_10device_ptrIiEEEESD_jNS1_19radix_merge_compareILb0ELb1EiNS0_19identity_decomposerEEEEE10hipError_tT0_T1_T2_jT3_P12ihipStream_tbPNSt15iterator_traitsISI_E10value_typeEPNSO_ISJ_E10value_typeEPSK_NS1_7vsmem_tEENKUlT_SI_SJ_SK_E_clISD_PiSD_S10_EESH_SX_SI_SJ_SK_EUlSX_E1_NS1_11comp_targetILNS1_3genE2ELNS1_11target_archE906ELNS1_3gpuE6ELNS1_3repE0EEENS1_36merge_oddeven_config_static_selectorELNS0_4arch9wavefront6targetE0EEEvSJ_
; %bb.0:
	.section	.rodata,"a",@progbits
	.p2align	6, 0x0
	.amdhsa_kernel _ZN7rocprim17ROCPRIM_400000_NS6detail17trampoline_kernelINS0_14default_configENS1_38merge_sort_block_merge_config_selectorIiiEEZZNS1_27merge_sort_block_merge_implIS3_N6thrust23THRUST_200600_302600_NS6detail15normal_iteratorINS8_10device_ptrIiEEEESD_jNS1_19radix_merge_compareILb0ELb1EiNS0_19identity_decomposerEEEEE10hipError_tT0_T1_T2_jT3_P12ihipStream_tbPNSt15iterator_traitsISI_E10value_typeEPNSO_ISJ_E10value_typeEPSK_NS1_7vsmem_tEENKUlT_SI_SJ_SK_E_clISD_PiSD_S10_EESH_SX_SI_SJ_SK_EUlSX_E1_NS1_11comp_targetILNS1_3genE2ELNS1_11target_archE906ELNS1_3gpuE6ELNS1_3repE0EEENS1_36merge_oddeven_config_static_selectorELNS0_4arch9wavefront6targetE0EEEvSJ_
		.amdhsa_group_segment_fixed_size 0
		.amdhsa_private_segment_fixed_size 0
		.amdhsa_kernarg_size 48
		.amdhsa_user_sgpr_count 6
		.amdhsa_user_sgpr_private_segment_buffer 1
		.amdhsa_user_sgpr_dispatch_ptr 0
		.amdhsa_user_sgpr_queue_ptr 0
		.amdhsa_user_sgpr_kernarg_segment_ptr 1
		.amdhsa_user_sgpr_dispatch_id 0
		.amdhsa_user_sgpr_flat_scratch_init 0
		.amdhsa_user_sgpr_private_segment_size 0
		.amdhsa_wavefront_size32 1
		.amdhsa_uses_dynamic_stack 0
		.amdhsa_system_sgpr_private_segment_wavefront_offset 0
		.amdhsa_system_sgpr_workgroup_id_x 1
		.amdhsa_system_sgpr_workgroup_id_y 0
		.amdhsa_system_sgpr_workgroup_id_z 0
		.amdhsa_system_sgpr_workgroup_info 0
		.amdhsa_system_vgpr_workitem_id 0
		.amdhsa_next_free_vgpr 1
		.amdhsa_next_free_sgpr 1
		.amdhsa_reserve_vcc 0
		.amdhsa_reserve_flat_scratch 0
		.amdhsa_float_round_mode_32 0
		.amdhsa_float_round_mode_16_64 0
		.amdhsa_float_denorm_mode_32 3
		.amdhsa_float_denorm_mode_16_64 3
		.amdhsa_dx10_clamp 1
		.amdhsa_ieee_mode 1
		.amdhsa_fp16_overflow 0
		.amdhsa_workgroup_processor_mode 1
		.amdhsa_memory_ordered 1
		.amdhsa_forward_progress 1
		.amdhsa_shared_vgpr_count 0
		.amdhsa_exception_fp_ieee_invalid_op 0
		.amdhsa_exception_fp_denorm_src 0
		.amdhsa_exception_fp_ieee_div_zero 0
		.amdhsa_exception_fp_ieee_overflow 0
		.amdhsa_exception_fp_ieee_underflow 0
		.amdhsa_exception_fp_ieee_inexact 0
		.amdhsa_exception_int_div_zero 0
	.end_amdhsa_kernel
	.section	.text._ZN7rocprim17ROCPRIM_400000_NS6detail17trampoline_kernelINS0_14default_configENS1_38merge_sort_block_merge_config_selectorIiiEEZZNS1_27merge_sort_block_merge_implIS3_N6thrust23THRUST_200600_302600_NS6detail15normal_iteratorINS8_10device_ptrIiEEEESD_jNS1_19radix_merge_compareILb0ELb1EiNS0_19identity_decomposerEEEEE10hipError_tT0_T1_T2_jT3_P12ihipStream_tbPNSt15iterator_traitsISI_E10value_typeEPNSO_ISJ_E10value_typeEPSK_NS1_7vsmem_tEENKUlT_SI_SJ_SK_E_clISD_PiSD_S10_EESH_SX_SI_SJ_SK_EUlSX_E1_NS1_11comp_targetILNS1_3genE2ELNS1_11target_archE906ELNS1_3gpuE6ELNS1_3repE0EEENS1_36merge_oddeven_config_static_selectorELNS0_4arch9wavefront6targetE0EEEvSJ_,"axG",@progbits,_ZN7rocprim17ROCPRIM_400000_NS6detail17trampoline_kernelINS0_14default_configENS1_38merge_sort_block_merge_config_selectorIiiEEZZNS1_27merge_sort_block_merge_implIS3_N6thrust23THRUST_200600_302600_NS6detail15normal_iteratorINS8_10device_ptrIiEEEESD_jNS1_19radix_merge_compareILb0ELb1EiNS0_19identity_decomposerEEEEE10hipError_tT0_T1_T2_jT3_P12ihipStream_tbPNSt15iterator_traitsISI_E10value_typeEPNSO_ISJ_E10value_typeEPSK_NS1_7vsmem_tEENKUlT_SI_SJ_SK_E_clISD_PiSD_S10_EESH_SX_SI_SJ_SK_EUlSX_E1_NS1_11comp_targetILNS1_3genE2ELNS1_11target_archE906ELNS1_3gpuE6ELNS1_3repE0EEENS1_36merge_oddeven_config_static_selectorELNS0_4arch9wavefront6targetE0EEEvSJ_,comdat
.Lfunc_end801:
	.size	_ZN7rocprim17ROCPRIM_400000_NS6detail17trampoline_kernelINS0_14default_configENS1_38merge_sort_block_merge_config_selectorIiiEEZZNS1_27merge_sort_block_merge_implIS3_N6thrust23THRUST_200600_302600_NS6detail15normal_iteratorINS8_10device_ptrIiEEEESD_jNS1_19radix_merge_compareILb0ELb1EiNS0_19identity_decomposerEEEEE10hipError_tT0_T1_T2_jT3_P12ihipStream_tbPNSt15iterator_traitsISI_E10value_typeEPNSO_ISJ_E10value_typeEPSK_NS1_7vsmem_tEENKUlT_SI_SJ_SK_E_clISD_PiSD_S10_EESH_SX_SI_SJ_SK_EUlSX_E1_NS1_11comp_targetILNS1_3genE2ELNS1_11target_archE906ELNS1_3gpuE6ELNS1_3repE0EEENS1_36merge_oddeven_config_static_selectorELNS0_4arch9wavefront6targetE0EEEvSJ_, .Lfunc_end801-_ZN7rocprim17ROCPRIM_400000_NS6detail17trampoline_kernelINS0_14default_configENS1_38merge_sort_block_merge_config_selectorIiiEEZZNS1_27merge_sort_block_merge_implIS3_N6thrust23THRUST_200600_302600_NS6detail15normal_iteratorINS8_10device_ptrIiEEEESD_jNS1_19radix_merge_compareILb0ELb1EiNS0_19identity_decomposerEEEEE10hipError_tT0_T1_T2_jT3_P12ihipStream_tbPNSt15iterator_traitsISI_E10value_typeEPNSO_ISJ_E10value_typeEPSK_NS1_7vsmem_tEENKUlT_SI_SJ_SK_E_clISD_PiSD_S10_EESH_SX_SI_SJ_SK_EUlSX_E1_NS1_11comp_targetILNS1_3genE2ELNS1_11target_archE906ELNS1_3gpuE6ELNS1_3repE0EEENS1_36merge_oddeven_config_static_selectorELNS0_4arch9wavefront6targetE0EEEvSJ_
                                        ; -- End function
	.set _ZN7rocprim17ROCPRIM_400000_NS6detail17trampoline_kernelINS0_14default_configENS1_38merge_sort_block_merge_config_selectorIiiEEZZNS1_27merge_sort_block_merge_implIS3_N6thrust23THRUST_200600_302600_NS6detail15normal_iteratorINS8_10device_ptrIiEEEESD_jNS1_19radix_merge_compareILb0ELb1EiNS0_19identity_decomposerEEEEE10hipError_tT0_T1_T2_jT3_P12ihipStream_tbPNSt15iterator_traitsISI_E10value_typeEPNSO_ISJ_E10value_typeEPSK_NS1_7vsmem_tEENKUlT_SI_SJ_SK_E_clISD_PiSD_S10_EESH_SX_SI_SJ_SK_EUlSX_E1_NS1_11comp_targetILNS1_3genE2ELNS1_11target_archE906ELNS1_3gpuE6ELNS1_3repE0EEENS1_36merge_oddeven_config_static_selectorELNS0_4arch9wavefront6targetE0EEEvSJ_.num_vgpr, 0
	.set _ZN7rocprim17ROCPRIM_400000_NS6detail17trampoline_kernelINS0_14default_configENS1_38merge_sort_block_merge_config_selectorIiiEEZZNS1_27merge_sort_block_merge_implIS3_N6thrust23THRUST_200600_302600_NS6detail15normal_iteratorINS8_10device_ptrIiEEEESD_jNS1_19radix_merge_compareILb0ELb1EiNS0_19identity_decomposerEEEEE10hipError_tT0_T1_T2_jT3_P12ihipStream_tbPNSt15iterator_traitsISI_E10value_typeEPNSO_ISJ_E10value_typeEPSK_NS1_7vsmem_tEENKUlT_SI_SJ_SK_E_clISD_PiSD_S10_EESH_SX_SI_SJ_SK_EUlSX_E1_NS1_11comp_targetILNS1_3genE2ELNS1_11target_archE906ELNS1_3gpuE6ELNS1_3repE0EEENS1_36merge_oddeven_config_static_selectorELNS0_4arch9wavefront6targetE0EEEvSJ_.num_agpr, 0
	.set _ZN7rocprim17ROCPRIM_400000_NS6detail17trampoline_kernelINS0_14default_configENS1_38merge_sort_block_merge_config_selectorIiiEEZZNS1_27merge_sort_block_merge_implIS3_N6thrust23THRUST_200600_302600_NS6detail15normal_iteratorINS8_10device_ptrIiEEEESD_jNS1_19radix_merge_compareILb0ELb1EiNS0_19identity_decomposerEEEEE10hipError_tT0_T1_T2_jT3_P12ihipStream_tbPNSt15iterator_traitsISI_E10value_typeEPNSO_ISJ_E10value_typeEPSK_NS1_7vsmem_tEENKUlT_SI_SJ_SK_E_clISD_PiSD_S10_EESH_SX_SI_SJ_SK_EUlSX_E1_NS1_11comp_targetILNS1_3genE2ELNS1_11target_archE906ELNS1_3gpuE6ELNS1_3repE0EEENS1_36merge_oddeven_config_static_selectorELNS0_4arch9wavefront6targetE0EEEvSJ_.numbered_sgpr, 0
	.set _ZN7rocprim17ROCPRIM_400000_NS6detail17trampoline_kernelINS0_14default_configENS1_38merge_sort_block_merge_config_selectorIiiEEZZNS1_27merge_sort_block_merge_implIS3_N6thrust23THRUST_200600_302600_NS6detail15normal_iteratorINS8_10device_ptrIiEEEESD_jNS1_19radix_merge_compareILb0ELb1EiNS0_19identity_decomposerEEEEE10hipError_tT0_T1_T2_jT3_P12ihipStream_tbPNSt15iterator_traitsISI_E10value_typeEPNSO_ISJ_E10value_typeEPSK_NS1_7vsmem_tEENKUlT_SI_SJ_SK_E_clISD_PiSD_S10_EESH_SX_SI_SJ_SK_EUlSX_E1_NS1_11comp_targetILNS1_3genE2ELNS1_11target_archE906ELNS1_3gpuE6ELNS1_3repE0EEENS1_36merge_oddeven_config_static_selectorELNS0_4arch9wavefront6targetE0EEEvSJ_.num_named_barrier, 0
	.set _ZN7rocprim17ROCPRIM_400000_NS6detail17trampoline_kernelINS0_14default_configENS1_38merge_sort_block_merge_config_selectorIiiEEZZNS1_27merge_sort_block_merge_implIS3_N6thrust23THRUST_200600_302600_NS6detail15normal_iteratorINS8_10device_ptrIiEEEESD_jNS1_19radix_merge_compareILb0ELb1EiNS0_19identity_decomposerEEEEE10hipError_tT0_T1_T2_jT3_P12ihipStream_tbPNSt15iterator_traitsISI_E10value_typeEPNSO_ISJ_E10value_typeEPSK_NS1_7vsmem_tEENKUlT_SI_SJ_SK_E_clISD_PiSD_S10_EESH_SX_SI_SJ_SK_EUlSX_E1_NS1_11comp_targetILNS1_3genE2ELNS1_11target_archE906ELNS1_3gpuE6ELNS1_3repE0EEENS1_36merge_oddeven_config_static_selectorELNS0_4arch9wavefront6targetE0EEEvSJ_.private_seg_size, 0
	.set _ZN7rocprim17ROCPRIM_400000_NS6detail17trampoline_kernelINS0_14default_configENS1_38merge_sort_block_merge_config_selectorIiiEEZZNS1_27merge_sort_block_merge_implIS3_N6thrust23THRUST_200600_302600_NS6detail15normal_iteratorINS8_10device_ptrIiEEEESD_jNS1_19radix_merge_compareILb0ELb1EiNS0_19identity_decomposerEEEEE10hipError_tT0_T1_T2_jT3_P12ihipStream_tbPNSt15iterator_traitsISI_E10value_typeEPNSO_ISJ_E10value_typeEPSK_NS1_7vsmem_tEENKUlT_SI_SJ_SK_E_clISD_PiSD_S10_EESH_SX_SI_SJ_SK_EUlSX_E1_NS1_11comp_targetILNS1_3genE2ELNS1_11target_archE906ELNS1_3gpuE6ELNS1_3repE0EEENS1_36merge_oddeven_config_static_selectorELNS0_4arch9wavefront6targetE0EEEvSJ_.uses_vcc, 0
	.set _ZN7rocprim17ROCPRIM_400000_NS6detail17trampoline_kernelINS0_14default_configENS1_38merge_sort_block_merge_config_selectorIiiEEZZNS1_27merge_sort_block_merge_implIS3_N6thrust23THRUST_200600_302600_NS6detail15normal_iteratorINS8_10device_ptrIiEEEESD_jNS1_19radix_merge_compareILb0ELb1EiNS0_19identity_decomposerEEEEE10hipError_tT0_T1_T2_jT3_P12ihipStream_tbPNSt15iterator_traitsISI_E10value_typeEPNSO_ISJ_E10value_typeEPSK_NS1_7vsmem_tEENKUlT_SI_SJ_SK_E_clISD_PiSD_S10_EESH_SX_SI_SJ_SK_EUlSX_E1_NS1_11comp_targetILNS1_3genE2ELNS1_11target_archE906ELNS1_3gpuE6ELNS1_3repE0EEENS1_36merge_oddeven_config_static_selectorELNS0_4arch9wavefront6targetE0EEEvSJ_.uses_flat_scratch, 0
	.set _ZN7rocprim17ROCPRIM_400000_NS6detail17trampoline_kernelINS0_14default_configENS1_38merge_sort_block_merge_config_selectorIiiEEZZNS1_27merge_sort_block_merge_implIS3_N6thrust23THRUST_200600_302600_NS6detail15normal_iteratorINS8_10device_ptrIiEEEESD_jNS1_19radix_merge_compareILb0ELb1EiNS0_19identity_decomposerEEEEE10hipError_tT0_T1_T2_jT3_P12ihipStream_tbPNSt15iterator_traitsISI_E10value_typeEPNSO_ISJ_E10value_typeEPSK_NS1_7vsmem_tEENKUlT_SI_SJ_SK_E_clISD_PiSD_S10_EESH_SX_SI_SJ_SK_EUlSX_E1_NS1_11comp_targetILNS1_3genE2ELNS1_11target_archE906ELNS1_3gpuE6ELNS1_3repE0EEENS1_36merge_oddeven_config_static_selectorELNS0_4arch9wavefront6targetE0EEEvSJ_.has_dyn_sized_stack, 0
	.set _ZN7rocprim17ROCPRIM_400000_NS6detail17trampoline_kernelINS0_14default_configENS1_38merge_sort_block_merge_config_selectorIiiEEZZNS1_27merge_sort_block_merge_implIS3_N6thrust23THRUST_200600_302600_NS6detail15normal_iteratorINS8_10device_ptrIiEEEESD_jNS1_19radix_merge_compareILb0ELb1EiNS0_19identity_decomposerEEEEE10hipError_tT0_T1_T2_jT3_P12ihipStream_tbPNSt15iterator_traitsISI_E10value_typeEPNSO_ISJ_E10value_typeEPSK_NS1_7vsmem_tEENKUlT_SI_SJ_SK_E_clISD_PiSD_S10_EESH_SX_SI_SJ_SK_EUlSX_E1_NS1_11comp_targetILNS1_3genE2ELNS1_11target_archE906ELNS1_3gpuE6ELNS1_3repE0EEENS1_36merge_oddeven_config_static_selectorELNS0_4arch9wavefront6targetE0EEEvSJ_.has_recursion, 0
	.set _ZN7rocprim17ROCPRIM_400000_NS6detail17trampoline_kernelINS0_14default_configENS1_38merge_sort_block_merge_config_selectorIiiEEZZNS1_27merge_sort_block_merge_implIS3_N6thrust23THRUST_200600_302600_NS6detail15normal_iteratorINS8_10device_ptrIiEEEESD_jNS1_19radix_merge_compareILb0ELb1EiNS0_19identity_decomposerEEEEE10hipError_tT0_T1_T2_jT3_P12ihipStream_tbPNSt15iterator_traitsISI_E10value_typeEPNSO_ISJ_E10value_typeEPSK_NS1_7vsmem_tEENKUlT_SI_SJ_SK_E_clISD_PiSD_S10_EESH_SX_SI_SJ_SK_EUlSX_E1_NS1_11comp_targetILNS1_3genE2ELNS1_11target_archE906ELNS1_3gpuE6ELNS1_3repE0EEENS1_36merge_oddeven_config_static_selectorELNS0_4arch9wavefront6targetE0EEEvSJ_.has_indirect_call, 0
	.section	.AMDGPU.csdata,"",@progbits
; Kernel info:
; codeLenInByte = 0
; TotalNumSgprs: 0
; NumVgprs: 0
; ScratchSize: 0
; MemoryBound: 0
; FloatMode: 240
; IeeeMode: 1
; LDSByteSize: 0 bytes/workgroup (compile time only)
; SGPRBlocks: 0
; VGPRBlocks: 0
; NumSGPRsForWavesPerEU: 1
; NumVGPRsForWavesPerEU: 1
; Occupancy: 16
; WaveLimiterHint : 0
; COMPUTE_PGM_RSRC2:SCRATCH_EN: 0
; COMPUTE_PGM_RSRC2:USER_SGPR: 6
; COMPUTE_PGM_RSRC2:TRAP_HANDLER: 0
; COMPUTE_PGM_RSRC2:TGID_X_EN: 1
; COMPUTE_PGM_RSRC2:TGID_Y_EN: 0
; COMPUTE_PGM_RSRC2:TGID_Z_EN: 0
; COMPUTE_PGM_RSRC2:TIDIG_COMP_CNT: 0
	.section	.text._ZN7rocprim17ROCPRIM_400000_NS6detail17trampoline_kernelINS0_14default_configENS1_38merge_sort_block_merge_config_selectorIiiEEZZNS1_27merge_sort_block_merge_implIS3_N6thrust23THRUST_200600_302600_NS6detail15normal_iteratorINS8_10device_ptrIiEEEESD_jNS1_19radix_merge_compareILb0ELb1EiNS0_19identity_decomposerEEEEE10hipError_tT0_T1_T2_jT3_P12ihipStream_tbPNSt15iterator_traitsISI_E10value_typeEPNSO_ISJ_E10value_typeEPSK_NS1_7vsmem_tEENKUlT_SI_SJ_SK_E_clISD_PiSD_S10_EESH_SX_SI_SJ_SK_EUlSX_E1_NS1_11comp_targetILNS1_3genE9ELNS1_11target_archE1100ELNS1_3gpuE3ELNS1_3repE0EEENS1_36merge_oddeven_config_static_selectorELNS0_4arch9wavefront6targetE0EEEvSJ_,"axG",@progbits,_ZN7rocprim17ROCPRIM_400000_NS6detail17trampoline_kernelINS0_14default_configENS1_38merge_sort_block_merge_config_selectorIiiEEZZNS1_27merge_sort_block_merge_implIS3_N6thrust23THRUST_200600_302600_NS6detail15normal_iteratorINS8_10device_ptrIiEEEESD_jNS1_19radix_merge_compareILb0ELb1EiNS0_19identity_decomposerEEEEE10hipError_tT0_T1_T2_jT3_P12ihipStream_tbPNSt15iterator_traitsISI_E10value_typeEPNSO_ISJ_E10value_typeEPSK_NS1_7vsmem_tEENKUlT_SI_SJ_SK_E_clISD_PiSD_S10_EESH_SX_SI_SJ_SK_EUlSX_E1_NS1_11comp_targetILNS1_3genE9ELNS1_11target_archE1100ELNS1_3gpuE3ELNS1_3repE0EEENS1_36merge_oddeven_config_static_selectorELNS0_4arch9wavefront6targetE0EEEvSJ_,comdat
	.protected	_ZN7rocprim17ROCPRIM_400000_NS6detail17trampoline_kernelINS0_14default_configENS1_38merge_sort_block_merge_config_selectorIiiEEZZNS1_27merge_sort_block_merge_implIS3_N6thrust23THRUST_200600_302600_NS6detail15normal_iteratorINS8_10device_ptrIiEEEESD_jNS1_19radix_merge_compareILb0ELb1EiNS0_19identity_decomposerEEEEE10hipError_tT0_T1_T2_jT3_P12ihipStream_tbPNSt15iterator_traitsISI_E10value_typeEPNSO_ISJ_E10value_typeEPSK_NS1_7vsmem_tEENKUlT_SI_SJ_SK_E_clISD_PiSD_S10_EESH_SX_SI_SJ_SK_EUlSX_E1_NS1_11comp_targetILNS1_3genE9ELNS1_11target_archE1100ELNS1_3gpuE3ELNS1_3repE0EEENS1_36merge_oddeven_config_static_selectorELNS0_4arch9wavefront6targetE0EEEvSJ_ ; -- Begin function _ZN7rocprim17ROCPRIM_400000_NS6detail17trampoline_kernelINS0_14default_configENS1_38merge_sort_block_merge_config_selectorIiiEEZZNS1_27merge_sort_block_merge_implIS3_N6thrust23THRUST_200600_302600_NS6detail15normal_iteratorINS8_10device_ptrIiEEEESD_jNS1_19radix_merge_compareILb0ELb1EiNS0_19identity_decomposerEEEEE10hipError_tT0_T1_T2_jT3_P12ihipStream_tbPNSt15iterator_traitsISI_E10value_typeEPNSO_ISJ_E10value_typeEPSK_NS1_7vsmem_tEENKUlT_SI_SJ_SK_E_clISD_PiSD_S10_EESH_SX_SI_SJ_SK_EUlSX_E1_NS1_11comp_targetILNS1_3genE9ELNS1_11target_archE1100ELNS1_3gpuE3ELNS1_3repE0EEENS1_36merge_oddeven_config_static_selectorELNS0_4arch9wavefront6targetE0EEEvSJ_
	.globl	_ZN7rocprim17ROCPRIM_400000_NS6detail17trampoline_kernelINS0_14default_configENS1_38merge_sort_block_merge_config_selectorIiiEEZZNS1_27merge_sort_block_merge_implIS3_N6thrust23THRUST_200600_302600_NS6detail15normal_iteratorINS8_10device_ptrIiEEEESD_jNS1_19radix_merge_compareILb0ELb1EiNS0_19identity_decomposerEEEEE10hipError_tT0_T1_T2_jT3_P12ihipStream_tbPNSt15iterator_traitsISI_E10value_typeEPNSO_ISJ_E10value_typeEPSK_NS1_7vsmem_tEENKUlT_SI_SJ_SK_E_clISD_PiSD_S10_EESH_SX_SI_SJ_SK_EUlSX_E1_NS1_11comp_targetILNS1_3genE9ELNS1_11target_archE1100ELNS1_3gpuE3ELNS1_3repE0EEENS1_36merge_oddeven_config_static_selectorELNS0_4arch9wavefront6targetE0EEEvSJ_
	.p2align	8
	.type	_ZN7rocprim17ROCPRIM_400000_NS6detail17trampoline_kernelINS0_14default_configENS1_38merge_sort_block_merge_config_selectorIiiEEZZNS1_27merge_sort_block_merge_implIS3_N6thrust23THRUST_200600_302600_NS6detail15normal_iteratorINS8_10device_ptrIiEEEESD_jNS1_19radix_merge_compareILb0ELb1EiNS0_19identity_decomposerEEEEE10hipError_tT0_T1_T2_jT3_P12ihipStream_tbPNSt15iterator_traitsISI_E10value_typeEPNSO_ISJ_E10value_typeEPSK_NS1_7vsmem_tEENKUlT_SI_SJ_SK_E_clISD_PiSD_S10_EESH_SX_SI_SJ_SK_EUlSX_E1_NS1_11comp_targetILNS1_3genE9ELNS1_11target_archE1100ELNS1_3gpuE3ELNS1_3repE0EEENS1_36merge_oddeven_config_static_selectorELNS0_4arch9wavefront6targetE0EEEvSJ_,@function
_ZN7rocprim17ROCPRIM_400000_NS6detail17trampoline_kernelINS0_14default_configENS1_38merge_sort_block_merge_config_selectorIiiEEZZNS1_27merge_sort_block_merge_implIS3_N6thrust23THRUST_200600_302600_NS6detail15normal_iteratorINS8_10device_ptrIiEEEESD_jNS1_19radix_merge_compareILb0ELb1EiNS0_19identity_decomposerEEEEE10hipError_tT0_T1_T2_jT3_P12ihipStream_tbPNSt15iterator_traitsISI_E10value_typeEPNSO_ISJ_E10value_typeEPSK_NS1_7vsmem_tEENKUlT_SI_SJ_SK_E_clISD_PiSD_S10_EESH_SX_SI_SJ_SK_EUlSX_E1_NS1_11comp_targetILNS1_3genE9ELNS1_11target_archE1100ELNS1_3gpuE3ELNS1_3repE0EEENS1_36merge_oddeven_config_static_selectorELNS0_4arch9wavefront6targetE0EEEvSJ_: ; @_ZN7rocprim17ROCPRIM_400000_NS6detail17trampoline_kernelINS0_14default_configENS1_38merge_sort_block_merge_config_selectorIiiEEZZNS1_27merge_sort_block_merge_implIS3_N6thrust23THRUST_200600_302600_NS6detail15normal_iteratorINS8_10device_ptrIiEEEESD_jNS1_19radix_merge_compareILb0ELb1EiNS0_19identity_decomposerEEEEE10hipError_tT0_T1_T2_jT3_P12ihipStream_tbPNSt15iterator_traitsISI_E10value_typeEPNSO_ISJ_E10value_typeEPSK_NS1_7vsmem_tEENKUlT_SI_SJ_SK_E_clISD_PiSD_S10_EESH_SX_SI_SJ_SK_EUlSX_E1_NS1_11comp_targetILNS1_3genE9ELNS1_11target_archE1100ELNS1_3gpuE3ELNS1_3repE0EEENS1_36merge_oddeven_config_static_selectorELNS0_4arch9wavefront6targetE0EEEvSJ_
; %bb.0:
	.section	.rodata,"a",@progbits
	.p2align	6, 0x0
	.amdhsa_kernel _ZN7rocprim17ROCPRIM_400000_NS6detail17trampoline_kernelINS0_14default_configENS1_38merge_sort_block_merge_config_selectorIiiEEZZNS1_27merge_sort_block_merge_implIS3_N6thrust23THRUST_200600_302600_NS6detail15normal_iteratorINS8_10device_ptrIiEEEESD_jNS1_19radix_merge_compareILb0ELb1EiNS0_19identity_decomposerEEEEE10hipError_tT0_T1_T2_jT3_P12ihipStream_tbPNSt15iterator_traitsISI_E10value_typeEPNSO_ISJ_E10value_typeEPSK_NS1_7vsmem_tEENKUlT_SI_SJ_SK_E_clISD_PiSD_S10_EESH_SX_SI_SJ_SK_EUlSX_E1_NS1_11comp_targetILNS1_3genE9ELNS1_11target_archE1100ELNS1_3gpuE3ELNS1_3repE0EEENS1_36merge_oddeven_config_static_selectorELNS0_4arch9wavefront6targetE0EEEvSJ_
		.amdhsa_group_segment_fixed_size 0
		.amdhsa_private_segment_fixed_size 0
		.amdhsa_kernarg_size 48
		.amdhsa_user_sgpr_count 6
		.amdhsa_user_sgpr_private_segment_buffer 1
		.amdhsa_user_sgpr_dispatch_ptr 0
		.amdhsa_user_sgpr_queue_ptr 0
		.amdhsa_user_sgpr_kernarg_segment_ptr 1
		.amdhsa_user_sgpr_dispatch_id 0
		.amdhsa_user_sgpr_flat_scratch_init 0
		.amdhsa_user_sgpr_private_segment_size 0
		.amdhsa_wavefront_size32 1
		.amdhsa_uses_dynamic_stack 0
		.amdhsa_system_sgpr_private_segment_wavefront_offset 0
		.amdhsa_system_sgpr_workgroup_id_x 1
		.amdhsa_system_sgpr_workgroup_id_y 0
		.amdhsa_system_sgpr_workgroup_id_z 0
		.amdhsa_system_sgpr_workgroup_info 0
		.amdhsa_system_vgpr_workitem_id 0
		.amdhsa_next_free_vgpr 1
		.amdhsa_next_free_sgpr 1
		.amdhsa_reserve_vcc 0
		.amdhsa_reserve_flat_scratch 0
		.amdhsa_float_round_mode_32 0
		.amdhsa_float_round_mode_16_64 0
		.amdhsa_float_denorm_mode_32 3
		.amdhsa_float_denorm_mode_16_64 3
		.amdhsa_dx10_clamp 1
		.amdhsa_ieee_mode 1
		.amdhsa_fp16_overflow 0
		.amdhsa_workgroup_processor_mode 1
		.amdhsa_memory_ordered 1
		.amdhsa_forward_progress 1
		.amdhsa_shared_vgpr_count 0
		.amdhsa_exception_fp_ieee_invalid_op 0
		.amdhsa_exception_fp_denorm_src 0
		.amdhsa_exception_fp_ieee_div_zero 0
		.amdhsa_exception_fp_ieee_overflow 0
		.amdhsa_exception_fp_ieee_underflow 0
		.amdhsa_exception_fp_ieee_inexact 0
		.amdhsa_exception_int_div_zero 0
	.end_amdhsa_kernel
	.section	.text._ZN7rocprim17ROCPRIM_400000_NS6detail17trampoline_kernelINS0_14default_configENS1_38merge_sort_block_merge_config_selectorIiiEEZZNS1_27merge_sort_block_merge_implIS3_N6thrust23THRUST_200600_302600_NS6detail15normal_iteratorINS8_10device_ptrIiEEEESD_jNS1_19radix_merge_compareILb0ELb1EiNS0_19identity_decomposerEEEEE10hipError_tT0_T1_T2_jT3_P12ihipStream_tbPNSt15iterator_traitsISI_E10value_typeEPNSO_ISJ_E10value_typeEPSK_NS1_7vsmem_tEENKUlT_SI_SJ_SK_E_clISD_PiSD_S10_EESH_SX_SI_SJ_SK_EUlSX_E1_NS1_11comp_targetILNS1_3genE9ELNS1_11target_archE1100ELNS1_3gpuE3ELNS1_3repE0EEENS1_36merge_oddeven_config_static_selectorELNS0_4arch9wavefront6targetE0EEEvSJ_,"axG",@progbits,_ZN7rocprim17ROCPRIM_400000_NS6detail17trampoline_kernelINS0_14default_configENS1_38merge_sort_block_merge_config_selectorIiiEEZZNS1_27merge_sort_block_merge_implIS3_N6thrust23THRUST_200600_302600_NS6detail15normal_iteratorINS8_10device_ptrIiEEEESD_jNS1_19radix_merge_compareILb0ELb1EiNS0_19identity_decomposerEEEEE10hipError_tT0_T1_T2_jT3_P12ihipStream_tbPNSt15iterator_traitsISI_E10value_typeEPNSO_ISJ_E10value_typeEPSK_NS1_7vsmem_tEENKUlT_SI_SJ_SK_E_clISD_PiSD_S10_EESH_SX_SI_SJ_SK_EUlSX_E1_NS1_11comp_targetILNS1_3genE9ELNS1_11target_archE1100ELNS1_3gpuE3ELNS1_3repE0EEENS1_36merge_oddeven_config_static_selectorELNS0_4arch9wavefront6targetE0EEEvSJ_,comdat
.Lfunc_end802:
	.size	_ZN7rocprim17ROCPRIM_400000_NS6detail17trampoline_kernelINS0_14default_configENS1_38merge_sort_block_merge_config_selectorIiiEEZZNS1_27merge_sort_block_merge_implIS3_N6thrust23THRUST_200600_302600_NS6detail15normal_iteratorINS8_10device_ptrIiEEEESD_jNS1_19radix_merge_compareILb0ELb1EiNS0_19identity_decomposerEEEEE10hipError_tT0_T1_T2_jT3_P12ihipStream_tbPNSt15iterator_traitsISI_E10value_typeEPNSO_ISJ_E10value_typeEPSK_NS1_7vsmem_tEENKUlT_SI_SJ_SK_E_clISD_PiSD_S10_EESH_SX_SI_SJ_SK_EUlSX_E1_NS1_11comp_targetILNS1_3genE9ELNS1_11target_archE1100ELNS1_3gpuE3ELNS1_3repE0EEENS1_36merge_oddeven_config_static_selectorELNS0_4arch9wavefront6targetE0EEEvSJ_, .Lfunc_end802-_ZN7rocprim17ROCPRIM_400000_NS6detail17trampoline_kernelINS0_14default_configENS1_38merge_sort_block_merge_config_selectorIiiEEZZNS1_27merge_sort_block_merge_implIS3_N6thrust23THRUST_200600_302600_NS6detail15normal_iteratorINS8_10device_ptrIiEEEESD_jNS1_19radix_merge_compareILb0ELb1EiNS0_19identity_decomposerEEEEE10hipError_tT0_T1_T2_jT3_P12ihipStream_tbPNSt15iterator_traitsISI_E10value_typeEPNSO_ISJ_E10value_typeEPSK_NS1_7vsmem_tEENKUlT_SI_SJ_SK_E_clISD_PiSD_S10_EESH_SX_SI_SJ_SK_EUlSX_E1_NS1_11comp_targetILNS1_3genE9ELNS1_11target_archE1100ELNS1_3gpuE3ELNS1_3repE0EEENS1_36merge_oddeven_config_static_selectorELNS0_4arch9wavefront6targetE0EEEvSJ_
                                        ; -- End function
	.set _ZN7rocprim17ROCPRIM_400000_NS6detail17trampoline_kernelINS0_14default_configENS1_38merge_sort_block_merge_config_selectorIiiEEZZNS1_27merge_sort_block_merge_implIS3_N6thrust23THRUST_200600_302600_NS6detail15normal_iteratorINS8_10device_ptrIiEEEESD_jNS1_19radix_merge_compareILb0ELb1EiNS0_19identity_decomposerEEEEE10hipError_tT0_T1_T2_jT3_P12ihipStream_tbPNSt15iterator_traitsISI_E10value_typeEPNSO_ISJ_E10value_typeEPSK_NS1_7vsmem_tEENKUlT_SI_SJ_SK_E_clISD_PiSD_S10_EESH_SX_SI_SJ_SK_EUlSX_E1_NS1_11comp_targetILNS1_3genE9ELNS1_11target_archE1100ELNS1_3gpuE3ELNS1_3repE0EEENS1_36merge_oddeven_config_static_selectorELNS0_4arch9wavefront6targetE0EEEvSJ_.num_vgpr, 0
	.set _ZN7rocprim17ROCPRIM_400000_NS6detail17trampoline_kernelINS0_14default_configENS1_38merge_sort_block_merge_config_selectorIiiEEZZNS1_27merge_sort_block_merge_implIS3_N6thrust23THRUST_200600_302600_NS6detail15normal_iteratorINS8_10device_ptrIiEEEESD_jNS1_19radix_merge_compareILb0ELb1EiNS0_19identity_decomposerEEEEE10hipError_tT0_T1_T2_jT3_P12ihipStream_tbPNSt15iterator_traitsISI_E10value_typeEPNSO_ISJ_E10value_typeEPSK_NS1_7vsmem_tEENKUlT_SI_SJ_SK_E_clISD_PiSD_S10_EESH_SX_SI_SJ_SK_EUlSX_E1_NS1_11comp_targetILNS1_3genE9ELNS1_11target_archE1100ELNS1_3gpuE3ELNS1_3repE0EEENS1_36merge_oddeven_config_static_selectorELNS0_4arch9wavefront6targetE0EEEvSJ_.num_agpr, 0
	.set _ZN7rocprim17ROCPRIM_400000_NS6detail17trampoline_kernelINS0_14default_configENS1_38merge_sort_block_merge_config_selectorIiiEEZZNS1_27merge_sort_block_merge_implIS3_N6thrust23THRUST_200600_302600_NS6detail15normal_iteratorINS8_10device_ptrIiEEEESD_jNS1_19radix_merge_compareILb0ELb1EiNS0_19identity_decomposerEEEEE10hipError_tT0_T1_T2_jT3_P12ihipStream_tbPNSt15iterator_traitsISI_E10value_typeEPNSO_ISJ_E10value_typeEPSK_NS1_7vsmem_tEENKUlT_SI_SJ_SK_E_clISD_PiSD_S10_EESH_SX_SI_SJ_SK_EUlSX_E1_NS1_11comp_targetILNS1_3genE9ELNS1_11target_archE1100ELNS1_3gpuE3ELNS1_3repE0EEENS1_36merge_oddeven_config_static_selectorELNS0_4arch9wavefront6targetE0EEEvSJ_.numbered_sgpr, 0
	.set _ZN7rocprim17ROCPRIM_400000_NS6detail17trampoline_kernelINS0_14default_configENS1_38merge_sort_block_merge_config_selectorIiiEEZZNS1_27merge_sort_block_merge_implIS3_N6thrust23THRUST_200600_302600_NS6detail15normal_iteratorINS8_10device_ptrIiEEEESD_jNS1_19radix_merge_compareILb0ELb1EiNS0_19identity_decomposerEEEEE10hipError_tT0_T1_T2_jT3_P12ihipStream_tbPNSt15iterator_traitsISI_E10value_typeEPNSO_ISJ_E10value_typeEPSK_NS1_7vsmem_tEENKUlT_SI_SJ_SK_E_clISD_PiSD_S10_EESH_SX_SI_SJ_SK_EUlSX_E1_NS1_11comp_targetILNS1_3genE9ELNS1_11target_archE1100ELNS1_3gpuE3ELNS1_3repE0EEENS1_36merge_oddeven_config_static_selectorELNS0_4arch9wavefront6targetE0EEEvSJ_.num_named_barrier, 0
	.set _ZN7rocprim17ROCPRIM_400000_NS6detail17trampoline_kernelINS0_14default_configENS1_38merge_sort_block_merge_config_selectorIiiEEZZNS1_27merge_sort_block_merge_implIS3_N6thrust23THRUST_200600_302600_NS6detail15normal_iteratorINS8_10device_ptrIiEEEESD_jNS1_19radix_merge_compareILb0ELb1EiNS0_19identity_decomposerEEEEE10hipError_tT0_T1_T2_jT3_P12ihipStream_tbPNSt15iterator_traitsISI_E10value_typeEPNSO_ISJ_E10value_typeEPSK_NS1_7vsmem_tEENKUlT_SI_SJ_SK_E_clISD_PiSD_S10_EESH_SX_SI_SJ_SK_EUlSX_E1_NS1_11comp_targetILNS1_3genE9ELNS1_11target_archE1100ELNS1_3gpuE3ELNS1_3repE0EEENS1_36merge_oddeven_config_static_selectorELNS0_4arch9wavefront6targetE0EEEvSJ_.private_seg_size, 0
	.set _ZN7rocprim17ROCPRIM_400000_NS6detail17trampoline_kernelINS0_14default_configENS1_38merge_sort_block_merge_config_selectorIiiEEZZNS1_27merge_sort_block_merge_implIS3_N6thrust23THRUST_200600_302600_NS6detail15normal_iteratorINS8_10device_ptrIiEEEESD_jNS1_19radix_merge_compareILb0ELb1EiNS0_19identity_decomposerEEEEE10hipError_tT0_T1_T2_jT3_P12ihipStream_tbPNSt15iterator_traitsISI_E10value_typeEPNSO_ISJ_E10value_typeEPSK_NS1_7vsmem_tEENKUlT_SI_SJ_SK_E_clISD_PiSD_S10_EESH_SX_SI_SJ_SK_EUlSX_E1_NS1_11comp_targetILNS1_3genE9ELNS1_11target_archE1100ELNS1_3gpuE3ELNS1_3repE0EEENS1_36merge_oddeven_config_static_selectorELNS0_4arch9wavefront6targetE0EEEvSJ_.uses_vcc, 0
	.set _ZN7rocprim17ROCPRIM_400000_NS6detail17trampoline_kernelINS0_14default_configENS1_38merge_sort_block_merge_config_selectorIiiEEZZNS1_27merge_sort_block_merge_implIS3_N6thrust23THRUST_200600_302600_NS6detail15normal_iteratorINS8_10device_ptrIiEEEESD_jNS1_19radix_merge_compareILb0ELb1EiNS0_19identity_decomposerEEEEE10hipError_tT0_T1_T2_jT3_P12ihipStream_tbPNSt15iterator_traitsISI_E10value_typeEPNSO_ISJ_E10value_typeEPSK_NS1_7vsmem_tEENKUlT_SI_SJ_SK_E_clISD_PiSD_S10_EESH_SX_SI_SJ_SK_EUlSX_E1_NS1_11comp_targetILNS1_3genE9ELNS1_11target_archE1100ELNS1_3gpuE3ELNS1_3repE0EEENS1_36merge_oddeven_config_static_selectorELNS0_4arch9wavefront6targetE0EEEvSJ_.uses_flat_scratch, 0
	.set _ZN7rocprim17ROCPRIM_400000_NS6detail17trampoline_kernelINS0_14default_configENS1_38merge_sort_block_merge_config_selectorIiiEEZZNS1_27merge_sort_block_merge_implIS3_N6thrust23THRUST_200600_302600_NS6detail15normal_iteratorINS8_10device_ptrIiEEEESD_jNS1_19radix_merge_compareILb0ELb1EiNS0_19identity_decomposerEEEEE10hipError_tT0_T1_T2_jT3_P12ihipStream_tbPNSt15iterator_traitsISI_E10value_typeEPNSO_ISJ_E10value_typeEPSK_NS1_7vsmem_tEENKUlT_SI_SJ_SK_E_clISD_PiSD_S10_EESH_SX_SI_SJ_SK_EUlSX_E1_NS1_11comp_targetILNS1_3genE9ELNS1_11target_archE1100ELNS1_3gpuE3ELNS1_3repE0EEENS1_36merge_oddeven_config_static_selectorELNS0_4arch9wavefront6targetE0EEEvSJ_.has_dyn_sized_stack, 0
	.set _ZN7rocprim17ROCPRIM_400000_NS6detail17trampoline_kernelINS0_14default_configENS1_38merge_sort_block_merge_config_selectorIiiEEZZNS1_27merge_sort_block_merge_implIS3_N6thrust23THRUST_200600_302600_NS6detail15normal_iteratorINS8_10device_ptrIiEEEESD_jNS1_19radix_merge_compareILb0ELb1EiNS0_19identity_decomposerEEEEE10hipError_tT0_T1_T2_jT3_P12ihipStream_tbPNSt15iterator_traitsISI_E10value_typeEPNSO_ISJ_E10value_typeEPSK_NS1_7vsmem_tEENKUlT_SI_SJ_SK_E_clISD_PiSD_S10_EESH_SX_SI_SJ_SK_EUlSX_E1_NS1_11comp_targetILNS1_3genE9ELNS1_11target_archE1100ELNS1_3gpuE3ELNS1_3repE0EEENS1_36merge_oddeven_config_static_selectorELNS0_4arch9wavefront6targetE0EEEvSJ_.has_recursion, 0
	.set _ZN7rocprim17ROCPRIM_400000_NS6detail17trampoline_kernelINS0_14default_configENS1_38merge_sort_block_merge_config_selectorIiiEEZZNS1_27merge_sort_block_merge_implIS3_N6thrust23THRUST_200600_302600_NS6detail15normal_iteratorINS8_10device_ptrIiEEEESD_jNS1_19radix_merge_compareILb0ELb1EiNS0_19identity_decomposerEEEEE10hipError_tT0_T1_T2_jT3_P12ihipStream_tbPNSt15iterator_traitsISI_E10value_typeEPNSO_ISJ_E10value_typeEPSK_NS1_7vsmem_tEENKUlT_SI_SJ_SK_E_clISD_PiSD_S10_EESH_SX_SI_SJ_SK_EUlSX_E1_NS1_11comp_targetILNS1_3genE9ELNS1_11target_archE1100ELNS1_3gpuE3ELNS1_3repE0EEENS1_36merge_oddeven_config_static_selectorELNS0_4arch9wavefront6targetE0EEEvSJ_.has_indirect_call, 0
	.section	.AMDGPU.csdata,"",@progbits
; Kernel info:
; codeLenInByte = 0
; TotalNumSgprs: 0
; NumVgprs: 0
; ScratchSize: 0
; MemoryBound: 0
; FloatMode: 240
; IeeeMode: 1
; LDSByteSize: 0 bytes/workgroup (compile time only)
; SGPRBlocks: 0
; VGPRBlocks: 0
; NumSGPRsForWavesPerEU: 1
; NumVGPRsForWavesPerEU: 1
; Occupancy: 16
; WaveLimiterHint : 0
; COMPUTE_PGM_RSRC2:SCRATCH_EN: 0
; COMPUTE_PGM_RSRC2:USER_SGPR: 6
; COMPUTE_PGM_RSRC2:TRAP_HANDLER: 0
; COMPUTE_PGM_RSRC2:TGID_X_EN: 1
; COMPUTE_PGM_RSRC2:TGID_Y_EN: 0
; COMPUTE_PGM_RSRC2:TGID_Z_EN: 0
; COMPUTE_PGM_RSRC2:TIDIG_COMP_CNT: 0
	.section	.text._ZN7rocprim17ROCPRIM_400000_NS6detail17trampoline_kernelINS0_14default_configENS1_38merge_sort_block_merge_config_selectorIiiEEZZNS1_27merge_sort_block_merge_implIS3_N6thrust23THRUST_200600_302600_NS6detail15normal_iteratorINS8_10device_ptrIiEEEESD_jNS1_19radix_merge_compareILb0ELb1EiNS0_19identity_decomposerEEEEE10hipError_tT0_T1_T2_jT3_P12ihipStream_tbPNSt15iterator_traitsISI_E10value_typeEPNSO_ISJ_E10value_typeEPSK_NS1_7vsmem_tEENKUlT_SI_SJ_SK_E_clISD_PiSD_S10_EESH_SX_SI_SJ_SK_EUlSX_E1_NS1_11comp_targetILNS1_3genE8ELNS1_11target_archE1030ELNS1_3gpuE2ELNS1_3repE0EEENS1_36merge_oddeven_config_static_selectorELNS0_4arch9wavefront6targetE0EEEvSJ_,"axG",@progbits,_ZN7rocprim17ROCPRIM_400000_NS6detail17trampoline_kernelINS0_14default_configENS1_38merge_sort_block_merge_config_selectorIiiEEZZNS1_27merge_sort_block_merge_implIS3_N6thrust23THRUST_200600_302600_NS6detail15normal_iteratorINS8_10device_ptrIiEEEESD_jNS1_19radix_merge_compareILb0ELb1EiNS0_19identity_decomposerEEEEE10hipError_tT0_T1_T2_jT3_P12ihipStream_tbPNSt15iterator_traitsISI_E10value_typeEPNSO_ISJ_E10value_typeEPSK_NS1_7vsmem_tEENKUlT_SI_SJ_SK_E_clISD_PiSD_S10_EESH_SX_SI_SJ_SK_EUlSX_E1_NS1_11comp_targetILNS1_3genE8ELNS1_11target_archE1030ELNS1_3gpuE2ELNS1_3repE0EEENS1_36merge_oddeven_config_static_selectorELNS0_4arch9wavefront6targetE0EEEvSJ_,comdat
	.protected	_ZN7rocprim17ROCPRIM_400000_NS6detail17trampoline_kernelINS0_14default_configENS1_38merge_sort_block_merge_config_selectorIiiEEZZNS1_27merge_sort_block_merge_implIS3_N6thrust23THRUST_200600_302600_NS6detail15normal_iteratorINS8_10device_ptrIiEEEESD_jNS1_19radix_merge_compareILb0ELb1EiNS0_19identity_decomposerEEEEE10hipError_tT0_T1_T2_jT3_P12ihipStream_tbPNSt15iterator_traitsISI_E10value_typeEPNSO_ISJ_E10value_typeEPSK_NS1_7vsmem_tEENKUlT_SI_SJ_SK_E_clISD_PiSD_S10_EESH_SX_SI_SJ_SK_EUlSX_E1_NS1_11comp_targetILNS1_3genE8ELNS1_11target_archE1030ELNS1_3gpuE2ELNS1_3repE0EEENS1_36merge_oddeven_config_static_selectorELNS0_4arch9wavefront6targetE0EEEvSJ_ ; -- Begin function _ZN7rocprim17ROCPRIM_400000_NS6detail17trampoline_kernelINS0_14default_configENS1_38merge_sort_block_merge_config_selectorIiiEEZZNS1_27merge_sort_block_merge_implIS3_N6thrust23THRUST_200600_302600_NS6detail15normal_iteratorINS8_10device_ptrIiEEEESD_jNS1_19radix_merge_compareILb0ELb1EiNS0_19identity_decomposerEEEEE10hipError_tT0_T1_T2_jT3_P12ihipStream_tbPNSt15iterator_traitsISI_E10value_typeEPNSO_ISJ_E10value_typeEPSK_NS1_7vsmem_tEENKUlT_SI_SJ_SK_E_clISD_PiSD_S10_EESH_SX_SI_SJ_SK_EUlSX_E1_NS1_11comp_targetILNS1_3genE8ELNS1_11target_archE1030ELNS1_3gpuE2ELNS1_3repE0EEENS1_36merge_oddeven_config_static_selectorELNS0_4arch9wavefront6targetE0EEEvSJ_
	.globl	_ZN7rocprim17ROCPRIM_400000_NS6detail17trampoline_kernelINS0_14default_configENS1_38merge_sort_block_merge_config_selectorIiiEEZZNS1_27merge_sort_block_merge_implIS3_N6thrust23THRUST_200600_302600_NS6detail15normal_iteratorINS8_10device_ptrIiEEEESD_jNS1_19radix_merge_compareILb0ELb1EiNS0_19identity_decomposerEEEEE10hipError_tT0_T1_T2_jT3_P12ihipStream_tbPNSt15iterator_traitsISI_E10value_typeEPNSO_ISJ_E10value_typeEPSK_NS1_7vsmem_tEENKUlT_SI_SJ_SK_E_clISD_PiSD_S10_EESH_SX_SI_SJ_SK_EUlSX_E1_NS1_11comp_targetILNS1_3genE8ELNS1_11target_archE1030ELNS1_3gpuE2ELNS1_3repE0EEENS1_36merge_oddeven_config_static_selectorELNS0_4arch9wavefront6targetE0EEEvSJ_
	.p2align	8
	.type	_ZN7rocprim17ROCPRIM_400000_NS6detail17trampoline_kernelINS0_14default_configENS1_38merge_sort_block_merge_config_selectorIiiEEZZNS1_27merge_sort_block_merge_implIS3_N6thrust23THRUST_200600_302600_NS6detail15normal_iteratorINS8_10device_ptrIiEEEESD_jNS1_19radix_merge_compareILb0ELb1EiNS0_19identity_decomposerEEEEE10hipError_tT0_T1_T2_jT3_P12ihipStream_tbPNSt15iterator_traitsISI_E10value_typeEPNSO_ISJ_E10value_typeEPSK_NS1_7vsmem_tEENKUlT_SI_SJ_SK_E_clISD_PiSD_S10_EESH_SX_SI_SJ_SK_EUlSX_E1_NS1_11comp_targetILNS1_3genE8ELNS1_11target_archE1030ELNS1_3gpuE2ELNS1_3repE0EEENS1_36merge_oddeven_config_static_selectorELNS0_4arch9wavefront6targetE0EEEvSJ_,@function
_ZN7rocprim17ROCPRIM_400000_NS6detail17trampoline_kernelINS0_14default_configENS1_38merge_sort_block_merge_config_selectorIiiEEZZNS1_27merge_sort_block_merge_implIS3_N6thrust23THRUST_200600_302600_NS6detail15normal_iteratorINS8_10device_ptrIiEEEESD_jNS1_19radix_merge_compareILb0ELb1EiNS0_19identity_decomposerEEEEE10hipError_tT0_T1_T2_jT3_P12ihipStream_tbPNSt15iterator_traitsISI_E10value_typeEPNSO_ISJ_E10value_typeEPSK_NS1_7vsmem_tEENKUlT_SI_SJ_SK_E_clISD_PiSD_S10_EESH_SX_SI_SJ_SK_EUlSX_E1_NS1_11comp_targetILNS1_3genE8ELNS1_11target_archE1030ELNS1_3gpuE2ELNS1_3repE0EEENS1_36merge_oddeven_config_static_selectorELNS0_4arch9wavefront6targetE0EEEvSJ_: ; @_ZN7rocprim17ROCPRIM_400000_NS6detail17trampoline_kernelINS0_14default_configENS1_38merge_sort_block_merge_config_selectorIiiEEZZNS1_27merge_sort_block_merge_implIS3_N6thrust23THRUST_200600_302600_NS6detail15normal_iteratorINS8_10device_ptrIiEEEESD_jNS1_19radix_merge_compareILb0ELb1EiNS0_19identity_decomposerEEEEE10hipError_tT0_T1_T2_jT3_P12ihipStream_tbPNSt15iterator_traitsISI_E10value_typeEPNSO_ISJ_E10value_typeEPSK_NS1_7vsmem_tEENKUlT_SI_SJ_SK_E_clISD_PiSD_S10_EESH_SX_SI_SJ_SK_EUlSX_E1_NS1_11comp_targetILNS1_3genE8ELNS1_11target_archE1030ELNS1_3gpuE2ELNS1_3repE0EEENS1_36merge_oddeven_config_static_selectorELNS0_4arch9wavefront6targetE0EEEvSJ_
; %bb.0:
	s_load_dword s16, s[4:5], 0x20
	s_waitcnt lgkmcnt(0)
	s_lshr_b32 s0, s16, 8
	s_cmp_eq_u32 s6, s0
	s_cselect_b32 s7, -1, 0
	s_cmp_lg_u32 s6, s0
	s_cselect_b32 s0, -1, 0
	s_lshl_b32 s2, s6, 8
	s_sub_i32 s1, s16, s2
	v_cmp_gt_u32_e64 s1, s1, v0
	s_or_b32 s0, s0, s1
	s_and_saveexec_b32 s3, s0
	s_cbranch_execz .LBB803_24
; %bb.1:
	s_load_dwordx8 s[8:15], s[4:5], 0x0
	s_mov_b32 s3, 0
	v_lshlrev_b32_e32 v1, 2, v0
	s_lshl_b64 s[18:19], s[2:3], 2
	v_add_nc_u32_e32 v0, s2, v0
	s_mov_b32 s2, -1
	s_waitcnt lgkmcnt(0)
	s_add_u32 s20, s8, s18
	s_addc_u32 s21, s9, s19
	s_add_u32 s12, s12, s18
	s_addc_u32 s13, s13, s19
	s_clause 0x1
	global_load_dword v2, v1, s[12:13]
	global_load_dword v3, v1, s[20:21]
	s_load_dword s12, s[4:5], 0x24
	s_waitcnt lgkmcnt(0)
	s_lshr_b32 s0, s12, 8
	s_sub_i32 s3, 0, s0
	s_and_b32 s3, s6, s3
	s_and_b32 s0, s3, s0
	s_lshl_b32 s6, s3, 8
	s_sub_i32 s3, 0, s12
	s_cmp_eq_u32 s0, 0
	s_cselect_b32 s0, -1, 0
	s_and_b32 s13, s0, exec_lo
	s_cselect_b32 s3, s12, s3
	s_add_i32 s3, s3, s6
	s_cmp_gt_u32 s16, s3
	s_cbranch_scc1 .LBB803_9
; %bb.2:
	s_and_b32 vcc_lo, exec_lo, s7
	s_cbranch_vccz .LBB803_6
; %bb.3:
	s_mov_b32 s2, exec_lo
	v_cmpx_gt_u32_e64 s16, v0
	s_cbranch_execz .LBB803_5
; %bb.4:
	v_mov_b32_e32 v1, 0
	v_lshlrev_b64 v[4:5], 2, v[0:1]
	v_add_co_u32 v6, vcc_lo, s10, v4
	v_add_co_ci_u32_e64 v7, null, s11, v5, vcc_lo
	v_add_co_u32 v4, vcc_lo, s14, v4
	v_add_co_ci_u32_e64 v5, null, s15, v5, vcc_lo
	s_waitcnt vmcnt(0)
	global_store_dword v[6:7], v3, off
	global_store_dword v[4:5], v2, off
.LBB803_5:
	s_or_b32 exec_lo, exec_lo, s2
	s_mov_b32 s2, 0
.LBB803_6:
	s_andn2_b32 vcc_lo, exec_lo, s2
	s_cbranch_vccnz .LBB803_8
; %bb.7:
	v_mov_b32_e32 v1, 0
	v_lshlrev_b64 v[4:5], 2, v[0:1]
	v_add_co_u32 v6, vcc_lo, s10, v4
	v_add_co_ci_u32_e64 v7, null, s11, v5, vcc_lo
	v_add_co_u32 v4, vcc_lo, s14, v4
	v_add_co_ci_u32_e64 v5, null, s15, v5, vcc_lo
	s_waitcnt vmcnt(0)
	global_store_dword v[6:7], v3, off
	global_store_dword v[4:5], v2, off
.LBB803_8:
	s_mov_b32 s2, 0
.LBB803_9:
	s_andn2_b32 vcc_lo, exec_lo, s2
	s_cbranch_vccnz .LBB803_24
; %bb.10:
	s_load_dword s2, s[4:5], 0x28
	s_min_u32 s4, s3, s16
	s_and_b32 vcc_lo, exec_lo, s7
	s_add_i32 s5, s6, s4
	s_min_u32 s6, s6, s4
	v_subrev_nc_u32_e32 v0, s5, v0
	s_add_i32 s5, s4, s12
	s_min_u32 s5, s5, s16
	v_add_nc_u32_e32 v4, s6, v0
	s_mov_b32 s6, -1
	s_waitcnt vmcnt(0) lgkmcnt(0)
	v_and_b32_e32 v5, s2, v3
	s_cbranch_vccz .LBB803_18
; %bb.11:
	s_and_saveexec_b32 s6, s1
	s_cbranch_execz .LBB803_17
; %bb.12:
	v_mov_b32_e32 v6, s4
	s_cmp_ge_u32 s3, s5
	s_cbranch_scc1 .LBB803_16
; %bb.13:
	v_mov_b32_e32 v7, s5
	v_mov_b32_e32 v6, s4
	;; [unrolled: 1-line block ×3, first 2 shown]
	s_mov_b32 s1, 0
	.p2align	6
.LBB803_14:                             ; =>This Inner Loop Header: Depth=1
	v_add_nc_u32_e32 v0, v6, v7
	v_lshrrev_b32_e32 v0, 1, v0
	v_lshlrev_b64 v[8:9], 2, v[0:1]
	v_add_co_u32 v8, vcc_lo, s8, v8
	v_add_co_ci_u32_e64 v9, null, s9, v9, vcc_lo
	global_load_dword v8, v[8:9], off
	s_waitcnt vmcnt(0)
	v_and_b32_e32 v8, s2, v8
	v_cmp_gt_i32_e32 vcc_lo, v5, v8
	v_cndmask_b32_e64 v9, 0, 1, vcc_lo
	v_cmp_le_i32_e32 vcc_lo, v8, v5
	v_cndmask_b32_e64 v8, 0, 1, vcc_lo
	v_cndmask_b32_e64 v8, v8, v9, s0
	v_add_nc_u32_e32 v9, 1, v0
	v_and_b32_e32 v8, 1, v8
	v_cmp_eq_u32_e32 vcc_lo, 1, v8
	v_cndmask_b32_e32 v7, v0, v7, vcc_lo
	v_cndmask_b32_e32 v6, v6, v9, vcc_lo
	v_cmp_ge_u32_e32 vcc_lo, v6, v7
	s_or_b32 s1, vcc_lo, s1
	s_andn2_b32 exec_lo, exec_lo, s1
	s_cbranch_execnz .LBB803_14
; %bb.15:
	s_or_b32 exec_lo, exec_lo, s1
.LBB803_16:
	v_add_nc_u32_e32 v0, v6, v4
	v_mov_b32_e32 v1, 0
	v_lshlrev_b64 v[0:1], 2, v[0:1]
	v_add_co_u32 v6, vcc_lo, s10, v0
	v_add_co_ci_u32_e64 v7, null, s11, v1, vcc_lo
	v_add_co_u32 v0, vcc_lo, s14, v0
	v_add_co_ci_u32_e64 v1, null, s15, v1, vcc_lo
	global_store_dword v[6:7], v3, off
	global_store_dword v[0:1], v2, off
.LBB803_17:
	s_or_b32 exec_lo, exec_lo, s6
	s_mov_b32 s6, 0
.LBB803_18:
	s_andn2_b32 vcc_lo, exec_lo, s6
	s_cbranch_vccnz .LBB803_24
; %bb.19:
	v_mov_b32_e32 v6, s4
	s_cmp_ge_u32 s3, s5
	s_cbranch_scc1 .LBB803_23
; %bb.20:
	v_mov_b32_e32 v7, s5
	v_mov_b32_e32 v6, s4
	v_mov_b32_e32 v1, 0
	s_mov_b32 s1, 0
	.p2align	6
.LBB803_21:                             ; =>This Inner Loop Header: Depth=1
	v_add_nc_u32_e32 v0, v6, v7
	v_lshrrev_b32_e32 v0, 1, v0
	v_lshlrev_b64 v[8:9], 2, v[0:1]
	v_add_co_u32 v8, vcc_lo, s8, v8
	v_add_co_ci_u32_e64 v9, null, s9, v9, vcc_lo
	global_load_dword v8, v[8:9], off
	s_waitcnt vmcnt(0)
	v_and_b32_e32 v8, s2, v8
	v_cmp_gt_i32_e32 vcc_lo, v5, v8
	v_cndmask_b32_e64 v9, 0, 1, vcc_lo
	v_cmp_le_i32_e32 vcc_lo, v8, v5
	v_cndmask_b32_e64 v8, 0, 1, vcc_lo
	v_cndmask_b32_e64 v8, v8, v9, s0
	v_add_nc_u32_e32 v9, 1, v0
	v_and_b32_e32 v8, 1, v8
	v_cmp_eq_u32_e32 vcc_lo, 1, v8
	v_cndmask_b32_e32 v7, v0, v7, vcc_lo
	v_cndmask_b32_e32 v6, v6, v9, vcc_lo
	v_cmp_ge_u32_e32 vcc_lo, v6, v7
	s_or_b32 s1, vcc_lo, s1
	s_andn2_b32 exec_lo, exec_lo, s1
	s_cbranch_execnz .LBB803_21
; %bb.22:
	s_or_b32 exec_lo, exec_lo, s1
.LBB803_23:
	v_add_nc_u32_e32 v0, v6, v4
	v_mov_b32_e32 v1, 0
	v_lshlrev_b64 v[0:1], 2, v[0:1]
	v_add_co_u32 v4, vcc_lo, s10, v0
	v_add_co_ci_u32_e64 v5, null, s11, v1, vcc_lo
	v_add_co_u32 v0, vcc_lo, s14, v0
	v_add_co_ci_u32_e64 v1, null, s15, v1, vcc_lo
	global_store_dword v[4:5], v3, off
	global_store_dword v[0:1], v2, off
.LBB803_24:
	s_endpgm
	.section	.rodata,"a",@progbits
	.p2align	6, 0x0
	.amdhsa_kernel _ZN7rocprim17ROCPRIM_400000_NS6detail17trampoline_kernelINS0_14default_configENS1_38merge_sort_block_merge_config_selectorIiiEEZZNS1_27merge_sort_block_merge_implIS3_N6thrust23THRUST_200600_302600_NS6detail15normal_iteratorINS8_10device_ptrIiEEEESD_jNS1_19radix_merge_compareILb0ELb1EiNS0_19identity_decomposerEEEEE10hipError_tT0_T1_T2_jT3_P12ihipStream_tbPNSt15iterator_traitsISI_E10value_typeEPNSO_ISJ_E10value_typeEPSK_NS1_7vsmem_tEENKUlT_SI_SJ_SK_E_clISD_PiSD_S10_EESH_SX_SI_SJ_SK_EUlSX_E1_NS1_11comp_targetILNS1_3genE8ELNS1_11target_archE1030ELNS1_3gpuE2ELNS1_3repE0EEENS1_36merge_oddeven_config_static_selectorELNS0_4arch9wavefront6targetE0EEEvSJ_
		.amdhsa_group_segment_fixed_size 0
		.amdhsa_private_segment_fixed_size 0
		.amdhsa_kernarg_size 48
		.amdhsa_user_sgpr_count 6
		.amdhsa_user_sgpr_private_segment_buffer 1
		.amdhsa_user_sgpr_dispatch_ptr 0
		.amdhsa_user_sgpr_queue_ptr 0
		.amdhsa_user_sgpr_kernarg_segment_ptr 1
		.amdhsa_user_sgpr_dispatch_id 0
		.amdhsa_user_sgpr_flat_scratch_init 0
		.amdhsa_user_sgpr_private_segment_size 0
		.amdhsa_wavefront_size32 1
		.amdhsa_uses_dynamic_stack 0
		.amdhsa_system_sgpr_private_segment_wavefront_offset 0
		.amdhsa_system_sgpr_workgroup_id_x 1
		.amdhsa_system_sgpr_workgroup_id_y 0
		.amdhsa_system_sgpr_workgroup_id_z 0
		.amdhsa_system_sgpr_workgroup_info 0
		.amdhsa_system_vgpr_workitem_id 0
		.amdhsa_next_free_vgpr 10
		.amdhsa_next_free_sgpr 22
		.amdhsa_reserve_vcc 1
		.amdhsa_reserve_flat_scratch 0
		.amdhsa_float_round_mode_32 0
		.amdhsa_float_round_mode_16_64 0
		.amdhsa_float_denorm_mode_32 3
		.amdhsa_float_denorm_mode_16_64 3
		.amdhsa_dx10_clamp 1
		.amdhsa_ieee_mode 1
		.amdhsa_fp16_overflow 0
		.amdhsa_workgroup_processor_mode 1
		.amdhsa_memory_ordered 1
		.amdhsa_forward_progress 1
		.amdhsa_shared_vgpr_count 0
		.amdhsa_exception_fp_ieee_invalid_op 0
		.amdhsa_exception_fp_denorm_src 0
		.amdhsa_exception_fp_ieee_div_zero 0
		.amdhsa_exception_fp_ieee_overflow 0
		.amdhsa_exception_fp_ieee_underflow 0
		.amdhsa_exception_fp_ieee_inexact 0
		.amdhsa_exception_int_div_zero 0
	.end_amdhsa_kernel
	.section	.text._ZN7rocprim17ROCPRIM_400000_NS6detail17trampoline_kernelINS0_14default_configENS1_38merge_sort_block_merge_config_selectorIiiEEZZNS1_27merge_sort_block_merge_implIS3_N6thrust23THRUST_200600_302600_NS6detail15normal_iteratorINS8_10device_ptrIiEEEESD_jNS1_19radix_merge_compareILb0ELb1EiNS0_19identity_decomposerEEEEE10hipError_tT0_T1_T2_jT3_P12ihipStream_tbPNSt15iterator_traitsISI_E10value_typeEPNSO_ISJ_E10value_typeEPSK_NS1_7vsmem_tEENKUlT_SI_SJ_SK_E_clISD_PiSD_S10_EESH_SX_SI_SJ_SK_EUlSX_E1_NS1_11comp_targetILNS1_3genE8ELNS1_11target_archE1030ELNS1_3gpuE2ELNS1_3repE0EEENS1_36merge_oddeven_config_static_selectorELNS0_4arch9wavefront6targetE0EEEvSJ_,"axG",@progbits,_ZN7rocprim17ROCPRIM_400000_NS6detail17trampoline_kernelINS0_14default_configENS1_38merge_sort_block_merge_config_selectorIiiEEZZNS1_27merge_sort_block_merge_implIS3_N6thrust23THRUST_200600_302600_NS6detail15normal_iteratorINS8_10device_ptrIiEEEESD_jNS1_19radix_merge_compareILb0ELb1EiNS0_19identity_decomposerEEEEE10hipError_tT0_T1_T2_jT3_P12ihipStream_tbPNSt15iterator_traitsISI_E10value_typeEPNSO_ISJ_E10value_typeEPSK_NS1_7vsmem_tEENKUlT_SI_SJ_SK_E_clISD_PiSD_S10_EESH_SX_SI_SJ_SK_EUlSX_E1_NS1_11comp_targetILNS1_3genE8ELNS1_11target_archE1030ELNS1_3gpuE2ELNS1_3repE0EEENS1_36merge_oddeven_config_static_selectorELNS0_4arch9wavefront6targetE0EEEvSJ_,comdat
.Lfunc_end803:
	.size	_ZN7rocprim17ROCPRIM_400000_NS6detail17trampoline_kernelINS0_14default_configENS1_38merge_sort_block_merge_config_selectorIiiEEZZNS1_27merge_sort_block_merge_implIS3_N6thrust23THRUST_200600_302600_NS6detail15normal_iteratorINS8_10device_ptrIiEEEESD_jNS1_19radix_merge_compareILb0ELb1EiNS0_19identity_decomposerEEEEE10hipError_tT0_T1_T2_jT3_P12ihipStream_tbPNSt15iterator_traitsISI_E10value_typeEPNSO_ISJ_E10value_typeEPSK_NS1_7vsmem_tEENKUlT_SI_SJ_SK_E_clISD_PiSD_S10_EESH_SX_SI_SJ_SK_EUlSX_E1_NS1_11comp_targetILNS1_3genE8ELNS1_11target_archE1030ELNS1_3gpuE2ELNS1_3repE0EEENS1_36merge_oddeven_config_static_selectorELNS0_4arch9wavefront6targetE0EEEvSJ_, .Lfunc_end803-_ZN7rocprim17ROCPRIM_400000_NS6detail17trampoline_kernelINS0_14default_configENS1_38merge_sort_block_merge_config_selectorIiiEEZZNS1_27merge_sort_block_merge_implIS3_N6thrust23THRUST_200600_302600_NS6detail15normal_iteratorINS8_10device_ptrIiEEEESD_jNS1_19radix_merge_compareILb0ELb1EiNS0_19identity_decomposerEEEEE10hipError_tT0_T1_T2_jT3_P12ihipStream_tbPNSt15iterator_traitsISI_E10value_typeEPNSO_ISJ_E10value_typeEPSK_NS1_7vsmem_tEENKUlT_SI_SJ_SK_E_clISD_PiSD_S10_EESH_SX_SI_SJ_SK_EUlSX_E1_NS1_11comp_targetILNS1_3genE8ELNS1_11target_archE1030ELNS1_3gpuE2ELNS1_3repE0EEENS1_36merge_oddeven_config_static_selectorELNS0_4arch9wavefront6targetE0EEEvSJ_
                                        ; -- End function
	.set _ZN7rocprim17ROCPRIM_400000_NS6detail17trampoline_kernelINS0_14default_configENS1_38merge_sort_block_merge_config_selectorIiiEEZZNS1_27merge_sort_block_merge_implIS3_N6thrust23THRUST_200600_302600_NS6detail15normal_iteratorINS8_10device_ptrIiEEEESD_jNS1_19radix_merge_compareILb0ELb1EiNS0_19identity_decomposerEEEEE10hipError_tT0_T1_T2_jT3_P12ihipStream_tbPNSt15iterator_traitsISI_E10value_typeEPNSO_ISJ_E10value_typeEPSK_NS1_7vsmem_tEENKUlT_SI_SJ_SK_E_clISD_PiSD_S10_EESH_SX_SI_SJ_SK_EUlSX_E1_NS1_11comp_targetILNS1_3genE8ELNS1_11target_archE1030ELNS1_3gpuE2ELNS1_3repE0EEENS1_36merge_oddeven_config_static_selectorELNS0_4arch9wavefront6targetE0EEEvSJ_.num_vgpr, 10
	.set _ZN7rocprim17ROCPRIM_400000_NS6detail17trampoline_kernelINS0_14default_configENS1_38merge_sort_block_merge_config_selectorIiiEEZZNS1_27merge_sort_block_merge_implIS3_N6thrust23THRUST_200600_302600_NS6detail15normal_iteratorINS8_10device_ptrIiEEEESD_jNS1_19radix_merge_compareILb0ELb1EiNS0_19identity_decomposerEEEEE10hipError_tT0_T1_T2_jT3_P12ihipStream_tbPNSt15iterator_traitsISI_E10value_typeEPNSO_ISJ_E10value_typeEPSK_NS1_7vsmem_tEENKUlT_SI_SJ_SK_E_clISD_PiSD_S10_EESH_SX_SI_SJ_SK_EUlSX_E1_NS1_11comp_targetILNS1_3genE8ELNS1_11target_archE1030ELNS1_3gpuE2ELNS1_3repE0EEENS1_36merge_oddeven_config_static_selectorELNS0_4arch9wavefront6targetE0EEEvSJ_.num_agpr, 0
	.set _ZN7rocprim17ROCPRIM_400000_NS6detail17trampoline_kernelINS0_14default_configENS1_38merge_sort_block_merge_config_selectorIiiEEZZNS1_27merge_sort_block_merge_implIS3_N6thrust23THRUST_200600_302600_NS6detail15normal_iteratorINS8_10device_ptrIiEEEESD_jNS1_19radix_merge_compareILb0ELb1EiNS0_19identity_decomposerEEEEE10hipError_tT0_T1_T2_jT3_P12ihipStream_tbPNSt15iterator_traitsISI_E10value_typeEPNSO_ISJ_E10value_typeEPSK_NS1_7vsmem_tEENKUlT_SI_SJ_SK_E_clISD_PiSD_S10_EESH_SX_SI_SJ_SK_EUlSX_E1_NS1_11comp_targetILNS1_3genE8ELNS1_11target_archE1030ELNS1_3gpuE2ELNS1_3repE0EEENS1_36merge_oddeven_config_static_selectorELNS0_4arch9wavefront6targetE0EEEvSJ_.numbered_sgpr, 22
	.set _ZN7rocprim17ROCPRIM_400000_NS6detail17trampoline_kernelINS0_14default_configENS1_38merge_sort_block_merge_config_selectorIiiEEZZNS1_27merge_sort_block_merge_implIS3_N6thrust23THRUST_200600_302600_NS6detail15normal_iteratorINS8_10device_ptrIiEEEESD_jNS1_19radix_merge_compareILb0ELb1EiNS0_19identity_decomposerEEEEE10hipError_tT0_T1_T2_jT3_P12ihipStream_tbPNSt15iterator_traitsISI_E10value_typeEPNSO_ISJ_E10value_typeEPSK_NS1_7vsmem_tEENKUlT_SI_SJ_SK_E_clISD_PiSD_S10_EESH_SX_SI_SJ_SK_EUlSX_E1_NS1_11comp_targetILNS1_3genE8ELNS1_11target_archE1030ELNS1_3gpuE2ELNS1_3repE0EEENS1_36merge_oddeven_config_static_selectorELNS0_4arch9wavefront6targetE0EEEvSJ_.num_named_barrier, 0
	.set _ZN7rocprim17ROCPRIM_400000_NS6detail17trampoline_kernelINS0_14default_configENS1_38merge_sort_block_merge_config_selectorIiiEEZZNS1_27merge_sort_block_merge_implIS3_N6thrust23THRUST_200600_302600_NS6detail15normal_iteratorINS8_10device_ptrIiEEEESD_jNS1_19radix_merge_compareILb0ELb1EiNS0_19identity_decomposerEEEEE10hipError_tT0_T1_T2_jT3_P12ihipStream_tbPNSt15iterator_traitsISI_E10value_typeEPNSO_ISJ_E10value_typeEPSK_NS1_7vsmem_tEENKUlT_SI_SJ_SK_E_clISD_PiSD_S10_EESH_SX_SI_SJ_SK_EUlSX_E1_NS1_11comp_targetILNS1_3genE8ELNS1_11target_archE1030ELNS1_3gpuE2ELNS1_3repE0EEENS1_36merge_oddeven_config_static_selectorELNS0_4arch9wavefront6targetE0EEEvSJ_.private_seg_size, 0
	.set _ZN7rocprim17ROCPRIM_400000_NS6detail17trampoline_kernelINS0_14default_configENS1_38merge_sort_block_merge_config_selectorIiiEEZZNS1_27merge_sort_block_merge_implIS3_N6thrust23THRUST_200600_302600_NS6detail15normal_iteratorINS8_10device_ptrIiEEEESD_jNS1_19radix_merge_compareILb0ELb1EiNS0_19identity_decomposerEEEEE10hipError_tT0_T1_T2_jT3_P12ihipStream_tbPNSt15iterator_traitsISI_E10value_typeEPNSO_ISJ_E10value_typeEPSK_NS1_7vsmem_tEENKUlT_SI_SJ_SK_E_clISD_PiSD_S10_EESH_SX_SI_SJ_SK_EUlSX_E1_NS1_11comp_targetILNS1_3genE8ELNS1_11target_archE1030ELNS1_3gpuE2ELNS1_3repE0EEENS1_36merge_oddeven_config_static_selectorELNS0_4arch9wavefront6targetE0EEEvSJ_.uses_vcc, 1
	.set _ZN7rocprim17ROCPRIM_400000_NS6detail17trampoline_kernelINS0_14default_configENS1_38merge_sort_block_merge_config_selectorIiiEEZZNS1_27merge_sort_block_merge_implIS3_N6thrust23THRUST_200600_302600_NS6detail15normal_iteratorINS8_10device_ptrIiEEEESD_jNS1_19radix_merge_compareILb0ELb1EiNS0_19identity_decomposerEEEEE10hipError_tT0_T1_T2_jT3_P12ihipStream_tbPNSt15iterator_traitsISI_E10value_typeEPNSO_ISJ_E10value_typeEPSK_NS1_7vsmem_tEENKUlT_SI_SJ_SK_E_clISD_PiSD_S10_EESH_SX_SI_SJ_SK_EUlSX_E1_NS1_11comp_targetILNS1_3genE8ELNS1_11target_archE1030ELNS1_3gpuE2ELNS1_3repE0EEENS1_36merge_oddeven_config_static_selectorELNS0_4arch9wavefront6targetE0EEEvSJ_.uses_flat_scratch, 0
	.set _ZN7rocprim17ROCPRIM_400000_NS6detail17trampoline_kernelINS0_14default_configENS1_38merge_sort_block_merge_config_selectorIiiEEZZNS1_27merge_sort_block_merge_implIS3_N6thrust23THRUST_200600_302600_NS6detail15normal_iteratorINS8_10device_ptrIiEEEESD_jNS1_19radix_merge_compareILb0ELb1EiNS0_19identity_decomposerEEEEE10hipError_tT0_T1_T2_jT3_P12ihipStream_tbPNSt15iterator_traitsISI_E10value_typeEPNSO_ISJ_E10value_typeEPSK_NS1_7vsmem_tEENKUlT_SI_SJ_SK_E_clISD_PiSD_S10_EESH_SX_SI_SJ_SK_EUlSX_E1_NS1_11comp_targetILNS1_3genE8ELNS1_11target_archE1030ELNS1_3gpuE2ELNS1_3repE0EEENS1_36merge_oddeven_config_static_selectorELNS0_4arch9wavefront6targetE0EEEvSJ_.has_dyn_sized_stack, 0
	.set _ZN7rocprim17ROCPRIM_400000_NS6detail17trampoline_kernelINS0_14default_configENS1_38merge_sort_block_merge_config_selectorIiiEEZZNS1_27merge_sort_block_merge_implIS3_N6thrust23THRUST_200600_302600_NS6detail15normal_iteratorINS8_10device_ptrIiEEEESD_jNS1_19radix_merge_compareILb0ELb1EiNS0_19identity_decomposerEEEEE10hipError_tT0_T1_T2_jT3_P12ihipStream_tbPNSt15iterator_traitsISI_E10value_typeEPNSO_ISJ_E10value_typeEPSK_NS1_7vsmem_tEENKUlT_SI_SJ_SK_E_clISD_PiSD_S10_EESH_SX_SI_SJ_SK_EUlSX_E1_NS1_11comp_targetILNS1_3genE8ELNS1_11target_archE1030ELNS1_3gpuE2ELNS1_3repE0EEENS1_36merge_oddeven_config_static_selectorELNS0_4arch9wavefront6targetE0EEEvSJ_.has_recursion, 0
	.set _ZN7rocprim17ROCPRIM_400000_NS6detail17trampoline_kernelINS0_14default_configENS1_38merge_sort_block_merge_config_selectorIiiEEZZNS1_27merge_sort_block_merge_implIS3_N6thrust23THRUST_200600_302600_NS6detail15normal_iteratorINS8_10device_ptrIiEEEESD_jNS1_19radix_merge_compareILb0ELb1EiNS0_19identity_decomposerEEEEE10hipError_tT0_T1_T2_jT3_P12ihipStream_tbPNSt15iterator_traitsISI_E10value_typeEPNSO_ISJ_E10value_typeEPSK_NS1_7vsmem_tEENKUlT_SI_SJ_SK_E_clISD_PiSD_S10_EESH_SX_SI_SJ_SK_EUlSX_E1_NS1_11comp_targetILNS1_3genE8ELNS1_11target_archE1030ELNS1_3gpuE2ELNS1_3repE0EEENS1_36merge_oddeven_config_static_selectorELNS0_4arch9wavefront6targetE0EEEvSJ_.has_indirect_call, 0
	.section	.AMDGPU.csdata,"",@progbits
; Kernel info:
; codeLenInByte = 956
; TotalNumSgprs: 24
; NumVgprs: 10
; ScratchSize: 0
; MemoryBound: 0
; FloatMode: 240
; IeeeMode: 1
; LDSByteSize: 0 bytes/workgroup (compile time only)
; SGPRBlocks: 0
; VGPRBlocks: 1
; NumSGPRsForWavesPerEU: 24
; NumVGPRsForWavesPerEU: 10
; Occupancy: 16
; WaveLimiterHint : 0
; COMPUTE_PGM_RSRC2:SCRATCH_EN: 0
; COMPUTE_PGM_RSRC2:USER_SGPR: 6
; COMPUTE_PGM_RSRC2:TRAP_HANDLER: 0
; COMPUTE_PGM_RSRC2:TGID_X_EN: 1
; COMPUTE_PGM_RSRC2:TGID_Y_EN: 0
; COMPUTE_PGM_RSRC2:TGID_Z_EN: 0
; COMPUTE_PGM_RSRC2:TIDIG_COMP_CNT: 0
	.section	.text._ZN7rocprim17ROCPRIM_400000_NS6detail17trampoline_kernelINS0_14default_configENS1_35radix_sort_onesweep_config_selectorIiiEEZNS1_34radix_sort_onesweep_global_offsetsIS3_Lb0EN6thrust23THRUST_200600_302600_NS6detail15normal_iteratorINS8_10device_ptrIiEEEESD_jNS0_19identity_decomposerEEE10hipError_tT1_T2_PT3_SI_jT4_jjP12ihipStream_tbEUlT_E_NS1_11comp_targetILNS1_3genE0ELNS1_11target_archE4294967295ELNS1_3gpuE0ELNS1_3repE0EEENS1_52radix_sort_onesweep_histogram_config_static_selectorELNS0_4arch9wavefront6targetE0EEEvSG_,"axG",@progbits,_ZN7rocprim17ROCPRIM_400000_NS6detail17trampoline_kernelINS0_14default_configENS1_35radix_sort_onesweep_config_selectorIiiEEZNS1_34radix_sort_onesweep_global_offsetsIS3_Lb0EN6thrust23THRUST_200600_302600_NS6detail15normal_iteratorINS8_10device_ptrIiEEEESD_jNS0_19identity_decomposerEEE10hipError_tT1_T2_PT3_SI_jT4_jjP12ihipStream_tbEUlT_E_NS1_11comp_targetILNS1_3genE0ELNS1_11target_archE4294967295ELNS1_3gpuE0ELNS1_3repE0EEENS1_52radix_sort_onesweep_histogram_config_static_selectorELNS0_4arch9wavefront6targetE0EEEvSG_,comdat
	.protected	_ZN7rocprim17ROCPRIM_400000_NS6detail17trampoline_kernelINS0_14default_configENS1_35radix_sort_onesweep_config_selectorIiiEEZNS1_34radix_sort_onesweep_global_offsetsIS3_Lb0EN6thrust23THRUST_200600_302600_NS6detail15normal_iteratorINS8_10device_ptrIiEEEESD_jNS0_19identity_decomposerEEE10hipError_tT1_T2_PT3_SI_jT4_jjP12ihipStream_tbEUlT_E_NS1_11comp_targetILNS1_3genE0ELNS1_11target_archE4294967295ELNS1_3gpuE0ELNS1_3repE0EEENS1_52radix_sort_onesweep_histogram_config_static_selectorELNS0_4arch9wavefront6targetE0EEEvSG_ ; -- Begin function _ZN7rocprim17ROCPRIM_400000_NS6detail17trampoline_kernelINS0_14default_configENS1_35radix_sort_onesweep_config_selectorIiiEEZNS1_34radix_sort_onesweep_global_offsetsIS3_Lb0EN6thrust23THRUST_200600_302600_NS6detail15normal_iteratorINS8_10device_ptrIiEEEESD_jNS0_19identity_decomposerEEE10hipError_tT1_T2_PT3_SI_jT4_jjP12ihipStream_tbEUlT_E_NS1_11comp_targetILNS1_3genE0ELNS1_11target_archE4294967295ELNS1_3gpuE0ELNS1_3repE0EEENS1_52radix_sort_onesweep_histogram_config_static_selectorELNS0_4arch9wavefront6targetE0EEEvSG_
	.globl	_ZN7rocprim17ROCPRIM_400000_NS6detail17trampoline_kernelINS0_14default_configENS1_35radix_sort_onesweep_config_selectorIiiEEZNS1_34radix_sort_onesweep_global_offsetsIS3_Lb0EN6thrust23THRUST_200600_302600_NS6detail15normal_iteratorINS8_10device_ptrIiEEEESD_jNS0_19identity_decomposerEEE10hipError_tT1_T2_PT3_SI_jT4_jjP12ihipStream_tbEUlT_E_NS1_11comp_targetILNS1_3genE0ELNS1_11target_archE4294967295ELNS1_3gpuE0ELNS1_3repE0EEENS1_52radix_sort_onesweep_histogram_config_static_selectorELNS0_4arch9wavefront6targetE0EEEvSG_
	.p2align	8
	.type	_ZN7rocprim17ROCPRIM_400000_NS6detail17trampoline_kernelINS0_14default_configENS1_35radix_sort_onesweep_config_selectorIiiEEZNS1_34radix_sort_onesweep_global_offsetsIS3_Lb0EN6thrust23THRUST_200600_302600_NS6detail15normal_iteratorINS8_10device_ptrIiEEEESD_jNS0_19identity_decomposerEEE10hipError_tT1_T2_PT3_SI_jT4_jjP12ihipStream_tbEUlT_E_NS1_11comp_targetILNS1_3genE0ELNS1_11target_archE4294967295ELNS1_3gpuE0ELNS1_3repE0EEENS1_52radix_sort_onesweep_histogram_config_static_selectorELNS0_4arch9wavefront6targetE0EEEvSG_,@function
_ZN7rocprim17ROCPRIM_400000_NS6detail17trampoline_kernelINS0_14default_configENS1_35radix_sort_onesweep_config_selectorIiiEEZNS1_34radix_sort_onesweep_global_offsetsIS3_Lb0EN6thrust23THRUST_200600_302600_NS6detail15normal_iteratorINS8_10device_ptrIiEEEESD_jNS0_19identity_decomposerEEE10hipError_tT1_T2_PT3_SI_jT4_jjP12ihipStream_tbEUlT_E_NS1_11comp_targetILNS1_3genE0ELNS1_11target_archE4294967295ELNS1_3gpuE0ELNS1_3repE0EEENS1_52radix_sort_onesweep_histogram_config_static_selectorELNS0_4arch9wavefront6targetE0EEEvSG_: ; @_ZN7rocprim17ROCPRIM_400000_NS6detail17trampoline_kernelINS0_14default_configENS1_35radix_sort_onesweep_config_selectorIiiEEZNS1_34radix_sort_onesweep_global_offsetsIS3_Lb0EN6thrust23THRUST_200600_302600_NS6detail15normal_iteratorINS8_10device_ptrIiEEEESD_jNS0_19identity_decomposerEEE10hipError_tT1_T2_PT3_SI_jT4_jjP12ihipStream_tbEUlT_E_NS1_11comp_targetILNS1_3genE0ELNS1_11target_archE4294967295ELNS1_3gpuE0ELNS1_3repE0EEENS1_52radix_sort_onesweep_histogram_config_static_selectorELNS0_4arch9wavefront6targetE0EEEvSG_
; %bb.0:
	.section	.rodata,"a",@progbits
	.p2align	6, 0x0
	.amdhsa_kernel _ZN7rocprim17ROCPRIM_400000_NS6detail17trampoline_kernelINS0_14default_configENS1_35radix_sort_onesweep_config_selectorIiiEEZNS1_34radix_sort_onesweep_global_offsetsIS3_Lb0EN6thrust23THRUST_200600_302600_NS6detail15normal_iteratorINS8_10device_ptrIiEEEESD_jNS0_19identity_decomposerEEE10hipError_tT1_T2_PT3_SI_jT4_jjP12ihipStream_tbEUlT_E_NS1_11comp_targetILNS1_3genE0ELNS1_11target_archE4294967295ELNS1_3gpuE0ELNS1_3repE0EEENS1_52radix_sort_onesweep_histogram_config_static_selectorELNS0_4arch9wavefront6targetE0EEEvSG_
		.amdhsa_group_segment_fixed_size 0
		.amdhsa_private_segment_fixed_size 0
		.amdhsa_kernarg_size 40
		.amdhsa_user_sgpr_count 6
		.amdhsa_user_sgpr_private_segment_buffer 1
		.amdhsa_user_sgpr_dispatch_ptr 0
		.amdhsa_user_sgpr_queue_ptr 0
		.amdhsa_user_sgpr_kernarg_segment_ptr 1
		.amdhsa_user_sgpr_dispatch_id 0
		.amdhsa_user_sgpr_flat_scratch_init 0
		.amdhsa_user_sgpr_private_segment_size 0
		.amdhsa_wavefront_size32 1
		.amdhsa_uses_dynamic_stack 0
		.amdhsa_system_sgpr_private_segment_wavefront_offset 0
		.amdhsa_system_sgpr_workgroup_id_x 1
		.amdhsa_system_sgpr_workgroup_id_y 0
		.amdhsa_system_sgpr_workgroup_id_z 0
		.amdhsa_system_sgpr_workgroup_info 0
		.amdhsa_system_vgpr_workitem_id 0
		.amdhsa_next_free_vgpr 1
		.amdhsa_next_free_sgpr 1
		.amdhsa_reserve_vcc 0
		.amdhsa_reserve_flat_scratch 0
		.amdhsa_float_round_mode_32 0
		.amdhsa_float_round_mode_16_64 0
		.amdhsa_float_denorm_mode_32 3
		.amdhsa_float_denorm_mode_16_64 3
		.amdhsa_dx10_clamp 1
		.amdhsa_ieee_mode 1
		.amdhsa_fp16_overflow 0
		.amdhsa_workgroup_processor_mode 1
		.amdhsa_memory_ordered 1
		.amdhsa_forward_progress 1
		.amdhsa_shared_vgpr_count 0
		.amdhsa_exception_fp_ieee_invalid_op 0
		.amdhsa_exception_fp_denorm_src 0
		.amdhsa_exception_fp_ieee_div_zero 0
		.amdhsa_exception_fp_ieee_overflow 0
		.amdhsa_exception_fp_ieee_underflow 0
		.amdhsa_exception_fp_ieee_inexact 0
		.amdhsa_exception_int_div_zero 0
	.end_amdhsa_kernel
	.section	.text._ZN7rocprim17ROCPRIM_400000_NS6detail17trampoline_kernelINS0_14default_configENS1_35radix_sort_onesweep_config_selectorIiiEEZNS1_34radix_sort_onesweep_global_offsetsIS3_Lb0EN6thrust23THRUST_200600_302600_NS6detail15normal_iteratorINS8_10device_ptrIiEEEESD_jNS0_19identity_decomposerEEE10hipError_tT1_T2_PT3_SI_jT4_jjP12ihipStream_tbEUlT_E_NS1_11comp_targetILNS1_3genE0ELNS1_11target_archE4294967295ELNS1_3gpuE0ELNS1_3repE0EEENS1_52radix_sort_onesweep_histogram_config_static_selectorELNS0_4arch9wavefront6targetE0EEEvSG_,"axG",@progbits,_ZN7rocprim17ROCPRIM_400000_NS6detail17trampoline_kernelINS0_14default_configENS1_35radix_sort_onesweep_config_selectorIiiEEZNS1_34radix_sort_onesweep_global_offsetsIS3_Lb0EN6thrust23THRUST_200600_302600_NS6detail15normal_iteratorINS8_10device_ptrIiEEEESD_jNS0_19identity_decomposerEEE10hipError_tT1_T2_PT3_SI_jT4_jjP12ihipStream_tbEUlT_E_NS1_11comp_targetILNS1_3genE0ELNS1_11target_archE4294967295ELNS1_3gpuE0ELNS1_3repE0EEENS1_52radix_sort_onesweep_histogram_config_static_selectorELNS0_4arch9wavefront6targetE0EEEvSG_,comdat
.Lfunc_end804:
	.size	_ZN7rocprim17ROCPRIM_400000_NS6detail17trampoline_kernelINS0_14default_configENS1_35radix_sort_onesweep_config_selectorIiiEEZNS1_34radix_sort_onesweep_global_offsetsIS3_Lb0EN6thrust23THRUST_200600_302600_NS6detail15normal_iteratorINS8_10device_ptrIiEEEESD_jNS0_19identity_decomposerEEE10hipError_tT1_T2_PT3_SI_jT4_jjP12ihipStream_tbEUlT_E_NS1_11comp_targetILNS1_3genE0ELNS1_11target_archE4294967295ELNS1_3gpuE0ELNS1_3repE0EEENS1_52radix_sort_onesweep_histogram_config_static_selectorELNS0_4arch9wavefront6targetE0EEEvSG_, .Lfunc_end804-_ZN7rocprim17ROCPRIM_400000_NS6detail17trampoline_kernelINS0_14default_configENS1_35radix_sort_onesweep_config_selectorIiiEEZNS1_34radix_sort_onesweep_global_offsetsIS3_Lb0EN6thrust23THRUST_200600_302600_NS6detail15normal_iteratorINS8_10device_ptrIiEEEESD_jNS0_19identity_decomposerEEE10hipError_tT1_T2_PT3_SI_jT4_jjP12ihipStream_tbEUlT_E_NS1_11comp_targetILNS1_3genE0ELNS1_11target_archE4294967295ELNS1_3gpuE0ELNS1_3repE0EEENS1_52radix_sort_onesweep_histogram_config_static_selectorELNS0_4arch9wavefront6targetE0EEEvSG_
                                        ; -- End function
	.set _ZN7rocprim17ROCPRIM_400000_NS6detail17trampoline_kernelINS0_14default_configENS1_35radix_sort_onesweep_config_selectorIiiEEZNS1_34radix_sort_onesweep_global_offsetsIS3_Lb0EN6thrust23THRUST_200600_302600_NS6detail15normal_iteratorINS8_10device_ptrIiEEEESD_jNS0_19identity_decomposerEEE10hipError_tT1_T2_PT3_SI_jT4_jjP12ihipStream_tbEUlT_E_NS1_11comp_targetILNS1_3genE0ELNS1_11target_archE4294967295ELNS1_3gpuE0ELNS1_3repE0EEENS1_52radix_sort_onesweep_histogram_config_static_selectorELNS0_4arch9wavefront6targetE0EEEvSG_.num_vgpr, 0
	.set _ZN7rocprim17ROCPRIM_400000_NS6detail17trampoline_kernelINS0_14default_configENS1_35radix_sort_onesweep_config_selectorIiiEEZNS1_34radix_sort_onesweep_global_offsetsIS3_Lb0EN6thrust23THRUST_200600_302600_NS6detail15normal_iteratorINS8_10device_ptrIiEEEESD_jNS0_19identity_decomposerEEE10hipError_tT1_T2_PT3_SI_jT4_jjP12ihipStream_tbEUlT_E_NS1_11comp_targetILNS1_3genE0ELNS1_11target_archE4294967295ELNS1_3gpuE0ELNS1_3repE0EEENS1_52radix_sort_onesweep_histogram_config_static_selectorELNS0_4arch9wavefront6targetE0EEEvSG_.num_agpr, 0
	.set _ZN7rocprim17ROCPRIM_400000_NS6detail17trampoline_kernelINS0_14default_configENS1_35radix_sort_onesweep_config_selectorIiiEEZNS1_34radix_sort_onesweep_global_offsetsIS3_Lb0EN6thrust23THRUST_200600_302600_NS6detail15normal_iteratorINS8_10device_ptrIiEEEESD_jNS0_19identity_decomposerEEE10hipError_tT1_T2_PT3_SI_jT4_jjP12ihipStream_tbEUlT_E_NS1_11comp_targetILNS1_3genE0ELNS1_11target_archE4294967295ELNS1_3gpuE0ELNS1_3repE0EEENS1_52radix_sort_onesweep_histogram_config_static_selectorELNS0_4arch9wavefront6targetE0EEEvSG_.numbered_sgpr, 0
	.set _ZN7rocprim17ROCPRIM_400000_NS6detail17trampoline_kernelINS0_14default_configENS1_35radix_sort_onesweep_config_selectorIiiEEZNS1_34radix_sort_onesweep_global_offsetsIS3_Lb0EN6thrust23THRUST_200600_302600_NS6detail15normal_iteratorINS8_10device_ptrIiEEEESD_jNS0_19identity_decomposerEEE10hipError_tT1_T2_PT3_SI_jT4_jjP12ihipStream_tbEUlT_E_NS1_11comp_targetILNS1_3genE0ELNS1_11target_archE4294967295ELNS1_3gpuE0ELNS1_3repE0EEENS1_52radix_sort_onesweep_histogram_config_static_selectorELNS0_4arch9wavefront6targetE0EEEvSG_.num_named_barrier, 0
	.set _ZN7rocprim17ROCPRIM_400000_NS6detail17trampoline_kernelINS0_14default_configENS1_35radix_sort_onesweep_config_selectorIiiEEZNS1_34radix_sort_onesweep_global_offsetsIS3_Lb0EN6thrust23THRUST_200600_302600_NS6detail15normal_iteratorINS8_10device_ptrIiEEEESD_jNS0_19identity_decomposerEEE10hipError_tT1_T2_PT3_SI_jT4_jjP12ihipStream_tbEUlT_E_NS1_11comp_targetILNS1_3genE0ELNS1_11target_archE4294967295ELNS1_3gpuE0ELNS1_3repE0EEENS1_52radix_sort_onesweep_histogram_config_static_selectorELNS0_4arch9wavefront6targetE0EEEvSG_.private_seg_size, 0
	.set _ZN7rocprim17ROCPRIM_400000_NS6detail17trampoline_kernelINS0_14default_configENS1_35radix_sort_onesweep_config_selectorIiiEEZNS1_34radix_sort_onesweep_global_offsetsIS3_Lb0EN6thrust23THRUST_200600_302600_NS6detail15normal_iteratorINS8_10device_ptrIiEEEESD_jNS0_19identity_decomposerEEE10hipError_tT1_T2_PT3_SI_jT4_jjP12ihipStream_tbEUlT_E_NS1_11comp_targetILNS1_3genE0ELNS1_11target_archE4294967295ELNS1_3gpuE0ELNS1_3repE0EEENS1_52radix_sort_onesweep_histogram_config_static_selectorELNS0_4arch9wavefront6targetE0EEEvSG_.uses_vcc, 0
	.set _ZN7rocprim17ROCPRIM_400000_NS6detail17trampoline_kernelINS0_14default_configENS1_35radix_sort_onesweep_config_selectorIiiEEZNS1_34radix_sort_onesweep_global_offsetsIS3_Lb0EN6thrust23THRUST_200600_302600_NS6detail15normal_iteratorINS8_10device_ptrIiEEEESD_jNS0_19identity_decomposerEEE10hipError_tT1_T2_PT3_SI_jT4_jjP12ihipStream_tbEUlT_E_NS1_11comp_targetILNS1_3genE0ELNS1_11target_archE4294967295ELNS1_3gpuE0ELNS1_3repE0EEENS1_52radix_sort_onesweep_histogram_config_static_selectorELNS0_4arch9wavefront6targetE0EEEvSG_.uses_flat_scratch, 0
	.set _ZN7rocprim17ROCPRIM_400000_NS6detail17trampoline_kernelINS0_14default_configENS1_35radix_sort_onesweep_config_selectorIiiEEZNS1_34radix_sort_onesweep_global_offsetsIS3_Lb0EN6thrust23THRUST_200600_302600_NS6detail15normal_iteratorINS8_10device_ptrIiEEEESD_jNS0_19identity_decomposerEEE10hipError_tT1_T2_PT3_SI_jT4_jjP12ihipStream_tbEUlT_E_NS1_11comp_targetILNS1_3genE0ELNS1_11target_archE4294967295ELNS1_3gpuE0ELNS1_3repE0EEENS1_52radix_sort_onesweep_histogram_config_static_selectorELNS0_4arch9wavefront6targetE0EEEvSG_.has_dyn_sized_stack, 0
	.set _ZN7rocprim17ROCPRIM_400000_NS6detail17trampoline_kernelINS0_14default_configENS1_35radix_sort_onesweep_config_selectorIiiEEZNS1_34radix_sort_onesweep_global_offsetsIS3_Lb0EN6thrust23THRUST_200600_302600_NS6detail15normal_iteratorINS8_10device_ptrIiEEEESD_jNS0_19identity_decomposerEEE10hipError_tT1_T2_PT3_SI_jT4_jjP12ihipStream_tbEUlT_E_NS1_11comp_targetILNS1_3genE0ELNS1_11target_archE4294967295ELNS1_3gpuE0ELNS1_3repE0EEENS1_52radix_sort_onesweep_histogram_config_static_selectorELNS0_4arch9wavefront6targetE0EEEvSG_.has_recursion, 0
	.set _ZN7rocprim17ROCPRIM_400000_NS6detail17trampoline_kernelINS0_14default_configENS1_35radix_sort_onesweep_config_selectorIiiEEZNS1_34radix_sort_onesweep_global_offsetsIS3_Lb0EN6thrust23THRUST_200600_302600_NS6detail15normal_iteratorINS8_10device_ptrIiEEEESD_jNS0_19identity_decomposerEEE10hipError_tT1_T2_PT3_SI_jT4_jjP12ihipStream_tbEUlT_E_NS1_11comp_targetILNS1_3genE0ELNS1_11target_archE4294967295ELNS1_3gpuE0ELNS1_3repE0EEENS1_52radix_sort_onesweep_histogram_config_static_selectorELNS0_4arch9wavefront6targetE0EEEvSG_.has_indirect_call, 0
	.section	.AMDGPU.csdata,"",@progbits
; Kernel info:
; codeLenInByte = 0
; TotalNumSgprs: 0
; NumVgprs: 0
; ScratchSize: 0
; MemoryBound: 0
; FloatMode: 240
; IeeeMode: 1
; LDSByteSize: 0 bytes/workgroup (compile time only)
; SGPRBlocks: 0
; VGPRBlocks: 0
; NumSGPRsForWavesPerEU: 1
; NumVGPRsForWavesPerEU: 1
; Occupancy: 16
; WaveLimiterHint : 0
; COMPUTE_PGM_RSRC2:SCRATCH_EN: 0
; COMPUTE_PGM_RSRC2:USER_SGPR: 6
; COMPUTE_PGM_RSRC2:TRAP_HANDLER: 0
; COMPUTE_PGM_RSRC2:TGID_X_EN: 1
; COMPUTE_PGM_RSRC2:TGID_Y_EN: 0
; COMPUTE_PGM_RSRC2:TGID_Z_EN: 0
; COMPUTE_PGM_RSRC2:TIDIG_COMP_CNT: 0
	.section	.text._ZN7rocprim17ROCPRIM_400000_NS6detail17trampoline_kernelINS0_14default_configENS1_35radix_sort_onesweep_config_selectorIiiEEZNS1_34radix_sort_onesweep_global_offsetsIS3_Lb0EN6thrust23THRUST_200600_302600_NS6detail15normal_iteratorINS8_10device_ptrIiEEEESD_jNS0_19identity_decomposerEEE10hipError_tT1_T2_PT3_SI_jT4_jjP12ihipStream_tbEUlT_E_NS1_11comp_targetILNS1_3genE6ELNS1_11target_archE950ELNS1_3gpuE13ELNS1_3repE0EEENS1_52radix_sort_onesweep_histogram_config_static_selectorELNS0_4arch9wavefront6targetE0EEEvSG_,"axG",@progbits,_ZN7rocprim17ROCPRIM_400000_NS6detail17trampoline_kernelINS0_14default_configENS1_35radix_sort_onesweep_config_selectorIiiEEZNS1_34radix_sort_onesweep_global_offsetsIS3_Lb0EN6thrust23THRUST_200600_302600_NS6detail15normal_iteratorINS8_10device_ptrIiEEEESD_jNS0_19identity_decomposerEEE10hipError_tT1_T2_PT3_SI_jT4_jjP12ihipStream_tbEUlT_E_NS1_11comp_targetILNS1_3genE6ELNS1_11target_archE950ELNS1_3gpuE13ELNS1_3repE0EEENS1_52radix_sort_onesweep_histogram_config_static_selectorELNS0_4arch9wavefront6targetE0EEEvSG_,comdat
	.protected	_ZN7rocprim17ROCPRIM_400000_NS6detail17trampoline_kernelINS0_14default_configENS1_35radix_sort_onesweep_config_selectorIiiEEZNS1_34radix_sort_onesweep_global_offsetsIS3_Lb0EN6thrust23THRUST_200600_302600_NS6detail15normal_iteratorINS8_10device_ptrIiEEEESD_jNS0_19identity_decomposerEEE10hipError_tT1_T2_PT3_SI_jT4_jjP12ihipStream_tbEUlT_E_NS1_11comp_targetILNS1_3genE6ELNS1_11target_archE950ELNS1_3gpuE13ELNS1_3repE0EEENS1_52radix_sort_onesweep_histogram_config_static_selectorELNS0_4arch9wavefront6targetE0EEEvSG_ ; -- Begin function _ZN7rocprim17ROCPRIM_400000_NS6detail17trampoline_kernelINS0_14default_configENS1_35radix_sort_onesweep_config_selectorIiiEEZNS1_34radix_sort_onesweep_global_offsetsIS3_Lb0EN6thrust23THRUST_200600_302600_NS6detail15normal_iteratorINS8_10device_ptrIiEEEESD_jNS0_19identity_decomposerEEE10hipError_tT1_T2_PT3_SI_jT4_jjP12ihipStream_tbEUlT_E_NS1_11comp_targetILNS1_3genE6ELNS1_11target_archE950ELNS1_3gpuE13ELNS1_3repE0EEENS1_52radix_sort_onesweep_histogram_config_static_selectorELNS0_4arch9wavefront6targetE0EEEvSG_
	.globl	_ZN7rocprim17ROCPRIM_400000_NS6detail17trampoline_kernelINS0_14default_configENS1_35radix_sort_onesweep_config_selectorIiiEEZNS1_34radix_sort_onesweep_global_offsetsIS3_Lb0EN6thrust23THRUST_200600_302600_NS6detail15normal_iteratorINS8_10device_ptrIiEEEESD_jNS0_19identity_decomposerEEE10hipError_tT1_T2_PT3_SI_jT4_jjP12ihipStream_tbEUlT_E_NS1_11comp_targetILNS1_3genE6ELNS1_11target_archE950ELNS1_3gpuE13ELNS1_3repE0EEENS1_52radix_sort_onesweep_histogram_config_static_selectorELNS0_4arch9wavefront6targetE0EEEvSG_
	.p2align	8
	.type	_ZN7rocprim17ROCPRIM_400000_NS6detail17trampoline_kernelINS0_14default_configENS1_35radix_sort_onesweep_config_selectorIiiEEZNS1_34radix_sort_onesweep_global_offsetsIS3_Lb0EN6thrust23THRUST_200600_302600_NS6detail15normal_iteratorINS8_10device_ptrIiEEEESD_jNS0_19identity_decomposerEEE10hipError_tT1_T2_PT3_SI_jT4_jjP12ihipStream_tbEUlT_E_NS1_11comp_targetILNS1_3genE6ELNS1_11target_archE950ELNS1_3gpuE13ELNS1_3repE0EEENS1_52radix_sort_onesweep_histogram_config_static_selectorELNS0_4arch9wavefront6targetE0EEEvSG_,@function
_ZN7rocprim17ROCPRIM_400000_NS6detail17trampoline_kernelINS0_14default_configENS1_35radix_sort_onesweep_config_selectorIiiEEZNS1_34radix_sort_onesweep_global_offsetsIS3_Lb0EN6thrust23THRUST_200600_302600_NS6detail15normal_iteratorINS8_10device_ptrIiEEEESD_jNS0_19identity_decomposerEEE10hipError_tT1_T2_PT3_SI_jT4_jjP12ihipStream_tbEUlT_E_NS1_11comp_targetILNS1_3genE6ELNS1_11target_archE950ELNS1_3gpuE13ELNS1_3repE0EEENS1_52radix_sort_onesweep_histogram_config_static_selectorELNS0_4arch9wavefront6targetE0EEEvSG_: ; @_ZN7rocprim17ROCPRIM_400000_NS6detail17trampoline_kernelINS0_14default_configENS1_35radix_sort_onesweep_config_selectorIiiEEZNS1_34radix_sort_onesweep_global_offsetsIS3_Lb0EN6thrust23THRUST_200600_302600_NS6detail15normal_iteratorINS8_10device_ptrIiEEEESD_jNS0_19identity_decomposerEEE10hipError_tT1_T2_PT3_SI_jT4_jjP12ihipStream_tbEUlT_E_NS1_11comp_targetILNS1_3genE6ELNS1_11target_archE950ELNS1_3gpuE13ELNS1_3repE0EEENS1_52radix_sort_onesweep_histogram_config_static_selectorELNS0_4arch9wavefront6targetE0EEEvSG_
; %bb.0:
	.section	.rodata,"a",@progbits
	.p2align	6, 0x0
	.amdhsa_kernel _ZN7rocprim17ROCPRIM_400000_NS6detail17trampoline_kernelINS0_14default_configENS1_35radix_sort_onesweep_config_selectorIiiEEZNS1_34radix_sort_onesweep_global_offsetsIS3_Lb0EN6thrust23THRUST_200600_302600_NS6detail15normal_iteratorINS8_10device_ptrIiEEEESD_jNS0_19identity_decomposerEEE10hipError_tT1_T2_PT3_SI_jT4_jjP12ihipStream_tbEUlT_E_NS1_11comp_targetILNS1_3genE6ELNS1_11target_archE950ELNS1_3gpuE13ELNS1_3repE0EEENS1_52radix_sort_onesweep_histogram_config_static_selectorELNS0_4arch9wavefront6targetE0EEEvSG_
		.amdhsa_group_segment_fixed_size 0
		.amdhsa_private_segment_fixed_size 0
		.amdhsa_kernarg_size 40
		.amdhsa_user_sgpr_count 6
		.amdhsa_user_sgpr_private_segment_buffer 1
		.amdhsa_user_sgpr_dispatch_ptr 0
		.amdhsa_user_sgpr_queue_ptr 0
		.amdhsa_user_sgpr_kernarg_segment_ptr 1
		.amdhsa_user_sgpr_dispatch_id 0
		.amdhsa_user_sgpr_flat_scratch_init 0
		.amdhsa_user_sgpr_private_segment_size 0
		.amdhsa_wavefront_size32 1
		.amdhsa_uses_dynamic_stack 0
		.amdhsa_system_sgpr_private_segment_wavefront_offset 0
		.amdhsa_system_sgpr_workgroup_id_x 1
		.amdhsa_system_sgpr_workgroup_id_y 0
		.amdhsa_system_sgpr_workgroup_id_z 0
		.amdhsa_system_sgpr_workgroup_info 0
		.amdhsa_system_vgpr_workitem_id 0
		.amdhsa_next_free_vgpr 1
		.amdhsa_next_free_sgpr 1
		.amdhsa_reserve_vcc 0
		.amdhsa_reserve_flat_scratch 0
		.amdhsa_float_round_mode_32 0
		.amdhsa_float_round_mode_16_64 0
		.amdhsa_float_denorm_mode_32 3
		.amdhsa_float_denorm_mode_16_64 3
		.amdhsa_dx10_clamp 1
		.amdhsa_ieee_mode 1
		.amdhsa_fp16_overflow 0
		.amdhsa_workgroup_processor_mode 1
		.amdhsa_memory_ordered 1
		.amdhsa_forward_progress 1
		.amdhsa_shared_vgpr_count 0
		.amdhsa_exception_fp_ieee_invalid_op 0
		.amdhsa_exception_fp_denorm_src 0
		.amdhsa_exception_fp_ieee_div_zero 0
		.amdhsa_exception_fp_ieee_overflow 0
		.amdhsa_exception_fp_ieee_underflow 0
		.amdhsa_exception_fp_ieee_inexact 0
		.amdhsa_exception_int_div_zero 0
	.end_amdhsa_kernel
	.section	.text._ZN7rocprim17ROCPRIM_400000_NS6detail17trampoline_kernelINS0_14default_configENS1_35radix_sort_onesweep_config_selectorIiiEEZNS1_34radix_sort_onesweep_global_offsetsIS3_Lb0EN6thrust23THRUST_200600_302600_NS6detail15normal_iteratorINS8_10device_ptrIiEEEESD_jNS0_19identity_decomposerEEE10hipError_tT1_T2_PT3_SI_jT4_jjP12ihipStream_tbEUlT_E_NS1_11comp_targetILNS1_3genE6ELNS1_11target_archE950ELNS1_3gpuE13ELNS1_3repE0EEENS1_52radix_sort_onesweep_histogram_config_static_selectorELNS0_4arch9wavefront6targetE0EEEvSG_,"axG",@progbits,_ZN7rocprim17ROCPRIM_400000_NS6detail17trampoline_kernelINS0_14default_configENS1_35radix_sort_onesweep_config_selectorIiiEEZNS1_34radix_sort_onesweep_global_offsetsIS3_Lb0EN6thrust23THRUST_200600_302600_NS6detail15normal_iteratorINS8_10device_ptrIiEEEESD_jNS0_19identity_decomposerEEE10hipError_tT1_T2_PT3_SI_jT4_jjP12ihipStream_tbEUlT_E_NS1_11comp_targetILNS1_3genE6ELNS1_11target_archE950ELNS1_3gpuE13ELNS1_3repE0EEENS1_52radix_sort_onesweep_histogram_config_static_selectorELNS0_4arch9wavefront6targetE0EEEvSG_,comdat
.Lfunc_end805:
	.size	_ZN7rocprim17ROCPRIM_400000_NS6detail17trampoline_kernelINS0_14default_configENS1_35radix_sort_onesweep_config_selectorIiiEEZNS1_34radix_sort_onesweep_global_offsetsIS3_Lb0EN6thrust23THRUST_200600_302600_NS6detail15normal_iteratorINS8_10device_ptrIiEEEESD_jNS0_19identity_decomposerEEE10hipError_tT1_T2_PT3_SI_jT4_jjP12ihipStream_tbEUlT_E_NS1_11comp_targetILNS1_3genE6ELNS1_11target_archE950ELNS1_3gpuE13ELNS1_3repE0EEENS1_52radix_sort_onesweep_histogram_config_static_selectorELNS0_4arch9wavefront6targetE0EEEvSG_, .Lfunc_end805-_ZN7rocprim17ROCPRIM_400000_NS6detail17trampoline_kernelINS0_14default_configENS1_35radix_sort_onesweep_config_selectorIiiEEZNS1_34radix_sort_onesweep_global_offsetsIS3_Lb0EN6thrust23THRUST_200600_302600_NS6detail15normal_iteratorINS8_10device_ptrIiEEEESD_jNS0_19identity_decomposerEEE10hipError_tT1_T2_PT3_SI_jT4_jjP12ihipStream_tbEUlT_E_NS1_11comp_targetILNS1_3genE6ELNS1_11target_archE950ELNS1_3gpuE13ELNS1_3repE0EEENS1_52radix_sort_onesweep_histogram_config_static_selectorELNS0_4arch9wavefront6targetE0EEEvSG_
                                        ; -- End function
	.set _ZN7rocprim17ROCPRIM_400000_NS6detail17trampoline_kernelINS0_14default_configENS1_35radix_sort_onesweep_config_selectorIiiEEZNS1_34radix_sort_onesweep_global_offsetsIS3_Lb0EN6thrust23THRUST_200600_302600_NS6detail15normal_iteratorINS8_10device_ptrIiEEEESD_jNS0_19identity_decomposerEEE10hipError_tT1_T2_PT3_SI_jT4_jjP12ihipStream_tbEUlT_E_NS1_11comp_targetILNS1_3genE6ELNS1_11target_archE950ELNS1_3gpuE13ELNS1_3repE0EEENS1_52radix_sort_onesweep_histogram_config_static_selectorELNS0_4arch9wavefront6targetE0EEEvSG_.num_vgpr, 0
	.set _ZN7rocprim17ROCPRIM_400000_NS6detail17trampoline_kernelINS0_14default_configENS1_35radix_sort_onesweep_config_selectorIiiEEZNS1_34radix_sort_onesweep_global_offsetsIS3_Lb0EN6thrust23THRUST_200600_302600_NS6detail15normal_iteratorINS8_10device_ptrIiEEEESD_jNS0_19identity_decomposerEEE10hipError_tT1_T2_PT3_SI_jT4_jjP12ihipStream_tbEUlT_E_NS1_11comp_targetILNS1_3genE6ELNS1_11target_archE950ELNS1_3gpuE13ELNS1_3repE0EEENS1_52radix_sort_onesweep_histogram_config_static_selectorELNS0_4arch9wavefront6targetE0EEEvSG_.num_agpr, 0
	.set _ZN7rocprim17ROCPRIM_400000_NS6detail17trampoline_kernelINS0_14default_configENS1_35radix_sort_onesweep_config_selectorIiiEEZNS1_34radix_sort_onesweep_global_offsetsIS3_Lb0EN6thrust23THRUST_200600_302600_NS6detail15normal_iteratorINS8_10device_ptrIiEEEESD_jNS0_19identity_decomposerEEE10hipError_tT1_T2_PT3_SI_jT4_jjP12ihipStream_tbEUlT_E_NS1_11comp_targetILNS1_3genE6ELNS1_11target_archE950ELNS1_3gpuE13ELNS1_3repE0EEENS1_52radix_sort_onesweep_histogram_config_static_selectorELNS0_4arch9wavefront6targetE0EEEvSG_.numbered_sgpr, 0
	.set _ZN7rocprim17ROCPRIM_400000_NS6detail17trampoline_kernelINS0_14default_configENS1_35radix_sort_onesweep_config_selectorIiiEEZNS1_34radix_sort_onesweep_global_offsetsIS3_Lb0EN6thrust23THRUST_200600_302600_NS6detail15normal_iteratorINS8_10device_ptrIiEEEESD_jNS0_19identity_decomposerEEE10hipError_tT1_T2_PT3_SI_jT4_jjP12ihipStream_tbEUlT_E_NS1_11comp_targetILNS1_3genE6ELNS1_11target_archE950ELNS1_3gpuE13ELNS1_3repE0EEENS1_52radix_sort_onesweep_histogram_config_static_selectorELNS0_4arch9wavefront6targetE0EEEvSG_.num_named_barrier, 0
	.set _ZN7rocprim17ROCPRIM_400000_NS6detail17trampoline_kernelINS0_14default_configENS1_35radix_sort_onesweep_config_selectorIiiEEZNS1_34radix_sort_onesweep_global_offsetsIS3_Lb0EN6thrust23THRUST_200600_302600_NS6detail15normal_iteratorINS8_10device_ptrIiEEEESD_jNS0_19identity_decomposerEEE10hipError_tT1_T2_PT3_SI_jT4_jjP12ihipStream_tbEUlT_E_NS1_11comp_targetILNS1_3genE6ELNS1_11target_archE950ELNS1_3gpuE13ELNS1_3repE0EEENS1_52radix_sort_onesweep_histogram_config_static_selectorELNS0_4arch9wavefront6targetE0EEEvSG_.private_seg_size, 0
	.set _ZN7rocprim17ROCPRIM_400000_NS6detail17trampoline_kernelINS0_14default_configENS1_35radix_sort_onesweep_config_selectorIiiEEZNS1_34radix_sort_onesweep_global_offsetsIS3_Lb0EN6thrust23THRUST_200600_302600_NS6detail15normal_iteratorINS8_10device_ptrIiEEEESD_jNS0_19identity_decomposerEEE10hipError_tT1_T2_PT3_SI_jT4_jjP12ihipStream_tbEUlT_E_NS1_11comp_targetILNS1_3genE6ELNS1_11target_archE950ELNS1_3gpuE13ELNS1_3repE0EEENS1_52radix_sort_onesweep_histogram_config_static_selectorELNS0_4arch9wavefront6targetE0EEEvSG_.uses_vcc, 0
	.set _ZN7rocprim17ROCPRIM_400000_NS6detail17trampoline_kernelINS0_14default_configENS1_35radix_sort_onesweep_config_selectorIiiEEZNS1_34radix_sort_onesweep_global_offsetsIS3_Lb0EN6thrust23THRUST_200600_302600_NS6detail15normal_iteratorINS8_10device_ptrIiEEEESD_jNS0_19identity_decomposerEEE10hipError_tT1_T2_PT3_SI_jT4_jjP12ihipStream_tbEUlT_E_NS1_11comp_targetILNS1_3genE6ELNS1_11target_archE950ELNS1_3gpuE13ELNS1_3repE0EEENS1_52radix_sort_onesweep_histogram_config_static_selectorELNS0_4arch9wavefront6targetE0EEEvSG_.uses_flat_scratch, 0
	.set _ZN7rocprim17ROCPRIM_400000_NS6detail17trampoline_kernelINS0_14default_configENS1_35radix_sort_onesweep_config_selectorIiiEEZNS1_34radix_sort_onesweep_global_offsetsIS3_Lb0EN6thrust23THRUST_200600_302600_NS6detail15normal_iteratorINS8_10device_ptrIiEEEESD_jNS0_19identity_decomposerEEE10hipError_tT1_T2_PT3_SI_jT4_jjP12ihipStream_tbEUlT_E_NS1_11comp_targetILNS1_3genE6ELNS1_11target_archE950ELNS1_3gpuE13ELNS1_3repE0EEENS1_52radix_sort_onesweep_histogram_config_static_selectorELNS0_4arch9wavefront6targetE0EEEvSG_.has_dyn_sized_stack, 0
	.set _ZN7rocprim17ROCPRIM_400000_NS6detail17trampoline_kernelINS0_14default_configENS1_35radix_sort_onesweep_config_selectorIiiEEZNS1_34radix_sort_onesweep_global_offsetsIS3_Lb0EN6thrust23THRUST_200600_302600_NS6detail15normal_iteratorINS8_10device_ptrIiEEEESD_jNS0_19identity_decomposerEEE10hipError_tT1_T2_PT3_SI_jT4_jjP12ihipStream_tbEUlT_E_NS1_11comp_targetILNS1_3genE6ELNS1_11target_archE950ELNS1_3gpuE13ELNS1_3repE0EEENS1_52radix_sort_onesweep_histogram_config_static_selectorELNS0_4arch9wavefront6targetE0EEEvSG_.has_recursion, 0
	.set _ZN7rocprim17ROCPRIM_400000_NS6detail17trampoline_kernelINS0_14default_configENS1_35radix_sort_onesweep_config_selectorIiiEEZNS1_34radix_sort_onesweep_global_offsetsIS3_Lb0EN6thrust23THRUST_200600_302600_NS6detail15normal_iteratorINS8_10device_ptrIiEEEESD_jNS0_19identity_decomposerEEE10hipError_tT1_T2_PT3_SI_jT4_jjP12ihipStream_tbEUlT_E_NS1_11comp_targetILNS1_3genE6ELNS1_11target_archE950ELNS1_3gpuE13ELNS1_3repE0EEENS1_52radix_sort_onesweep_histogram_config_static_selectorELNS0_4arch9wavefront6targetE0EEEvSG_.has_indirect_call, 0
	.section	.AMDGPU.csdata,"",@progbits
; Kernel info:
; codeLenInByte = 0
; TotalNumSgprs: 0
; NumVgprs: 0
; ScratchSize: 0
; MemoryBound: 0
; FloatMode: 240
; IeeeMode: 1
; LDSByteSize: 0 bytes/workgroup (compile time only)
; SGPRBlocks: 0
; VGPRBlocks: 0
; NumSGPRsForWavesPerEU: 1
; NumVGPRsForWavesPerEU: 1
; Occupancy: 16
; WaveLimiterHint : 0
; COMPUTE_PGM_RSRC2:SCRATCH_EN: 0
; COMPUTE_PGM_RSRC2:USER_SGPR: 6
; COMPUTE_PGM_RSRC2:TRAP_HANDLER: 0
; COMPUTE_PGM_RSRC2:TGID_X_EN: 1
; COMPUTE_PGM_RSRC2:TGID_Y_EN: 0
; COMPUTE_PGM_RSRC2:TGID_Z_EN: 0
; COMPUTE_PGM_RSRC2:TIDIG_COMP_CNT: 0
	.section	.text._ZN7rocprim17ROCPRIM_400000_NS6detail17trampoline_kernelINS0_14default_configENS1_35radix_sort_onesweep_config_selectorIiiEEZNS1_34radix_sort_onesweep_global_offsetsIS3_Lb0EN6thrust23THRUST_200600_302600_NS6detail15normal_iteratorINS8_10device_ptrIiEEEESD_jNS0_19identity_decomposerEEE10hipError_tT1_T2_PT3_SI_jT4_jjP12ihipStream_tbEUlT_E_NS1_11comp_targetILNS1_3genE5ELNS1_11target_archE942ELNS1_3gpuE9ELNS1_3repE0EEENS1_52radix_sort_onesweep_histogram_config_static_selectorELNS0_4arch9wavefront6targetE0EEEvSG_,"axG",@progbits,_ZN7rocprim17ROCPRIM_400000_NS6detail17trampoline_kernelINS0_14default_configENS1_35radix_sort_onesweep_config_selectorIiiEEZNS1_34radix_sort_onesweep_global_offsetsIS3_Lb0EN6thrust23THRUST_200600_302600_NS6detail15normal_iteratorINS8_10device_ptrIiEEEESD_jNS0_19identity_decomposerEEE10hipError_tT1_T2_PT3_SI_jT4_jjP12ihipStream_tbEUlT_E_NS1_11comp_targetILNS1_3genE5ELNS1_11target_archE942ELNS1_3gpuE9ELNS1_3repE0EEENS1_52radix_sort_onesweep_histogram_config_static_selectorELNS0_4arch9wavefront6targetE0EEEvSG_,comdat
	.protected	_ZN7rocprim17ROCPRIM_400000_NS6detail17trampoline_kernelINS0_14default_configENS1_35radix_sort_onesweep_config_selectorIiiEEZNS1_34radix_sort_onesweep_global_offsetsIS3_Lb0EN6thrust23THRUST_200600_302600_NS6detail15normal_iteratorINS8_10device_ptrIiEEEESD_jNS0_19identity_decomposerEEE10hipError_tT1_T2_PT3_SI_jT4_jjP12ihipStream_tbEUlT_E_NS1_11comp_targetILNS1_3genE5ELNS1_11target_archE942ELNS1_3gpuE9ELNS1_3repE0EEENS1_52radix_sort_onesweep_histogram_config_static_selectorELNS0_4arch9wavefront6targetE0EEEvSG_ ; -- Begin function _ZN7rocprim17ROCPRIM_400000_NS6detail17trampoline_kernelINS0_14default_configENS1_35radix_sort_onesweep_config_selectorIiiEEZNS1_34radix_sort_onesweep_global_offsetsIS3_Lb0EN6thrust23THRUST_200600_302600_NS6detail15normal_iteratorINS8_10device_ptrIiEEEESD_jNS0_19identity_decomposerEEE10hipError_tT1_T2_PT3_SI_jT4_jjP12ihipStream_tbEUlT_E_NS1_11comp_targetILNS1_3genE5ELNS1_11target_archE942ELNS1_3gpuE9ELNS1_3repE0EEENS1_52radix_sort_onesweep_histogram_config_static_selectorELNS0_4arch9wavefront6targetE0EEEvSG_
	.globl	_ZN7rocprim17ROCPRIM_400000_NS6detail17trampoline_kernelINS0_14default_configENS1_35radix_sort_onesweep_config_selectorIiiEEZNS1_34radix_sort_onesweep_global_offsetsIS3_Lb0EN6thrust23THRUST_200600_302600_NS6detail15normal_iteratorINS8_10device_ptrIiEEEESD_jNS0_19identity_decomposerEEE10hipError_tT1_T2_PT3_SI_jT4_jjP12ihipStream_tbEUlT_E_NS1_11comp_targetILNS1_3genE5ELNS1_11target_archE942ELNS1_3gpuE9ELNS1_3repE0EEENS1_52radix_sort_onesweep_histogram_config_static_selectorELNS0_4arch9wavefront6targetE0EEEvSG_
	.p2align	8
	.type	_ZN7rocprim17ROCPRIM_400000_NS6detail17trampoline_kernelINS0_14default_configENS1_35radix_sort_onesweep_config_selectorIiiEEZNS1_34radix_sort_onesweep_global_offsetsIS3_Lb0EN6thrust23THRUST_200600_302600_NS6detail15normal_iteratorINS8_10device_ptrIiEEEESD_jNS0_19identity_decomposerEEE10hipError_tT1_T2_PT3_SI_jT4_jjP12ihipStream_tbEUlT_E_NS1_11comp_targetILNS1_3genE5ELNS1_11target_archE942ELNS1_3gpuE9ELNS1_3repE0EEENS1_52radix_sort_onesweep_histogram_config_static_selectorELNS0_4arch9wavefront6targetE0EEEvSG_,@function
_ZN7rocprim17ROCPRIM_400000_NS6detail17trampoline_kernelINS0_14default_configENS1_35radix_sort_onesweep_config_selectorIiiEEZNS1_34radix_sort_onesweep_global_offsetsIS3_Lb0EN6thrust23THRUST_200600_302600_NS6detail15normal_iteratorINS8_10device_ptrIiEEEESD_jNS0_19identity_decomposerEEE10hipError_tT1_T2_PT3_SI_jT4_jjP12ihipStream_tbEUlT_E_NS1_11comp_targetILNS1_3genE5ELNS1_11target_archE942ELNS1_3gpuE9ELNS1_3repE0EEENS1_52radix_sort_onesweep_histogram_config_static_selectorELNS0_4arch9wavefront6targetE0EEEvSG_: ; @_ZN7rocprim17ROCPRIM_400000_NS6detail17trampoline_kernelINS0_14default_configENS1_35radix_sort_onesweep_config_selectorIiiEEZNS1_34radix_sort_onesweep_global_offsetsIS3_Lb0EN6thrust23THRUST_200600_302600_NS6detail15normal_iteratorINS8_10device_ptrIiEEEESD_jNS0_19identity_decomposerEEE10hipError_tT1_T2_PT3_SI_jT4_jjP12ihipStream_tbEUlT_E_NS1_11comp_targetILNS1_3genE5ELNS1_11target_archE942ELNS1_3gpuE9ELNS1_3repE0EEENS1_52radix_sort_onesweep_histogram_config_static_selectorELNS0_4arch9wavefront6targetE0EEEvSG_
; %bb.0:
	.section	.rodata,"a",@progbits
	.p2align	6, 0x0
	.amdhsa_kernel _ZN7rocprim17ROCPRIM_400000_NS6detail17trampoline_kernelINS0_14default_configENS1_35radix_sort_onesweep_config_selectorIiiEEZNS1_34radix_sort_onesweep_global_offsetsIS3_Lb0EN6thrust23THRUST_200600_302600_NS6detail15normal_iteratorINS8_10device_ptrIiEEEESD_jNS0_19identity_decomposerEEE10hipError_tT1_T2_PT3_SI_jT4_jjP12ihipStream_tbEUlT_E_NS1_11comp_targetILNS1_3genE5ELNS1_11target_archE942ELNS1_3gpuE9ELNS1_3repE0EEENS1_52radix_sort_onesweep_histogram_config_static_selectorELNS0_4arch9wavefront6targetE0EEEvSG_
		.amdhsa_group_segment_fixed_size 0
		.amdhsa_private_segment_fixed_size 0
		.amdhsa_kernarg_size 40
		.amdhsa_user_sgpr_count 6
		.amdhsa_user_sgpr_private_segment_buffer 1
		.amdhsa_user_sgpr_dispatch_ptr 0
		.amdhsa_user_sgpr_queue_ptr 0
		.amdhsa_user_sgpr_kernarg_segment_ptr 1
		.amdhsa_user_sgpr_dispatch_id 0
		.amdhsa_user_sgpr_flat_scratch_init 0
		.amdhsa_user_sgpr_private_segment_size 0
		.amdhsa_wavefront_size32 1
		.amdhsa_uses_dynamic_stack 0
		.amdhsa_system_sgpr_private_segment_wavefront_offset 0
		.amdhsa_system_sgpr_workgroup_id_x 1
		.amdhsa_system_sgpr_workgroup_id_y 0
		.amdhsa_system_sgpr_workgroup_id_z 0
		.amdhsa_system_sgpr_workgroup_info 0
		.amdhsa_system_vgpr_workitem_id 0
		.amdhsa_next_free_vgpr 1
		.amdhsa_next_free_sgpr 1
		.amdhsa_reserve_vcc 0
		.amdhsa_reserve_flat_scratch 0
		.amdhsa_float_round_mode_32 0
		.amdhsa_float_round_mode_16_64 0
		.amdhsa_float_denorm_mode_32 3
		.amdhsa_float_denorm_mode_16_64 3
		.amdhsa_dx10_clamp 1
		.amdhsa_ieee_mode 1
		.amdhsa_fp16_overflow 0
		.amdhsa_workgroup_processor_mode 1
		.amdhsa_memory_ordered 1
		.amdhsa_forward_progress 1
		.amdhsa_shared_vgpr_count 0
		.amdhsa_exception_fp_ieee_invalid_op 0
		.amdhsa_exception_fp_denorm_src 0
		.amdhsa_exception_fp_ieee_div_zero 0
		.amdhsa_exception_fp_ieee_overflow 0
		.amdhsa_exception_fp_ieee_underflow 0
		.amdhsa_exception_fp_ieee_inexact 0
		.amdhsa_exception_int_div_zero 0
	.end_amdhsa_kernel
	.section	.text._ZN7rocprim17ROCPRIM_400000_NS6detail17trampoline_kernelINS0_14default_configENS1_35radix_sort_onesweep_config_selectorIiiEEZNS1_34radix_sort_onesweep_global_offsetsIS3_Lb0EN6thrust23THRUST_200600_302600_NS6detail15normal_iteratorINS8_10device_ptrIiEEEESD_jNS0_19identity_decomposerEEE10hipError_tT1_T2_PT3_SI_jT4_jjP12ihipStream_tbEUlT_E_NS1_11comp_targetILNS1_3genE5ELNS1_11target_archE942ELNS1_3gpuE9ELNS1_3repE0EEENS1_52radix_sort_onesweep_histogram_config_static_selectorELNS0_4arch9wavefront6targetE0EEEvSG_,"axG",@progbits,_ZN7rocprim17ROCPRIM_400000_NS6detail17trampoline_kernelINS0_14default_configENS1_35radix_sort_onesweep_config_selectorIiiEEZNS1_34radix_sort_onesweep_global_offsetsIS3_Lb0EN6thrust23THRUST_200600_302600_NS6detail15normal_iteratorINS8_10device_ptrIiEEEESD_jNS0_19identity_decomposerEEE10hipError_tT1_T2_PT3_SI_jT4_jjP12ihipStream_tbEUlT_E_NS1_11comp_targetILNS1_3genE5ELNS1_11target_archE942ELNS1_3gpuE9ELNS1_3repE0EEENS1_52radix_sort_onesweep_histogram_config_static_selectorELNS0_4arch9wavefront6targetE0EEEvSG_,comdat
.Lfunc_end806:
	.size	_ZN7rocprim17ROCPRIM_400000_NS6detail17trampoline_kernelINS0_14default_configENS1_35radix_sort_onesweep_config_selectorIiiEEZNS1_34radix_sort_onesweep_global_offsetsIS3_Lb0EN6thrust23THRUST_200600_302600_NS6detail15normal_iteratorINS8_10device_ptrIiEEEESD_jNS0_19identity_decomposerEEE10hipError_tT1_T2_PT3_SI_jT4_jjP12ihipStream_tbEUlT_E_NS1_11comp_targetILNS1_3genE5ELNS1_11target_archE942ELNS1_3gpuE9ELNS1_3repE0EEENS1_52radix_sort_onesweep_histogram_config_static_selectorELNS0_4arch9wavefront6targetE0EEEvSG_, .Lfunc_end806-_ZN7rocprim17ROCPRIM_400000_NS6detail17trampoline_kernelINS0_14default_configENS1_35radix_sort_onesweep_config_selectorIiiEEZNS1_34radix_sort_onesweep_global_offsetsIS3_Lb0EN6thrust23THRUST_200600_302600_NS6detail15normal_iteratorINS8_10device_ptrIiEEEESD_jNS0_19identity_decomposerEEE10hipError_tT1_T2_PT3_SI_jT4_jjP12ihipStream_tbEUlT_E_NS1_11comp_targetILNS1_3genE5ELNS1_11target_archE942ELNS1_3gpuE9ELNS1_3repE0EEENS1_52radix_sort_onesweep_histogram_config_static_selectorELNS0_4arch9wavefront6targetE0EEEvSG_
                                        ; -- End function
	.set _ZN7rocprim17ROCPRIM_400000_NS6detail17trampoline_kernelINS0_14default_configENS1_35radix_sort_onesweep_config_selectorIiiEEZNS1_34radix_sort_onesweep_global_offsetsIS3_Lb0EN6thrust23THRUST_200600_302600_NS6detail15normal_iteratorINS8_10device_ptrIiEEEESD_jNS0_19identity_decomposerEEE10hipError_tT1_T2_PT3_SI_jT4_jjP12ihipStream_tbEUlT_E_NS1_11comp_targetILNS1_3genE5ELNS1_11target_archE942ELNS1_3gpuE9ELNS1_3repE0EEENS1_52radix_sort_onesweep_histogram_config_static_selectorELNS0_4arch9wavefront6targetE0EEEvSG_.num_vgpr, 0
	.set _ZN7rocprim17ROCPRIM_400000_NS6detail17trampoline_kernelINS0_14default_configENS1_35radix_sort_onesweep_config_selectorIiiEEZNS1_34radix_sort_onesweep_global_offsetsIS3_Lb0EN6thrust23THRUST_200600_302600_NS6detail15normal_iteratorINS8_10device_ptrIiEEEESD_jNS0_19identity_decomposerEEE10hipError_tT1_T2_PT3_SI_jT4_jjP12ihipStream_tbEUlT_E_NS1_11comp_targetILNS1_3genE5ELNS1_11target_archE942ELNS1_3gpuE9ELNS1_3repE0EEENS1_52radix_sort_onesweep_histogram_config_static_selectorELNS0_4arch9wavefront6targetE0EEEvSG_.num_agpr, 0
	.set _ZN7rocprim17ROCPRIM_400000_NS6detail17trampoline_kernelINS0_14default_configENS1_35radix_sort_onesweep_config_selectorIiiEEZNS1_34radix_sort_onesweep_global_offsetsIS3_Lb0EN6thrust23THRUST_200600_302600_NS6detail15normal_iteratorINS8_10device_ptrIiEEEESD_jNS0_19identity_decomposerEEE10hipError_tT1_T2_PT3_SI_jT4_jjP12ihipStream_tbEUlT_E_NS1_11comp_targetILNS1_3genE5ELNS1_11target_archE942ELNS1_3gpuE9ELNS1_3repE0EEENS1_52radix_sort_onesweep_histogram_config_static_selectorELNS0_4arch9wavefront6targetE0EEEvSG_.numbered_sgpr, 0
	.set _ZN7rocprim17ROCPRIM_400000_NS6detail17trampoline_kernelINS0_14default_configENS1_35radix_sort_onesweep_config_selectorIiiEEZNS1_34radix_sort_onesweep_global_offsetsIS3_Lb0EN6thrust23THRUST_200600_302600_NS6detail15normal_iteratorINS8_10device_ptrIiEEEESD_jNS0_19identity_decomposerEEE10hipError_tT1_T2_PT3_SI_jT4_jjP12ihipStream_tbEUlT_E_NS1_11comp_targetILNS1_3genE5ELNS1_11target_archE942ELNS1_3gpuE9ELNS1_3repE0EEENS1_52radix_sort_onesweep_histogram_config_static_selectorELNS0_4arch9wavefront6targetE0EEEvSG_.num_named_barrier, 0
	.set _ZN7rocprim17ROCPRIM_400000_NS6detail17trampoline_kernelINS0_14default_configENS1_35radix_sort_onesweep_config_selectorIiiEEZNS1_34radix_sort_onesweep_global_offsetsIS3_Lb0EN6thrust23THRUST_200600_302600_NS6detail15normal_iteratorINS8_10device_ptrIiEEEESD_jNS0_19identity_decomposerEEE10hipError_tT1_T2_PT3_SI_jT4_jjP12ihipStream_tbEUlT_E_NS1_11comp_targetILNS1_3genE5ELNS1_11target_archE942ELNS1_3gpuE9ELNS1_3repE0EEENS1_52radix_sort_onesweep_histogram_config_static_selectorELNS0_4arch9wavefront6targetE0EEEvSG_.private_seg_size, 0
	.set _ZN7rocprim17ROCPRIM_400000_NS6detail17trampoline_kernelINS0_14default_configENS1_35radix_sort_onesweep_config_selectorIiiEEZNS1_34radix_sort_onesweep_global_offsetsIS3_Lb0EN6thrust23THRUST_200600_302600_NS6detail15normal_iteratorINS8_10device_ptrIiEEEESD_jNS0_19identity_decomposerEEE10hipError_tT1_T2_PT3_SI_jT4_jjP12ihipStream_tbEUlT_E_NS1_11comp_targetILNS1_3genE5ELNS1_11target_archE942ELNS1_3gpuE9ELNS1_3repE0EEENS1_52radix_sort_onesweep_histogram_config_static_selectorELNS0_4arch9wavefront6targetE0EEEvSG_.uses_vcc, 0
	.set _ZN7rocprim17ROCPRIM_400000_NS6detail17trampoline_kernelINS0_14default_configENS1_35radix_sort_onesweep_config_selectorIiiEEZNS1_34radix_sort_onesweep_global_offsetsIS3_Lb0EN6thrust23THRUST_200600_302600_NS6detail15normal_iteratorINS8_10device_ptrIiEEEESD_jNS0_19identity_decomposerEEE10hipError_tT1_T2_PT3_SI_jT4_jjP12ihipStream_tbEUlT_E_NS1_11comp_targetILNS1_3genE5ELNS1_11target_archE942ELNS1_3gpuE9ELNS1_3repE0EEENS1_52radix_sort_onesweep_histogram_config_static_selectorELNS0_4arch9wavefront6targetE0EEEvSG_.uses_flat_scratch, 0
	.set _ZN7rocprim17ROCPRIM_400000_NS6detail17trampoline_kernelINS0_14default_configENS1_35radix_sort_onesweep_config_selectorIiiEEZNS1_34radix_sort_onesweep_global_offsetsIS3_Lb0EN6thrust23THRUST_200600_302600_NS6detail15normal_iteratorINS8_10device_ptrIiEEEESD_jNS0_19identity_decomposerEEE10hipError_tT1_T2_PT3_SI_jT4_jjP12ihipStream_tbEUlT_E_NS1_11comp_targetILNS1_3genE5ELNS1_11target_archE942ELNS1_3gpuE9ELNS1_3repE0EEENS1_52radix_sort_onesweep_histogram_config_static_selectorELNS0_4arch9wavefront6targetE0EEEvSG_.has_dyn_sized_stack, 0
	.set _ZN7rocprim17ROCPRIM_400000_NS6detail17trampoline_kernelINS0_14default_configENS1_35radix_sort_onesweep_config_selectorIiiEEZNS1_34radix_sort_onesweep_global_offsetsIS3_Lb0EN6thrust23THRUST_200600_302600_NS6detail15normal_iteratorINS8_10device_ptrIiEEEESD_jNS0_19identity_decomposerEEE10hipError_tT1_T2_PT3_SI_jT4_jjP12ihipStream_tbEUlT_E_NS1_11comp_targetILNS1_3genE5ELNS1_11target_archE942ELNS1_3gpuE9ELNS1_3repE0EEENS1_52radix_sort_onesweep_histogram_config_static_selectorELNS0_4arch9wavefront6targetE0EEEvSG_.has_recursion, 0
	.set _ZN7rocprim17ROCPRIM_400000_NS6detail17trampoline_kernelINS0_14default_configENS1_35radix_sort_onesweep_config_selectorIiiEEZNS1_34radix_sort_onesweep_global_offsetsIS3_Lb0EN6thrust23THRUST_200600_302600_NS6detail15normal_iteratorINS8_10device_ptrIiEEEESD_jNS0_19identity_decomposerEEE10hipError_tT1_T2_PT3_SI_jT4_jjP12ihipStream_tbEUlT_E_NS1_11comp_targetILNS1_3genE5ELNS1_11target_archE942ELNS1_3gpuE9ELNS1_3repE0EEENS1_52radix_sort_onesweep_histogram_config_static_selectorELNS0_4arch9wavefront6targetE0EEEvSG_.has_indirect_call, 0
	.section	.AMDGPU.csdata,"",@progbits
; Kernel info:
; codeLenInByte = 0
; TotalNumSgprs: 0
; NumVgprs: 0
; ScratchSize: 0
; MemoryBound: 0
; FloatMode: 240
; IeeeMode: 1
; LDSByteSize: 0 bytes/workgroup (compile time only)
; SGPRBlocks: 0
; VGPRBlocks: 0
; NumSGPRsForWavesPerEU: 1
; NumVGPRsForWavesPerEU: 1
; Occupancy: 16
; WaveLimiterHint : 0
; COMPUTE_PGM_RSRC2:SCRATCH_EN: 0
; COMPUTE_PGM_RSRC2:USER_SGPR: 6
; COMPUTE_PGM_RSRC2:TRAP_HANDLER: 0
; COMPUTE_PGM_RSRC2:TGID_X_EN: 1
; COMPUTE_PGM_RSRC2:TGID_Y_EN: 0
; COMPUTE_PGM_RSRC2:TGID_Z_EN: 0
; COMPUTE_PGM_RSRC2:TIDIG_COMP_CNT: 0
	.section	.text._ZN7rocprim17ROCPRIM_400000_NS6detail17trampoline_kernelINS0_14default_configENS1_35radix_sort_onesweep_config_selectorIiiEEZNS1_34radix_sort_onesweep_global_offsetsIS3_Lb0EN6thrust23THRUST_200600_302600_NS6detail15normal_iteratorINS8_10device_ptrIiEEEESD_jNS0_19identity_decomposerEEE10hipError_tT1_T2_PT3_SI_jT4_jjP12ihipStream_tbEUlT_E_NS1_11comp_targetILNS1_3genE2ELNS1_11target_archE906ELNS1_3gpuE6ELNS1_3repE0EEENS1_52radix_sort_onesweep_histogram_config_static_selectorELNS0_4arch9wavefront6targetE0EEEvSG_,"axG",@progbits,_ZN7rocprim17ROCPRIM_400000_NS6detail17trampoline_kernelINS0_14default_configENS1_35radix_sort_onesweep_config_selectorIiiEEZNS1_34radix_sort_onesweep_global_offsetsIS3_Lb0EN6thrust23THRUST_200600_302600_NS6detail15normal_iteratorINS8_10device_ptrIiEEEESD_jNS0_19identity_decomposerEEE10hipError_tT1_T2_PT3_SI_jT4_jjP12ihipStream_tbEUlT_E_NS1_11comp_targetILNS1_3genE2ELNS1_11target_archE906ELNS1_3gpuE6ELNS1_3repE0EEENS1_52radix_sort_onesweep_histogram_config_static_selectorELNS0_4arch9wavefront6targetE0EEEvSG_,comdat
	.protected	_ZN7rocprim17ROCPRIM_400000_NS6detail17trampoline_kernelINS0_14default_configENS1_35radix_sort_onesweep_config_selectorIiiEEZNS1_34radix_sort_onesweep_global_offsetsIS3_Lb0EN6thrust23THRUST_200600_302600_NS6detail15normal_iteratorINS8_10device_ptrIiEEEESD_jNS0_19identity_decomposerEEE10hipError_tT1_T2_PT3_SI_jT4_jjP12ihipStream_tbEUlT_E_NS1_11comp_targetILNS1_3genE2ELNS1_11target_archE906ELNS1_3gpuE6ELNS1_3repE0EEENS1_52radix_sort_onesweep_histogram_config_static_selectorELNS0_4arch9wavefront6targetE0EEEvSG_ ; -- Begin function _ZN7rocprim17ROCPRIM_400000_NS6detail17trampoline_kernelINS0_14default_configENS1_35radix_sort_onesweep_config_selectorIiiEEZNS1_34radix_sort_onesweep_global_offsetsIS3_Lb0EN6thrust23THRUST_200600_302600_NS6detail15normal_iteratorINS8_10device_ptrIiEEEESD_jNS0_19identity_decomposerEEE10hipError_tT1_T2_PT3_SI_jT4_jjP12ihipStream_tbEUlT_E_NS1_11comp_targetILNS1_3genE2ELNS1_11target_archE906ELNS1_3gpuE6ELNS1_3repE0EEENS1_52radix_sort_onesweep_histogram_config_static_selectorELNS0_4arch9wavefront6targetE0EEEvSG_
	.globl	_ZN7rocprim17ROCPRIM_400000_NS6detail17trampoline_kernelINS0_14default_configENS1_35radix_sort_onesweep_config_selectorIiiEEZNS1_34radix_sort_onesweep_global_offsetsIS3_Lb0EN6thrust23THRUST_200600_302600_NS6detail15normal_iteratorINS8_10device_ptrIiEEEESD_jNS0_19identity_decomposerEEE10hipError_tT1_T2_PT3_SI_jT4_jjP12ihipStream_tbEUlT_E_NS1_11comp_targetILNS1_3genE2ELNS1_11target_archE906ELNS1_3gpuE6ELNS1_3repE0EEENS1_52radix_sort_onesweep_histogram_config_static_selectorELNS0_4arch9wavefront6targetE0EEEvSG_
	.p2align	8
	.type	_ZN7rocprim17ROCPRIM_400000_NS6detail17trampoline_kernelINS0_14default_configENS1_35radix_sort_onesweep_config_selectorIiiEEZNS1_34radix_sort_onesweep_global_offsetsIS3_Lb0EN6thrust23THRUST_200600_302600_NS6detail15normal_iteratorINS8_10device_ptrIiEEEESD_jNS0_19identity_decomposerEEE10hipError_tT1_T2_PT3_SI_jT4_jjP12ihipStream_tbEUlT_E_NS1_11comp_targetILNS1_3genE2ELNS1_11target_archE906ELNS1_3gpuE6ELNS1_3repE0EEENS1_52radix_sort_onesweep_histogram_config_static_selectorELNS0_4arch9wavefront6targetE0EEEvSG_,@function
_ZN7rocprim17ROCPRIM_400000_NS6detail17trampoline_kernelINS0_14default_configENS1_35radix_sort_onesweep_config_selectorIiiEEZNS1_34radix_sort_onesweep_global_offsetsIS3_Lb0EN6thrust23THRUST_200600_302600_NS6detail15normal_iteratorINS8_10device_ptrIiEEEESD_jNS0_19identity_decomposerEEE10hipError_tT1_T2_PT3_SI_jT4_jjP12ihipStream_tbEUlT_E_NS1_11comp_targetILNS1_3genE2ELNS1_11target_archE906ELNS1_3gpuE6ELNS1_3repE0EEENS1_52radix_sort_onesweep_histogram_config_static_selectorELNS0_4arch9wavefront6targetE0EEEvSG_: ; @_ZN7rocprim17ROCPRIM_400000_NS6detail17trampoline_kernelINS0_14default_configENS1_35radix_sort_onesweep_config_selectorIiiEEZNS1_34radix_sort_onesweep_global_offsetsIS3_Lb0EN6thrust23THRUST_200600_302600_NS6detail15normal_iteratorINS8_10device_ptrIiEEEESD_jNS0_19identity_decomposerEEE10hipError_tT1_T2_PT3_SI_jT4_jjP12ihipStream_tbEUlT_E_NS1_11comp_targetILNS1_3genE2ELNS1_11target_archE906ELNS1_3gpuE6ELNS1_3repE0EEENS1_52radix_sort_onesweep_histogram_config_static_selectorELNS0_4arch9wavefront6targetE0EEEvSG_
; %bb.0:
	.section	.rodata,"a",@progbits
	.p2align	6, 0x0
	.amdhsa_kernel _ZN7rocprim17ROCPRIM_400000_NS6detail17trampoline_kernelINS0_14default_configENS1_35radix_sort_onesweep_config_selectorIiiEEZNS1_34radix_sort_onesweep_global_offsetsIS3_Lb0EN6thrust23THRUST_200600_302600_NS6detail15normal_iteratorINS8_10device_ptrIiEEEESD_jNS0_19identity_decomposerEEE10hipError_tT1_T2_PT3_SI_jT4_jjP12ihipStream_tbEUlT_E_NS1_11comp_targetILNS1_3genE2ELNS1_11target_archE906ELNS1_3gpuE6ELNS1_3repE0EEENS1_52radix_sort_onesweep_histogram_config_static_selectorELNS0_4arch9wavefront6targetE0EEEvSG_
		.amdhsa_group_segment_fixed_size 0
		.amdhsa_private_segment_fixed_size 0
		.amdhsa_kernarg_size 40
		.amdhsa_user_sgpr_count 6
		.amdhsa_user_sgpr_private_segment_buffer 1
		.amdhsa_user_sgpr_dispatch_ptr 0
		.amdhsa_user_sgpr_queue_ptr 0
		.amdhsa_user_sgpr_kernarg_segment_ptr 1
		.amdhsa_user_sgpr_dispatch_id 0
		.amdhsa_user_sgpr_flat_scratch_init 0
		.amdhsa_user_sgpr_private_segment_size 0
		.amdhsa_wavefront_size32 1
		.amdhsa_uses_dynamic_stack 0
		.amdhsa_system_sgpr_private_segment_wavefront_offset 0
		.amdhsa_system_sgpr_workgroup_id_x 1
		.amdhsa_system_sgpr_workgroup_id_y 0
		.amdhsa_system_sgpr_workgroup_id_z 0
		.amdhsa_system_sgpr_workgroup_info 0
		.amdhsa_system_vgpr_workitem_id 0
		.amdhsa_next_free_vgpr 1
		.amdhsa_next_free_sgpr 1
		.amdhsa_reserve_vcc 0
		.amdhsa_reserve_flat_scratch 0
		.amdhsa_float_round_mode_32 0
		.amdhsa_float_round_mode_16_64 0
		.amdhsa_float_denorm_mode_32 3
		.amdhsa_float_denorm_mode_16_64 3
		.amdhsa_dx10_clamp 1
		.amdhsa_ieee_mode 1
		.amdhsa_fp16_overflow 0
		.amdhsa_workgroup_processor_mode 1
		.amdhsa_memory_ordered 1
		.amdhsa_forward_progress 1
		.amdhsa_shared_vgpr_count 0
		.amdhsa_exception_fp_ieee_invalid_op 0
		.amdhsa_exception_fp_denorm_src 0
		.amdhsa_exception_fp_ieee_div_zero 0
		.amdhsa_exception_fp_ieee_overflow 0
		.amdhsa_exception_fp_ieee_underflow 0
		.amdhsa_exception_fp_ieee_inexact 0
		.amdhsa_exception_int_div_zero 0
	.end_amdhsa_kernel
	.section	.text._ZN7rocprim17ROCPRIM_400000_NS6detail17trampoline_kernelINS0_14default_configENS1_35radix_sort_onesweep_config_selectorIiiEEZNS1_34radix_sort_onesweep_global_offsetsIS3_Lb0EN6thrust23THRUST_200600_302600_NS6detail15normal_iteratorINS8_10device_ptrIiEEEESD_jNS0_19identity_decomposerEEE10hipError_tT1_T2_PT3_SI_jT4_jjP12ihipStream_tbEUlT_E_NS1_11comp_targetILNS1_3genE2ELNS1_11target_archE906ELNS1_3gpuE6ELNS1_3repE0EEENS1_52radix_sort_onesweep_histogram_config_static_selectorELNS0_4arch9wavefront6targetE0EEEvSG_,"axG",@progbits,_ZN7rocprim17ROCPRIM_400000_NS6detail17trampoline_kernelINS0_14default_configENS1_35radix_sort_onesweep_config_selectorIiiEEZNS1_34radix_sort_onesweep_global_offsetsIS3_Lb0EN6thrust23THRUST_200600_302600_NS6detail15normal_iteratorINS8_10device_ptrIiEEEESD_jNS0_19identity_decomposerEEE10hipError_tT1_T2_PT3_SI_jT4_jjP12ihipStream_tbEUlT_E_NS1_11comp_targetILNS1_3genE2ELNS1_11target_archE906ELNS1_3gpuE6ELNS1_3repE0EEENS1_52radix_sort_onesweep_histogram_config_static_selectorELNS0_4arch9wavefront6targetE0EEEvSG_,comdat
.Lfunc_end807:
	.size	_ZN7rocprim17ROCPRIM_400000_NS6detail17trampoline_kernelINS0_14default_configENS1_35radix_sort_onesweep_config_selectorIiiEEZNS1_34radix_sort_onesweep_global_offsetsIS3_Lb0EN6thrust23THRUST_200600_302600_NS6detail15normal_iteratorINS8_10device_ptrIiEEEESD_jNS0_19identity_decomposerEEE10hipError_tT1_T2_PT3_SI_jT4_jjP12ihipStream_tbEUlT_E_NS1_11comp_targetILNS1_3genE2ELNS1_11target_archE906ELNS1_3gpuE6ELNS1_3repE0EEENS1_52radix_sort_onesweep_histogram_config_static_selectorELNS0_4arch9wavefront6targetE0EEEvSG_, .Lfunc_end807-_ZN7rocprim17ROCPRIM_400000_NS6detail17trampoline_kernelINS0_14default_configENS1_35radix_sort_onesweep_config_selectorIiiEEZNS1_34radix_sort_onesweep_global_offsetsIS3_Lb0EN6thrust23THRUST_200600_302600_NS6detail15normal_iteratorINS8_10device_ptrIiEEEESD_jNS0_19identity_decomposerEEE10hipError_tT1_T2_PT3_SI_jT4_jjP12ihipStream_tbEUlT_E_NS1_11comp_targetILNS1_3genE2ELNS1_11target_archE906ELNS1_3gpuE6ELNS1_3repE0EEENS1_52radix_sort_onesweep_histogram_config_static_selectorELNS0_4arch9wavefront6targetE0EEEvSG_
                                        ; -- End function
	.set _ZN7rocprim17ROCPRIM_400000_NS6detail17trampoline_kernelINS0_14default_configENS1_35radix_sort_onesweep_config_selectorIiiEEZNS1_34radix_sort_onesweep_global_offsetsIS3_Lb0EN6thrust23THRUST_200600_302600_NS6detail15normal_iteratorINS8_10device_ptrIiEEEESD_jNS0_19identity_decomposerEEE10hipError_tT1_T2_PT3_SI_jT4_jjP12ihipStream_tbEUlT_E_NS1_11comp_targetILNS1_3genE2ELNS1_11target_archE906ELNS1_3gpuE6ELNS1_3repE0EEENS1_52radix_sort_onesweep_histogram_config_static_selectorELNS0_4arch9wavefront6targetE0EEEvSG_.num_vgpr, 0
	.set _ZN7rocprim17ROCPRIM_400000_NS6detail17trampoline_kernelINS0_14default_configENS1_35radix_sort_onesweep_config_selectorIiiEEZNS1_34radix_sort_onesweep_global_offsetsIS3_Lb0EN6thrust23THRUST_200600_302600_NS6detail15normal_iteratorINS8_10device_ptrIiEEEESD_jNS0_19identity_decomposerEEE10hipError_tT1_T2_PT3_SI_jT4_jjP12ihipStream_tbEUlT_E_NS1_11comp_targetILNS1_3genE2ELNS1_11target_archE906ELNS1_3gpuE6ELNS1_3repE0EEENS1_52radix_sort_onesweep_histogram_config_static_selectorELNS0_4arch9wavefront6targetE0EEEvSG_.num_agpr, 0
	.set _ZN7rocprim17ROCPRIM_400000_NS6detail17trampoline_kernelINS0_14default_configENS1_35radix_sort_onesweep_config_selectorIiiEEZNS1_34radix_sort_onesweep_global_offsetsIS3_Lb0EN6thrust23THRUST_200600_302600_NS6detail15normal_iteratorINS8_10device_ptrIiEEEESD_jNS0_19identity_decomposerEEE10hipError_tT1_T2_PT3_SI_jT4_jjP12ihipStream_tbEUlT_E_NS1_11comp_targetILNS1_3genE2ELNS1_11target_archE906ELNS1_3gpuE6ELNS1_3repE0EEENS1_52radix_sort_onesweep_histogram_config_static_selectorELNS0_4arch9wavefront6targetE0EEEvSG_.numbered_sgpr, 0
	.set _ZN7rocprim17ROCPRIM_400000_NS6detail17trampoline_kernelINS0_14default_configENS1_35radix_sort_onesweep_config_selectorIiiEEZNS1_34radix_sort_onesweep_global_offsetsIS3_Lb0EN6thrust23THRUST_200600_302600_NS6detail15normal_iteratorINS8_10device_ptrIiEEEESD_jNS0_19identity_decomposerEEE10hipError_tT1_T2_PT3_SI_jT4_jjP12ihipStream_tbEUlT_E_NS1_11comp_targetILNS1_3genE2ELNS1_11target_archE906ELNS1_3gpuE6ELNS1_3repE0EEENS1_52radix_sort_onesweep_histogram_config_static_selectorELNS0_4arch9wavefront6targetE0EEEvSG_.num_named_barrier, 0
	.set _ZN7rocprim17ROCPRIM_400000_NS6detail17trampoline_kernelINS0_14default_configENS1_35radix_sort_onesweep_config_selectorIiiEEZNS1_34radix_sort_onesweep_global_offsetsIS3_Lb0EN6thrust23THRUST_200600_302600_NS6detail15normal_iteratorINS8_10device_ptrIiEEEESD_jNS0_19identity_decomposerEEE10hipError_tT1_T2_PT3_SI_jT4_jjP12ihipStream_tbEUlT_E_NS1_11comp_targetILNS1_3genE2ELNS1_11target_archE906ELNS1_3gpuE6ELNS1_3repE0EEENS1_52radix_sort_onesweep_histogram_config_static_selectorELNS0_4arch9wavefront6targetE0EEEvSG_.private_seg_size, 0
	.set _ZN7rocprim17ROCPRIM_400000_NS6detail17trampoline_kernelINS0_14default_configENS1_35radix_sort_onesweep_config_selectorIiiEEZNS1_34radix_sort_onesweep_global_offsetsIS3_Lb0EN6thrust23THRUST_200600_302600_NS6detail15normal_iteratorINS8_10device_ptrIiEEEESD_jNS0_19identity_decomposerEEE10hipError_tT1_T2_PT3_SI_jT4_jjP12ihipStream_tbEUlT_E_NS1_11comp_targetILNS1_3genE2ELNS1_11target_archE906ELNS1_3gpuE6ELNS1_3repE0EEENS1_52radix_sort_onesweep_histogram_config_static_selectorELNS0_4arch9wavefront6targetE0EEEvSG_.uses_vcc, 0
	.set _ZN7rocprim17ROCPRIM_400000_NS6detail17trampoline_kernelINS0_14default_configENS1_35radix_sort_onesweep_config_selectorIiiEEZNS1_34radix_sort_onesweep_global_offsetsIS3_Lb0EN6thrust23THRUST_200600_302600_NS6detail15normal_iteratorINS8_10device_ptrIiEEEESD_jNS0_19identity_decomposerEEE10hipError_tT1_T2_PT3_SI_jT4_jjP12ihipStream_tbEUlT_E_NS1_11comp_targetILNS1_3genE2ELNS1_11target_archE906ELNS1_3gpuE6ELNS1_3repE0EEENS1_52radix_sort_onesweep_histogram_config_static_selectorELNS0_4arch9wavefront6targetE0EEEvSG_.uses_flat_scratch, 0
	.set _ZN7rocprim17ROCPRIM_400000_NS6detail17trampoline_kernelINS0_14default_configENS1_35radix_sort_onesweep_config_selectorIiiEEZNS1_34radix_sort_onesweep_global_offsetsIS3_Lb0EN6thrust23THRUST_200600_302600_NS6detail15normal_iteratorINS8_10device_ptrIiEEEESD_jNS0_19identity_decomposerEEE10hipError_tT1_T2_PT3_SI_jT4_jjP12ihipStream_tbEUlT_E_NS1_11comp_targetILNS1_3genE2ELNS1_11target_archE906ELNS1_3gpuE6ELNS1_3repE0EEENS1_52radix_sort_onesweep_histogram_config_static_selectorELNS0_4arch9wavefront6targetE0EEEvSG_.has_dyn_sized_stack, 0
	.set _ZN7rocprim17ROCPRIM_400000_NS6detail17trampoline_kernelINS0_14default_configENS1_35radix_sort_onesweep_config_selectorIiiEEZNS1_34radix_sort_onesweep_global_offsetsIS3_Lb0EN6thrust23THRUST_200600_302600_NS6detail15normal_iteratorINS8_10device_ptrIiEEEESD_jNS0_19identity_decomposerEEE10hipError_tT1_T2_PT3_SI_jT4_jjP12ihipStream_tbEUlT_E_NS1_11comp_targetILNS1_3genE2ELNS1_11target_archE906ELNS1_3gpuE6ELNS1_3repE0EEENS1_52radix_sort_onesweep_histogram_config_static_selectorELNS0_4arch9wavefront6targetE0EEEvSG_.has_recursion, 0
	.set _ZN7rocprim17ROCPRIM_400000_NS6detail17trampoline_kernelINS0_14default_configENS1_35radix_sort_onesweep_config_selectorIiiEEZNS1_34radix_sort_onesweep_global_offsetsIS3_Lb0EN6thrust23THRUST_200600_302600_NS6detail15normal_iteratorINS8_10device_ptrIiEEEESD_jNS0_19identity_decomposerEEE10hipError_tT1_T2_PT3_SI_jT4_jjP12ihipStream_tbEUlT_E_NS1_11comp_targetILNS1_3genE2ELNS1_11target_archE906ELNS1_3gpuE6ELNS1_3repE0EEENS1_52radix_sort_onesweep_histogram_config_static_selectorELNS0_4arch9wavefront6targetE0EEEvSG_.has_indirect_call, 0
	.section	.AMDGPU.csdata,"",@progbits
; Kernel info:
; codeLenInByte = 0
; TotalNumSgprs: 0
; NumVgprs: 0
; ScratchSize: 0
; MemoryBound: 0
; FloatMode: 240
; IeeeMode: 1
; LDSByteSize: 0 bytes/workgroup (compile time only)
; SGPRBlocks: 0
; VGPRBlocks: 0
; NumSGPRsForWavesPerEU: 1
; NumVGPRsForWavesPerEU: 1
; Occupancy: 16
; WaveLimiterHint : 0
; COMPUTE_PGM_RSRC2:SCRATCH_EN: 0
; COMPUTE_PGM_RSRC2:USER_SGPR: 6
; COMPUTE_PGM_RSRC2:TRAP_HANDLER: 0
; COMPUTE_PGM_RSRC2:TGID_X_EN: 1
; COMPUTE_PGM_RSRC2:TGID_Y_EN: 0
; COMPUTE_PGM_RSRC2:TGID_Z_EN: 0
; COMPUTE_PGM_RSRC2:TIDIG_COMP_CNT: 0
	.section	.text._ZN7rocprim17ROCPRIM_400000_NS6detail17trampoline_kernelINS0_14default_configENS1_35radix_sort_onesweep_config_selectorIiiEEZNS1_34radix_sort_onesweep_global_offsetsIS3_Lb0EN6thrust23THRUST_200600_302600_NS6detail15normal_iteratorINS8_10device_ptrIiEEEESD_jNS0_19identity_decomposerEEE10hipError_tT1_T2_PT3_SI_jT4_jjP12ihipStream_tbEUlT_E_NS1_11comp_targetILNS1_3genE4ELNS1_11target_archE910ELNS1_3gpuE8ELNS1_3repE0EEENS1_52radix_sort_onesweep_histogram_config_static_selectorELNS0_4arch9wavefront6targetE0EEEvSG_,"axG",@progbits,_ZN7rocprim17ROCPRIM_400000_NS6detail17trampoline_kernelINS0_14default_configENS1_35radix_sort_onesweep_config_selectorIiiEEZNS1_34radix_sort_onesweep_global_offsetsIS3_Lb0EN6thrust23THRUST_200600_302600_NS6detail15normal_iteratorINS8_10device_ptrIiEEEESD_jNS0_19identity_decomposerEEE10hipError_tT1_T2_PT3_SI_jT4_jjP12ihipStream_tbEUlT_E_NS1_11comp_targetILNS1_3genE4ELNS1_11target_archE910ELNS1_3gpuE8ELNS1_3repE0EEENS1_52radix_sort_onesweep_histogram_config_static_selectorELNS0_4arch9wavefront6targetE0EEEvSG_,comdat
	.protected	_ZN7rocprim17ROCPRIM_400000_NS6detail17trampoline_kernelINS0_14default_configENS1_35radix_sort_onesweep_config_selectorIiiEEZNS1_34radix_sort_onesweep_global_offsetsIS3_Lb0EN6thrust23THRUST_200600_302600_NS6detail15normal_iteratorINS8_10device_ptrIiEEEESD_jNS0_19identity_decomposerEEE10hipError_tT1_T2_PT3_SI_jT4_jjP12ihipStream_tbEUlT_E_NS1_11comp_targetILNS1_3genE4ELNS1_11target_archE910ELNS1_3gpuE8ELNS1_3repE0EEENS1_52radix_sort_onesweep_histogram_config_static_selectorELNS0_4arch9wavefront6targetE0EEEvSG_ ; -- Begin function _ZN7rocprim17ROCPRIM_400000_NS6detail17trampoline_kernelINS0_14default_configENS1_35radix_sort_onesweep_config_selectorIiiEEZNS1_34radix_sort_onesweep_global_offsetsIS3_Lb0EN6thrust23THRUST_200600_302600_NS6detail15normal_iteratorINS8_10device_ptrIiEEEESD_jNS0_19identity_decomposerEEE10hipError_tT1_T2_PT3_SI_jT4_jjP12ihipStream_tbEUlT_E_NS1_11comp_targetILNS1_3genE4ELNS1_11target_archE910ELNS1_3gpuE8ELNS1_3repE0EEENS1_52radix_sort_onesweep_histogram_config_static_selectorELNS0_4arch9wavefront6targetE0EEEvSG_
	.globl	_ZN7rocprim17ROCPRIM_400000_NS6detail17trampoline_kernelINS0_14default_configENS1_35radix_sort_onesweep_config_selectorIiiEEZNS1_34radix_sort_onesweep_global_offsetsIS3_Lb0EN6thrust23THRUST_200600_302600_NS6detail15normal_iteratorINS8_10device_ptrIiEEEESD_jNS0_19identity_decomposerEEE10hipError_tT1_T2_PT3_SI_jT4_jjP12ihipStream_tbEUlT_E_NS1_11comp_targetILNS1_3genE4ELNS1_11target_archE910ELNS1_3gpuE8ELNS1_3repE0EEENS1_52radix_sort_onesweep_histogram_config_static_selectorELNS0_4arch9wavefront6targetE0EEEvSG_
	.p2align	8
	.type	_ZN7rocprim17ROCPRIM_400000_NS6detail17trampoline_kernelINS0_14default_configENS1_35radix_sort_onesweep_config_selectorIiiEEZNS1_34radix_sort_onesweep_global_offsetsIS3_Lb0EN6thrust23THRUST_200600_302600_NS6detail15normal_iteratorINS8_10device_ptrIiEEEESD_jNS0_19identity_decomposerEEE10hipError_tT1_T2_PT3_SI_jT4_jjP12ihipStream_tbEUlT_E_NS1_11comp_targetILNS1_3genE4ELNS1_11target_archE910ELNS1_3gpuE8ELNS1_3repE0EEENS1_52radix_sort_onesweep_histogram_config_static_selectorELNS0_4arch9wavefront6targetE0EEEvSG_,@function
_ZN7rocprim17ROCPRIM_400000_NS6detail17trampoline_kernelINS0_14default_configENS1_35radix_sort_onesweep_config_selectorIiiEEZNS1_34radix_sort_onesweep_global_offsetsIS3_Lb0EN6thrust23THRUST_200600_302600_NS6detail15normal_iteratorINS8_10device_ptrIiEEEESD_jNS0_19identity_decomposerEEE10hipError_tT1_T2_PT3_SI_jT4_jjP12ihipStream_tbEUlT_E_NS1_11comp_targetILNS1_3genE4ELNS1_11target_archE910ELNS1_3gpuE8ELNS1_3repE0EEENS1_52radix_sort_onesweep_histogram_config_static_selectorELNS0_4arch9wavefront6targetE0EEEvSG_: ; @_ZN7rocprim17ROCPRIM_400000_NS6detail17trampoline_kernelINS0_14default_configENS1_35radix_sort_onesweep_config_selectorIiiEEZNS1_34radix_sort_onesweep_global_offsetsIS3_Lb0EN6thrust23THRUST_200600_302600_NS6detail15normal_iteratorINS8_10device_ptrIiEEEESD_jNS0_19identity_decomposerEEE10hipError_tT1_T2_PT3_SI_jT4_jjP12ihipStream_tbEUlT_E_NS1_11comp_targetILNS1_3genE4ELNS1_11target_archE910ELNS1_3gpuE8ELNS1_3repE0EEENS1_52radix_sort_onesweep_histogram_config_static_selectorELNS0_4arch9wavefront6targetE0EEEvSG_
; %bb.0:
	.section	.rodata,"a",@progbits
	.p2align	6, 0x0
	.amdhsa_kernel _ZN7rocprim17ROCPRIM_400000_NS6detail17trampoline_kernelINS0_14default_configENS1_35radix_sort_onesweep_config_selectorIiiEEZNS1_34radix_sort_onesweep_global_offsetsIS3_Lb0EN6thrust23THRUST_200600_302600_NS6detail15normal_iteratorINS8_10device_ptrIiEEEESD_jNS0_19identity_decomposerEEE10hipError_tT1_T2_PT3_SI_jT4_jjP12ihipStream_tbEUlT_E_NS1_11comp_targetILNS1_3genE4ELNS1_11target_archE910ELNS1_3gpuE8ELNS1_3repE0EEENS1_52radix_sort_onesweep_histogram_config_static_selectorELNS0_4arch9wavefront6targetE0EEEvSG_
		.amdhsa_group_segment_fixed_size 0
		.amdhsa_private_segment_fixed_size 0
		.amdhsa_kernarg_size 40
		.amdhsa_user_sgpr_count 6
		.amdhsa_user_sgpr_private_segment_buffer 1
		.amdhsa_user_sgpr_dispatch_ptr 0
		.amdhsa_user_sgpr_queue_ptr 0
		.amdhsa_user_sgpr_kernarg_segment_ptr 1
		.amdhsa_user_sgpr_dispatch_id 0
		.amdhsa_user_sgpr_flat_scratch_init 0
		.amdhsa_user_sgpr_private_segment_size 0
		.amdhsa_wavefront_size32 1
		.amdhsa_uses_dynamic_stack 0
		.amdhsa_system_sgpr_private_segment_wavefront_offset 0
		.amdhsa_system_sgpr_workgroup_id_x 1
		.amdhsa_system_sgpr_workgroup_id_y 0
		.amdhsa_system_sgpr_workgroup_id_z 0
		.amdhsa_system_sgpr_workgroup_info 0
		.amdhsa_system_vgpr_workitem_id 0
		.amdhsa_next_free_vgpr 1
		.amdhsa_next_free_sgpr 1
		.amdhsa_reserve_vcc 0
		.amdhsa_reserve_flat_scratch 0
		.amdhsa_float_round_mode_32 0
		.amdhsa_float_round_mode_16_64 0
		.amdhsa_float_denorm_mode_32 3
		.amdhsa_float_denorm_mode_16_64 3
		.amdhsa_dx10_clamp 1
		.amdhsa_ieee_mode 1
		.amdhsa_fp16_overflow 0
		.amdhsa_workgroup_processor_mode 1
		.amdhsa_memory_ordered 1
		.amdhsa_forward_progress 1
		.amdhsa_shared_vgpr_count 0
		.amdhsa_exception_fp_ieee_invalid_op 0
		.amdhsa_exception_fp_denorm_src 0
		.amdhsa_exception_fp_ieee_div_zero 0
		.amdhsa_exception_fp_ieee_overflow 0
		.amdhsa_exception_fp_ieee_underflow 0
		.amdhsa_exception_fp_ieee_inexact 0
		.amdhsa_exception_int_div_zero 0
	.end_amdhsa_kernel
	.section	.text._ZN7rocprim17ROCPRIM_400000_NS6detail17trampoline_kernelINS0_14default_configENS1_35radix_sort_onesweep_config_selectorIiiEEZNS1_34radix_sort_onesweep_global_offsetsIS3_Lb0EN6thrust23THRUST_200600_302600_NS6detail15normal_iteratorINS8_10device_ptrIiEEEESD_jNS0_19identity_decomposerEEE10hipError_tT1_T2_PT3_SI_jT4_jjP12ihipStream_tbEUlT_E_NS1_11comp_targetILNS1_3genE4ELNS1_11target_archE910ELNS1_3gpuE8ELNS1_3repE0EEENS1_52radix_sort_onesweep_histogram_config_static_selectorELNS0_4arch9wavefront6targetE0EEEvSG_,"axG",@progbits,_ZN7rocprim17ROCPRIM_400000_NS6detail17trampoline_kernelINS0_14default_configENS1_35radix_sort_onesweep_config_selectorIiiEEZNS1_34radix_sort_onesweep_global_offsetsIS3_Lb0EN6thrust23THRUST_200600_302600_NS6detail15normal_iteratorINS8_10device_ptrIiEEEESD_jNS0_19identity_decomposerEEE10hipError_tT1_T2_PT3_SI_jT4_jjP12ihipStream_tbEUlT_E_NS1_11comp_targetILNS1_3genE4ELNS1_11target_archE910ELNS1_3gpuE8ELNS1_3repE0EEENS1_52radix_sort_onesweep_histogram_config_static_selectorELNS0_4arch9wavefront6targetE0EEEvSG_,comdat
.Lfunc_end808:
	.size	_ZN7rocprim17ROCPRIM_400000_NS6detail17trampoline_kernelINS0_14default_configENS1_35radix_sort_onesweep_config_selectorIiiEEZNS1_34radix_sort_onesweep_global_offsetsIS3_Lb0EN6thrust23THRUST_200600_302600_NS6detail15normal_iteratorINS8_10device_ptrIiEEEESD_jNS0_19identity_decomposerEEE10hipError_tT1_T2_PT3_SI_jT4_jjP12ihipStream_tbEUlT_E_NS1_11comp_targetILNS1_3genE4ELNS1_11target_archE910ELNS1_3gpuE8ELNS1_3repE0EEENS1_52radix_sort_onesweep_histogram_config_static_selectorELNS0_4arch9wavefront6targetE0EEEvSG_, .Lfunc_end808-_ZN7rocprim17ROCPRIM_400000_NS6detail17trampoline_kernelINS0_14default_configENS1_35radix_sort_onesweep_config_selectorIiiEEZNS1_34radix_sort_onesweep_global_offsetsIS3_Lb0EN6thrust23THRUST_200600_302600_NS6detail15normal_iteratorINS8_10device_ptrIiEEEESD_jNS0_19identity_decomposerEEE10hipError_tT1_T2_PT3_SI_jT4_jjP12ihipStream_tbEUlT_E_NS1_11comp_targetILNS1_3genE4ELNS1_11target_archE910ELNS1_3gpuE8ELNS1_3repE0EEENS1_52radix_sort_onesweep_histogram_config_static_selectorELNS0_4arch9wavefront6targetE0EEEvSG_
                                        ; -- End function
	.set _ZN7rocprim17ROCPRIM_400000_NS6detail17trampoline_kernelINS0_14default_configENS1_35radix_sort_onesweep_config_selectorIiiEEZNS1_34radix_sort_onesweep_global_offsetsIS3_Lb0EN6thrust23THRUST_200600_302600_NS6detail15normal_iteratorINS8_10device_ptrIiEEEESD_jNS0_19identity_decomposerEEE10hipError_tT1_T2_PT3_SI_jT4_jjP12ihipStream_tbEUlT_E_NS1_11comp_targetILNS1_3genE4ELNS1_11target_archE910ELNS1_3gpuE8ELNS1_3repE0EEENS1_52radix_sort_onesweep_histogram_config_static_selectorELNS0_4arch9wavefront6targetE0EEEvSG_.num_vgpr, 0
	.set _ZN7rocprim17ROCPRIM_400000_NS6detail17trampoline_kernelINS0_14default_configENS1_35radix_sort_onesweep_config_selectorIiiEEZNS1_34radix_sort_onesweep_global_offsetsIS3_Lb0EN6thrust23THRUST_200600_302600_NS6detail15normal_iteratorINS8_10device_ptrIiEEEESD_jNS0_19identity_decomposerEEE10hipError_tT1_T2_PT3_SI_jT4_jjP12ihipStream_tbEUlT_E_NS1_11comp_targetILNS1_3genE4ELNS1_11target_archE910ELNS1_3gpuE8ELNS1_3repE0EEENS1_52radix_sort_onesweep_histogram_config_static_selectorELNS0_4arch9wavefront6targetE0EEEvSG_.num_agpr, 0
	.set _ZN7rocprim17ROCPRIM_400000_NS6detail17trampoline_kernelINS0_14default_configENS1_35radix_sort_onesweep_config_selectorIiiEEZNS1_34radix_sort_onesweep_global_offsetsIS3_Lb0EN6thrust23THRUST_200600_302600_NS6detail15normal_iteratorINS8_10device_ptrIiEEEESD_jNS0_19identity_decomposerEEE10hipError_tT1_T2_PT3_SI_jT4_jjP12ihipStream_tbEUlT_E_NS1_11comp_targetILNS1_3genE4ELNS1_11target_archE910ELNS1_3gpuE8ELNS1_3repE0EEENS1_52radix_sort_onesweep_histogram_config_static_selectorELNS0_4arch9wavefront6targetE0EEEvSG_.numbered_sgpr, 0
	.set _ZN7rocprim17ROCPRIM_400000_NS6detail17trampoline_kernelINS0_14default_configENS1_35radix_sort_onesweep_config_selectorIiiEEZNS1_34radix_sort_onesweep_global_offsetsIS3_Lb0EN6thrust23THRUST_200600_302600_NS6detail15normal_iteratorINS8_10device_ptrIiEEEESD_jNS0_19identity_decomposerEEE10hipError_tT1_T2_PT3_SI_jT4_jjP12ihipStream_tbEUlT_E_NS1_11comp_targetILNS1_3genE4ELNS1_11target_archE910ELNS1_3gpuE8ELNS1_3repE0EEENS1_52radix_sort_onesweep_histogram_config_static_selectorELNS0_4arch9wavefront6targetE0EEEvSG_.num_named_barrier, 0
	.set _ZN7rocprim17ROCPRIM_400000_NS6detail17trampoline_kernelINS0_14default_configENS1_35radix_sort_onesweep_config_selectorIiiEEZNS1_34radix_sort_onesweep_global_offsetsIS3_Lb0EN6thrust23THRUST_200600_302600_NS6detail15normal_iteratorINS8_10device_ptrIiEEEESD_jNS0_19identity_decomposerEEE10hipError_tT1_T2_PT3_SI_jT4_jjP12ihipStream_tbEUlT_E_NS1_11comp_targetILNS1_3genE4ELNS1_11target_archE910ELNS1_3gpuE8ELNS1_3repE0EEENS1_52radix_sort_onesweep_histogram_config_static_selectorELNS0_4arch9wavefront6targetE0EEEvSG_.private_seg_size, 0
	.set _ZN7rocprim17ROCPRIM_400000_NS6detail17trampoline_kernelINS0_14default_configENS1_35radix_sort_onesweep_config_selectorIiiEEZNS1_34radix_sort_onesweep_global_offsetsIS3_Lb0EN6thrust23THRUST_200600_302600_NS6detail15normal_iteratorINS8_10device_ptrIiEEEESD_jNS0_19identity_decomposerEEE10hipError_tT1_T2_PT3_SI_jT4_jjP12ihipStream_tbEUlT_E_NS1_11comp_targetILNS1_3genE4ELNS1_11target_archE910ELNS1_3gpuE8ELNS1_3repE0EEENS1_52radix_sort_onesweep_histogram_config_static_selectorELNS0_4arch9wavefront6targetE0EEEvSG_.uses_vcc, 0
	.set _ZN7rocprim17ROCPRIM_400000_NS6detail17trampoline_kernelINS0_14default_configENS1_35radix_sort_onesweep_config_selectorIiiEEZNS1_34radix_sort_onesweep_global_offsetsIS3_Lb0EN6thrust23THRUST_200600_302600_NS6detail15normal_iteratorINS8_10device_ptrIiEEEESD_jNS0_19identity_decomposerEEE10hipError_tT1_T2_PT3_SI_jT4_jjP12ihipStream_tbEUlT_E_NS1_11comp_targetILNS1_3genE4ELNS1_11target_archE910ELNS1_3gpuE8ELNS1_3repE0EEENS1_52radix_sort_onesweep_histogram_config_static_selectorELNS0_4arch9wavefront6targetE0EEEvSG_.uses_flat_scratch, 0
	.set _ZN7rocprim17ROCPRIM_400000_NS6detail17trampoline_kernelINS0_14default_configENS1_35radix_sort_onesweep_config_selectorIiiEEZNS1_34radix_sort_onesweep_global_offsetsIS3_Lb0EN6thrust23THRUST_200600_302600_NS6detail15normal_iteratorINS8_10device_ptrIiEEEESD_jNS0_19identity_decomposerEEE10hipError_tT1_T2_PT3_SI_jT4_jjP12ihipStream_tbEUlT_E_NS1_11comp_targetILNS1_3genE4ELNS1_11target_archE910ELNS1_3gpuE8ELNS1_3repE0EEENS1_52radix_sort_onesweep_histogram_config_static_selectorELNS0_4arch9wavefront6targetE0EEEvSG_.has_dyn_sized_stack, 0
	.set _ZN7rocprim17ROCPRIM_400000_NS6detail17trampoline_kernelINS0_14default_configENS1_35radix_sort_onesweep_config_selectorIiiEEZNS1_34radix_sort_onesweep_global_offsetsIS3_Lb0EN6thrust23THRUST_200600_302600_NS6detail15normal_iteratorINS8_10device_ptrIiEEEESD_jNS0_19identity_decomposerEEE10hipError_tT1_T2_PT3_SI_jT4_jjP12ihipStream_tbEUlT_E_NS1_11comp_targetILNS1_3genE4ELNS1_11target_archE910ELNS1_3gpuE8ELNS1_3repE0EEENS1_52radix_sort_onesweep_histogram_config_static_selectorELNS0_4arch9wavefront6targetE0EEEvSG_.has_recursion, 0
	.set _ZN7rocprim17ROCPRIM_400000_NS6detail17trampoline_kernelINS0_14default_configENS1_35radix_sort_onesweep_config_selectorIiiEEZNS1_34radix_sort_onesweep_global_offsetsIS3_Lb0EN6thrust23THRUST_200600_302600_NS6detail15normal_iteratorINS8_10device_ptrIiEEEESD_jNS0_19identity_decomposerEEE10hipError_tT1_T2_PT3_SI_jT4_jjP12ihipStream_tbEUlT_E_NS1_11comp_targetILNS1_3genE4ELNS1_11target_archE910ELNS1_3gpuE8ELNS1_3repE0EEENS1_52radix_sort_onesweep_histogram_config_static_selectorELNS0_4arch9wavefront6targetE0EEEvSG_.has_indirect_call, 0
	.section	.AMDGPU.csdata,"",@progbits
; Kernel info:
; codeLenInByte = 0
; TotalNumSgprs: 0
; NumVgprs: 0
; ScratchSize: 0
; MemoryBound: 0
; FloatMode: 240
; IeeeMode: 1
; LDSByteSize: 0 bytes/workgroup (compile time only)
; SGPRBlocks: 0
; VGPRBlocks: 0
; NumSGPRsForWavesPerEU: 1
; NumVGPRsForWavesPerEU: 1
; Occupancy: 16
; WaveLimiterHint : 0
; COMPUTE_PGM_RSRC2:SCRATCH_EN: 0
; COMPUTE_PGM_RSRC2:USER_SGPR: 6
; COMPUTE_PGM_RSRC2:TRAP_HANDLER: 0
; COMPUTE_PGM_RSRC2:TGID_X_EN: 1
; COMPUTE_PGM_RSRC2:TGID_Y_EN: 0
; COMPUTE_PGM_RSRC2:TGID_Z_EN: 0
; COMPUTE_PGM_RSRC2:TIDIG_COMP_CNT: 0
	.section	.text._ZN7rocprim17ROCPRIM_400000_NS6detail17trampoline_kernelINS0_14default_configENS1_35radix_sort_onesweep_config_selectorIiiEEZNS1_34radix_sort_onesweep_global_offsetsIS3_Lb0EN6thrust23THRUST_200600_302600_NS6detail15normal_iteratorINS8_10device_ptrIiEEEESD_jNS0_19identity_decomposerEEE10hipError_tT1_T2_PT3_SI_jT4_jjP12ihipStream_tbEUlT_E_NS1_11comp_targetILNS1_3genE3ELNS1_11target_archE908ELNS1_3gpuE7ELNS1_3repE0EEENS1_52radix_sort_onesweep_histogram_config_static_selectorELNS0_4arch9wavefront6targetE0EEEvSG_,"axG",@progbits,_ZN7rocprim17ROCPRIM_400000_NS6detail17trampoline_kernelINS0_14default_configENS1_35radix_sort_onesweep_config_selectorIiiEEZNS1_34radix_sort_onesweep_global_offsetsIS3_Lb0EN6thrust23THRUST_200600_302600_NS6detail15normal_iteratorINS8_10device_ptrIiEEEESD_jNS0_19identity_decomposerEEE10hipError_tT1_T2_PT3_SI_jT4_jjP12ihipStream_tbEUlT_E_NS1_11comp_targetILNS1_3genE3ELNS1_11target_archE908ELNS1_3gpuE7ELNS1_3repE0EEENS1_52radix_sort_onesweep_histogram_config_static_selectorELNS0_4arch9wavefront6targetE0EEEvSG_,comdat
	.protected	_ZN7rocprim17ROCPRIM_400000_NS6detail17trampoline_kernelINS0_14default_configENS1_35radix_sort_onesweep_config_selectorIiiEEZNS1_34radix_sort_onesweep_global_offsetsIS3_Lb0EN6thrust23THRUST_200600_302600_NS6detail15normal_iteratorINS8_10device_ptrIiEEEESD_jNS0_19identity_decomposerEEE10hipError_tT1_T2_PT3_SI_jT4_jjP12ihipStream_tbEUlT_E_NS1_11comp_targetILNS1_3genE3ELNS1_11target_archE908ELNS1_3gpuE7ELNS1_3repE0EEENS1_52radix_sort_onesweep_histogram_config_static_selectorELNS0_4arch9wavefront6targetE0EEEvSG_ ; -- Begin function _ZN7rocprim17ROCPRIM_400000_NS6detail17trampoline_kernelINS0_14default_configENS1_35radix_sort_onesweep_config_selectorIiiEEZNS1_34radix_sort_onesweep_global_offsetsIS3_Lb0EN6thrust23THRUST_200600_302600_NS6detail15normal_iteratorINS8_10device_ptrIiEEEESD_jNS0_19identity_decomposerEEE10hipError_tT1_T2_PT3_SI_jT4_jjP12ihipStream_tbEUlT_E_NS1_11comp_targetILNS1_3genE3ELNS1_11target_archE908ELNS1_3gpuE7ELNS1_3repE0EEENS1_52radix_sort_onesweep_histogram_config_static_selectorELNS0_4arch9wavefront6targetE0EEEvSG_
	.globl	_ZN7rocprim17ROCPRIM_400000_NS6detail17trampoline_kernelINS0_14default_configENS1_35radix_sort_onesweep_config_selectorIiiEEZNS1_34radix_sort_onesweep_global_offsetsIS3_Lb0EN6thrust23THRUST_200600_302600_NS6detail15normal_iteratorINS8_10device_ptrIiEEEESD_jNS0_19identity_decomposerEEE10hipError_tT1_T2_PT3_SI_jT4_jjP12ihipStream_tbEUlT_E_NS1_11comp_targetILNS1_3genE3ELNS1_11target_archE908ELNS1_3gpuE7ELNS1_3repE0EEENS1_52radix_sort_onesweep_histogram_config_static_selectorELNS0_4arch9wavefront6targetE0EEEvSG_
	.p2align	8
	.type	_ZN7rocprim17ROCPRIM_400000_NS6detail17trampoline_kernelINS0_14default_configENS1_35radix_sort_onesweep_config_selectorIiiEEZNS1_34radix_sort_onesweep_global_offsetsIS3_Lb0EN6thrust23THRUST_200600_302600_NS6detail15normal_iteratorINS8_10device_ptrIiEEEESD_jNS0_19identity_decomposerEEE10hipError_tT1_T2_PT3_SI_jT4_jjP12ihipStream_tbEUlT_E_NS1_11comp_targetILNS1_3genE3ELNS1_11target_archE908ELNS1_3gpuE7ELNS1_3repE0EEENS1_52radix_sort_onesweep_histogram_config_static_selectorELNS0_4arch9wavefront6targetE0EEEvSG_,@function
_ZN7rocprim17ROCPRIM_400000_NS6detail17trampoline_kernelINS0_14default_configENS1_35radix_sort_onesweep_config_selectorIiiEEZNS1_34radix_sort_onesweep_global_offsetsIS3_Lb0EN6thrust23THRUST_200600_302600_NS6detail15normal_iteratorINS8_10device_ptrIiEEEESD_jNS0_19identity_decomposerEEE10hipError_tT1_T2_PT3_SI_jT4_jjP12ihipStream_tbEUlT_E_NS1_11comp_targetILNS1_3genE3ELNS1_11target_archE908ELNS1_3gpuE7ELNS1_3repE0EEENS1_52radix_sort_onesweep_histogram_config_static_selectorELNS0_4arch9wavefront6targetE0EEEvSG_: ; @_ZN7rocprim17ROCPRIM_400000_NS6detail17trampoline_kernelINS0_14default_configENS1_35radix_sort_onesweep_config_selectorIiiEEZNS1_34radix_sort_onesweep_global_offsetsIS3_Lb0EN6thrust23THRUST_200600_302600_NS6detail15normal_iteratorINS8_10device_ptrIiEEEESD_jNS0_19identity_decomposerEEE10hipError_tT1_T2_PT3_SI_jT4_jjP12ihipStream_tbEUlT_E_NS1_11comp_targetILNS1_3genE3ELNS1_11target_archE908ELNS1_3gpuE7ELNS1_3repE0EEENS1_52radix_sort_onesweep_histogram_config_static_selectorELNS0_4arch9wavefront6targetE0EEEvSG_
; %bb.0:
	.section	.rodata,"a",@progbits
	.p2align	6, 0x0
	.amdhsa_kernel _ZN7rocprim17ROCPRIM_400000_NS6detail17trampoline_kernelINS0_14default_configENS1_35radix_sort_onesweep_config_selectorIiiEEZNS1_34radix_sort_onesweep_global_offsetsIS3_Lb0EN6thrust23THRUST_200600_302600_NS6detail15normal_iteratorINS8_10device_ptrIiEEEESD_jNS0_19identity_decomposerEEE10hipError_tT1_T2_PT3_SI_jT4_jjP12ihipStream_tbEUlT_E_NS1_11comp_targetILNS1_3genE3ELNS1_11target_archE908ELNS1_3gpuE7ELNS1_3repE0EEENS1_52radix_sort_onesweep_histogram_config_static_selectorELNS0_4arch9wavefront6targetE0EEEvSG_
		.amdhsa_group_segment_fixed_size 0
		.amdhsa_private_segment_fixed_size 0
		.amdhsa_kernarg_size 40
		.amdhsa_user_sgpr_count 6
		.amdhsa_user_sgpr_private_segment_buffer 1
		.amdhsa_user_sgpr_dispatch_ptr 0
		.amdhsa_user_sgpr_queue_ptr 0
		.amdhsa_user_sgpr_kernarg_segment_ptr 1
		.amdhsa_user_sgpr_dispatch_id 0
		.amdhsa_user_sgpr_flat_scratch_init 0
		.amdhsa_user_sgpr_private_segment_size 0
		.amdhsa_wavefront_size32 1
		.amdhsa_uses_dynamic_stack 0
		.amdhsa_system_sgpr_private_segment_wavefront_offset 0
		.amdhsa_system_sgpr_workgroup_id_x 1
		.amdhsa_system_sgpr_workgroup_id_y 0
		.amdhsa_system_sgpr_workgroup_id_z 0
		.amdhsa_system_sgpr_workgroup_info 0
		.amdhsa_system_vgpr_workitem_id 0
		.amdhsa_next_free_vgpr 1
		.amdhsa_next_free_sgpr 1
		.amdhsa_reserve_vcc 0
		.amdhsa_reserve_flat_scratch 0
		.amdhsa_float_round_mode_32 0
		.amdhsa_float_round_mode_16_64 0
		.amdhsa_float_denorm_mode_32 3
		.amdhsa_float_denorm_mode_16_64 3
		.amdhsa_dx10_clamp 1
		.amdhsa_ieee_mode 1
		.amdhsa_fp16_overflow 0
		.amdhsa_workgroup_processor_mode 1
		.amdhsa_memory_ordered 1
		.amdhsa_forward_progress 1
		.amdhsa_shared_vgpr_count 0
		.amdhsa_exception_fp_ieee_invalid_op 0
		.amdhsa_exception_fp_denorm_src 0
		.amdhsa_exception_fp_ieee_div_zero 0
		.amdhsa_exception_fp_ieee_overflow 0
		.amdhsa_exception_fp_ieee_underflow 0
		.amdhsa_exception_fp_ieee_inexact 0
		.amdhsa_exception_int_div_zero 0
	.end_amdhsa_kernel
	.section	.text._ZN7rocprim17ROCPRIM_400000_NS6detail17trampoline_kernelINS0_14default_configENS1_35radix_sort_onesweep_config_selectorIiiEEZNS1_34radix_sort_onesweep_global_offsetsIS3_Lb0EN6thrust23THRUST_200600_302600_NS6detail15normal_iteratorINS8_10device_ptrIiEEEESD_jNS0_19identity_decomposerEEE10hipError_tT1_T2_PT3_SI_jT4_jjP12ihipStream_tbEUlT_E_NS1_11comp_targetILNS1_3genE3ELNS1_11target_archE908ELNS1_3gpuE7ELNS1_3repE0EEENS1_52radix_sort_onesweep_histogram_config_static_selectorELNS0_4arch9wavefront6targetE0EEEvSG_,"axG",@progbits,_ZN7rocprim17ROCPRIM_400000_NS6detail17trampoline_kernelINS0_14default_configENS1_35radix_sort_onesweep_config_selectorIiiEEZNS1_34radix_sort_onesweep_global_offsetsIS3_Lb0EN6thrust23THRUST_200600_302600_NS6detail15normal_iteratorINS8_10device_ptrIiEEEESD_jNS0_19identity_decomposerEEE10hipError_tT1_T2_PT3_SI_jT4_jjP12ihipStream_tbEUlT_E_NS1_11comp_targetILNS1_3genE3ELNS1_11target_archE908ELNS1_3gpuE7ELNS1_3repE0EEENS1_52radix_sort_onesweep_histogram_config_static_selectorELNS0_4arch9wavefront6targetE0EEEvSG_,comdat
.Lfunc_end809:
	.size	_ZN7rocprim17ROCPRIM_400000_NS6detail17trampoline_kernelINS0_14default_configENS1_35radix_sort_onesweep_config_selectorIiiEEZNS1_34radix_sort_onesweep_global_offsetsIS3_Lb0EN6thrust23THRUST_200600_302600_NS6detail15normal_iteratorINS8_10device_ptrIiEEEESD_jNS0_19identity_decomposerEEE10hipError_tT1_T2_PT3_SI_jT4_jjP12ihipStream_tbEUlT_E_NS1_11comp_targetILNS1_3genE3ELNS1_11target_archE908ELNS1_3gpuE7ELNS1_3repE0EEENS1_52radix_sort_onesweep_histogram_config_static_selectorELNS0_4arch9wavefront6targetE0EEEvSG_, .Lfunc_end809-_ZN7rocprim17ROCPRIM_400000_NS6detail17trampoline_kernelINS0_14default_configENS1_35radix_sort_onesweep_config_selectorIiiEEZNS1_34radix_sort_onesweep_global_offsetsIS3_Lb0EN6thrust23THRUST_200600_302600_NS6detail15normal_iteratorINS8_10device_ptrIiEEEESD_jNS0_19identity_decomposerEEE10hipError_tT1_T2_PT3_SI_jT4_jjP12ihipStream_tbEUlT_E_NS1_11comp_targetILNS1_3genE3ELNS1_11target_archE908ELNS1_3gpuE7ELNS1_3repE0EEENS1_52radix_sort_onesweep_histogram_config_static_selectorELNS0_4arch9wavefront6targetE0EEEvSG_
                                        ; -- End function
	.set _ZN7rocprim17ROCPRIM_400000_NS6detail17trampoline_kernelINS0_14default_configENS1_35radix_sort_onesweep_config_selectorIiiEEZNS1_34radix_sort_onesweep_global_offsetsIS3_Lb0EN6thrust23THRUST_200600_302600_NS6detail15normal_iteratorINS8_10device_ptrIiEEEESD_jNS0_19identity_decomposerEEE10hipError_tT1_T2_PT3_SI_jT4_jjP12ihipStream_tbEUlT_E_NS1_11comp_targetILNS1_3genE3ELNS1_11target_archE908ELNS1_3gpuE7ELNS1_3repE0EEENS1_52radix_sort_onesweep_histogram_config_static_selectorELNS0_4arch9wavefront6targetE0EEEvSG_.num_vgpr, 0
	.set _ZN7rocprim17ROCPRIM_400000_NS6detail17trampoline_kernelINS0_14default_configENS1_35radix_sort_onesweep_config_selectorIiiEEZNS1_34radix_sort_onesweep_global_offsetsIS3_Lb0EN6thrust23THRUST_200600_302600_NS6detail15normal_iteratorINS8_10device_ptrIiEEEESD_jNS0_19identity_decomposerEEE10hipError_tT1_T2_PT3_SI_jT4_jjP12ihipStream_tbEUlT_E_NS1_11comp_targetILNS1_3genE3ELNS1_11target_archE908ELNS1_3gpuE7ELNS1_3repE0EEENS1_52radix_sort_onesweep_histogram_config_static_selectorELNS0_4arch9wavefront6targetE0EEEvSG_.num_agpr, 0
	.set _ZN7rocprim17ROCPRIM_400000_NS6detail17trampoline_kernelINS0_14default_configENS1_35radix_sort_onesweep_config_selectorIiiEEZNS1_34radix_sort_onesweep_global_offsetsIS3_Lb0EN6thrust23THRUST_200600_302600_NS6detail15normal_iteratorINS8_10device_ptrIiEEEESD_jNS0_19identity_decomposerEEE10hipError_tT1_T2_PT3_SI_jT4_jjP12ihipStream_tbEUlT_E_NS1_11comp_targetILNS1_3genE3ELNS1_11target_archE908ELNS1_3gpuE7ELNS1_3repE0EEENS1_52radix_sort_onesweep_histogram_config_static_selectorELNS0_4arch9wavefront6targetE0EEEvSG_.numbered_sgpr, 0
	.set _ZN7rocprim17ROCPRIM_400000_NS6detail17trampoline_kernelINS0_14default_configENS1_35radix_sort_onesweep_config_selectorIiiEEZNS1_34radix_sort_onesweep_global_offsetsIS3_Lb0EN6thrust23THRUST_200600_302600_NS6detail15normal_iteratorINS8_10device_ptrIiEEEESD_jNS0_19identity_decomposerEEE10hipError_tT1_T2_PT3_SI_jT4_jjP12ihipStream_tbEUlT_E_NS1_11comp_targetILNS1_3genE3ELNS1_11target_archE908ELNS1_3gpuE7ELNS1_3repE0EEENS1_52radix_sort_onesweep_histogram_config_static_selectorELNS0_4arch9wavefront6targetE0EEEvSG_.num_named_barrier, 0
	.set _ZN7rocprim17ROCPRIM_400000_NS6detail17trampoline_kernelINS0_14default_configENS1_35radix_sort_onesweep_config_selectorIiiEEZNS1_34radix_sort_onesweep_global_offsetsIS3_Lb0EN6thrust23THRUST_200600_302600_NS6detail15normal_iteratorINS8_10device_ptrIiEEEESD_jNS0_19identity_decomposerEEE10hipError_tT1_T2_PT3_SI_jT4_jjP12ihipStream_tbEUlT_E_NS1_11comp_targetILNS1_3genE3ELNS1_11target_archE908ELNS1_3gpuE7ELNS1_3repE0EEENS1_52radix_sort_onesweep_histogram_config_static_selectorELNS0_4arch9wavefront6targetE0EEEvSG_.private_seg_size, 0
	.set _ZN7rocprim17ROCPRIM_400000_NS6detail17trampoline_kernelINS0_14default_configENS1_35radix_sort_onesweep_config_selectorIiiEEZNS1_34radix_sort_onesweep_global_offsetsIS3_Lb0EN6thrust23THRUST_200600_302600_NS6detail15normal_iteratorINS8_10device_ptrIiEEEESD_jNS0_19identity_decomposerEEE10hipError_tT1_T2_PT3_SI_jT4_jjP12ihipStream_tbEUlT_E_NS1_11comp_targetILNS1_3genE3ELNS1_11target_archE908ELNS1_3gpuE7ELNS1_3repE0EEENS1_52radix_sort_onesweep_histogram_config_static_selectorELNS0_4arch9wavefront6targetE0EEEvSG_.uses_vcc, 0
	.set _ZN7rocprim17ROCPRIM_400000_NS6detail17trampoline_kernelINS0_14default_configENS1_35radix_sort_onesweep_config_selectorIiiEEZNS1_34radix_sort_onesweep_global_offsetsIS3_Lb0EN6thrust23THRUST_200600_302600_NS6detail15normal_iteratorINS8_10device_ptrIiEEEESD_jNS0_19identity_decomposerEEE10hipError_tT1_T2_PT3_SI_jT4_jjP12ihipStream_tbEUlT_E_NS1_11comp_targetILNS1_3genE3ELNS1_11target_archE908ELNS1_3gpuE7ELNS1_3repE0EEENS1_52radix_sort_onesweep_histogram_config_static_selectorELNS0_4arch9wavefront6targetE0EEEvSG_.uses_flat_scratch, 0
	.set _ZN7rocprim17ROCPRIM_400000_NS6detail17trampoline_kernelINS0_14default_configENS1_35radix_sort_onesweep_config_selectorIiiEEZNS1_34radix_sort_onesweep_global_offsetsIS3_Lb0EN6thrust23THRUST_200600_302600_NS6detail15normal_iteratorINS8_10device_ptrIiEEEESD_jNS0_19identity_decomposerEEE10hipError_tT1_T2_PT3_SI_jT4_jjP12ihipStream_tbEUlT_E_NS1_11comp_targetILNS1_3genE3ELNS1_11target_archE908ELNS1_3gpuE7ELNS1_3repE0EEENS1_52radix_sort_onesweep_histogram_config_static_selectorELNS0_4arch9wavefront6targetE0EEEvSG_.has_dyn_sized_stack, 0
	.set _ZN7rocprim17ROCPRIM_400000_NS6detail17trampoline_kernelINS0_14default_configENS1_35radix_sort_onesweep_config_selectorIiiEEZNS1_34radix_sort_onesweep_global_offsetsIS3_Lb0EN6thrust23THRUST_200600_302600_NS6detail15normal_iteratorINS8_10device_ptrIiEEEESD_jNS0_19identity_decomposerEEE10hipError_tT1_T2_PT3_SI_jT4_jjP12ihipStream_tbEUlT_E_NS1_11comp_targetILNS1_3genE3ELNS1_11target_archE908ELNS1_3gpuE7ELNS1_3repE0EEENS1_52radix_sort_onesweep_histogram_config_static_selectorELNS0_4arch9wavefront6targetE0EEEvSG_.has_recursion, 0
	.set _ZN7rocprim17ROCPRIM_400000_NS6detail17trampoline_kernelINS0_14default_configENS1_35radix_sort_onesweep_config_selectorIiiEEZNS1_34radix_sort_onesweep_global_offsetsIS3_Lb0EN6thrust23THRUST_200600_302600_NS6detail15normal_iteratorINS8_10device_ptrIiEEEESD_jNS0_19identity_decomposerEEE10hipError_tT1_T2_PT3_SI_jT4_jjP12ihipStream_tbEUlT_E_NS1_11comp_targetILNS1_3genE3ELNS1_11target_archE908ELNS1_3gpuE7ELNS1_3repE0EEENS1_52radix_sort_onesweep_histogram_config_static_selectorELNS0_4arch9wavefront6targetE0EEEvSG_.has_indirect_call, 0
	.section	.AMDGPU.csdata,"",@progbits
; Kernel info:
; codeLenInByte = 0
; TotalNumSgprs: 0
; NumVgprs: 0
; ScratchSize: 0
; MemoryBound: 0
; FloatMode: 240
; IeeeMode: 1
; LDSByteSize: 0 bytes/workgroup (compile time only)
; SGPRBlocks: 0
; VGPRBlocks: 0
; NumSGPRsForWavesPerEU: 1
; NumVGPRsForWavesPerEU: 1
; Occupancy: 16
; WaveLimiterHint : 0
; COMPUTE_PGM_RSRC2:SCRATCH_EN: 0
; COMPUTE_PGM_RSRC2:USER_SGPR: 6
; COMPUTE_PGM_RSRC2:TRAP_HANDLER: 0
; COMPUTE_PGM_RSRC2:TGID_X_EN: 1
; COMPUTE_PGM_RSRC2:TGID_Y_EN: 0
; COMPUTE_PGM_RSRC2:TGID_Z_EN: 0
; COMPUTE_PGM_RSRC2:TIDIG_COMP_CNT: 0
	.section	.text._ZN7rocprim17ROCPRIM_400000_NS6detail17trampoline_kernelINS0_14default_configENS1_35radix_sort_onesweep_config_selectorIiiEEZNS1_34radix_sort_onesweep_global_offsetsIS3_Lb0EN6thrust23THRUST_200600_302600_NS6detail15normal_iteratorINS8_10device_ptrIiEEEESD_jNS0_19identity_decomposerEEE10hipError_tT1_T2_PT3_SI_jT4_jjP12ihipStream_tbEUlT_E_NS1_11comp_targetILNS1_3genE10ELNS1_11target_archE1201ELNS1_3gpuE5ELNS1_3repE0EEENS1_52radix_sort_onesweep_histogram_config_static_selectorELNS0_4arch9wavefront6targetE0EEEvSG_,"axG",@progbits,_ZN7rocprim17ROCPRIM_400000_NS6detail17trampoline_kernelINS0_14default_configENS1_35radix_sort_onesweep_config_selectorIiiEEZNS1_34radix_sort_onesweep_global_offsetsIS3_Lb0EN6thrust23THRUST_200600_302600_NS6detail15normal_iteratorINS8_10device_ptrIiEEEESD_jNS0_19identity_decomposerEEE10hipError_tT1_T2_PT3_SI_jT4_jjP12ihipStream_tbEUlT_E_NS1_11comp_targetILNS1_3genE10ELNS1_11target_archE1201ELNS1_3gpuE5ELNS1_3repE0EEENS1_52radix_sort_onesweep_histogram_config_static_selectorELNS0_4arch9wavefront6targetE0EEEvSG_,comdat
	.protected	_ZN7rocprim17ROCPRIM_400000_NS6detail17trampoline_kernelINS0_14default_configENS1_35radix_sort_onesweep_config_selectorIiiEEZNS1_34radix_sort_onesweep_global_offsetsIS3_Lb0EN6thrust23THRUST_200600_302600_NS6detail15normal_iteratorINS8_10device_ptrIiEEEESD_jNS0_19identity_decomposerEEE10hipError_tT1_T2_PT3_SI_jT4_jjP12ihipStream_tbEUlT_E_NS1_11comp_targetILNS1_3genE10ELNS1_11target_archE1201ELNS1_3gpuE5ELNS1_3repE0EEENS1_52radix_sort_onesweep_histogram_config_static_selectorELNS0_4arch9wavefront6targetE0EEEvSG_ ; -- Begin function _ZN7rocprim17ROCPRIM_400000_NS6detail17trampoline_kernelINS0_14default_configENS1_35radix_sort_onesweep_config_selectorIiiEEZNS1_34radix_sort_onesweep_global_offsetsIS3_Lb0EN6thrust23THRUST_200600_302600_NS6detail15normal_iteratorINS8_10device_ptrIiEEEESD_jNS0_19identity_decomposerEEE10hipError_tT1_T2_PT3_SI_jT4_jjP12ihipStream_tbEUlT_E_NS1_11comp_targetILNS1_3genE10ELNS1_11target_archE1201ELNS1_3gpuE5ELNS1_3repE0EEENS1_52radix_sort_onesweep_histogram_config_static_selectorELNS0_4arch9wavefront6targetE0EEEvSG_
	.globl	_ZN7rocprim17ROCPRIM_400000_NS6detail17trampoline_kernelINS0_14default_configENS1_35radix_sort_onesweep_config_selectorIiiEEZNS1_34radix_sort_onesweep_global_offsetsIS3_Lb0EN6thrust23THRUST_200600_302600_NS6detail15normal_iteratorINS8_10device_ptrIiEEEESD_jNS0_19identity_decomposerEEE10hipError_tT1_T2_PT3_SI_jT4_jjP12ihipStream_tbEUlT_E_NS1_11comp_targetILNS1_3genE10ELNS1_11target_archE1201ELNS1_3gpuE5ELNS1_3repE0EEENS1_52radix_sort_onesweep_histogram_config_static_selectorELNS0_4arch9wavefront6targetE0EEEvSG_
	.p2align	8
	.type	_ZN7rocprim17ROCPRIM_400000_NS6detail17trampoline_kernelINS0_14default_configENS1_35radix_sort_onesweep_config_selectorIiiEEZNS1_34radix_sort_onesweep_global_offsetsIS3_Lb0EN6thrust23THRUST_200600_302600_NS6detail15normal_iteratorINS8_10device_ptrIiEEEESD_jNS0_19identity_decomposerEEE10hipError_tT1_T2_PT3_SI_jT4_jjP12ihipStream_tbEUlT_E_NS1_11comp_targetILNS1_3genE10ELNS1_11target_archE1201ELNS1_3gpuE5ELNS1_3repE0EEENS1_52radix_sort_onesweep_histogram_config_static_selectorELNS0_4arch9wavefront6targetE0EEEvSG_,@function
_ZN7rocprim17ROCPRIM_400000_NS6detail17trampoline_kernelINS0_14default_configENS1_35radix_sort_onesweep_config_selectorIiiEEZNS1_34radix_sort_onesweep_global_offsetsIS3_Lb0EN6thrust23THRUST_200600_302600_NS6detail15normal_iteratorINS8_10device_ptrIiEEEESD_jNS0_19identity_decomposerEEE10hipError_tT1_T2_PT3_SI_jT4_jjP12ihipStream_tbEUlT_E_NS1_11comp_targetILNS1_3genE10ELNS1_11target_archE1201ELNS1_3gpuE5ELNS1_3repE0EEENS1_52radix_sort_onesweep_histogram_config_static_selectorELNS0_4arch9wavefront6targetE0EEEvSG_: ; @_ZN7rocprim17ROCPRIM_400000_NS6detail17trampoline_kernelINS0_14default_configENS1_35radix_sort_onesweep_config_selectorIiiEEZNS1_34radix_sort_onesweep_global_offsetsIS3_Lb0EN6thrust23THRUST_200600_302600_NS6detail15normal_iteratorINS8_10device_ptrIiEEEESD_jNS0_19identity_decomposerEEE10hipError_tT1_T2_PT3_SI_jT4_jjP12ihipStream_tbEUlT_E_NS1_11comp_targetILNS1_3genE10ELNS1_11target_archE1201ELNS1_3gpuE5ELNS1_3repE0EEENS1_52radix_sort_onesweep_histogram_config_static_selectorELNS0_4arch9wavefront6targetE0EEEvSG_
; %bb.0:
	.section	.rodata,"a",@progbits
	.p2align	6, 0x0
	.amdhsa_kernel _ZN7rocprim17ROCPRIM_400000_NS6detail17trampoline_kernelINS0_14default_configENS1_35radix_sort_onesweep_config_selectorIiiEEZNS1_34radix_sort_onesweep_global_offsetsIS3_Lb0EN6thrust23THRUST_200600_302600_NS6detail15normal_iteratorINS8_10device_ptrIiEEEESD_jNS0_19identity_decomposerEEE10hipError_tT1_T2_PT3_SI_jT4_jjP12ihipStream_tbEUlT_E_NS1_11comp_targetILNS1_3genE10ELNS1_11target_archE1201ELNS1_3gpuE5ELNS1_3repE0EEENS1_52radix_sort_onesweep_histogram_config_static_selectorELNS0_4arch9wavefront6targetE0EEEvSG_
		.amdhsa_group_segment_fixed_size 0
		.amdhsa_private_segment_fixed_size 0
		.amdhsa_kernarg_size 40
		.amdhsa_user_sgpr_count 6
		.amdhsa_user_sgpr_private_segment_buffer 1
		.amdhsa_user_sgpr_dispatch_ptr 0
		.amdhsa_user_sgpr_queue_ptr 0
		.amdhsa_user_sgpr_kernarg_segment_ptr 1
		.amdhsa_user_sgpr_dispatch_id 0
		.amdhsa_user_sgpr_flat_scratch_init 0
		.amdhsa_user_sgpr_private_segment_size 0
		.amdhsa_wavefront_size32 1
		.amdhsa_uses_dynamic_stack 0
		.amdhsa_system_sgpr_private_segment_wavefront_offset 0
		.amdhsa_system_sgpr_workgroup_id_x 1
		.amdhsa_system_sgpr_workgroup_id_y 0
		.amdhsa_system_sgpr_workgroup_id_z 0
		.amdhsa_system_sgpr_workgroup_info 0
		.amdhsa_system_vgpr_workitem_id 0
		.amdhsa_next_free_vgpr 1
		.amdhsa_next_free_sgpr 1
		.amdhsa_reserve_vcc 0
		.amdhsa_reserve_flat_scratch 0
		.amdhsa_float_round_mode_32 0
		.amdhsa_float_round_mode_16_64 0
		.amdhsa_float_denorm_mode_32 3
		.amdhsa_float_denorm_mode_16_64 3
		.amdhsa_dx10_clamp 1
		.amdhsa_ieee_mode 1
		.amdhsa_fp16_overflow 0
		.amdhsa_workgroup_processor_mode 1
		.amdhsa_memory_ordered 1
		.amdhsa_forward_progress 1
		.amdhsa_shared_vgpr_count 0
		.amdhsa_exception_fp_ieee_invalid_op 0
		.amdhsa_exception_fp_denorm_src 0
		.amdhsa_exception_fp_ieee_div_zero 0
		.amdhsa_exception_fp_ieee_overflow 0
		.amdhsa_exception_fp_ieee_underflow 0
		.amdhsa_exception_fp_ieee_inexact 0
		.amdhsa_exception_int_div_zero 0
	.end_amdhsa_kernel
	.section	.text._ZN7rocprim17ROCPRIM_400000_NS6detail17trampoline_kernelINS0_14default_configENS1_35radix_sort_onesweep_config_selectorIiiEEZNS1_34radix_sort_onesweep_global_offsetsIS3_Lb0EN6thrust23THRUST_200600_302600_NS6detail15normal_iteratorINS8_10device_ptrIiEEEESD_jNS0_19identity_decomposerEEE10hipError_tT1_T2_PT3_SI_jT4_jjP12ihipStream_tbEUlT_E_NS1_11comp_targetILNS1_3genE10ELNS1_11target_archE1201ELNS1_3gpuE5ELNS1_3repE0EEENS1_52radix_sort_onesweep_histogram_config_static_selectorELNS0_4arch9wavefront6targetE0EEEvSG_,"axG",@progbits,_ZN7rocprim17ROCPRIM_400000_NS6detail17trampoline_kernelINS0_14default_configENS1_35radix_sort_onesweep_config_selectorIiiEEZNS1_34radix_sort_onesweep_global_offsetsIS3_Lb0EN6thrust23THRUST_200600_302600_NS6detail15normal_iteratorINS8_10device_ptrIiEEEESD_jNS0_19identity_decomposerEEE10hipError_tT1_T2_PT3_SI_jT4_jjP12ihipStream_tbEUlT_E_NS1_11comp_targetILNS1_3genE10ELNS1_11target_archE1201ELNS1_3gpuE5ELNS1_3repE0EEENS1_52radix_sort_onesweep_histogram_config_static_selectorELNS0_4arch9wavefront6targetE0EEEvSG_,comdat
.Lfunc_end810:
	.size	_ZN7rocprim17ROCPRIM_400000_NS6detail17trampoline_kernelINS0_14default_configENS1_35radix_sort_onesweep_config_selectorIiiEEZNS1_34radix_sort_onesweep_global_offsetsIS3_Lb0EN6thrust23THRUST_200600_302600_NS6detail15normal_iteratorINS8_10device_ptrIiEEEESD_jNS0_19identity_decomposerEEE10hipError_tT1_T2_PT3_SI_jT4_jjP12ihipStream_tbEUlT_E_NS1_11comp_targetILNS1_3genE10ELNS1_11target_archE1201ELNS1_3gpuE5ELNS1_3repE0EEENS1_52radix_sort_onesweep_histogram_config_static_selectorELNS0_4arch9wavefront6targetE0EEEvSG_, .Lfunc_end810-_ZN7rocprim17ROCPRIM_400000_NS6detail17trampoline_kernelINS0_14default_configENS1_35radix_sort_onesweep_config_selectorIiiEEZNS1_34radix_sort_onesweep_global_offsetsIS3_Lb0EN6thrust23THRUST_200600_302600_NS6detail15normal_iteratorINS8_10device_ptrIiEEEESD_jNS0_19identity_decomposerEEE10hipError_tT1_T2_PT3_SI_jT4_jjP12ihipStream_tbEUlT_E_NS1_11comp_targetILNS1_3genE10ELNS1_11target_archE1201ELNS1_3gpuE5ELNS1_3repE0EEENS1_52radix_sort_onesweep_histogram_config_static_selectorELNS0_4arch9wavefront6targetE0EEEvSG_
                                        ; -- End function
	.set _ZN7rocprim17ROCPRIM_400000_NS6detail17trampoline_kernelINS0_14default_configENS1_35radix_sort_onesweep_config_selectorIiiEEZNS1_34radix_sort_onesweep_global_offsetsIS3_Lb0EN6thrust23THRUST_200600_302600_NS6detail15normal_iteratorINS8_10device_ptrIiEEEESD_jNS0_19identity_decomposerEEE10hipError_tT1_T2_PT3_SI_jT4_jjP12ihipStream_tbEUlT_E_NS1_11comp_targetILNS1_3genE10ELNS1_11target_archE1201ELNS1_3gpuE5ELNS1_3repE0EEENS1_52radix_sort_onesweep_histogram_config_static_selectorELNS0_4arch9wavefront6targetE0EEEvSG_.num_vgpr, 0
	.set _ZN7rocprim17ROCPRIM_400000_NS6detail17trampoline_kernelINS0_14default_configENS1_35radix_sort_onesweep_config_selectorIiiEEZNS1_34radix_sort_onesweep_global_offsetsIS3_Lb0EN6thrust23THRUST_200600_302600_NS6detail15normal_iteratorINS8_10device_ptrIiEEEESD_jNS0_19identity_decomposerEEE10hipError_tT1_T2_PT3_SI_jT4_jjP12ihipStream_tbEUlT_E_NS1_11comp_targetILNS1_3genE10ELNS1_11target_archE1201ELNS1_3gpuE5ELNS1_3repE0EEENS1_52radix_sort_onesweep_histogram_config_static_selectorELNS0_4arch9wavefront6targetE0EEEvSG_.num_agpr, 0
	.set _ZN7rocprim17ROCPRIM_400000_NS6detail17trampoline_kernelINS0_14default_configENS1_35radix_sort_onesweep_config_selectorIiiEEZNS1_34radix_sort_onesweep_global_offsetsIS3_Lb0EN6thrust23THRUST_200600_302600_NS6detail15normal_iteratorINS8_10device_ptrIiEEEESD_jNS0_19identity_decomposerEEE10hipError_tT1_T2_PT3_SI_jT4_jjP12ihipStream_tbEUlT_E_NS1_11comp_targetILNS1_3genE10ELNS1_11target_archE1201ELNS1_3gpuE5ELNS1_3repE0EEENS1_52radix_sort_onesweep_histogram_config_static_selectorELNS0_4arch9wavefront6targetE0EEEvSG_.numbered_sgpr, 0
	.set _ZN7rocprim17ROCPRIM_400000_NS6detail17trampoline_kernelINS0_14default_configENS1_35radix_sort_onesweep_config_selectorIiiEEZNS1_34radix_sort_onesweep_global_offsetsIS3_Lb0EN6thrust23THRUST_200600_302600_NS6detail15normal_iteratorINS8_10device_ptrIiEEEESD_jNS0_19identity_decomposerEEE10hipError_tT1_T2_PT3_SI_jT4_jjP12ihipStream_tbEUlT_E_NS1_11comp_targetILNS1_3genE10ELNS1_11target_archE1201ELNS1_3gpuE5ELNS1_3repE0EEENS1_52radix_sort_onesweep_histogram_config_static_selectorELNS0_4arch9wavefront6targetE0EEEvSG_.num_named_barrier, 0
	.set _ZN7rocprim17ROCPRIM_400000_NS6detail17trampoline_kernelINS0_14default_configENS1_35radix_sort_onesweep_config_selectorIiiEEZNS1_34radix_sort_onesweep_global_offsetsIS3_Lb0EN6thrust23THRUST_200600_302600_NS6detail15normal_iteratorINS8_10device_ptrIiEEEESD_jNS0_19identity_decomposerEEE10hipError_tT1_T2_PT3_SI_jT4_jjP12ihipStream_tbEUlT_E_NS1_11comp_targetILNS1_3genE10ELNS1_11target_archE1201ELNS1_3gpuE5ELNS1_3repE0EEENS1_52radix_sort_onesweep_histogram_config_static_selectorELNS0_4arch9wavefront6targetE0EEEvSG_.private_seg_size, 0
	.set _ZN7rocprim17ROCPRIM_400000_NS6detail17trampoline_kernelINS0_14default_configENS1_35radix_sort_onesweep_config_selectorIiiEEZNS1_34radix_sort_onesweep_global_offsetsIS3_Lb0EN6thrust23THRUST_200600_302600_NS6detail15normal_iteratorINS8_10device_ptrIiEEEESD_jNS0_19identity_decomposerEEE10hipError_tT1_T2_PT3_SI_jT4_jjP12ihipStream_tbEUlT_E_NS1_11comp_targetILNS1_3genE10ELNS1_11target_archE1201ELNS1_3gpuE5ELNS1_3repE0EEENS1_52radix_sort_onesweep_histogram_config_static_selectorELNS0_4arch9wavefront6targetE0EEEvSG_.uses_vcc, 0
	.set _ZN7rocprim17ROCPRIM_400000_NS6detail17trampoline_kernelINS0_14default_configENS1_35radix_sort_onesweep_config_selectorIiiEEZNS1_34radix_sort_onesweep_global_offsetsIS3_Lb0EN6thrust23THRUST_200600_302600_NS6detail15normal_iteratorINS8_10device_ptrIiEEEESD_jNS0_19identity_decomposerEEE10hipError_tT1_T2_PT3_SI_jT4_jjP12ihipStream_tbEUlT_E_NS1_11comp_targetILNS1_3genE10ELNS1_11target_archE1201ELNS1_3gpuE5ELNS1_3repE0EEENS1_52radix_sort_onesweep_histogram_config_static_selectorELNS0_4arch9wavefront6targetE0EEEvSG_.uses_flat_scratch, 0
	.set _ZN7rocprim17ROCPRIM_400000_NS6detail17trampoline_kernelINS0_14default_configENS1_35radix_sort_onesweep_config_selectorIiiEEZNS1_34radix_sort_onesweep_global_offsetsIS3_Lb0EN6thrust23THRUST_200600_302600_NS6detail15normal_iteratorINS8_10device_ptrIiEEEESD_jNS0_19identity_decomposerEEE10hipError_tT1_T2_PT3_SI_jT4_jjP12ihipStream_tbEUlT_E_NS1_11comp_targetILNS1_3genE10ELNS1_11target_archE1201ELNS1_3gpuE5ELNS1_3repE0EEENS1_52radix_sort_onesweep_histogram_config_static_selectorELNS0_4arch9wavefront6targetE0EEEvSG_.has_dyn_sized_stack, 0
	.set _ZN7rocprim17ROCPRIM_400000_NS6detail17trampoline_kernelINS0_14default_configENS1_35radix_sort_onesweep_config_selectorIiiEEZNS1_34radix_sort_onesweep_global_offsetsIS3_Lb0EN6thrust23THRUST_200600_302600_NS6detail15normal_iteratorINS8_10device_ptrIiEEEESD_jNS0_19identity_decomposerEEE10hipError_tT1_T2_PT3_SI_jT4_jjP12ihipStream_tbEUlT_E_NS1_11comp_targetILNS1_3genE10ELNS1_11target_archE1201ELNS1_3gpuE5ELNS1_3repE0EEENS1_52radix_sort_onesweep_histogram_config_static_selectorELNS0_4arch9wavefront6targetE0EEEvSG_.has_recursion, 0
	.set _ZN7rocprim17ROCPRIM_400000_NS6detail17trampoline_kernelINS0_14default_configENS1_35radix_sort_onesweep_config_selectorIiiEEZNS1_34radix_sort_onesweep_global_offsetsIS3_Lb0EN6thrust23THRUST_200600_302600_NS6detail15normal_iteratorINS8_10device_ptrIiEEEESD_jNS0_19identity_decomposerEEE10hipError_tT1_T2_PT3_SI_jT4_jjP12ihipStream_tbEUlT_E_NS1_11comp_targetILNS1_3genE10ELNS1_11target_archE1201ELNS1_3gpuE5ELNS1_3repE0EEENS1_52radix_sort_onesweep_histogram_config_static_selectorELNS0_4arch9wavefront6targetE0EEEvSG_.has_indirect_call, 0
	.section	.AMDGPU.csdata,"",@progbits
; Kernel info:
; codeLenInByte = 0
; TotalNumSgprs: 0
; NumVgprs: 0
; ScratchSize: 0
; MemoryBound: 0
; FloatMode: 240
; IeeeMode: 1
; LDSByteSize: 0 bytes/workgroup (compile time only)
; SGPRBlocks: 0
; VGPRBlocks: 0
; NumSGPRsForWavesPerEU: 1
; NumVGPRsForWavesPerEU: 1
; Occupancy: 16
; WaveLimiterHint : 0
; COMPUTE_PGM_RSRC2:SCRATCH_EN: 0
; COMPUTE_PGM_RSRC2:USER_SGPR: 6
; COMPUTE_PGM_RSRC2:TRAP_HANDLER: 0
; COMPUTE_PGM_RSRC2:TGID_X_EN: 1
; COMPUTE_PGM_RSRC2:TGID_Y_EN: 0
; COMPUTE_PGM_RSRC2:TGID_Z_EN: 0
; COMPUTE_PGM_RSRC2:TIDIG_COMP_CNT: 0
	.section	.text._ZN7rocprim17ROCPRIM_400000_NS6detail17trampoline_kernelINS0_14default_configENS1_35radix_sort_onesweep_config_selectorIiiEEZNS1_34radix_sort_onesweep_global_offsetsIS3_Lb0EN6thrust23THRUST_200600_302600_NS6detail15normal_iteratorINS8_10device_ptrIiEEEESD_jNS0_19identity_decomposerEEE10hipError_tT1_T2_PT3_SI_jT4_jjP12ihipStream_tbEUlT_E_NS1_11comp_targetILNS1_3genE9ELNS1_11target_archE1100ELNS1_3gpuE3ELNS1_3repE0EEENS1_52radix_sort_onesweep_histogram_config_static_selectorELNS0_4arch9wavefront6targetE0EEEvSG_,"axG",@progbits,_ZN7rocprim17ROCPRIM_400000_NS6detail17trampoline_kernelINS0_14default_configENS1_35radix_sort_onesweep_config_selectorIiiEEZNS1_34radix_sort_onesweep_global_offsetsIS3_Lb0EN6thrust23THRUST_200600_302600_NS6detail15normal_iteratorINS8_10device_ptrIiEEEESD_jNS0_19identity_decomposerEEE10hipError_tT1_T2_PT3_SI_jT4_jjP12ihipStream_tbEUlT_E_NS1_11comp_targetILNS1_3genE9ELNS1_11target_archE1100ELNS1_3gpuE3ELNS1_3repE0EEENS1_52radix_sort_onesweep_histogram_config_static_selectorELNS0_4arch9wavefront6targetE0EEEvSG_,comdat
	.protected	_ZN7rocprim17ROCPRIM_400000_NS6detail17trampoline_kernelINS0_14default_configENS1_35radix_sort_onesweep_config_selectorIiiEEZNS1_34radix_sort_onesweep_global_offsetsIS3_Lb0EN6thrust23THRUST_200600_302600_NS6detail15normal_iteratorINS8_10device_ptrIiEEEESD_jNS0_19identity_decomposerEEE10hipError_tT1_T2_PT3_SI_jT4_jjP12ihipStream_tbEUlT_E_NS1_11comp_targetILNS1_3genE9ELNS1_11target_archE1100ELNS1_3gpuE3ELNS1_3repE0EEENS1_52radix_sort_onesweep_histogram_config_static_selectorELNS0_4arch9wavefront6targetE0EEEvSG_ ; -- Begin function _ZN7rocprim17ROCPRIM_400000_NS6detail17trampoline_kernelINS0_14default_configENS1_35radix_sort_onesweep_config_selectorIiiEEZNS1_34radix_sort_onesweep_global_offsetsIS3_Lb0EN6thrust23THRUST_200600_302600_NS6detail15normal_iteratorINS8_10device_ptrIiEEEESD_jNS0_19identity_decomposerEEE10hipError_tT1_T2_PT3_SI_jT4_jjP12ihipStream_tbEUlT_E_NS1_11comp_targetILNS1_3genE9ELNS1_11target_archE1100ELNS1_3gpuE3ELNS1_3repE0EEENS1_52radix_sort_onesweep_histogram_config_static_selectorELNS0_4arch9wavefront6targetE0EEEvSG_
	.globl	_ZN7rocprim17ROCPRIM_400000_NS6detail17trampoline_kernelINS0_14default_configENS1_35radix_sort_onesweep_config_selectorIiiEEZNS1_34radix_sort_onesweep_global_offsetsIS3_Lb0EN6thrust23THRUST_200600_302600_NS6detail15normal_iteratorINS8_10device_ptrIiEEEESD_jNS0_19identity_decomposerEEE10hipError_tT1_T2_PT3_SI_jT4_jjP12ihipStream_tbEUlT_E_NS1_11comp_targetILNS1_3genE9ELNS1_11target_archE1100ELNS1_3gpuE3ELNS1_3repE0EEENS1_52radix_sort_onesweep_histogram_config_static_selectorELNS0_4arch9wavefront6targetE0EEEvSG_
	.p2align	8
	.type	_ZN7rocprim17ROCPRIM_400000_NS6detail17trampoline_kernelINS0_14default_configENS1_35radix_sort_onesweep_config_selectorIiiEEZNS1_34radix_sort_onesweep_global_offsetsIS3_Lb0EN6thrust23THRUST_200600_302600_NS6detail15normal_iteratorINS8_10device_ptrIiEEEESD_jNS0_19identity_decomposerEEE10hipError_tT1_T2_PT3_SI_jT4_jjP12ihipStream_tbEUlT_E_NS1_11comp_targetILNS1_3genE9ELNS1_11target_archE1100ELNS1_3gpuE3ELNS1_3repE0EEENS1_52radix_sort_onesweep_histogram_config_static_selectorELNS0_4arch9wavefront6targetE0EEEvSG_,@function
_ZN7rocprim17ROCPRIM_400000_NS6detail17trampoline_kernelINS0_14default_configENS1_35radix_sort_onesweep_config_selectorIiiEEZNS1_34radix_sort_onesweep_global_offsetsIS3_Lb0EN6thrust23THRUST_200600_302600_NS6detail15normal_iteratorINS8_10device_ptrIiEEEESD_jNS0_19identity_decomposerEEE10hipError_tT1_T2_PT3_SI_jT4_jjP12ihipStream_tbEUlT_E_NS1_11comp_targetILNS1_3genE9ELNS1_11target_archE1100ELNS1_3gpuE3ELNS1_3repE0EEENS1_52radix_sort_onesweep_histogram_config_static_selectorELNS0_4arch9wavefront6targetE0EEEvSG_: ; @_ZN7rocprim17ROCPRIM_400000_NS6detail17trampoline_kernelINS0_14default_configENS1_35radix_sort_onesweep_config_selectorIiiEEZNS1_34radix_sort_onesweep_global_offsetsIS3_Lb0EN6thrust23THRUST_200600_302600_NS6detail15normal_iteratorINS8_10device_ptrIiEEEESD_jNS0_19identity_decomposerEEE10hipError_tT1_T2_PT3_SI_jT4_jjP12ihipStream_tbEUlT_E_NS1_11comp_targetILNS1_3genE9ELNS1_11target_archE1100ELNS1_3gpuE3ELNS1_3repE0EEENS1_52radix_sort_onesweep_histogram_config_static_selectorELNS0_4arch9wavefront6targetE0EEEvSG_
; %bb.0:
	.section	.rodata,"a",@progbits
	.p2align	6, 0x0
	.amdhsa_kernel _ZN7rocprim17ROCPRIM_400000_NS6detail17trampoline_kernelINS0_14default_configENS1_35radix_sort_onesweep_config_selectorIiiEEZNS1_34radix_sort_onesweep_global_offsetsIS3_Lb0EN6thrust23THRUST_200600_302600_NS6detail15normal_iteratorINS8_10device_ptrIiEEEESD_jNS0_19identity_decomposerEEE10hipError_tT1_T2_PT3_SI_jT4_jjP12ihipStream_tbEUlT_E_NS1_11comp_targetILNS1_3genE9ELNS1_11target_archE1100ELNS1_3gpuE3ELNS1_3repE0EEENS1_52radix_sort_onesweep_histogram_config_static_selectorELNS0_4arch9wavefront6targetE0EEEvSG_
		.amdhsa_group_segment_fixed_size 0
		.amdhsa_private_segment_fixed_size 0
		.amdhsa_kernarg_size 40
		.amdhsa_user_sgpr_count 6
		.amdhsa_user_sgpr_private_segment_buffer 1
		.amdhsa_user_sgpr_dispatch_ptr 0
		.amdhsa_user_sgpr_queue_ptr 0
		.amdhsa_user_sgpr_kernarg_segment_ptr 1
		.amdhsa_user_sgpr_dispatch_id 0
		.amdhsa_user_sgpr_flat_scratch_init 0
		.amdhsa_user_sgpr_private_segment_size 0
		.amdhsa_wavefront_size32 1
		.amdhsa_uses_dynamic_stack 0
		.amdhsa_system_sgpr_private_segment_wavefront_offset 0
		.amdhsa_system_sgpr_workgroup_id_x 1
		.amdhsa_system_sgpr_workgroup_id_y 0
		.amdhsa_system_sgpr_workgroup_id_z 0
		.amdhsa_system_sgpr_workgroup_info 0
		.amdhsa_system_vgpr_workitem_id 0
		.amdhsa_next_free_vgpr 1
		.amdhsa_next_free_sgpr 1
		.amdhsa_reserve_vcc 0
		.amdhsa_reserve_flat_scratch 0
		.amdhsa_float_round_mode_32 0
		.amdhsa_float_round_mode_16_64 0
		.amdhsa_float_denorm_mode_32 3
		.amdhsa_float_denorm_mode_16_64 3
		.amdhsa_dx10_clamp 1
		.amdhsa_ieee_mode 1
		.amdhsa_fp16_overflow 0
		.amdhsa_workgroup_processor_mode 1
		.amdhsa_memory_ordered 1
		.amdhsa_forward_progress 1
		.amdhsa_shared_vgpr_count 0
		.amdhsa_exception_fp_ieee_invalid_op 0
		.amdhsa_exception_fp_denorm_src 0
		.amdhsa_exception_fp_ieee_div_zero 0
		.amdhsa_exception_fp_ieee_overflow 0
		.amdhsa_exception_fp_ieee_underflow 0
		.amdhsa_exception_fp_ieee_inexact 0
		.amdhsa_exception_int_div_zero 0
	.end_amdhsa_kernel
	.section	.text._ZN7rocprim17ROCPRIM_400000_NS6detail17trampoline_kernelINS0_14default_configENS1_35radix_sort_onesweep_config_selectorIiiEEZNS1_34radix_sort_onesweep_global_offsetsIS3_Lb0EN6thrust23THRUST_200600_302600_NS6detail15normal_iteratorINS8_10device_ptrIiEEEESD_jNS0_19identity_decomposerEEE10hipError_tT1_T2_PT3_SI_jT4_jjP12ihipStream_tbEUlT_E_NS1_11comp_targetILNS1_3genE9ELNS1_11target_archE1100ELNS1_3gpuE3ELNS1_3repE0EEENS1_52radix_sort_onesweep_histogram_config_static_selectorELNS0_4arch9wavefront6targetE0EEEvSG_,"axG",@progbits,_ZN7rocprim17ROCPRIM_400000_NS6detail17trampoline_kernelINS0_14default_configENS1_35radix_sort_onesweep_config_selectorIiiEEZNS1_34radix_sort_onesweep_global_offsetsIS3_Lb0EN6thrust23THRUST_200600_302600_NS6detail15normal_iteratorINS8_10device_ptrIiEEEESD_jNS0_19identity_decomposerEEE10hipError_tT1_T2_PT3_SI_jT4_jjP12ihipStream_tbEUlT_E_NS1_11comp_targetILNS1_3genE9ELNS1_11target_archE1100ELNS1_3gpuE3ELNS1_3repE0EEENS1_52radix_sort_onesweep_histogram_config_static_selectorELNS0_4arch9wavefront6targetE0EEEvSG_,comdat
.Lfunc_end811:
	.size	_ZN7rocprim17ROCPRIM_400000_NS6detail17trampoline_kernelINS0_14default_configENS1_35radix_sort_onesweep_config_selectorIiiEEZNS1_34radix_sort_onesweep_global_offsetsIS3_Lb0EN6thrust23THRUST_200600_302600_NS6detail15normal_iteratorINS8_10device_ptrIiEEEESD_jNS0_19identity_decomposerEEE10hipError_tT1_T2_PT3_SI_jT4_jjP12ihipStream_tbEUlT_E_NS1_11comp_targetILNS1_3genE9ELNS1_11target_archE1100ELNS1_3gpuE3ELNS1_3repE0EEENS1_52radix_sort_onesweep_histogram_config_static_selectorELNS0_4arch9wavefront6targetE0EEEvSG_, .Lfunc_end811-_ZN7rocprim17ROCPRIM_400000_NS6detail17trampoline_kernelINS0_14default_configENS1_35radix_sort_onesweep_config_selectorIiiEEZNS1_34radix_sort_onesweep_global_offsetsIS3_Lb0EN6thrust23THRUST_200600_302600_NS6detail15normal_iteratorINS8_10device_ptrIiEEEESD_jNS0_19identity_decomposerEEE10hipError_tT1_T2_PT3_SI_jT4_jjP12ihipStream_tbEUlT_E_NS1_11comp_targetILNS1_3genE9ELNS1_11target_archE1100ELNS1_3gpuE3ELNS1_3repE0EEENS1_52radix_sort_onesweep_histogram_config_static_selectorELNS0_4arch9wavefront6targetE0EEEvSG_
                                        ; -- End function
	.set _ZN7rocprim17ROCPRIM_400000_NS6detail17trampoline_kernelINS0_14default_configENS1_35radix_sort_onesweep_config_selectorIiiEEZNS1_34radix_sort_onesweep_global_offsetsIS3_Lb0EN6thrust23THRUST_200600_302600_NS6detail15normal_iteratorINS8_10device_ptrIiEEEESD_jNS0_19identity_decomposerEEE10hipError_tT1_T2_PT3_SI_jT4_jjP12ihipStream_tbEUlT_E_NS1_11comp_targetILNS1_3genE9ELNS1_11target_archE1100ELNS1_3gpuE3ELNS1_3repE0EEENS1_52radix_sort_onesweep_histogram_config_static_selectorELNS0_4arch9wavefront6targetE0EEEvSG_.num_vgpr, 0
	.set _ZN7rocprim17ROCPRIM_400000_NS6detail17trampoline_kernelINS0_14default_configENS1_35radix_sort_onesweep_config_selectorIiiEEZNS1_34radix_sort_onesweep_global_offsetsIS3_Lb0EN6thrust23THRUST_200600_302600_NS6detail15normal_iteratorINS8_10device_ptrIiEEEESD_jNS0_19identity_decomposerEEE10hipError_tT1_T2_PT3_SI_jT4_jjP12ihipStream_tbEUlT_E_NS1_11comp_targetILNS1_3genE9ELNS1_11target_archE1100ELNS1_3gpuE3ELNS1_3repE0EEENS1_52radix_sort_onesweep_histogram_config_static_selectorELNS0_4arch9wavefront6targetE0EEEvSG_.num_agpr, 0
	.set _ZN7rocprim17ROCPRIM_400000_NS6detail17trampoline_kernelINS0_14default_configENS1_35radix_sort_onesweep_config_selectorIiiEEZNS1_34radix_sort_onesweep_global_offsetsIS3_Lb0EN6thrust23THRUST_200600_302600_NS6detail15normal_iteratorINS8_10device_ptrIiEEEESD_jNS0_19identity_decomposerEEE10hipError_tT1_T2_PT3_SI_jT4_jjP12ihipStream_tbEUlT_E_NS1_11comp_targetILNS1_3genE9ELNS1_11target_archE1100ELNS1_3gpuE3ELNS1_3repE0EEENS1_52radix_sort_onesweep_histogram_config_static_selectorELNS0_4arch9wavefront6targetE0EEEvSG_.numbered_sgpr, 0
	.set _ZN7rocprim17ROCPRIM_400000_NS6detail17trampoline_kernelINS0_14default_configENS1_35radix_sort_onesweep_config_selectorIiiEEZNS1_34radix_sort_onesweep_global_offsetsIS3_Lb0EN6thrust23THRUST_200600_302600_NS6detail15normal_iteratorINS8_10device_ptrIiEEEESD_jNS0_19identity_decomposerEEE10hipError_tT1_T2_PT3_SI_jT4_jjP12ihipStream_tbEUlT_E_NS1_11comp_targetILNS1_3genE9ELNS1_11target_archE1100ELNS1_3gpuE3ELNS1_3repE0EEENS1_52radix_sort_onesweep_histogram_config_static_selectorELNS0_4arch9wavefront6targetE0EEEvSG_.num_named_barrier, 0
	.set _ZN7rocprim17ROCPRIM_400000_NS6detail17trampoline_kernelINS0_14default_configENS1_35radix_sort_onesweep_config_selectorIiiEEZNS1_34radix_sort_onesweep_global_offsetsIS3_Lb0EN6thrust23THRUST_200600_302600_NS6detail15normal_iteratorINS8_10device_ptrIiEEEESD_jNS0_19identity_decomposerEEE10hipError_tT1_T2_PT3_SI_jT4_jjP12ihipStream_tbEUlT_E_NS1_11comp_targetILNS1_3genE9ELNS1_11target_archE1100ELNS1_3gpuE3ELNS1_3repE0EEENS1_52radix_sort_onesweep_histogram_config_static_selectorELNS0_4arch9wavefront6targetE0EEEvSG_.private_seg_size, 0
	.set _ZN7rocprim17ROCPRIM_400000_NS6detail17trampoline_kernelINS0_14default_configENS1_35radix_sort_onesweep_config_selectorIiiEEZNS1_34radix_sort_onesweep_global_offsetsIS3_Lb0EN6thrust23THRUST_200600_302600_NS6detail15normal_iteratorINS8_10device_ptrIiEEEESD_jNS0_19identity_decomposerEEE10hipError_tT1_T2_PT3_SI_jT4_jjP12ihipStream_tbEUlT_E_NS1_11comp_targetILNS1_3genE9ELNS1_11target_archE1100ELNS1_3gpuE3ELNS1_3repE0EEENS1_52radix_sort_onesweep_histogram_config_static_selectorELNS0_4arch9wavefront6targetE0EEEvSG_.uses_vcc, 0
	.set _ZN7rocprim17ROCPRIM_400000_NS6detail17trampoline_kernelINS0_14default_configENS1_35radix_sort_onesweep_config_selectorIiiEEZNS1_34radix_sort_onesweep_global_offsetsIS3_Lb0EN6thrust23THRUST_200600_302600_NS6detail15normal_iteratorINS8_10device_ptrIiEEEESD_jNS0_19identity_decomposerEEE10hipError_tT1_T2_PT3_SI_jT4_jjP12ihipStream_tbEUlT_E_NS1_11comp_targetILNS1_3genE9ELNS1_11target_archE1100ELNS1_3gpuE3ELNS1_3repE0EEENS1_52radix_sort_onesweep_histogram_config_static_selectorELNS0_4arch9wavefront6targetE0EEEvSG_.uses_flat_scratch, 0
	.set _ZN7rocprim17ROCPRIM_400000_NS6detail17trampoline_kernelINS0_14default_configENS1_35radix_sort_onesweep_config_selectorIiiEEZNS1_34radix_sort_onesweep_global_offsetsIS3_Lb0EN6thrust23THRUST_200600_302600_NS6detail15normal_iteratorINS8_10device_ptrIiEEEESD_jNS0_19identity_decomposerEEE10hipError_tT1_T2_PT3_SI_jT4_jjP12ihipStream_tbEUlT_E_NS1_11comp_targetILNS1_3genE9ELNS1_11target_archE1100ELNS1_3gpuE3ELNS1_3repE0EEENS1_52radix_sort_onesweep_histogram_config_static_selectorELNS0_4arch9wavefront6targetE0EEEvSG_.has_dyn_sized_stack, 0
	.set _ZN7rocprim17ROCPRIM_400000_NS6detail17trampoline_kernelINS0_14default_configENS1_35radix_sort_onesweep_config_selectorIiiEEZNS1_34radix_sort_onesweep_global_offsetsIS3_Lb0EN6thrust23THRUST_200600_302600_NS6detail15normal_iteratorINS8_10device_ptrIiEEEESD_jNS0_19identity_decomposerEEE10hipError_tT1_T2_PT3_SI_jT4_jjP12ihipStream_tbEUlT_E_NS1_11comp_targetILNS1_3genE9ELNS1_11target_archE1100ELNS1_3gpuE3ELNS1_3repE0EEENS1_52radix_sort_onesweep_histogram_config_static_selectorELNS0_4arch9wavefront6targetE0EEEvSG_.has_recursion, 0
	.set _ZN7rocprim17ROCPRIM_400000_NS6detail17trampoline_kernelINS0_14default_configENS1_35radix_sort_onesweep_config_selectorIiiEEZNS1_34radix_sort_onesweep_global_offsetsIS3_Lb0EN6thrust23THRUST_200600_302600_NS6detail15normal_iteratorINS8_10device_ptrIiEEEESD_jNS0_19identity_decomposerEEE10hipError_tT1_T2_PT3_SI_jT4_jjP12ihipStream_tbEUlT_E_NS1_11comp_targetILNS1_3genE9ELNS1_11target_archE1100ELNS1_3gpuE3ELNS1_3repE0EEENS1_52radix_sort_onesweep_histogram_config_static_selectorELNS0_4arch9wavefront6targetE0EEEvSG_.has_indirect_call, 0
	.section	.AMDGPU.csdata,"",@progbits
; Kernel info:
; codeLenInByte = 0
; TotalNumSgprs: 0
; NumVgprs: 0
; ScratchSize: 0
; MemoryBound: 0
; FloatMode: 240
; IeeeMode: 1
; LDSByteSize: 0 bytes/workgroup (compile time only)
; SGPRBlocks: 0
; VGPRBlocks: 0
; NumSGPRsForWavesPerEU: 1
; NumVGPRsForWavesPerEU: 1
; Occupancy: 16
; WaveLimiterHint : 0
; COMPUTE_PGM_RSRC2:SCRATCH_EN: 0
; COMPUTE_PGM_RSRC2:USER_SGPR: 6
; COMPUTE_PGM_RSRC2:TRAP_HANDLER: 0
; COMPUTE_PGM_RSRC2:TGID_X_EN: 1
; COMPUTE_PGM_RSRC2:TGID_Y_EN: 0
; COMPUTE_PGM_RSRC2:TGID_Z_EN: 0
; COMPUTE_PGM_RSRC2:TIDIG_COMP_CNT: 0
	.section	.text._ZN7rocprim17ROCPRIM_400000_NS6detail17trampoline_kernelINS0_14default_configENS1_35radix_sort_onesweep_config_selectorIiiEEZNS1_34radix_sort_onesweep_global_offsetsIS3_Lb0EN6thrust23THRUST_200600_302600_NS6detail15normal_iteratorINS8_10device_ptrIiEEEESD_jNS0_19identity_decomposerEEE10hipError_tT1_T2_PT3_SI_jT4_jjP12ihipStream_tbEUlT_E_NS1_11comp_targetILNS1_3genE8ELNS1_11target_archE1030ELNS1_3gpuE2ELNS1_3repE0EEENS1_52radix_sort_onesweep_histogram_config_static_selectorELNS0_4arch9wavefront6targetE0EEEvSG_,"axG",@progbits,_ZN7rocprim17ROCPRIM_400000_NS6detail17trampoline_kernelINS0_14default_configENS1_35radix_sort_onesweep_config_selectorIiiEEZNS1_34radix_sort_onesweep_global_offsetsIS3_Lb0EN6thrust23THRUST_200600_302600_NS6detail15normal_iteratorINS8_10device_ptrIiEEEESD_jNS0_19identity_decomposerEEE10hipError_tT1_T2_PT3_SI_jT4_jjP12ihipStream_tbEUlT_E_NS1_11comp_targetILNS1_3genE8ELNS1_11target_archE1030ELNS1_3gpuE2ELNS1_3repE0EEENS1_52radix_sort_onesweep_histogram_config_static_selectorELNS0_4arch9wavefront6targetE0EEEvSG_,comdat
	.protected	_ZN7rocprim17ROCPRIM_400000_NS6detail17trampoline_kernelINS0_14default_configENS1_35radix_sort_onesweep_config_selectorIiiEEZNS1_34radix_sort_onesweep_global_offsetsIS3_Lb0EN6thrust23THRUST_200600_302600_NS6detail15normal_iteratorINS8_10device_ptrIiEEEESD_jNS0_19identity_decomposerEEE10hipError_tT1_T2_PT3_SI_jT4_jjP12ihipStream_tbEUlT_E_NS1_11comp_targetILNS1_3genE8ELNS1_11target_archE1030ELNS1_3gpuE2ELNS1_3repE0EEENS1_52radix_sort_onesweep_histogram_config_static_selectorELNS0_4arch9wavefront6targetE0EEEvSG_ ; -- Begin function _ZN7rocprim17ROCPRIM_400000_NS6detail17trampoline_kernelINS0_14default_configENS1_35radix_sort_onesweep_config_selectorIiiEEZNS1_34radix_sort_onesweep_global_offsetsIS3_Lb0EN6thrust23THRUST_200600_302600_NS6detail15normal_iteratorINS8_10device_ptrIiEEEESD_jNS0_19identity_decomposerEEE10hipError_tT1_T2_PT3_SI_jT4_jjP12ihipStream_tbEUlT_E_NS1_11comp_targetILNS1_3genE8ELNS1_11target_archE1030ELNS1_3gpuE2ELNS1_3repE0EEENS1_52radix_sort_onesweep_histogram_config_static_selectorELNS0_4arch9wavefront6targetE0EEEvSG_
	.globl	_ZN7rocprim17ROCPRIM_400000_NS6detail17trampoline_kernelINS0_14default_configENS1_35radix_sort_onesweep_config_selectorIiiEEZNS1_34radix_sort_onesweep_global_offsetsIS3_Lb0EN6thrust23THRUST_200600_302600_NS6detail15normal_iteratorINS8_10device_ptrIiEEEESD_jNS0_19identity_decomposerEEE10hipError_tT1_T2_PT3_SI_jT4_jjP12ihipStream_tbEUlT_E_NS1_11comp_targetILNS1_3genE8ELNS1_11target_archE1030ELNS1_3gpuE2ELNS1_3repE0EEENS1_52radix_sort_onesweep_histogram_config_static_selectorELNS0_4arch9wavefront6targetE0EEEvSG_
	.p2align	8
	.type	_ZN7rocprim17ROCPRIM_400000_NS6detail17trampoline_kernelINS0_14default_configENS1_35radix_sort_onesweep_config_selectorIiiEEZNS1_34radix_sort_onesweep_global_offsetsIS3_Lb0EN6thrust23THRUST_200600_302600_NS6detail15normal_iteratorINS8_10device_ptrIiEEEESD_jNS0_19identity_decomposerEEE10hipError_tT1_T2_PT3_SI_jT4_jjP12ihipStream_tbEUlT_E_NS1_11comp_targetILNS1_3genE8ELNS1_11target_archE1030ELNS1_3gpuE2ELNS1_3repE0EEENS1_52radix_sort_onesweep_histogram_config_static_selectorELNS0_4arch9wavefront6targetE0EEEvSG_,@function
_ZN7rocprim17ROCPRIM_400000_NS6detail17trampoline_kernelINS0_14default_configENS1_35radix_sort_onesweep_config_selectorIiiEEZNS1_34radix_sort_onesweep_global_offsetsIS3_Lb0EN6thrust23THRUST_200600_302600_NS6detail15normal_iteratorINS8_10device_ptrIiEEEESD_jNS0_19identity_decomposerEEE10hipError_tT1_T2_PT3_SI_jT4_jjP12ihipStream_tbEUlT_E_NS1_11comp_targetILNS1_3genE8ELNS1_11target_archE1030ELNS1_3gpuE2ELNS1_3repE0EEENS1_52radix_sort_onesweep_histogram_config_static_selectorELNS0_4arch9wavefront6targetE0EEEvSG_: ; @_ZN7rocprim17ROCPRIM_400000_NS6detail17trampoline_kernelINS0_14default_configENS1_35radix_sort_onesweep_config_selectorIiiEEZNS1_34radix_sort_onesweep_global_offsetsIS3_Lb0EN6thrust23THRUST_200600_302600_NS6detail15normal_iteratorINS8_10device_ptrIiEEEESD_jNS0_19identity_decomposerEEE10hipError_tT1_T2_PT3_SI_jT4_jjP12ihipStream_tbEUlT_E_NS1_11comp_targetILNS1_3genE8ELNS1_11target_archE1030ELNS1_3gpuE2ELNS1_3repE0EEENS1_52radix_sort_onesweep_histogram_config_static_selectorELNS0_4arch9wavefront6targetE0EEEvSG_
; %bb.0:
	s_clause 0x2
	s_load_dword s0, s[4:5], 0x14
	s_load_dwordx4 s[8:11], s[4:5], 0x0
	s_load_dwordx2 s[2:3], s[4:5], 0x1c
	s_mul_i32 s12, s6, 0x3000
	s_mov_b32 s1, -1
	s_waitcnt lgkmcnt(0)
	s_cmp_ge_u32 s6, s0
	s_cbranch_scc0 .LBB812_237
; %bb.1:
	s_load_dword s4, s[4:5], 0x10
	s_mulk_i32 s0, 0xd000
	s_mov_b32 s13, 0
	s_mov_b32 s5, exec_lo
                                        ; implicit-def: $vgpr24
	s_waitcnt lgkmcnt(0)
	s_add_i32 s4, s4, s0
	s_lshl_b64 s[0:1], s[12:13], 2
	s_add_u32 s0, s8, s0
	s_addc_u32 s1, s9, s1
	v_cmpx_gt_u32_e64 s4, v0
	s_cbranch_execz .LBB812_3
; %bb.2:
	v_lshlrev_b32_e32 v1, 2, v0
	global_load_dword v1, v1, s[0:1]
	s_waitcnt vmcnt(0)
	v_xor_b32_e32 v24, 0x80000000, v1
.LBB812_3:
	s_or_b32 exec_lo, exec_lo, s5
	v_or_b32_e32 v23, 0x400, v0
	s_mov_b32 s5, exec_lo
                                        ; implicit-def: $vgpr22
	v_cmpx_gt_u32_e64 s4, v23
	s_cbranch_execz .LBB812_5
; %bb.4:
	v_lshlrev_b32_e32 v1, 2, v23
	global_load_dword v1, v1, s[0:1]
	s_waitcnt vmcnt(0)
	v_xor_b32_e32 v22, 0x80000000, v1
.LBB812_5:
	s_or_b32 exec_lo, exec_lo, s5
	v_or_b32_e32 v21, 0x800, v0
	s_mov_b32 s5, exec_lo
                                        ; implicit-def: $vgpr20
	v_cmpx_gt_u32_e64 s4, v21
	s_cbranch_execz .LBB812_7
; %bb.6:
	v_lshlrev_b32_e32 v1, 2, v21
	global_load_dword v1, v1, s[0:1]
	s_waitcnt vmcnt(0)
	v_xor_b32_e32 v20, 0x80000000, v1
.LBB812_7:
	s_or_b32 exec_lo, exec_lo, s5
	v_or_b32_e32 v19, 0xc00, v0
	s_mov_b32 s5, exec_lo
                                        ; implicit-def: $vgpr18
	v_cmpx_gt_u32_e64 s4, v19
	s_cbranch_execz .LBB812_9
; %bb.8:
	v_lshlrev_b32_e32 v1, 2, v19
	global_load_dword v1, v1, s[0:1]
	s_waitcnt vmcnt(0)
	v_xor_b32_e32 v18, 0x80000000, v1
.LBB812_9:
	s_or_b32 exec_lo, exec_lo, s5
	v_or_b32_e32 v17, 0x1000, v0
	s_mov_b32 s5, exec_lo
                                        ; implicit-def: $vgpr16
	v_cmpx_gt_u32_e64 s4, v17
	s_cbranch_execz .LBB812_11
; %bb.10:
	v_lshlrev_b32_e32 v1, 2, v17
	global_load_dword v1, v1, s[0:1]
	s_waitcnt vmcnt(0)
	v_xor_b32_e32 v16, 0x80000000, v1
.LBB812_11:
	s_or_b32 exec_lo, exec_lo, s5
	v_or_b32_e32 v15, 0x1400, v0
	s_mov_b32 s5, exec_lo
                                        ; implicit-def: $vgpr14
	v_cmpx_gt_u32_e64 s4, v15
	s_cbranch_execz .LBB812_13
; %bb.12:
	v_lshlrev_b32_e32 v1, 2, v15
	global_load_dword v1, v1, s[0:1]
	s_waitcnt vmcnt(0)
	v_xor_b32_e32 v14, 0x80000000, v1
.LBB812_13:
	s_or_b32 exec_lo, exec_lo, s5
	v_or_b32_e32 v13, 0x1800, v0
	s_mov_b32 s5, exec_lo
                                        ; implicit-def: $vgpr12
	v_cmpx_gt_u32_e64 s4, v13
	s_cbranch_execz .LBB812_15
; %bb.14:
	v_lshlrev_b32_e32 v1, 2, v13
	global_load_dword v1, v1, s[0:1]
	s_waitcnt vmcnt(0)
	v_xor_b32_e32 v12, 0x80000000, v1
.LBB812_15:
	s_or_b32 exec_lo, exec_lo, s5
	v_or_b32_e32 v11, 0x1c00, v0
	s_mov_b32 s5, exec_lo
                                        ; implicit-def: $vgpr10
	v_cmpx_gt_u32_e64 s4, v11
	s_cbranch_execz .LBB812_17
; %bb.16:
	v_lshlrev_b32_e32 v1, 2, v11
	global_load_dword v1, v1, s[0:1]
	s_waitcnt vmcnt(0)
	v_xor_b32_e32 v10, 0x80000000, v1
.LBB812_17:
	s_or_b32 exec_lo, exec_lo, s5
	v_or_b32_e32 v9, 0x2000, v0
	s_mov_b32 s5, exec_lo
                                        ; implicit-def: $vgpr8
	v_cmpx_gt_u32_e64 s4, v9
	s_cbranch_execz .LBB812_19
; %bb.18:
	v_lshlrev_b32_e32 v1, 2, v9
	global_load_dword v1, v1, s[0:1]
	s_waitcnt vmcnt(0)
	v_xor_b32_e32 v8, 0x80000000, v1
.LBB812_19:
	s_or_b32 exec_lo, exec_lo, s5
	v_or_b32_e32 v7, 0x2400, v0
	s_mov_b32 s5, exec_lo
                                        ; implicit-def: $vgpr6
	v_cmpx_gt_u32_e64 s4, v7
	s_cbranch_execz .LBB812_21
; %bb.20:
	v_lshlrev_b32_e32 v1, 2, v7
	global_load_dword v1, v1, s[0:1]
	s_waitcnt vmcnt(0)
	v_xor_b32_e32 v6, 0x80000000, v1
.LBB812_21:
	s_or_b32 exec_lo, exec_lo, s5
	v_or_b32_e32 v5, 0x2800, v0
	s_mov_b32 s5, exec_lo
                                        ; implicit-def: $vgpr4
	v_cmpx_gt_u32_e64 s4, v5
	s_cbranch_execz .LBB812_23
; %bb.22:
	v_lshlrev_b32_e32 v1, 2, v5
	global_load_dword v1, v1, s[0:1]
	s_waitcnt vmcnt(0)
	v_xor_b32_e32 v4, 0x80000000, v1
.LBB812_23:
	s_or_b32 exec_lo, exec_lo, s5
	v_or_b32_e32 v3, 0x2c00, v0
	s_mov_b32 s5, exec_lo
                                        ; implicit-def: $vgpr1
	v_cmpx_gt_u32_e64 s4, v3
	s_cbranch_execz .LBB812_25
; %bb.24:
	v_lshlrev_b32_e32 v1, 2, v3
	global_load_dword v1, v1, s[0:1]
	s_waitcnt vmcnt(0)
	v_xor_b32_e32 v1, 0x80000000, v1
.LBB812_25:
	s_or_b32 exec_lo, exec_lo, s5
	v_or_b32_e32 v2, 0xfffffc00, v0
	v_lshlrev_b32_e32 v25, 2, v0
	v_mov_b32_e32 v26, 0
	s_mov_b32 s0, 0
.LBB812_26:                             ; =>This Inner Loop Header: Depth=1
	v_add_nc_u32_e32 v2, 0x400, v2
	ds_write_b32 v25, v26
	v_add_nc_u32_e32 v25, 0x1000, v25
	v_cmp_lt_u32_e32 vcc_lo, 0xbff, v2
	s_or_b32 s0, vcc_lo, s0
	s_andn2_b32 exec_lo, exec_lo, s0
	s_cbranch_execnz .LBB812_26
; %bb.27:
	s_or_b32 exec_lo, exec_lo, s0
	s_cmp_le_u32 s3, s2
	v_cmp_le_u32_e32 vcc_lo, s4, v0
	s_cselect_b32 s1, -1, 0
	v_and_b32_e32 v2, 3, v0
	s_and_b32 s0, s1, exec_lo
	s_cselect_b32 s5, 8, 10
	s_nor_b32 s6, s1, vcc_lo
	v_mov_b32_e32 v25, s5
	s_waitcnt lgkmcnt(0)
	s_barrier
	buffer_gl0_inv
	s_and_saveexec_b32 s0, s6
	s_cbranch_execz .LBB812_29
; %bb.28:
	v_lshrrev_b32_e32 v25, s2, v24
	s_sub_i32 s6, s3, s2
	v_lshlrev_b32_e32 v26, 2, v2
	s_min_u32 s6, s6, 8
	v_bfe_u32 v25, v25, 0, s6
	v_lshl_or_b32 v25, v25, 4, v26
	v_mov_b32_e32 v26, 1
	ds_add_u32 v25, v26
	v_mov_b32_e32 v25, 0
.LBB812_29:
	s_or_b32 exec_lo, exec_lo, s0
	s_mov_b32 s7, -1
	s_mov_b32 s6, exec_lo
	v_cmpx_gt_i32_e32 10, v25
; %bb.30:
	v_cmp_eq_u32_e64 s0, 0, v25
	s_orn2_b32 s7, s0, exec_lo
; %bb.31:
	s_or_b32 exec_lo, exec_lo, s6
	s_and_saveexec_b32 s6, s7
	s_cbranch_execz .LBB812_44
; %bb.32:
	s_add_i32 s7, s2, 8
	s_cmp_le_u32 s3, s7
	s_cselect_b32 s0, -1, 0
	s_and_b32 s13, s0, exec_lo
	s_cselect_b32 s13, 8, 10
	v_mov_b32_e32 v25, s13
	s_nor_b32 s13, s0, vcc_lo
	s_and_saveexec_b32 s0, s13
	s_cbranch_execz .LBB812_34
; %bb.33:
	v_lshrrev_b32_e32 v25, s7, v24
	s_sub_i32 s7, s3, s7
	v_lshlrev_b32_e32 v26, 2, v2
	s_min_u32 s7, s7, 8
	v_bfe_u32 v25, v25, 0, s7
	v_lshl_or_b32 v25, v25, 4, v26
	v_mov_b32_e32 v26, 1
	ds_add_u32 v25, v26 offset:4096
	v_mov_b32_e32 v25, 0
.LBB812_34:
	s_or_b32 exec_lo, exec_lo, s0
	s_mov_b32 s7, -1
	s_mov_b32 s13, exec_lo
	v_cmpx_gt_i32_e32 10, v25
; %bb.35:
	v_cmp_eq_u32_e64 s0, 0, v25
	s_orn2_b32 s7, s0, exec_lo
; %bb.36:
	s_or_b32 exec_lo, exec_lo, s13
	s_and_b32 exec_lo, exec_lo, s7
	s_cbranch_execz .LBB812_44
; %bb.37:
	s_add_i32 s7, s2, 16
	s_cmp_le_u32 s3, s7
	s_cselect_b32 s0, -1, 0
	s_and_b32 s13, s0, exec_lo
	s_cselect_b32 s13, 8, 10
	v_mov_b32_e32 v25, s13
	s_nor_b32 s13, s0, vcc_lo
	s_and_saveexec_b32 s0, s13
	s_cbranch_execz .LBB812_39
; %bb.38:
	v_lshrrev_b32_e32 v25, s7, v24
	s_sub_i32 s7, s3, s7
	v_lshlrev_b32_e32 v26, 2, v2
	s_min_u32 s7, s7, 8
	v_bfe_u32 v25, v25, 0, s7
	v_lshl_or_b32 v25, v25, 4, v26
	v_mov_b32_e32 v26, 1
	ds_add_u32 v25, v26 offset:8192
	v_mov_b32_e32 v25, 0
.LBB812_39:
	s_or_b32 exec_lo, exec_lo, s0
	s_mov_b32 s7, -1
	s_mov_b32 s13, exec_lo
	v_cmpx_gt_i32_e32 10, v25
; %bb.40:
	v_cmp_eq_u32_e64 s0, 0, v25
	s_orn2_b32 s7, s0, exec_lo
; %bb.41:
	s_or_b32 exec_lo, exec_lo, s13
	s_and_b32 exec_lo, exec_lo, s7
	s_cbranch_execz .LBB812_44
; %bb.42:
	s_add_i32 s0, s2, 24
	s_cmp_gt_u32 s3, s0
	s_cselect_b32 s7, -1, 0
	s_xor_b32 s13, vcc_lo, -1
	s_and_b32 s7, s7, s13
	s_and_b32 exec_lo, exec_lo, s7
	s_cbranch_execz .LBB812_44
; %bb.43:
	v_lshrrev_b32_e32 v24, s0, v24
	s_sub_i32 s0, s3, s0
	v_lshlrev_b32_e32 v25, 2, v2
	s_min_u32 s0, s0, 8
	v_bfe_u32 v24, v24, 0, s0
	v_lshl_or_b32 v24, v24, 4, v25
	v_mov_b32_e32 v25, 1
	ds_add_u32 v24, v25 offset:12288
.LBB812_44:
	s_or_b32 exec_lo, exec_lo, s6
	v_cmp_le_u32_e32 vcc_lo, s4, v23
	v_mov_b32_e32 v23, s5
	s_nor_b32 s6, s1, vcc_lo
	s_and_saveexec_b32 s0, s6
	s_cbranch_execz .LBB812_46
; %bb.45:
	v_lshrrev_b32_e32 v23, s2, v22
	s_sub_i32 s6, s3, s2
	v_lshlrev_b32_e32 v24, 2, v2
	s_min_u32 s6, s6, 8
	v_bfe_u32 v23, v23, 0, s6
	v_lshl_or_b32 v23, v23, 4, v24
	v_mov_b32_e32 v24, 1
	ds_add_u32 v23, v24
	v_mov_b32_e32 v23, 0
.LBB812_46:
	s_or_b32 exec_lo, exec_lo, s0
	s_mov_b32 s7, -1
	s_mov_b32 s6, exec_lo
	v_cmpx_gt_i32_e32 10, v23
; %bb.47:
	v_cmp_eq_u32_e64 s0, 0, v23
	s_orn2_b32 s7, s0, exec_lo
; %bb.48:
	s_or_b32 exec_lo, exec_lo, s6
	s_and_saveexec_b32 s6, s7
	s_cbranch_execz .LBB812_61
; %bb.49:
	s_add_i32 s7, s2, 8
	s_cmp_le_u32 s3, s7
	s_cselect_b32 s0, -1, 0
	s_and_b32 s13, s0, exec_lo
	s_cselect_b32 s13, 8, 10
	v_mov_b32_e32 v23, s13
	s_nor_b32 s13, s0, vcc_lo
	s_and_saveexec_b32 s0, s13
	s_cbranch_execz .LBB812_51
; %bb.50:
	v_lshrrev_b32_e32 v23, s7, v22
	s_sub_i32 s7, s3, s7
	v_lshlrev_b32_e32 v24, 2, v2
	s_min_u32 s7, s7, 8
	v_bfe_u32 v23, v23, 0, s7
	v_lshl_or_b32 v23, v23, 4, v24
	v_mov_b32_e32 v24, 1
	ds_add_u32 v23, v24 offset:4096
	v_mov_b32_e32 v23, 0
.LBB812_51:
	s_or_b32 exec_lo, exec_lo, s0
	s_mov_b32 s7, -1
	s_mov_b32 s13, exec_lo
	v_cmpx_gt_i32_e32 10, v23
; %bb.52:
	v_cmp_eq_u32_e64 s0, 0, v23
	s_orn2_b32 s7, s0, exec_lo
; %bb.53:
	s_or_b32 exec_lo, exec_lo, s13
	s_and_b32 exec_lo, exec_lo, s7
	s_cbranch_execz .LBB812_61
; %bb.54:
	s_add_i32 s7, s2, 16
	s_cmp_le_u32 s3, s7
	s_cselect_b32 s0, -1, 0
	s_and_b32 s13, s0, exec_lo
	s_cselect_b32 s13, 8, 10
	v_mov_b32_e32 v23, s13
	s_nor_b32 s13, s0, vcc_lo
	s_and_saveexec_b32 s0, s13
	s_cbranch_execz .LBB812_56
; %bb.55:
	v_lshrrev_b32_e32 v23, s7, v22
	s_sub_i32 s7, s3, s7
	v_lshlrev_b32_e32 v24, 2, v2
	s_min_u32 s7, s7, 8
	v_bfe_u32 v23, v23, 0, s7
	v_lshl_or_b32 v23, v23, 4, v24
	v_mov_b32_e32 v24, 1
	ds_add_u32 v23, v24 offset:8192
	v_mov_b32_e32 v23, 0
.LBB812_56:
	s_or_b32 exec_lo, exec_lo, s0
	s_mov_b32 s7, -1
	s_mov_b32 s13, exec_lo
	v_cmpx_gt_i32_e32 10, v23
; %bb.57:
	v_cmp_eq_u32_e64 s0, 0, v23
	s_orn2_b32 s7, s0, exec_lo
; %bb.58:
	s_or_b32 exec_lo, exec_lo, s13
	s_and_b32 exec_lo, exec_lo, s7
	s_cbranch_execz .LBB812_61
; %bb.59:
	s_add_i32 s0, s2, 24
	s_cmp_gt_u32 s3, s0
	s_cselect_b32 s7, -1, 0
	s_xor_b32 s13, vcc_lo, -1
	s_and_b32 s7, s7, s13
	s_and_b32 exec_lo, exec_lo, s7
	s_cbranch_execz .LBB812_61
; %bb.60:
	v_lshrrev_b32_e32 v22, s0, v22
	s_sub_i32 s0, s3, s0
	v_lshlrev_b32_e32 v23, 2, v2
	s_min_u32 s0, s0, 8
	v_bfe_u32 v22, v22, 0, s0
	v_lshl_or_b32 v22, v22, 4, v23
	v_mov_b32_e32 v23, 1
	ds_add_u32 v22, v23 offset:12288
.LBB812_61:
	s_or_b32 exec_lo, exec_lo, s6
	v_cmp_le_u32_e32 vcc_lo, s4, v21
	v_mov_b32_e32 v21, s5
	s_nor_b32 s6, s1, vcc_lo
	s_and_saveexec_b32 s0, s6
	s_cbranch_execz .LBB812_63
; %bb.62:
	v_lshrrev_b32_e32 v21, s2, v20
	s_sub_i32 s6, s3, s2
	v_lshlrev_b32_e32 v22, 2, v2
	s_min_u32 s6, s6, 8
	v_bfe_u32 v21, v21, 0, s6
	v_lshl_or_b32 v21, v21, 4, v22
	v_mov_b32_e32 v22, 1
	ds_add_u32 v21, v22
	v_mov_b32_e32 v21, 0
.LBB812_63:
	s_or_b32 exec_lo, exec_lo, s0
	s_mov_b32 s7, -1
	s_mov_b32 s6, exec_lo
	v_cmpx_gt_i32_e32 10, v21
; %bb.64:
	v_cmp_eq_u32_e64 s0, 0, v21
	s_orn2_b32 s7, s0, exec_lo
; %bb.65:
	s_or_b32 exec_lo, exec_lo, s6
	s_and_saveexec_b32 s6, s7
	s_cbranch_execz .LBB812_78
; %bb.66:
	s_add_i32 s7, s2, 8
	s_cmp_le_u32 s3, s7
	s_cselect_b32 s0, -1, 0
	s_and_b32 s13, s0, exec_lo
	s_cselect_b32 s13, 8, 10
	v_mov_b32_e32 v21, s13
	s_nor_b32 s13, s0, vcc_lo
	s_and_saveexec_b32 s0, s13
	s_cbranch_execz .LBB812_68
; %bb.67:
	v_lshrrev_b32_e32 v21, s7, v20
	s_sub_i32 s7, s3, s7
	v_lshlrev_b32_e32 v22, 2, v2
	s_min_u32 s7, s7, 8
	v_bfe_u32 v21, v21, 0, s7
	v_lshl_or_b32 v21, v21, 4, v22
	v_mov_b32_e32 v22, 1
	ds_add_u32 v21, v22 offset:4096
	v_mov_b32_e32 v21, 0
.LBB812_68:
	s_or_b32 exec_lo, exec_lo, s0
	s_mov_b32 s7, -1
	s_mov_b32 s13, exec_lo
	v_cmpx_gt_i32_e32 10, v21
; %bb.69:
	v_cmp_eq_u32_e64 s0, 0, v21
	s_orn2_b32 s7, s0, exec_lo
; %bb.70:
	s_or_b32 exec_lo, exec_lo, s13
	s_and_b32 exec_lo, exec_lo, s7
	s_cbranch_execz .LBB812_78
; %bb.71:
	s_add_i32 s7, s2, 16
	s_cmp_le_u32 s3, s7
	s_cselect_b32 s0, -1, 0
	s_and_b32 s13, s0, exec_lo
	s_cselect_b32 s13, 8, 10
	v_mov_b32_e32 v21, s13
	s_nor_b32 s13, s0, vcc_lo
	s_and_saveexec_b32 s0, s13
	s_cbranch_execz .LBB812_73
; %bb.72:
	v_lshrrev_b32_e32 v21, s7, v20
	s_sub_i32 s7, s3, s7
	v_lshlrev_b32_e32 v22, 2, v2
	s_min_u32 s7, s7, 8
	v_bfe_u32 v21, v21, 0, s7
	v_lshl_or_b32 v21, v21, 4, v22
	v_mov_b32_e32 v22, 1
	ds_add_u32 v21, v22 offset:8192
	v_mov_b32_e32 v21, 0
.LBB812_73:
	s_or_b32 exec_lo, exec_lo, s0
	s_mov_b32 s7, -1
	s_mov_b32 s13, exec_lo
	v_cmpx_gt_i32_e32 10, v21
; %bb.74:
	v_cmp_eq_u32_e64 s0, 0, v21
	s_orn2_b32 s7, s0, exec_lo
; %bb.75:
	s_or_b32 exec_lo, exec_lo, s13
	s_and_b32 exec_lo, exec_lo, s7
	s_cbranch_execz .LBB812_78
; %bb.76:
	s_add_i32 s0, s2, 24
	s_cmp_gt_u32 s3, s0
	s_cselect_b32 s7, -1, 0
	s_xor_b32 s13, vcc_lo, -1
	s_and_b32 s7, s7, s13
	s_and_b32 exec_lo, exec_lo, s7
	s_cbranch_execz .LBB812_78
; %bb.77:
	v_lshrrev_b32_e32 v20, s0, v20
	s_sub_i32 s0, s3, s0
	v_lshlrev_b32_e32 v21, 2, v2
	s_min_u32 s0, s0, 8
	v_bfe_u32 v20, v20, 0, s0
	v_lshl_or_b32 v20, v20, 4, v21
	v_mov_b32_e32 v21, 1
	ds_add_u32 v20, v21 offset:12288
.LBB812_78:
	s_or_b32 exec_lo, exec_lo, s6
	v_cmp_le_u32_e32 vcc_lo, s4, v19
	v_mov_b32_e32 v19, s5
	s_nor_b32 s6, s1, vcc_lo
	s_and_saveexec_b32 s0, s6
	s_cbranch_execz .LBB812_80
; %bb.79:
	v_lshrrev_b32_e32 v19, s2, v18
	s_sub_i32 s6, s3, s2
	v_lshlrev_b32_e32 v20, 2, v2
	s_min_u32 s6, s6, 8
	v_bfe_u32 v19, v19, 0, s6
	v_lshl_or_b32 v19, v19, 4, v20
	v_mov_b32_e32 v20, 1
	ds_add_u32 v19, v20
	v_mov_b32_e32 v19, 0
.LBB812_80:
	s_or_b32 exec_lo, exec_lo, s0
	s_mov_b32 s7, -1
	s_mov_b32 s6, exec_lo
	v_cmpx_gt_i32_e32 10, v19
; %bb.81:
	v_cmp_eq_u32_e64 s0, 0, v19
	s_orn2_b32 s7, s0, exec_lo
; %bb.82:
	s_or_b32 exec_lo, exec_lo, s6
	s_and_saveexec_b32 s6, s7
	s_cbranch_execz .LBB812_95
; %bb.83:
	s_add_i32 s7, s2, 8
	s_cmp_le_u32 s3, s7
	s_cselect_b32 s0, -1, 0
	s_and_b32 s13, s0, exec_lo
	s_cselect_b32 s13, 8, 10
	v_mov_b32_e32 v19, s13
	s_nor_b32 s13, s0, vcc_lo
	s_and_saveexec_b32 s0, s13
	s_cbranch_execz .LBB812_85
; %bb.84:
	v_lshrrev_b32_e32 v19, s7, v18
	s_sub_i32 s7, s3, s7
	v_lshlrev_b32_e32 v20, 2, v2
	s_min_u32 s7, s7, 8
	v_bfe_u32 v19, v19, 0, s7
	v_lshl_or_b32 v19, v19, 4, v20
	v_mov_b32_e32 v20, 1
	ds_add_u32 v19, v20 offset:4096
	v_mov_b32_e32 v19, 0
.LBB812_85:
	s_or_b32 exec_lo, exec_lo, s0
	s_mov_b32 s7, -1
	s_mov_b32 s13, exec_lo
	v_cmpx_gt_i32_e32 10, v19
; %bb.86:
	v_cmp_eq_u32_e64 s0, 0, v19
	s_orn2_b32 s7, s0, exec_lo
; %bb.87:
	s_or_b32 exec_lo, exec_lo, s13
	s_and_b32 exec_lo, exec_lo, s7
	s_cbranch_execz .LBB812_95
; %bb.88:
	s_add_i32 s7, s2, 16
	s_cmp_le_u32 s3, s7
	s_cselect_b32 s0, -1, 0
	s_and_b32 s13, s0, exec_lo
	s_cselect_b32 s13, 8, 10
	v_mov_b32_e32 v19, s13
	s_nor_b32 s13, s0, vcc_lo
	s_and_saveexec_b32 s0, s13
	s_cbranch_execz .LBB812_90
; %bb.89:
	v_lshrrev_b32_e32 v19, s7, v18
	s_sub_i32 s7, s3, s7
	v_lshlrev_b32_e32 v20, 2, v2
	s_min_u32 s7, s7, 8
	v_bfe_u32 v19, v19, 0, s7
	v_lshl_or_b32 v19, v19, 4, v20
	v_mov_b32_e32 v20, 1
	ds_add_u32 v19, v20 offset:8192
	v_mov_b32_e32 v19, 0
.LBB812_90:
	s_or_b32 exec_lo, exec_lo, s0
	s_mov_b32 s7, -1
	s_mov_b32 s13, exec_lo
	v_cmpx_gt_i32_e32 10, v19
; %bb.91:
	v_cmp_eq_u32_e64 s0, 0, v19
	s_orn2_b32 s7, s0, exec_lo
; %bb.92:
	s_or_b32 exec_lo, exec_lo, s13
	s_and_b32 exec_lo, exec_lo, s7
	s_cbranch_execz .LBB812_95
; %bb.93:
	s_add_i32 s0, s2, 24
	s_cmp_gt_u32 s3, s0
	s_cselect_b32 s7, -1, 0
	s_xor_b32 s13, vcc_lo, -1
	s_and_b32 s7, s7, s13
	s_and_b32 exec_lo, exec_lo, s7
	s_cbranch_execz .LBB812_95
; %bb.94:
	v_lshrrev_b32_e32 v18, s0, v18
	s_sub_i32 s0, s3, s0
	v_lshlrev_b32_e32 v19, 2, v2
	s_min_u32 s0, s0, 8
	v_bfe_u32 v18, v18, 0, s0
	v_lshl_or_b32 v18, v18, 4, v19
	v_mov_b32_e32 v19, 1
	ds_add_u32 v18, v19 offset:12288
.LBB812_95:
	s_or_b32 exec_lo, exec_lo, s6
	v_cmp_le_u32_e32 vcc_lo, s4, v17
	v_mov_b32_e32 v17, s5
	s_nor_b32 s6, s1, vcc_lo
	s_and_saveexec_b32 s0, s6
	s_cbranch_execz .LBB812_97
; %bb.96:
	v_lshrrev_b32_e32 v17, s2, v16
	s_sub_i32 s6, s3, s2
	v_lshlrev_b32_e32 v18, 2, v2
	s_min_u32 s6, s6, 8
	v_bfe_u32 v17, v17, 0, s6
	v_lshl_or_b32 v17, v17, 4, v18
	v_mov_b32_e32 v18, 1
	ds_add_u32 v17, v18
	v_mov_b32_e32 v17, 0
.LBB812_97:
	s_or_b32 exec_lo, exec_lo, s0
	s_mov_b32 s7, -1
	s_mov_b32 s6, exec_lo
	v_cmpx_gt_i32_e32 10, v17
; %bb.98:
	v_cmp_eq_u32_e64 s0, 0, v17
	s_orn2_b32 s7, s0, exec_lo
; %bb.99:
	s_or_b32 exec_lo, exec_lo, s6
	s_and_saveexec_b32 s6, s7
	s_cbranch_execz .LBB812_112
; %bb.100:
	s_add_i32 s7, s2, 8
	s_cmp_le_u32 s3, s7
	s_cselect_b32 s0, -1, 0
	s_and_b32 s13, s0, exec_lo
	s_cselect_b32 s13, 8, 10
	v_mov_b32_e32 v17, s13
	s_nor_b32 s13, s0, vcc_lo
	s_and_saveexec_b32 s0, s13
	s_cbranch_execz .LBB812_102
; %bb.101:
	v_lshrrev_b32_e32 v17, s7, v16
	s_sub_i32 s7, s3, s7
	v_lshlrev_b32_e32 v18, 2, v2
	s_min_u32 s7, s7, 8
	v_bfe_u32 v17, v17, 0, s7
	v_lshl_or_b32 v17, v17, 4, v18
	v_mov_b32_e32 v18, 1
	ds_add_u32 v17, v18 offset:4096
	v_mov_b32_e32 v17, 0
.LBB812_102:
	s_or_b32 exec_lo, exec_lo, s0
	s_mov_b32 s7, -1
	s_mov_b32 s13, exec_lo
	v_cmpx_gt_i32_e32 10, v17
; %bb.103:
	v_cmp_eq_u32_e64 s0, 0, v17
	s_orn2_b32 s7, s0, exec_lo
; %bb.104:
	s_or_b32 exec_lo, exec_lo, s13
	s_and_b32 exec_lo, exec_lo, s7
	s_cbranch_execz .LBB812_112
; %bb.105:
	s_add_i32 s7, s2, 16
	s_cmp_le_u32 s3, s7
	s_cselect_b32 s0, -1, 0
	s_and_b32 s13, s0, exec_lo
	s_cselect_b32 s13, 8, 10
	v_mov_b32_e32 v17, s13
	s_nor_b32 s13, s0, vcc_lo
	s_and_saveexec_b32 s0, s13
	s_cbranch_execz .LBB812_107
; %bb.106:
	v_lshrrev_b32_e32 v17, s7, v16
	s_sub_i32 s7, s3, s7
	v_lshlrev_b32_e32 v18, 2, v2
	s_min_u32 s7, s7, 8
	v_bfe_u32 v17, v17, 0, s7
	v_lshl_or_b32 v17, v17, 4, v18
	v_mov_b32_e32 v18, 1
	ds_add_u32 v17, v18 offset:8192
	v_mov_b32_e32 v17, 0
.LBB812_107:
	s_or_b32 exec_lo, exec_lo, s0
	s_mov_b32 s7, -1
	s_mov_b32 s13, exec_lo
	v_cmpx_gt_i32_e32 10, v17
; %bb.108:
	v_cmp_eq_u32_e64 s0, 0, v17
	s_orn2_b32 s7, s0, exec_lo
; %bb.109:
	s_or_b32 exec_lo, exec_lo, s13
	s_and_b32 exec_lo, exec_lo, s7
	s_cbranch_execz .LBB812_112
; %bb.110:
	s_add_i32 s0, s2, 24
	s_cmp_gt_u32 s3, s0
	s_cselect_b32 s7, -1, 0
	s_xor_b32 s13, vcc_lo, -1
	s_and_b32 s7, s7, s13
	s_and_b32 exec_lo, exec_lo, s7
	s_cbranch_execz .LBB812_112
; %bb.111:
	v_lshrrev_b32_e32 v16, s0, v16
	s_sub_i32 s0, s3, s0
	v_lshlrev_b32_e32 v17, 2, v2
	s_min_u32 s0, s0, 8
	v_bfe_u32 v16, v16, 0, s0
	v_lshl_or_b32 v16, v16, 4, v17
	v_mov_b32_e32 v17, 1
	ds_add_u32 v16, v17 offset:12288
.LBB812_112:
	s_or_b32 exec_lo, exec_lo, s6
	v_cmp_le_u32_e32 vcc_lo, s4, v15
	v_mov_b32_e32 v15, s5
	s_nor_b32 s6, s1, vcc_lo
	s_and_saveexec_b32 s0, s6
	s_cbranch_execz .LBB812_114
; %bb.113:
	v_lshrrev_b32_e32 v15, s2, v14
	s_sub_i32 s6, s3, s2
	v_lshlrev_b32_e32 v16, 2, v2
	s_min_u32 s6, s6, 8
	v_bfe_u32 v15, v15, 0, s6
	v_lshl_or_b32 v15, v15, 4, v16
	v_mov_b32_e32 v16, 1
	ds_add_u32 v15, v16
	v_mov_b32_e32 v15, 0
.LBB812_114:
	s_or_b32 exec_lo, exec_lo, s0
	s_mov_b32 s7, -1
	s_mov_b32 s6, exec_lo
	v_cmpx_gt_i32_e32 10, v15
; %bb.115:
	v_cmp_eq_u32_e64 s0, 0, v15
	s_orn2_b32 s7, s0, exec_lo
; %bb.116:
	s_or_b32 exec_lo, exec_lo, s6
	s_and_saveexec_b32 s6, s7
	s_cbranch_execz .LBB812_129
; %bb.117:
	s_add_i32 s7, s2, 8
	s_cmp_le_u32 s3, s7
	s_cselect_b32 s0, -1, 0
	s_and_b32 s13, s0, exec_lo
	s_cselect_b32 s13, 8, 10
	v_mov_b32_e32 v15, s13
	s_nor_b32 s13, s0, vcc_lo
	s_and_saveexec_b32 s0, s13
	s_cbranch_execz .LBB812_119
; %bb.118:
	v_lshrrev_b32_e32 v15, s7, v14
	s_sub_i32 s7, s3, s7
	v_lshlrev_b32_e32 v16, 2, v2
	s_min_u32 s7, s7, 8
	v_bfe_u32 v15, v15, 0, s7
	v_lshl_or_b32 v15, v15, 4, v16
	v_mov_b32_e32 v16, 1
	ds_add_u32 v15, v16 offset:4096
	v_mov_b32_e32 v15, 0
.LBB812_119:
	s_or_b32 exec_lo, exec_lo, s0
	s_mov_b32 s7, -1
	s_mov_b32 s13, exec_lo
	v_cmpx_gt_i32_e32 10, v15
; %bb.120:
	v_cmp_eq_u32_e64 s0, 0, v15
	s_orn2_b32 s7, s0, exec_lo
; %bb.121:
	s_or_b32 exec_lo, exec_lo, s13
	s_and_b32 exec_lo, exec_lo, s7
	s_cbranch_execz .LBB812_129
; %bb.122:
	s_add_i32 s7, s2, 16
	s_cmp_le_u32 s3, s7
	s_cselect_b32 s0, -1, 0
	s_and_b32 s13, s0, exec_lo
	s_cselect_b32 s13, 8, 10
	v_mov_b32_e32 v15, s13
	s_nor_b32 s13, s0, vcc_lo
	s_and_saveexec_b32 s0, s13
	s_cbranch_execz .LBB812_124
; %bb.123:
	v_lshrrev_b32_e32 v15, s7, v14
	s_sub_i32 s7, s3, s7
	v_lshlrev_b32_e32 v16, 2, v2
	s_min_u32 s7, s7, 8
	v_bfe_u32 v15, v15, 0, s7
	v_lshl_or_b32 v15, v15, 4, v16
	v_mov_b32_e32 v16, 1
	ds_add_u32 v15, v16 offset:8192
	v_mov_b32_e32 v15, 0
.LBB812_124:
	s_or_b32 exec_lo, exec_lo, s0
	s_mov_b32 s7, -1
	s_mov_b32 s13, exec_lo
	v_cmpx_gt_i32_e32 10, v15
; %bb.125:
	v_cmp_eq_u32_e64 s0, 0, v15
	s_orn2_b32 s7, s0, exec_lo
; %bb.126:
	s_or_b32 exec_lo, exec_lo, s13
	s_and_b32 exec_lo, exec_lo, s7
	s_cbranch_execz .LBB812_129
; %bb.127:
	s_add_i32 s0, s2, 24
	s_cmp_gt_u32 s3, s0
	s_cselect_b32 s7, -1, 0
	s_xor_b32 s13, vcc_lo, -1
	s_and_b32 s7, s7, s13
	s_and_b32 exec_lo, exec_lo, s7
	s_cbranch_execz .LBB812_129
; %bb.128:
	v_lshrrev_b32_e32 v14, s0, v14
	s_sub_i32 s0, s3, s0
	v_lshlrev_b32_e32 v15, 2, v2
	s_min_u32 s0, s0, 8
	v_bfe_u32 v14, v14, 0, s0
	v_lshl_or_b32 v14, v14, 4, v15
	v_mov_b32_e32 v15, 1
	ds_add_u32 v14, v15 offset:12288
.LBB812_129:
	s_or_b32 exec_lo, exec_lo, s6
	v_cmp_le_u32_e32 vcc_lo, s4, v13
	v_mov_b32_e32 v13, s5
	s_nor_b32 s6, s1, vcc_lo
	s_and_saveexec_b32 s0, s6
	s_cbranch_execz .LBB812_131
; %bb.130:
	v_lshrrev_b32_e32 v13, s2, v12
	s_sub_i32 s6, s3, s2
	v_lshlrev_b32_e32 v14, 2, v2
	s_min_u32 s6, s6, 8
	v_bfe_u32 v13, v13, 0, s6
	v_lshl_or_b32 v13, v13, 4, v14
	v_mov_b32_e32 v14, 1
	ds_add_u32 v13, v14
	v_mov_b32_e32 v13, 0
.LBB812_131:
	s_or_b32 exec_lo, exec_lo, s0
	s_mov_b32 s7, -1
	s_mov_b32 s6, exec_lo
	v_cmpx_gt_i32_e32 10, v13
; %bb.132:
	v_cmp_eq_u32_e64 s0, 0, v13
	s_orn2_b32 s7, s0, exec_lo
; %bb.133:
	s_or_b32 exec_lo, exec_lo, s6
	s_and_saveexec_b32 s6, s7
	s_cbranch_execz .LBB812_146
; %bb.134:
	s_add_i32 s7, s2, 8
	s_cmp_le_u32 s3, s7
	s_cselect_b32 s0, -1, 0
	s_and_b32 s13, s0, exec_lo
	s_cselect_b32 s13, 8, 10
	v_mov_b32_e32 v13, s13
	s_nor_b32 s13, s0, vcc_lo
	s_and_saveexec_b32 s0, s13
	s_cbranch_execz .LBB812_136
; %bb.135:
	v_lshrrev_b32_e32 v13, s7, v12
	s_sub_i32 s7, s3, s7
	v_lshlrev_b32_e32 v14, 2, v2
	s_min_u32 s7, s7, 8
	v_bfe_u32 v13, v13, 0, s7
	v_lshl_or_b32 v13, v13, 4, v14
	v_mov_b32_e32 v14, 1
	ds_add_u32 v13, v14 offset:4096
	v_mov_b32_e32 v13, 0
.LBB812_136:
	s_or_b32 exec_lo, exec_lo, s0
	s_mov_b32 s7, -1
	s_mov_b32 s13, exec_lo
	v_cmpx_gt_i32_e32 10, v13
; %bb.137:
	v_cmp_eq_u32_e64 s0, 0, v13
	s_orn2_b32 s7, s0, exec_lo
; %bb.138:
	s_or_b32 exec_lo, exec_lo, s13
	s_and_b32 exec_lo, exec_lo, s7
	s_cbranch_execz .LBB812_146
; %bb.139:
	s_add_i32 s7, s2, 16
	s_cmp_le_u32 s3, s7
	s_cselect_b32 s0, -1, 0
	s_and_b32 s13, s0, exec_lo
	s_cselect_b32 s13, 8, 10
	v_mov_b32_e32 v13, s13
	s_nor_b32 s13, s0, vcc_lo
	s_and_saveexec_b32 s0, s13
	s_cbranch_execz .LBB812_141
; %bb.140:
	v_lshrrev_b32_e32 v13, s7, v12
	s_sub_i32 s7, s3, s7
	v_lshlrev_b32_e32 v14, 2, v2
	s_min_u32 s7, s7, 8
	v_bfe_u32 v13, v13, 0, s7
	v_lshl_or_b32 v13, v13, 4, v14
	v_mov_b32_e32 v14, 1
	ds_add_u32 v13, v14 offset:8192
	v_mov_b32_e32 v13, 0
.LBB812_141:
	s_or_b32 exec_lo, exec_lo, s0
	s_mov_b32 s7, -1
	s_mov_b32 s13, exec_lo
	v_cmpx_gt_i32_e32 10, v13
; %bb.142:
	v_cmp_eq_u32_e64 s0, 0, v13
	s_orn2_b32 s7, s0, exec_lo
; %bb.143:
	s_or_b32 exec_lo, exec_lo, s13
	s_and_b32 exec_lo, exec_lo, s7
	s_cbranch_execz .LBB812_146
; %bb.144:
	s_add_i32 s0, s2, 24
	s_cmp_gt_u32 s3, s0
	s_cselect_b32 s7, -1, 0
	s_xor_b32 s13, vcc_lo, -1
	s_and_b32 s7, s7, s13
	s_and_b32 exec_lo, exec_lo, s7
	s_cbranch_execz .LBB812_146
; %bb.145:
	v_lshrrev_b32_e32 v12, s0, v12
	s_sub_i32 s0, s3, s0
	v_lshlrev_b32_e32 v13, 2, v2
	s_min_u32 s0, s0, 8
	v_bfe_u32 v12, v12, 0, s0
	v_lshl_or_b32 v12, v12, 4, v13
	v_mov_b32_e32 v13, 1
	ds_add_u32 v12, v13 offset:12288
.LBB812_146:
	s_or_b32 exec_lo, exec_lo, s6
	v_cmp_le_u32_e32 vcc_lo, s4, v11
	v_mov_b32_e32 v11, s5
	s_nor_b32 s6, s1, vcc_lo
	s_and_saveexec_b32 s0, s6
	s_cbranch_execz .LBB812_148
; %bb.147:
	v_lshrrev_b32_e32 v11, s2, v10
	s_sub_i32 s6, s3, s2
	v_lshlrev_b32_e32 v12, 2, v2
	s_min_u32 s6, s6, 8
	v_bfe_u32 v11, v11, 0, s6
	v_lshl_or_b32 v11, v11, 4, v12
	v_mov_b32_e32 v12, 1
	ds_add_u32 v11, v12
	v_mov_b32_e32 v11, 0
.LBB812_148:
	s_or_b32 exec_lo, exec_lo, s0
	s_mov_b32 s7, -1
	s_mov_b32 s6, exec_lo
	v_cmpx_gt_i32_e32 10, v11
; %bb.149:
	v_cmp_eq_u32_e64 s0, 0, v11
	s_orn2_b32 s7, s0, exec_lo
; %bb.150:
	s_or_b32 exec_lo, exec_lo, s6
	s_and_saveexec_b32 s6, s7
	s_cbranch_execz .LBB812_163
; %bb.151:
	s_add_i32 s7, s2, 8
	s_cmp_le_u32 s3, s7
	s_cselect_b32 s0, -1, 0
	s_and_b32 s13, s0, exec_lo
	s_cselect_b32 s13, 8, 10
	v_mov_b32_e32 v11, s13
	s_nor_b32 s13, s0, vcc_lo
	s_and_saveexec_b32 s0, s13
	s_cbranch_execz .LBB812_153
; %bb.152:
	v_lshrrev_b32_e32 v11, s7, v10
	s_sub_i32 s7, s3, s7
	v_lshlrev_b32_e32 v12, 2, v2
	s_min_u32 s7, s7, 8
	v_bfe_u32 v11, v11, 0, s7
	v_lshl_or_b32 v11, v11, 4, v12
	v_mov_b32_e32 v12, 1
	ds_add_u32 v11, v12 offset:4096
	v_mov_b32_e32 v11, 0
.LBB812_153:
	s_or_b32 exec_lo, exec_lo, s0
	s_mov_b32 s7, -1
	s_mov_b32 s13, exec_lo
	v_cmpx_gt_i32_e32 10, v11
; %bb.154:
	v_cmp_eq_u32_e64 s0, 0, v11
	s_orn2_b32 s7, s0, exec_lo
; %bb.155:
	s_or_b32 exec_lo, exec_lo, s13
	s_and_b32 exec_lo, exec_lo, s7
	s_cbranch_execz .LBB812_163
; %bb.156:
	s_add_i32 s7, s2, 16
	s_cmp_le_u32 s3, s7
	s_cselect_b32 s0, -1, 0
	s_and_b32 s13, s0, exec_lo
	s_cselect_b32 s13, 8, 10
	v_mov_b32_e32 v11, s13
	s_nor_b32 s13, s0, vcc_lo
	s_and_saveexec_b32 s0, s13
	s_cbranch_execz .LBB812_158
; %bb.157:
	v_lshrrev_b32_e32 v11, s7, v10
	s_sub_i32 s7, s3, s7
	v_lshlrev_b32_e32 v12, 2, v2
	s_min_u32 s7, s7, 8
	v_bfe_u32 v11, v11, 0, s7
	v_lshl_or_b32 v11, v11, 4, v12
	v_mov_b32_e32 v12, 1
	ds_add_u32 v11, v12 offset:8192
	v_mov_b32_e32 v11, 0
.LBB812_158:
	s_or_b32 exec_lo, exec_lo, s0
	s_mov_b32 s7, -1
	s_mov_b32 s13, exec_lo
	v_cmpx_gt_i32_e32 10, v11
; %bb.159:
	v_cmp_eq_u32_e64 s0, 0, v11
	s_orn2_b32 s7, s0, exec_lo
; %bb.160:
	s_or_b32 exec_lo, exec_lo, s13
	s_and_b32 exec_lo, exec_lo, s7
	s_cbranch_execz .LBB812_163
; %bb.161:
	s_add_i32 s0, s2, 24
	s_cmp_gt_u32 s3, s0
	s_cselect_b32 s7, -1, 0
	s_xor_b32 s13, vcc_lo, -1
	s_and_b32 s7, s7, s13
	s_and_b32 exec_lo, exec_lo, s7
	s_cbranch_execz .LBB812_163
; %bb.162:
	v_lshrrev_b32_e32 v10, s0, v10
	s_sub_i32 s0, s3, s0
	v_lshlrev_b32_e32 v11, 2, v2
	s_min_u32 s0, s0, 8
	v_bfe_u32 v10, v10, 0, s0
	v_lshl_or_b32 v10, v10, 4, v11
	v_mov_b32_e32 v11, 1
	ds_add_u32 v10, v11 offset:12288
.LBB812_163:
	s_or_b32 exec_lo, exec_lo, s6
	v_cmp_le_u32_e32 vcc_lo, s4, v9
	v_mov_b32_e32 v9, s5
	s_nor_b32 s6, s1, vcc_lo
	s_and_saveexec_b32 s0, s6
	s_cbranch_execz .LBB812_165
; %bb.164:
	v_lshrrev_b32_e32 v9, s2, v8
	s_sub_i32 s6, s3, s2
	v_lshlrev_b32_e32 v10, 2, v2
	s_min_u32 s6, s6, 8
	v_bfe_u32 v9, v9, 0, s6
	v_lshl_or_b32 v9, v9, 4, v10
	v_mov_b32_e32 v10, 1
	ds_add_u32 v9, v10
	v_mov_b32_e32 v9, 0
.LBB812_165:
	s_or_b32 exec_lo, exec_lo, s0
	s_mov_b32 s7, -1
	s_mov_b32 s6, exec_lo
	v_cmpx_gt_i32_e32 10, v9
; %bb.166:
	v_cmp_eq_u32_e64 s0, 0, v9
	s_orn2_b32 s7, s0, exec_lo
; %bb.167:
	s_or_b32 exec_lo, exec_lo, s6
	s_and_saveexec_b32 s6, s7
	s_cbranch_execz .LBB812_180
; %bb.168:
	s_add_i32 s7, s2, 8
	s_cmp_le_u32 s3, s7
	s_cselect_b32 s0, -1, 0
	s_and_b32 s13, s0, exec_lo
	s_cselect_b32 s13, 8, 10
	v_mov_b32_e32 v9, s13
	s_nor_b32 s13, s0, vcc_lo
	s_and_saveexec_b32 s0, s13
	s_cbranch_execz .LBB812_170
; %bb.169:
	v_lshrrev_b32_e32 v9, s7, v8
	s_sub_i32 s7, s3, s7
	v_lshlrev_b32_e32 v10, 2, v2
	s_min_u32 s7, s7, 8
	v_bfe_u32 v9, v9, 0, s7
	v_lshl_or_b32 v9, v9, 4, v10
	v_mov_b32_e32 v10, 1
	ds_add_u32 v9, v10 offset:4096
	v_mov_b32_e32 v9, 0
.LBB812_170:
	s_or_b32 exec_lo, exec_lo, s0
	s_mov_b32 s7, -1
	s_mov_b32 s13, exec_lo
	v_cmpx_gt_i32_e32 10, v9
; %bb.171:
	v_cmp_eq_u32_e64 s0, 0, v9
	s_orn2_b32 s7, s0, exec_lo
; %bb.172:
	s_or_b32 exec_lo, exec_lo, s13
	s_and_b32 exec_lo, exec_lo, s7
	s_cbranch_execz .LBB812_180
; %bb.173:
	s_add_i32 s7, s2, 16
	s_cmp_le_u32 s3, s7
	s_cselect_b32 s0, -1, 0
	s_and_b32 s13, s0, exec_lo
	s_cselect_b32 s13, 8, 10
	v_mov_b32_e32 v9, s13
	s_nor_b32 s13, s0, vcc_lo
	s_and_saveexec_b32 s0, s13
	s_cbranch_execz .LBB812_175
; %bb.174:
	v_lshrrev_b32_e32 v9, s7, v8
	s_sub_i32 s7, s3, s7
	v_lshlrev_b32_e32 v10, 2, v2
	s_min_u32 s7, s7, 8
	v_bfe_u32 v9, v9, 0, s7
	v_lshl_or_b32 v9, v9, 4, v10
	v_mov_b32_e32 v10, 1
	ds_add_u32 v9, v10 offset:8192
	v_mov_b32_e32 v9, 0
.LBB812_175:
	s_or_b32 exec_lo, exec_lo, s0
	s_mov_b32 s7, -1
	s_mov_b32 s13, exec_lo
	v_cmpx_gt_i32_e32 10, v9
; %bb.176:
	v_cmp_eq_u32_e64 s0, 0, v9
	s_orn2_b32 s7, s0, exec_lo
; %bb.177:
	s_or_b32 exec_lo, exec_lo, s13
	s_and_b32 exec_lo, exec_lo, s7
	s_cbranch_execz .LBB812_180
; %bb.178:
	s_add_i32 s0, s2, 24
	s_cmp_gt_u32 s3, s0
	s_cselect_b32 s7, -1, 0
	s_xor_b32 s13, vcc_lo, -1
	s_and_b32 s7, s7, s13
	s_and_b32 exec_lo, exec_lo, s7
	s_cbranch_execz .LBB812_180
; %bb.179:
	v_lshrrev_b32_e32 v8, s0, v8
	s_sub_i32 s0, s3, s0
	v_lshlrev_b32_e32 v9, 2, v2
	s_min_u32 s0, s0, 8
	v_bfe_u32 v8, v8, 0, s0
	v_lshl_or_b32 v8, v8, 4, v9
	v_mov_b32_e32 v9, 1
	ds_add_u32 v8, v9 offset:12288
.LBB812_180:
	s_or_b32 exec_lo, exec_lo, s6
	v_cmp_le_u32_e32 vcc_lo, s4, v7
	v_mov_b32_e32 v7, s5
	s_nor_b32 s6, s1, vcc_lo
	s_and_saveexec_b32 s0, s6
	s_cbranch_execz .LBB812_182
; %bb.181:
	v_lshrrev_b32_e32 v7, s2, v6
	s_sub_i32 s6, s3, s2
	v_lshlrev_b32_e32 v8, 2, v2
	s_min_u32 s6, s6, 8
	v_bfe_u32 v7, v7, 0, s6
	v_lshl_or_b32 v7, v7, 4, v8
	v_mov_b32_e32 v8, 1
	ds_add_u32 v7, v8
	v_mov_b32_e32 v7, 0
.LBB812_182:
	s_or_b32 exec_lo, exec_lo, s0
	s_mov_b32 s7, -1
	s_mov_b32 s6, exec_lo
	v_cmpx_gt_i32_e32 10, v7
; %bb.183:
	v_cmp_eq_u32_e64 s0, 0, v7
	s_orn2_b32 s7, s0, exec_lo
; %bb.184:
	s_or_b32 exec_lo, exec_lo, s6
	s_and_saveexec_b32 s6, s7
	s_cbranch_execz .LBB812_197
; %bb.185:
	s_add_i32 s7, s2, 8
	s_cmp_le_u32 s3, s7
	s_cselect_b32 s0, -1, 0
	s_and_b32 s13, s0, exec_lo
	s_cselect_b32 s13, 8, 10
	v_mov_b32_e32 v7, s13
	s_nor_b32 s13, s0, vcc_lo
	s_and_saveexec_b32 s0, s13
	s_cbranch_execz .LBB812_187
; %bb.186:
	v_lshrrev_b32_e32 v7, s7, v6
	s_sub_i32 s7, s3, s7
	v_lshlrev_b32_e32 v8, 2, v2
	s_min_u32 s7, s7, 8
	v_bfe_u32 v7, v7, 0, s7
	v_lshl_or_b32 v7, v7, 4, v8
	v_mov_b32_e32 v8, 1
	ds_add_u32 v7, v8 offset:4096
	v_mov_b32_e32 v7, 0
.LBB812_187:
	s_or_b32 exec_lo, exec_lo, s0
	s_mov_b32 s7, -1
	s_mov_b32 s13, exec_lo
	v_cmpx_gt_i32_e32 10, v7
; %bb.188:
	v_cmp_eq_u32_e64 s0, 0, v7
	s_orn2_b32 s7, s0, exec_lo
; %bb.189:
	s_or_b32 exec_lo, exec_lo, s13
	s_and_b32 exec_lo, exec_lo, s7
	s_cbranch_execz .LBB812_197
; %bb.190:
	s_add_i32 s7, s2, 16
	s_cmp_le_u32 s3, s7
	s_cselect_b32 s0, -1, 0
	s_and_b32 s13, s0, exec_lo
	s_cselect_b32 s13, 8, 10
	v_mov_b32_e32 v7, s13
	s_nor_b32 s13, s0, vcc_lo
	s_and_saveexec_b32 s0, s13
	s_cbranch_execz .LBB812_192
; %bb.191:
	v_lshrrev_b32_e32 v7, s7, v6
	s_sub_i32 s7, s3, s7
	v_lshlrev_b32_e32 v8, 2, v2
	s_min_u32 s7, s7, 8
	v_bfe_u32 v7, v7, 0, s7
	v_lshl_or_b32 v7, v7, 4, v8
	v_mov_b32_e32 v8, 1
	ds_add_u32 v7, v8 offset:8192
	v_mov_b32_e32 v7, 0
.LBB812_192:
	s_or_b32 exec_lo, exec_lo, s0
	s_mov_b32 s7, -1
	s_mov_b32 s13, exec_lo
	v_cmpx_gt_i32_e32 10, v7
; %bb.193:
	v_cmp_eq_u32_e64 s0, 0, v7
	s_orn2_b32 s7, s0, exec_lo
; %bb.194:
	s_or_b32 exec_lo, exec_lo, s13
	s_and_b32 exec_lo, exec_lo, s7
	s_cbranch_execz .LBB812_197
; %bb.195:
	s_add_i32 s0, s2, 24
	s_cmp_gt_u32 s3, s0
	s_cselect_b32 s7, -1, 0
	s_xor_b32 s13, vcc_lo, -1
	s_and_b32 s7, s7, s13
	s_and_b32 exec_lo, exec_lo, s7
	s_cbranch_execz .LBB812_197
; %bb.196:
	v_lshrrev_b32_e32 v6, s0, v6
	s_sub_i32 s0, s3, s0
	v_lshlrev_b32_e32 v7, 2, v2
	s_min_u32 s0, s0, 8
	v_bfe_u32 v6, v6, 0, s0
	v_lshl_or_b32 v6, v6, 4, v7
	v_mov_b32_e32 v7, 1
	ds_add_u32 v6, v7 offset:12288
.LBB812_197:
	s_or_b32 exec_lo, exec_lo, s6
	v_cmp_le_u32_e32 vcc_lo, s4, v5
	v_mov_b32_e32 v5, s5
	s_nor_b32 s6, s1, vcc_lo
	s_and_saveexec_b32 s0, s6
	s_cbranch_execz .LBB812_199
; %bb.198:
	v_lshrrev_b32_e32 v5, s2, v4
	s_sub_i32 s6, s3, s2
	v_lshlrev_b32_e32 v6, 2, v2
	s_min_u32 s6, s6, 8
	v_bfe_u32 v5, v5, 0, s6
	v_lshl_or_b32 v5, v5, 4, v6
	v_mov_b32_e32 v6, 1
	ds_add_u32 v5, v6
	v_mov_b32_e32 v5, 0
.LBB812_199:
	s_or_b32 exec_lo, exec_lo, s0
	s_mov_b32 s7, -1
	s_mov_b32 s6, exec_lo
	v_cmpx_gt_i32_e32 10, v5
; %bb.200:
	v_cmp_eq_u32_e64 s0, 0, v5
	s_orn2_b32 s7, s0, exec_lo
; %bb.201:
	s_or_b32 exec_lo, exec_lo, s6
	s_and_saveexec_b32 s6, s7
	s_cbranch_execz .LBB812_214
; %bb.202:
	s_add_i32 s7, s2, 8
	s_cmp_le_u32 s3, s7
	s_cselect_b32 s0, -1, 0
	s_and_b32 s13, s0, exec_lo
	s_cselect_b32 s13, 8, 10
	v_mov_b32_e32 v5, s13
	s_nor_b32 s13, s0, vcc_lo
	s_and_saveexec_b32 s0, s13
	s_cbranch_execz .LBB812_204
; %bb.203:
	v_lshrrev_b32_e32 v5, s7, v4
	s_sub_i32 s7, s3, s7
	v_lshlrev_b32_e32 v6, 2, v2
	s_min_u32 s7, s7, 8
	v_bfe_u32 v5, v5, 0, s7
	v_lshl_or_b32 v5, v5, 4, v6
	v_mov_b32_e32 v6, 1
	ds_add_u32 v5, v6 offset:4096
	v_mov_b32_e32 v5, 0
.LBB812_204:
	s_or_b32 exec_lo, exec_lo, s0
	s_mov_b32 s7, -1
	s_mov_b32 s13, exec_lo
	v_cmpx_gt_i32_e32 10, v5
; %bb.205:
	v_cmp_eq_u32_e64 s0, 0, v5
	s_orn2_b32 s7, s0, exec_lo
; %bb.206:
	s_or_b32 exec_lo, exec_lo, s13
	s_and_b32 exec_lo, exec_lo, s7
	s_cbranch_execz .LBB812_214
; %bb.207:
	s_add_i32 s7, s2, 16
	s_cmp_le_u32 s3, s7
	s_cselect_b32 s0, -1, 0
	s_and_b32 s13, s0, exec_lo
	s_cselect_b32 s13, 8, 10
	v_mov_b32_e32 v5, s13
	s_nor_b32 s13, s0, vcc_lo
	s_and_saveexec_b32 s0, s13
	s_cbranch_execz .LBB812_209
; %bb.208:
	v_lshrrev_b32_e32 v5, s7, v4
	s_sub_i32 s7, s3, s7
	v_lshlrev_b32_e32 v6, 2, v2
	s_min_u32 s7, s7, 8
	v_bfe_u32 v5, v5, 0, s7
	v_lshl_or_b32 v5, v5, 4, v6
	v_mov_b32_e32 v6, 1
	ds_add_u32 v5, v6 offset:8192
	v_mov_b32_e32 v5, 0
.LBB812_209:
	s_or_b32 exec_lo, exec_lo, s0
	s_mov_b32 s7, -1
	s_mov_b32 s13, exec_lo
	v_cmpx_gt_i32_e32 10, v5
; %bb.210:
	v_cmp_eq_u32_e64 s0, 0, v5
	s_orn2_b32 s7, s0, exec_lo
; %bb.211:
	s_or_b32 exec_lo, exec_lo, s13
	s_and_b32 exec_lo, exec_lo, s7
	s_cbranch_execz .LBB812_214
; %bb.212:
	s_add_i32 s0, s2, 24
	s_cmp_gt_u32 s3, s0
	s_cselect_b32 s7, -1, 0
	s_xor_b32 s13, vcc_lo, -1
	s_and_b32 s7, s7, s13
	s_and_b32 exec_lo, exec_lo, s7
	s_cbranch_execz .LBB812_214
; %bb.213:
	v_lshrrev_b32_e32 v4, s0, v4
	s_sub_i32 s0, s3, s0
	v_lshlrev_b32_e32 v5, 2, v2
	s_min_u32 s0, s0, 8
	v_bfe_u32 v4, v4, 0, s0
	v_lshl_or_b32 v4, v4, 4, v5
	v_mov_b32_e32 v5, 1
	ds_add_u32 v4, v5 offset:12288
.LBB812_214:
	s_or_b32 exec_lo, exec_lo, s6
	v_cmp_le_u32_e32 vcc_lo, s4, v3
	v_mov_b32_e32 v3, s5
	s_nor_b32 s1, s1, vcc_lo
	s_and_saveexec_b32 s0, s1
	s_cbranch_execz .LBB812_216
; %bb.215:
	v_lshrrev_b32_e32 v3, s2, v1
	s_sub_i32 s1, s3, s2
	v_lshlrev_b32_e32 v4, 2, v2
	s_min_u32 s1, s1, 8
	v_bfe_u32 v3, v3, 0, s1
	v_lshl_or_b32 v3, v3, 4, v4
	v_mov_b32_e32 v4, 1
	ds_add_u32 v3, v4
	v_mov_b32_e32 v3, 0
.LBB812_216:
	s_or_b32 exec_lo, exec_lo, s0
	s_mov_b32 s4, -1
	s_mov_b32 s1, exec_lo
	v_cmpx_gt_i32_e32 10, v3
; %bb.217:
	v_cmp_eq_u32_e64 s0, 0, v3
	s_orn2_b32 s4, s0, exec_lo
; %bb.218:
	s_or_b32 exec_lo, exec_lo, s1
	s_and_saveexec_b32 s1, s4
	s_cbranch_execz .LBB812_231
; %bb.219:
	s_add_i32 s4, s2, 8
	s_cmp_le_u32 s3, s4
	s_cselect_b32 s0, -1, 0
	s_and_b32 s5, s0, exec_lo
	s_cselect_b32 s5, 8, 10
	v_mov_b32_e32 v3, s5
	s_nor_b32 s5, s0, vcc_lo
	s_and_saveexec_b32 s0, s5
	s_cbranch_execz .LBB812_221
; %bb.220:
	v_lshrrev_b32_e32 v3, s4, v1
	s_sub_i32 s4, s3, s4
	v_lshlrev_b32_e32 v4, 2, v2
	s_min_u32 s4, s4, 8
	v_bfe_u32 v3, v3, 0, s4
	v_lshl_or_b32 v3, v3, 4, v4
	v_mov_b32_e32 v4, 1
	ds_add_u32 v3, v4 offset:4096
	v_mov_b32_e32 v3, 0
.LBB812_221:
	s_or_b32 exec_lo, exec_lo, s0
	s_mov_b32 s4, -1
	s_mov_b32 s5, exec_lo
	v_cmpx_gt_i32_e32 10, v3
; %bb.222:
	v_cmp_eq_u32_e64 s0, 0, v3
	s_orn2_b32 s4, s0, exec_lo
; %bb.223:
	s_or_b32 exec_lo, exec_lo, s5
	s_and_b32 exec_lo, exec_lo, s4
	s_cbranch_execz .LBB812_231
; %bb.224:
	s_add_i32 s4, s2, 16
	s_cmp_le_u32 s3, s4
	s_cselect_b32 s0, -1, 0
	s_and_b32 s5, s0, exec_lo
	s_cselect_b32 s5, 8, 10
	v_mov_b32_e32 v3, s5
	s_nor_b32 s5, s0, vcc_lo
	s_and_saveexec_b32 s0, s5
	s_cbranch_execz .LBB812_226
; %bb.225:
	v_lshrrev_b32_e32 v3, s4, v1
	s_sub_i32 s4, s3, s4
	v_lshlrev_b32_e32 v4, 2, v2
	s_min_u32 s4, s4, 8
	v_bfe_u32 v3, v3, 0, s4
	v_lshl_or_b32 v3, v3, 4, v4
	v_mov_b32_e32 v4, 1
	ds_add_u32 v3, v4 offset:8192
	v_mov_b32_e32 v3, 0
.LBB812_226:
	s_or_b32 exec_lo, exec_lo, s0
	s_mov_b32 s4, -1
	s_mov_b32 s5, exec_lo
	v_cmpx_gt_i32_e32 10, v3
; %bb.227:
	v_cmp_eq_u32_e64 s0, 0, v3
	s_orn2_b32 s4, s0, exec_lo
; %bb.228:
	s_or_b32 exec_lo, exec_lo, s5
	s_and_b32 exec_lo, exec_lo, s4
	s_cbranch_execz .LBB812_231
; %bb.229:
	s_add_i32 s0, s2, 24
	s_cmp_gt_u32 s3, s0
	s_cselect_b32 s4, -1, 0
	s_xor_b32 s5, vcc_lo, -1
	s_and_b32 s4, s4, s5
	s_and_b32 exec_lo, exec_lo, s4
	s_cbranch_execz .LBB812_231
; %bb.230:
	v_lshrrev_b32_e32 v1, s0, v1
	s_sub_i32 s0, s3, s0
	v_lshlrev_b32_e32 v2, 2, v2
	s_min_u32 s0, s0, 8
	v_bfe_u32 v1, v1, 0, s0
	v_lshl_or_b32 v1, v1, 4, v2
	v_mov_b32_e32 v2, 1
	ds_add_u32 v1, v2 offset:12288
.LBB812_231:
	s_or_b32 exec_lo, exec_lo, s1
	s_cmp_gt_u32 s3, s2
	s_waitcnt lgkmcnt(0)
	s_barrier
	buffer_gl0_inv
	s_cbranch_scc0 .LBB812_236
; %bb.232:
	v_lshlrev_b32_e32 v3, 4, v0
	v_mov_b32_e32 v2, 0
	v_mov_b32_e32 v1, v0
	s_mov_b32 s1, s2
	v_cmp_gt_u32_e32 vcc_lo, 0x100, v0
	s_inst_prefetch 0x1
	s_branch .LBB812_234
	.p2align	6
.LBB812_233:                            ;   in Loop: Header=BB812_234 Depth=1
	s_or_b32 exec_lo, exec_lo, s4
	v_add_nc_u32_e32 v1, 0x100, v1
	v_add_nc_u32_e32 v3, 0x1000, v3
	s_add_i32 s1, s1, 8
	s_cmp_lt_u32 s1, s3
	s_cbranch_scc0 .LBB812_236
.LBB812_234:                            ; =>This Inner Loop Header: Depth=1
	s_and_saveexec_b32 s4, vcc_lo
	s_cbranch_execz .LBB812_233
; %bb.235:                              ;   in Loop: Header=BB812_234 Depth=1
	ds_read2_b32 v[4:5], v3 offset1:1
	ds_read2_b32 v[6:7], v3 offset0:2 offset1:3
	s_waitcnt lgkmcnt(1)
	v_add_nc_u32_e32 v8, v5, v4
	v_lshlrev_b64 v[4:5], 2, v[1:2]
	s_waitcnt lgkmcnt(0)
	v_add3_u32 v6, v8, v6, v7
	v_add_co_u32 v4, s0, s10, v4
	v_add_co_ci_u32_e64 v5, null, s11, v5, s0
	global_atomic_add v[4:5], v6, off
	s_branch .LBB812_233
.LBB812_236:
	s_inst_prefetch 0x2
	s_mov_b32 s1, 0
.LBB812_237:
	s_and_b32 vcc_lo, exec_lo, s1
	s_cbranch_vccz .LBB812_325
; %bb.238:
	s_cmp_eq_u32 s2, 0
	s_mov_b32 s13, 0
	s_cselect_b32 s4, -1, 0
	s_cmp_eq_u32 s3, 32
	v_lshlrev_b32_e32 v1, 2, v0
	s_cselect_b32 s5, -1, 0
	s_lshl_b64 s[0:1], s[12:13], 2
	s_and_b32 s4, s4, s5
	s_add_u32 s0, s8, s0
	s_addc_u32 s1, s9, s1
	v_add_co_u32 v10, s5, s0, v1
	v_add_co_ci_u32_e64 v11, null, s1, 0, s5
	v_add_co_u32 v2, vcc_lo, 0x1000, v10
	v_add_co_ci_u32_e64 v3, null, 0, v11, vcc_lo
	v_add_co_u32 v4, vcc_lo, 0x2000, v10
	v_add_co_ci_u32_e64 v5, null, 0, v11, vcc_lo
	;; [unrolled: 2-line block ×11, first 2 shown]
	s_clause 0xb
	global_load_dword v13, v[2:3], off
	global_load_dword v12, v[4:5], off
	global_load_dword v11, v[6:7], off
	global_load_dword v10, v[8:9], off
	global_load_dword v9, v[14:15], off
	global_load_dword v8, v[16:17], off
	global_load_dword v7, v[18:19], off
	global_load_dword v6, v[20:21], off
	global_load_dword v14, v1, s[0:1]
	global_load_dword v5, v[22:23], off
	global_load_dword v4, v[24:25], off
	global_load_dword v3, v[26:27], off
	v_mov_b32_e32 v2, 0
	v_or_b32_e32 v15, 0xfffffc00, v0
	s_and_b32 vcc_lo, exec_lo, s4
	s_mov_b32 s0, -1
	s_cbranch_vccnz .LBB812_320
; %bb.239:
	v_or_b32_e32 v16, 0xfffffc00, v0
.LBB812_240:                            ; =>This Inner Loop Header: Depth=1
	v_add_nc_u32_e32 v16, 0x400, v16
	ds_write_b32 v1, v2
	v_add_nc_u32_e32 v1, 0x1000, v1
	v_cmp_lt_u32_e32 vcc_lo, 0xbff, v16
	s_or_b32 s13, vcc_lo, s13
	s_andn2_b32 exec_lo, exec_lo, s13
	s_cbranch_execnz .LBB812_240
; %bb.241:
	s_or_b32 exec_lo, exec_lo, s13
	s_cmp_gt_u32 s3, s2
	s_waitcnt vmcnt(0) lgkmcnt(0)
	s_waitcnt_vscnt null, 0x0
	s_cselect_b32 s0, -1, 0
	s_barrier
	s_and_b32 vcc_lo, exec_lo, s0
	buffer_gl0_inv
	s_cbranch_vccz .LBB812_314
; %bb.242:
	v_xor_b32_e32 v17, 0x80000000, v14
	s_sub_i32 s1, s3, s2
	v_and_b32_e32 v1, 3, v0
	s_min_u32 s1, s1, 8
	v_mov_b32_e32 v18, 1
	v_lshrrev_b32_e32 v16, s2, v17
	s_lshl_b32 s1, -1, s1
	v_lshlrev_b32_e32 v2, 2, v1
	s_not_b32 s4, s1
	s_add_i32 s1, s2, 8
	v_and_b32_e32 v16, s4, v16
	s_cmp_le_u32 s3, s1
	s_mov_b32 s7, -1
	s_cselect_b32 s5, -1, 0
	s_and_b32 vcc_lo, exec_lo, s5
	v_lshl_or_b32 v16, v16, 4, v2
	ds_add_u32 v16, v18
	v_xor_b32_e32 v16, 0x80000000, v13
	v_lshrrev_b32_e32 v18, s2, v16
	v_and_b32_e32 v18, s4, v18
	s_cbranch_vccz .LBB812_244
; %bb.243:
	v_lshlrev_b32_e32 v19, 4, v18
	s_mov_b32 s6, -1
	s_cbranch_execz .LBB812_245
	s_branch .LBB812_252
.LBB812_244:
	s_mov_b32 s6, 0
                                        ; implicit-def: $vgpr19
	s_andn2_b32 vcc_lo, exec_lo, s7
	s_cbranch_vccnz .LBB812_252
.LBB812_245:
	s_sub_i32 s7, s3, s1
	v_lshrrev_b32_e32 v19, s1, v17
	s_min_u32 s7, s7, 8
	s_lshl_b32 s7, -1, s7
	s_not_b32 s8, s7
	s_add_i32 s7, s2, 16
	v_and_b32_e32 v19, s8, v19
	s_cmp_gt_u32 s3, s7
	s_cselect_b32 s9, -1, 0
	s_cmp_le_u32 s3, s7
	v_lshl_or_b32 v20, v19, 4, v2
	v_mov_b32_e32 v19, 1
	ds_add_u32 v20, v19 offset:4096
	s_cbranch_scc1 .LBB812_248
; %bb.246:
	v_lshrrev_b32_e32 v20, s7, v17
	s_sub_i32 s12, s3, s7
	s_min_u32 s12, s12, 8
	v_bfe_u32 v20, v20, 0, s12
	s_add_i32 s12, s2, 24
	s_cmp_le_u32 s3, s12
	v_lshl_or_b32 v20, v20, 4, v2
	ds_add_u32 v20, v19 offset:8192
	s_cbranch_scc1 .LBB812_248
; %bb.247:
	v_lshrrev_b32_e32 v17, s12, v17
	s_sub_i32 s12, s3, s12
	v_mov_b32_e32 v20, 1
	s_min_u32 s12, s12, 8
	v_bfe_u32 v17, v17, 0, s12
	v_lshl_or_b32 v17, v17, 4, v2
	ds_add_u32 v17, v20 offset:12288
.LBB812_248:
	v_lshrrev_b32_e32 v17, s1, v16
	v_lshl_or_b32 v18, v18, 4, v2
	s_andn2_b32 vcc_lo, exec_lo, s9
	v_and_b32_e32 v17, s8, v17
	v_lshl_or_b32 v17, v17, 4, v2
	ds_add_u32 v18, v19
	ds_add_u32 v17, v19 offset:4096
	s_cbranch_vccnz .LBB812_251
; %bb.249:
	v_lshrrev_b32_e32 v17, s7, v16
	s_sub_i32 s7, s3, s7
	v_mov_b32_e32 v18, 1
	s_min_u32 s7, s7, 8
                                        ; implicit-def: $vgpr19
	v_bfe_u32 v17, v17, 0, s7
	s_add_i32 s7, s2, 24
	s_cmp_gt_u32 s3, s7
	v_lshl_or_b32 v17, v17, 4, v2
	ds_add_u32 v17, v18 offset:8192
	s_cbranch_scc0 .LBB812_252
; %bb.250:
	v_lshrrev_b32_e32 v16, s7, v16
	s_sub_i32 s6, s3, s7
	s_min_u32 s6, s6, 8
	v_bfe_u32 v16, v16, 0, s6
	s_mov_b32 s6, -1
	v_lshl_add_u32 v19, v16, 4, 0x3000
	s_branch .LBB812_252
.LBB812_251:
                                        ; implicit-def: $vgpr19
.LBB812_252:
	s_and_b32 vcc_lo, exec_lo, s6
	s_cbranch_vccz .LBB812_254
; %bb.253:
	v_lshl_add_u32 v16, v1, 2, v19
	v_mov_b32_e32 v17, 1
	ds_add_u32 v16, v17
.LBB812_254:
	v_xor_b32_e32 v18, 0x80000000, v12
	v_mov_b32_e32 v17, 1
	s_and_b32 vcc_lo, exec_lo, s5
	v_lshrrev_b32_e32 v16, s2, v18
	v_and_b32_e32 v16, s4, v16
	v_lshl_or_b32 v16, v16, 4, v2
	ds_add_u32 v16, v17
	v_xor_b32_e32 v16, 0x80000000, v11
	v_lshrrev_b32_e32 v17, s2, v16
	v_and_b32_e32 v17, s4, v17
	s_cbranch_vccz .LBB812_256
; %bb.255:
	v_lshlrev_b32_e32 v19, 4, v17
	s_mov_b32 s6, -1
	s_cbranch_execz .LBB812_257
	s_branch .LBB812_264
.LBB812_256:
	s_mov_b32 s6, 0
                                        ; implicit-def: $vgpr19
.LBB812_257:
	s_sub_i32 s7, s3, s1
	v_lshrrev_b32_e32 v19, s1, v18
	s_min_u32 s7, s7, 8
	s_lshl_b32 s7, -1, s7
	s_not_b32 s8, s7
	s_add_i32 s7, s2, 16
	v_and_b32_e32 v19, s8, v19
	s_cmp_gt_u32 s3, s7
	s_cselect_b32 s9, -1, 0
	s_cmp_le_u32 s3, s7
	v_lshl_or_b32 v20, v19, 4, v2
	v_mov_b32_e32 v19, 1
	ds_add_u32 v20, v19 offset:4096
	s_cbranch_scc1 .LBB812_260
; %bb.258:
	v_lshrrev_b32_e32 v20, s7, v18
	s_sub_i32 s12, s3, s7
	s_min_u32 s12, s12, 8
	v_bfe_u32 v20, v20, 0, s12
	s_add_i32 s12, s2, 24
	s_cmp_le_u32 s3, s12
	v_lshl_or_b32 v20, v20, 4, v2
	ds_add_u32 v20, v19 offset:8192
	s_cbranch_scc1 .LBB812_260
; %bb.259:
	v_lshrrev_b32_e32 v18, s12, v18
	s_sub_i32 s12, s3, s12
	v_mov_b32_e32 v20, 1
	s_min_u32 s12, s12, 8
	v_bfe_u32 v18, v18, 0, s12
	v_lshl_or_b32 v18, v18, 4, v2
	ds_add_u32 v18, v20 offset:12288
.LBB812_260:
	v_lshrrev_b32_e32 v18, s1, v16
	v_lshl_or_b32 v17, v17, 4, v2
	s_andn2_b32 vcc_lo, exec_lo, s9
	v_and_b32_e32 v18, s8, v18
	v_lshl_or_b32 v18, v18, 4, v2
	ds_add_u32 v17, v19
	ds_add_u32 v18, v19 offset:4096
	s_cbranch_vccnz .LBB812_263
; %bb.261:
	v_lshrrev_b32_e32 v17, s7, v16
	s_sub_i32 s7, s3, s7
	v_mov_b32_e32 v18, 1
	s_min_u32 s7, s7, 8
                                        ; implicit-def: $vgpr19
	v_bfe_u32 v17, v17, 0, s7
	s_add_i32 s7, s2, 24
	s_cmp_gt_u32 s3, s7
	v_lshl_or_b32 v17, v17, 4, v2
	ds_add_u32 v17, v18 offset:8192
	s_cbranch_scc0 .LBB812_264
; %bb.262:
	v_lshrrev_b32_e32 v16, s7, v16
	s_sub_i32 s6, s3, s7
	s_min_u32 s6, s6, 8
	v_bfe_u32 v16, v16, 0, s6
	s_mov_b32 s6, -1
	v_lshl_add_u32 v19, v16, 4, 0x3000
	s_branch .LBB812_264
.LBB812_263:
                                        ; implicit-def: $vgpr19
.LBB812_264:
	s_and_b32 vcc_lo, exec_lo, s6
	s_cbranch_vccz .LBB812_266
; %bb.265:
	v_lshl_add_u32 v16, v1, 2, v19
	v_mov_b32_e32 v17, 1
	ds_add_u32 v16, v17
.LBB812_266:
	v_xor_b32_e32 v18, 0x80000000, v10
	v_mov_b32_e32 v17, 1
	s_and_b32 vcc_lo, exec_lo, s5
	v_lshrrev_b32_e32 v16, s2, v18
	v_and_b32_e32 v16, s4, v16
	v_lshl_or_b32 v16, v16, 4, v2
	ds_add_u32 v16, v17
	v_xor_b32_e32 v16, 0x80000000, v9
	v_lshrrev_b32_e32 v17, s2, v16
	v_and_b32_e32 v17, s4, v17
	s_cbranch_vccz .LBB812_268
; %bb.267:
	v_lshlrev_b32_e32 v19, 4, v17
	s_mov_b32 s6, -1
	s_cbranch_execz .LBB812_269
	s_branch .LBB812_276
.LBB812_268:
	s_mov_b32 s6, 0
                                        ; implicit-def: $vgpr19
.LBB812_269:
	s_sub_i32 s7, s3, s1
	v_lshrrev_b32_e32 v19, s1, v18
	s_min_u32 s7, s7, 8
	s_lshl_b32 s7, -1, s7
	s_not_b32 s8, s7
	s_add_i32 s7, s2, 16
	v_and_b32_e32 v19, s8, v19
	s_cmp_gt_u32 s3, s7
	s_cselect_b32 s9, -1, 0
	s_cmp_le_u32 s3, s7
	v_lshl_or_b32 v20, v19, 4, v2
	v_mov_b32_e32 v19, 1
	ds_add_u32 v20, v19 offset:4096
	s_cbranch_scc1 .LBB812_272
; %bb.270:
	v_lshrrev_b32_e32 v20, s7, v18
	s_sub_i32 s12, s3, s7
	s_min_u32 s12, s12, 8
	v_bfe_u32 v20, v20, 0, s12
	s_add_i32 s12, s2, 24
	s_cmp_le_u32 s3, s12
	v_lshl_or_b32 v20, v20, 4, v2
	ds_add_u32 v20, v19 offset:8192
	s_cbranch_scc1 .LBB812_272
; %bb.271:
	v_lshrrev_b32_e32 v18, s12, v18
	s_sub_i32 s12, s3, s12
	v_mov_b32_e32 v20, 1
	s_min_u32 s12, s12, 8
	v_bfe_u32 v18, v18, 0, s12
	v_lshl_or_b32 v18, v18, 4, v2
	ds_add_u32 v18, v20 offset:12288
.LBB812_272:
	v_lshrrev_b32_e32 v18, s1, v16
	v_lshl_or_b32 v17, v17, 4, v2
	s_andn2_b32 vcc_lo, exec_lo, s9
	v_and_b32_e32 v18, s8, v18
	v_lshl_or_b32 v18, v18, 4, v2
	ds_add_u32 v17, v19
	ds_add_u32 v18, v19 offset:4096
	s_cbranch_vccnz .LBB812_275
; %bb.273:
	v_lshrrev_b32_e32 v17, s7, v16
	s_sub_i32 s7, s3, s7
	v_mov_b32_e32 v18, 1
	s_min_u32 s7, s7, 8
                                        ; implicit-def: $vgpr19
	v_bfe_u32 v17, v17, 0, s7
	s_add_i32 s7, s2, 24
	s_cmp_gt_u32 s3, s7
	v_lshl_or_b32 v17, v17, 4, v2
	ds_add_u32 v17, v18 offset:8192
	s_cbranch_scc0 .LBB812_276
; %bb.274:
	v_lshrrev_b32_e32 v16, s7, v16
	s_sub_i32 s6, s3, s7
	s_min_u32 s6, s6, 8
	v_bfe_u32 v16, v16, 0, s6
	s_mov_b32 s6, -1
	v_lshl_add_u32 v19, v16, 4, 0x3000
	s_branch .LBB812_276
.LBB812_275:
                                        ; implicit-def: $vgpr19
.LBB812_276:
	s_and_b32 vcc_lo, exec_lo, s6
	s_cbranch_vccz .LBB812_278
; %bb.277:
	v_lshl_add_u32 v16, v1, 2, v19
	v_mov_b32_e32 v17, 1
	ds_add_u32 v16, v17
.LBB812_278:
	v_xor_b32_e32 v18, 0x80000000, v8
	v_mov_b32_e32 v17, 1
	s_and_b32 vcc_lo, exec_lo, s5
	v_lshrrev_b32_e32 v16, s2, v18
	v_and_b32_e32 v16, s4, v16
	v_lshl_or_b32 v16, v16, 4, v2
	ds_add_u32 v16, v17
	v_xor_b32_e32 v16, 0x80000000, v7
	v_lshrrev_b32_e32 v17, s2, v16
	v_and_b32_e32 v17, s4, v17
	s_cbranch_vccz .LBB812_280
; %bb.279:
	v_lshlrev_b32_e32 v19, 4, v17
	s_mov_b32 s6, -1
	s_cbranch_execz .LBB812_281
	s_branch .LBB812_288
.LBB812_280:
	s_mov_b32 s6, 0
                                        ; implicit-def: $vgpr19
.LBB812_281:
	s_sub_i32 s7, s3, s1
	v_lshrrev_b32_e32 v19, s1, v18
	s_min_u32 s7, s7, 8
	s_lshl_b32 s7, -1, s7
	s_not_b32 s8, s7
	s_add_i32 s7, s2, 16
	v_and_b32_e32 v19, s8, v19
	s_cmp_gt_u32 s3, s7
	s_cselect_b32 s9, -1, 0
	s_cmp_le_u32 s3, s7
	v_lshl_or_b32 v20, v19, 4, v2
	v_mov_b32_e32 v19, 1
	ds_add_u32 v20, v19 offset:4096
	s_cbranch_scc1 .LBB812_284
; %bb.282:
	v_lshrrev_b32_e32 v20, s7, v18
	s_sub_i32 s12, s3, s7
	s_min_u32 s12, s12, 8
	v_bfe_u32 v20, v20, 0, s12
	s_add_i32 s12, s2, 24
	s_cmp_le_u32 s3, s12
	v_lshl_or_b32 v20, v20, 4, v2
	ds_add_u32 v20, v19 offset:8192
	s_cbranch_scc1 .LBB812_284
; %bb.283:
	v_lshrrev_b32_e32 v18, s12, v18
	s_sub_i32 s12, s3, s12
	v_mov_b32_e32 v20, 1
	s_min_u32 s12, s12, 8
	v_bfe_u32 v18, v18, 0, s12
	v_lshl_or_b32 v18, v18, 4, v2
	ds_add_u32 v18, v20 offset:12288
.LBB812_284:
	v_lshrrev_b32_e32 v18, s1, v16
	v_lshl_or_b32 v17, v17, 4, v2
	s_andn2_b32 vcc_lo, exec_lo, s9
	v_and_b32_e32 v18, s8, v18
	v_lshl_or_b32 v18, v18, 4, v2
	ds_add_u32 v17, v19
	ds_add_u32 v18, v19 offset:4096
	s_cbranch_vccnz .LBB812_287
; %bb.285:
	v_lshrrev_b32_e32 v17, s7, v16
	s_sub_i32 s7, s3, s7
	v_mov_b32_e32 v18, 1
	s_min_u32 s7, s7, 8
                                        ; implicit-def: $vgpr19
	v_bfe_u32 v17, v17, 0, s7
	s_add_i32 s7, s2, 24
	s_cmp_gt_u32 s3, s7
	v_lshl_or_b32 v17, v17, 4, v2
	ds_add_u32 v17, v18 offset:8192
	s_cbranch_scc0 .LBB812_288
; %bb.286:
	v_lshrrev_b32_e32 v16, s7, v16
	s_sub_i32 s6, s3, s7
	s_min_u32 s6, s6, 8
	v_bfe_u32 v16, v16, 0, s6
	s_mov_b32 s6, -1
	v_lshl_add_u32 v19, v16, 4, 0x3000
	s_branch .LBB812_288
.LBB812_287:
                                        ; implicit-def: $vgpr19
.LBB812_288:
	s_and_b32 vcc_lo, exec_lo, s6
	s_cbranch_vccz .LBB812_290
; %bb.289:
	v_lshl_add_u32 v16, v1, 2, v19
	v_mov_b32_e32 v17, 1
	ds_add_u32 v16, v17
.LBB812_290:
	v_xor_b32_e32 v18, 0x80000000, v6
	v_mov_b32_e32 v17, 1
	s_and_b32 vcc_lo, exec_lo, s5
	v_lshrrev_b32_e32 v16, s2, v18
	v_and_b32_e32 v16, s4, v16
	v_lshl_or_b32 v16, v16, 4, v2
	ds_add_u32 v16, v17
	v_xor_b32_e32 v16, 0x80000000, v5
	v_lshrrev_b32_e32 v17, s2, v16
	v_and_b32_e32 v17, s4, v17
	s_cbranch_vccz .LBB812_292
; %bb.291:
	v_lshlrev_b32_e32 v19, 4, v17
	s_mov_b32 s6, -1
	s_cbranch_execz .LBB812_293
	s_branch .LBB812_300
.LBB812_292:
	s_mov_b32 s6, 0
                                        ; implicit-def: $vgpr19
.LBB812_293:
	s_sub_i32 s7, s3, s1
	v_lshrrev_b32_e32 v19, s1, v18
	s_min_u32 s7, s7, 8
	s_lshl_b32 s7, -1, s7
	s_not_b32 s8, s7
	s_add_i32 s7, s2, 16
	v_and_b32_e32 v19, s8, v19
	s_cmp_gt_u32 s3, s7
	s_cselect_b32 s9, -1, 0
	s_cmp_le_u32 s3, s7
	v_lshl_or_b32 v20, v19, 4, v2
	v_mov_b32_e32 v19, 1
	ds_add_u32 v20, v19 offset:4096
	s_cbranch_scc1 .LBB812_296
; %bb.294:
	v_lshrrev_b32_e32 v20, s7, v18
	s_sub_i32 s12, s3, s7
	s_min_u32 s12, s12, 8
	v_bfe_u32 v20, v20, 0, s12
	s_add_i32 s12, s2, 24
	s_cmp_le_u32 s3, s12
	v_lshl_or_b32 v20, v20, 4, v2
	ds_add_u32 v20, v19 offset:8192
	s_cbranch_scc1 .LBB812_296
; %bb.295:
	v_lshrrev_b32_e32 v18, s12, v18
	s_sub_i32 s12, s3, s12
	v_mov_b32_e32 v20, 1
	s_min_u32 s12, s12, 8
	v_bfe_u32 v18, v18, 0, s12
	v_lshl_or_b32 v18, v18, 4, v2
	ds_add_u32 v18, v20 offset:12288
.LBB812_296:
	v_lshrrev_b32_e32 v18, s1, v16
	v_lshl_or_b32 v17, v17, 4, v2
	s_andn2_b32 vcc_lo, exec_lo, s9
	v_and_b32_e32 v18, s8, v18
	v_lshl_or_b32 v18, v18, 4, v2
	ds_add_u32 v17, v19
	ds_add_u32 v18, v19 offset:4096
	s_cbranch_vccnz .LBB812_299
; %bb.297:
	v_lshrrev_b32_e32 v17, s7, v16
	s_sub_i32 s7, s3, s7
	v_mov_b32_e32 v18, 1
	s_min_u32 s7, s7, 8
                                        ; implicit-def: $vgpr19
	v_bfe_u32 v17, v17, 0, s7
	s_add_i32 s7, s2, 24
	s_cmp_gt_u32 s3, s7
	v_lshl_or_b32 v17, v17, 4, v2
	ds_add_u32 v17, v18 offset:8192
	s_cbranch_scc0 .LBB812_300
; %bb.298:
	v_lshrrev_b32_e32 v16, s7, v16
	s_sub_i32 s6, s3, s7
	s_min_u32 s6, s6, 8
	v_bfe_u32 v16, v16, 0, s6
	s_mov_b32 s6, -1
	v_lshl_add_u32 v19, v16, 4, 0x3000
	s_branch .LBB812_300
.LBB812_299:
                                        ; implicit-def: $vgpr19
.LBB812_300:
	s_and_b32 vcc_lo, exec_lo, s6
	s_cbranch_vccz .LBB812_302
; %bb.301:
	v_lshl_add_u32 v16, v1, 2, v19
	v_mov_b32_e32 v17, 1
	ds_add_u32 v16, v17
.LBB812_302:
	v_xor_b32_e32 v18, 0x80000000, v4
	v_mov_b32_e32 v17, 1
	s_and_b32 vcc_lo, exec_lo, s5
	v_lshrrev_b32_e32 v16, s2, v18
	v_and_b32_e32 v16, s4, v16
	v_lshl_or_b32 v16, v16, 4, v2
	ds_add_u32 v16, v17
	v_xor_b32_e32 v16, 0x80000000, v3
	v_lshrrev_b32_e32 v17, s2, v16
	v_and_b32_e32 v17, s4, v17
	s_cbranch_vccz .LBB812_304
; %bb.303:
	v_lshlrev_b32_e32 v19, 4, v17
	s_mov_b32 s4, -1
	s_cbranch_execz .LBB812_305
	s_branch .LBB812_312
.LBB812_304:
	s_mov_b32 s4, 0
                                        ; implicit-def: $vgpr19
.LBB812_305:
	s_sub_i32 s5, s3, s1
	v_lshrrev_b32_e32 v19, s1, v18
	s_min_u32 s5, s5, 8
	s_lshl_b32 s5, -1, s5
	s_not_b32 s6, s5
	s_add_i32 s5, s2, 16
	v_and_b32_e32 v19, s6, v19
	s_cmp_gt_u32 s3, s5
	s_cselect_b32 s7, -1, 0
	s_cmp_le_u32 s3, s5
	v_lshl_or_b32 v20, v19, 4, v2
	v_mov_b32_e32 v19, 1
	ds_add_u32 v20, v19 offset:4096
	s_cbranch_scc1 .LBB812_308
; %bb.306:
	v_lshrrev_b32_e32 v20, s5, v18
	s_sub_i32 s8, s3, s5
	s_min_u32 s8, s8, 8
	v_bfe_u32 v20, v20, 0, s8
	s_add_i32 s8, s2, 24
	s_cmp_le_u32 s3, s8
	v_lshl_or_b32 v20, v20, 4, v2
	ds_add_u32 v20, v19 offset:8192
	s_cbranch_scc1 .LBB812_308
; %bb.307:
	v_lshrrev_b32_e32 v18, s8, v18
	s_sub_i32 s8, s3, s8
	v_mov_b32_e32 v20, 1
	s_min_u32 s8, s8, 8
	v_bfe_u32 v18, v18, 0, s8
	v_lshl_or_b32 v18, v18, 4, v2
	ds_add_u32 v18, v20 offset:12288
.LBB812_308:
	v_lshrrev_b32_e32 v18, s1, v16
	v_lshl_or_b32 v17, v17, 4, v2
	s_andn2_b32 vcc_lo, exec_lo, s7
	v_and_b32_e32 v18, s6, v18
	v_lshl_or_b32 v18, v18, 4, v2
	ds_add_u32 v17, v19
	ds_add_u32 v18, v19 offset:4096
	s_cbranch_vccnz .LBB812_311
; %bb.309:
	v_lshrrev_b32_e32 v17, s5, v16
	s_sub_i32 s1, s3, s5
                                        ; implicit-def: $vgpr19
	s_min_u32 s1, s1, 8
	v_bfe_u32 v17, v17, 0, s1
	s_add_i32 s1, s2, 24
	s_cmp_gt_u32 s3, s1
	v_lshl_or_b32 v2, v17, 4, v2
	v_mov_b32_e32 v17, 1
	ds_add_u32 v2, v17 offset:8192
	s_cbranch_scc0 .LBB812_312
; %bb.310:
	v_lshrrev_b32_e32 v2, s1, v16
	s_sub_i32 s1, s3, s1
	s_mov_b32 s4, -1
	s_min_u32 s1, s1, 8
	v_bfe_u32 v2, v2, 0, s1
	v_lshl_add_u32 v19, v2, 4, 0x3000
	s_branch .LBB812_312
.LBB812_311:
                                        ; implicit-def: $vgpr19
.LBB812_312:
	s_and_b32 vcc_lo, exec_lo, s4
	s_cbranch_vccz .LBB812_314
; %bb.313:
	v_lshl_add_u32 v1, v1, 2, v19
	v_mov_b32_e32 v2, 1
	ds_add_u32 v1, v2
.LBB812_314:
	s_and_b32 vcc_lo, exec_lo, s0
	s_waitcnt lgkmcnt(0)
	s_barrier
	buffer_gl0_inv
	s_cbranch_vccz .LBB812_319
; %bb.315:
	v_lshlrev_b32_e32 v16, 4, v0
	v_mov_b32_e32 v2, 0
	v_mov_b32_e32 v1, v0
	v_cmp_gt_u32_e32 vcc_lo, 0x100, v0
	s_inst_prefetch 0x1
	s_branch .LBB812_317
	.p2align	6
.LBB812_316:                            ;   in Loop: Header=BB812_317 Depth=1
	s_or_b32 exec_lo, exec_lo, s1
	v_add_nc_u32_e32 v1, 0x100, v1
	v_add_nc_u32_e32 v16, 0x1000, v16
	s_add_i32 s2, s2, 8
	s_cmp_ge_u32 s2, s3
	s_cbranch_scc1 .LBB812_319
.LBB812_317:                            ; =>This Inner Loop Header: Depth=1
	s_and_saveexec_b32 s1, vcc_lo
	s_cbranch_execz .LBB812_316
; %bb.318:                              ;   in Loop: Header=BB812_317 Depth=1
	ds_read2_b32 v[17:18], v16 offset1:1
	ds_read2_b32 v[19:20], v16 offset0:2 offset1:3
	s_waitcnt lgkmcnt(1)
	v_add_nc_u32_e32 v21, v18, v17
	v_lshlrev_b64 v[17:18], 2, v[1:2]
	s_waitcnt lgkmcnt(0)
	v_add3_u32 v19, v21, v19, v20
	v_add_co_u32 v17, s0, s10, v17
	v_add_co_ci_u32_e64 v18, null, s11, v18, s0
	global_atomic_add v[17:18], v19, off
	s_branch .LBB812_316
.LBB812_319:
	s_inst_prefetch 0x2
	s_mov_b32 s0, 0
.LBB812_320:
	s_and_b32 vcc_lo, exec_lo, s0
	s_cbranch_vccz .LBB812_325
; %bb.321:
	v_lshlrev_b32_e32 v1, 2, v0
	v_mov_b32_e32 v2, 0
	s_mov_b32 s0, 0
.LBB812_322:                            ; =>This Inner Loop Header: Depth=1
	v_add_nc_u32_e32 v15, 0x400, v15
	ds_write_b32 v1, v2
	v_add_nc_u32_e32 v1, 0x1000, v1
	v_cmp_lt_u32_e32 vcc_lo, 0xbff, v15
	s_or_b32 s0, vcc_lo, s0
	s_andn2_b32 exec_lo, exec_lo, s0
	s_cbranch_execnz .LBB812_322
; %bb.323:
	s_or_b32 exec_lo, exec_lo, s0
	v_and_b32_e32 v1, 3, v0
	s_waitcnt vmcnt(3)
	v_lshlrev_b32_e32 v2, 4, v14
	v_mov_b32_e32 v15, 2
	v_bfe_u32 v16, v14, 8, 8
	v_bfe_u32 v17, v14, 16, 8
	v_lshlrev_b32_e32 v1, 2, v1
	v_mov_b32_e32 v18, 1
	v_lshlrev_b32_sdwa v14, v15, v14 dst_sel:DWORD dst_unused:UNUSED_PAD src0_sel:DWORD src1_sel:BYTE_3
	s_waitcnt vmcnt(0) lgkmcnt(0)
	s_waitcnt_vscnt null, 0x0
	s_barrier
	v_and_or_b32 v2, 0xff0, v2, v1
	v_lshl_or_b32 v16, v16, 4, v1
	v_lshl_or_b32 v17, v17, 4, v1
	buffer_gl0_inv
	v_xor_b32_e32 v14, 0x200, v14
	ds_add_u32 v2, v18
	ds_add_u32 v16, v18 offset:4096
	ds_add_u32 v17, v18 offset:8192
	v_lshlrev_b32_e32 v2, 4, v13
	v_bfe_u32 v16, v13, 8, 8
	v_bfe_u32 v17, v13, 16, 8
	v_lshlrev_b32_sdwa v13, v15, v13 dst_sel:DWORD dst_unused:UNUSED_PAD src0_sel:DWORD src1_sel:BYTE_3
	v_lshl_or_b32 v14, v14, 2, v1
	v_and_or_b32 v2, 0xff0, v2, v1
	v_lshl_or_b32 v16, v16, 4, v1
	v_lshl_or_b32 v17, v17, 4, v1
	v_xor_b32_e32 v13, 0x200, v13
	ds_add_u32 v14, v18 offset:12288
	ds_add_u32 v2, v18
	ds_add_u32 v16, v18 offset:4096
	ds_add_u32 v17, v18 offset:8192
	v_bfe_u32 v14, v12, 8, 8
	v_bfe_u32 v16, v12, 16, 8
	s_mov_b32 s0, exec_lo
	v_lshl_or_b32 v2, v13, 2, v1
	v_lshlrev_b32_e32 v13, 4, v12
	v_lshlrev_b32_sdwa v12, v15, v12 dst_sel:DWORD dst_unused:UNUSED_PAD src0_sel:DWORD src1_sel:BYTE_3
	ds_add_u32 v2, v18 offset:12288
	v_and_or_b32 v2, 0xff0, v13, v1
	v_xor_b32_e32 v12, 0x200, v12
	v_lshl_or_b32 v13, v14, 4, v1
	v_lshl_or_b32 v14, v16, 4, v1
	v_lshlrev_b32_e32 v16, 4, v11
	ds_add_u32 v2, v18
	ds_add_u32 v13, v18 offset:4096
	ds_add_u32 v14, v18 offset:8192
	v_lshl_or_b32 v2, v12, 2, v1
	v_bfe_u32 v13, v11, 8, 8
	v_bfe_u32 v14, v11, 16, 8
	v_lshlrev_b32_sdwa v11, v15, v11 dst_sel:DWORD dst_unused:UNUSED_PAD src0_sel:DWORD src1_sel:BYTE_3
	v_and_or_b32 v12, 0xff0, v16, v1
	ds_add_u32 v2, v18 offset:12288
	ds_add_u32 v12, v18
	v_lshl_or_b32 v2, v13, 4, v1
	v_xor_b32_e32 v11, 0x200, v11
	v_lshlrev_b32_e32 v13, 4, v10
	v_lshl_or_b32 v12, v14, 4, v1
	v_bfe_u32 v14, v10, 8, 8
	ds_add_u32 v2, v18 offset:4096
	ds_add_u32 v12, v18 offset:8192
	v_lshl_or_b32 v2, v11, 2, v1
	v_and_or_b32 v11, 0xff0, v13, v1
	v_bfe_u32 v13, v10, 16, 8
	v_lshlrev_b32_sdwa v10, v15, v10 dst_sel:DWORD dst_unused:UNUSED_PAD src0_sel:DWORD src1_sel:BYTE_3
	v_lshl_or_b32 v12, v14, 4, v1
	ds_add_u32 v2, v18 offset:12288
	ds_add_u32 v11, v18
	ds_add_u32 v12, v18 offset:4096
	v_lshl_or_b32 v2, v13, 4, v1
	v_xor_b32_e32 v10, 0x200, v10
	v_lshlrev_b32_e32 v11, 4, v9
	v_bfe_u32 v12, v9, 8, 8
	v_bfe_u32 v13, v9, 16, 8
	ds_add_u32 v2, v18 offset:8192
	v_lshl_or_b32 v2, v10, 2, v1
	v_lshlrev_b32_sdwa v9, v15, v9 dst_sel:DWORD dst_unused:UNUSED_PAD src0_sel:DWORD src1_sel:BYTE_3
	v_and_or_b32 v10, 0xff0, v11, v1
	v_lshl_or_b32 v11, v12, 4, v1
	v_lshl_or_b32 v12, v13, 4, v1
	ds_add_u32 v2, v18 offset:12288
	ds_add_u32 v10, v18
	ds_add_u32 v11, v18 offset:4096
	ds_add_u32 v12, v18 offset:8192
	v_xor_b32_e32 v2, 0x200, v9
	v_lshlrev_b32_e32 v9, 4, v8
	v_bfe_u32 v10, v8, 8, 8
	v_bfe_u32 v11, v8, 16, 8
	v_lshlrev_b32_sdwa v8, v15, v8 dst_sel:DWORD dst_unused:UNUSED_PAD src0_sel:DWORD src1_sel:BYTE_3
	v_lshl_or_b32 v2, v2, 2, v1
	v_and_or_b32 v9, 0xff0, v9, v1
	v_lshl_or_b32 v10, v10, 4, v1
	v_lshl_or_b32 v11, v11, 4, v1
	v_xor_b32_e32 v8, 0x200, v8
	ds_add_u32 v2, v18 offset:12288
	ds_add_u32 v9, v18
	ds_add_u32 v10, v18 offset:4096
	ds_add_u32 v11, v18 offset:8192
	v_bfe_u32 v9, v7, 8, 8
	v_bfe_u32 v10, v7, 16, 8
	v_lshl_or_b32 v2, v8, 2, v1
	v_lshlrev_b32_e32 v8, 4, v7
	v_lshlrev_b32_sdwa v7, v15, v7 dst_sel:DWORD dst_unused:UNUSED_PAD src0_sel:DWORD src1_sel:BYTE_3
	ds_add_u32 v2, v18 offset:12288
	v_and_or_b32 v2, 0xff0, v8, v1
	v_xor_b32_e32 v7, 0x200, v7
	v_lshl_or_b32 v8, v9, 4, v1
	v_lshl_or_b32 v9, v10, 4, v1
	v_lshlrev_b32_e32 v10, 4, v6
	ds_add_u32 v2, v18
	ds_add_u32 v8, v18 offset:4096
	ds_add_u32 v9, v18 offset:8192
	v_lshl_or_b32 v2, v7, 2, v1
	v_bfe_u32 v8, v6, 8, 8
	v_bfe_u32 v9, v6, 16, 8
	v_lshlrev_b32_sdwa v6, v15, v6 dst_sel:DWORD dst_unused:UNUSED_PAD src0_sel:DWORD src1_sel:BYTE_3
	v_and_or_b32 v7, 0xff0, v10, v1
	ds_add_u32 v2, v18 offset:12288
	ds_add_u32 v7, v18
	v_lshl_or_b32 v2, v8, 4, v1
	v_xor_b32_e32 v6, 0x200, v6
	v_lshlrev_b32_e32 v8, 4, v5
	v_lshl_or_b32 v7, v9, 4, v1
	v_bfe_u32 v9, v5, 8, 8
	ds_add_u32 v2, v18 offset:4096
	ds_add_u32 v7, v18 offset:8192
	v_lshl_or_b32 v2, v6, 2, v1
	v_and_or_b32 v6, 0xff0, v8, v1
	v_lshlrev_b32_sdwa v8, v15, v5 dst_sel:DWORD dst_unused:UNUSED_PAD src0_sel:DWORD src1_sel:BYTE_3
	v_lshl_or_b32 v7, v9, 4, v1
	v_bfe_u32 v5, v5, 16, 8
	ds_add_u32 v2, v18 offset:12288
	ds_add_u32 v6, v18
	ds_add_u32 v7, v18 offset:4096
	v_xor_b32_e32 v2, 0x200, v8
	v_lshlrev_b32_e32 v6, 4, v4
	v_lshl_or_b32 v5, v5, 4, v1
	v_bfe_u32 v7, v4, 8, 8
	v_bfe_u32 v8, v4, 16, 8
	v_lshl_or_b32 v2, v2, 2, v1
	ds_add_u32 v5, v18 offset:8192
	v_and_or_b32 v5, 0xff0, v6, v1
	v_lshl_or_b32 v6, v7, 4, v1
	ds_add_u32 v2, v18 offset:12288
	v_lshlrev_b32_sdwa v2, v15, v4 dst_sel:DWORD dst_unused:UNUSED_PAD src0_sel:DWORD src1_sel:BYTE_3
	v_lshl_or_b32 v7, v8, 4, v1
	v_lshlrev_b32_sdwa v4, v15, v3 dst_sel:DWORD dst_unused:UNUSED_PAD src0_sel:DWORD src1_sel:BYTE_3
	ds_add_u32 v5, v18
	ds_add_u32 v6, v18 offset:4096
	ds_add_u32 v7, v18 offset:8192
	v_xor_b32_e32 v2, 0x200, v2
	v_lshlrev_b32_e32 v5, 4, v3
	v_bfe_u32 v6, v3, 8, 8
	v_bfe_u32 v3, v3, 16, 8
	v_xor_b32_e32 v4, 0x200, v4
	v_lshl_or_b32 v2, v2, 2, v1
	v_and_or_b32 v5, 0xff0, v5, v1
	v_lshl_or_b32 v6, v6, 4, v1
	v_lshl_or_b32 v3, v3, 4, v1
	;; [unrolled: 1-line block ×3, first 2 shown]
	ds_add_u32 v2, v18 offset:12288
	ds_add_u32 v5, v18
	ds_add_u32 v6, v18 offset:4096
	ds_add_u32 v3, v18 offset:8192
	;; [unrolled: 1-line block ×3, first 2 shown]
	s_waitcnt lgkmcnt(0)
	s_barrier
	buffer_gl0_inv
	v_cmpx_gt_u32_e32 0x100, v0
	s_cbranch_execz .LBB812_325
; %bb.324:
	v_lshlrev_b32_e32 v5, 4, v0
	v_lshlrev_b32_e32 v6, 2, v0
	ds_read2_b32 v[1:2], v5 offset1:1
	ds_read2_b32 v[3:4], v5 offset0:2 offset1:3
	s_waitcnt lgkmcnt(1)
	v_add_nc_u32_e32 v1, v2, v1
	v_add_nc_u32_e32 v2, 0x1008, v5
	s_waitcnt lgkmcnt(0)
	v_add3_u32 v0, v1, v3, v4
	v_add_nc_u32_e32 v1, 0x1000, v5
	v_add_co_u32 v4, s0, s10, v6
	global_atomic_add v6, v0, s[10:11]
	ds_read2_b32 v[0:1], v1 offset1:1
	ds_read2_b32 v[2:3], v2 offset1:1
	s_waitcnt lgkmcnt(1)
	v_add_nc_u32_e32 v0, v1, v0
	v_add_nc_u32_e32 v1, 0x2000, v5
	s_waitcnt lgkmcnt(0)
	v_add3_u32 v0, v0, v2, v3
	v_add_nc_u32_e32 v2, 0x2008, v5
	global_atomic_add v6, v0, s[10:11] offset:1024
	ds_read2_b32 v[0:1], v1 offset1:1
	ds_read2_b32 v[2:3], v2 offset1:1
	v_add_co_ci_u32_e64 v6, null, s11, 0, s0
	s_waitcnt lgkmcnt(1)
	v_add_nc_u32_e32 v7, v1, v0
	v_add_co_u32 v0, vcc_lo, 0x800, v4
	v_add_co_ci_u32_e64 v1, null, 0, v6, vcc_lo
	s_waitcnt lgkmcnt(0)
	v_add3_u32 v2, v7, v2, v3
	v_add_nc_u32_e32 v3, 0x3000, v5
	v_add_nc_u32_e32 v4, 0x3008, v5
	global_atomic_add v[0:1], v2, off
	ds_read2_b32 v[2:3], v3 offset1:1
	ds_read2_b32 v[4:5], v4 offset1:1
	s_waitcnt lgkmcnt(1)
	v_add_nc_u32_e32 v2, v3, v2
	s_waitcnt lgkmcnt(0)
	v_add3_u32 v2, v2, v4, v5
	global_atomic_add v[0:1], v2, off offset:1024
.LBB812_325:
	s_endpgm
	.section	.rodata,"a",@progbits
	.p2align	6, 0x0
	.amdhsa_kernel _ZN7rocprim17ROCPRIM_400000_NS6detail17trampoline_kernelINS0_14default_configENS1_35radix_sort_onesweep_config_selectorIiiEEZNS1_34radix_sort_onesweep_global_offsetsIS3_Lb0EN6thrust23THRUST_200600_302600_NS6detail15normal_iteratorINS8_10device_ptrIiEEEESD_jNS0_19identity_decomposerEEE10hipError_tT1_T2_PT3_SI_jT4_jjP12ihipStream_tbEUlT_E_NS1_11comp_targetILNS1_3genE8ELNS1_11target_archE1030ELNS1_3gpuE2ELNS1_3repE0EEENS1_52radix_sort_onesweep_histogram_config_static_selectorELNS0_4arch9wavefront6targetE0EEEvSG_
		.amdhsa_group_segment_fixed_size 16384
		.amdhsa_private_segment_fixed_size 0
		.amdhsa_kernarg_size 40
		.amdhsa_user_sgpr_count 6
		.amdhsa_user_sgpr_private_segment_buffer 1
		.amdhsa_user_sgpr_dispatch_ptr 0
		.amdhsa_user_sgpr_queue_ptr 0
		.amdhsa_user_sgpr_kernarg_segment_ptr 1
		.amdhsa_user_sgpr_dispatch_id 0
		.amdhsa_user_sgpr_flat_scratch_init 0
		.amdhsa_user_sgpr_private_segment_size 0
		.amdhsa_wavefront_size32 1
		.amdhsa_uses_dynamic_stack 0
		.amdhsa_system_sgpr_private_segment_wavefront_offset 0
		.amdhsa_system_sgpr_workgroup_id_x 1
		.amdhsa_system_sgpr_workgroup_id_y 0
		.amdhsa_system_sgpr_workgroup_id_z 0
		.amdhsa_system_sgpr_workgroup_info 0
		.amdhsa_system_vgpr_workitem_id 0
		.amdhsa_next_free_vgpr 28
		.amdhsa_next_free_sgpr 14
		.amdhsa_reserve_vcc 1
		.amdhsa_reserve_flat_scratch 0
		.amdhsa_float_round_mode_32 0
		.amdhsa_float_round_mode_16_64 0
		.amdhsa_float_denorm_mode_32 3
		.amdhsa_float_denorm_mode_16_64 3
		.amdhsa_dx10_clamp 1
		.amdhsa_ieee_mode 1
		.amdhsa_fp16_overflow 0
		.amdhsa_workgroup_processor_mode 1
		.amdhsa_memory_ordered 1
		.amdhsa_forward_progress 1
		.amdhsa_shared_vgpr_count 0
		.amdhsa_exception_fp_ieee_invalid_op 0
		.amdhsa_exception_fp_denorm_src 0
		.amdhsa_exception_fp_ieee_div_zero 0
		.amdhsa_exception_fp_ieee_overflow 0
		.amdhsa_exception_fp_ieee_underflow 0
		.amdhsa_exception_fp_ieee_inexact 0
		.amdhsa_exception_int_div_zero 0
	.end_amdhsa_kernel
	.section	.text._ZN7rocprim17ROCPRIM_400000_NS6detail17trampoline_kernelINS0_14default_configENS1_35radix_sort_onesweep_config_selectorIiiEEZNS1_34radix_sort_onesweep_global_offsetsIS3_Lb0EN6thrust23THRUST_200600_302600_NS6detail15normal_iteratorINS8_10device_ptrIiEEEESD_jNS0_19identity_decomposerEEE10hipError_tT1_T2_PT3_SI_jT4_jjP12ihipStream_tbEUlT_E_NS1_11comp_targetILNS1_3genE8ELNS1_11target_archE1030ELNS1_3gpuE2ELNS1_3repE0EEENS1_52radix_sort_onesweep_histogram_config_static_selectorELNS0_4arch9wavefront6targetE0EEEvSG_,"axG",@progbits,_ZN7rocprim17ROCPRIM_400000_NS6detail17trampoline_kernelINS0_14default_configENS1_35radix_sort_onesweep_config_selectorIiiEEZNS1_34radix_sort_onesweep_global_offsetsIS3_Lb0EN6thrust23THRUST_200600_302600_NS6detail15normal_iteratorINS8_10device_ptrIiEEEESD_jNS0_19identity_decomposerEEE10hipError_tT1_T2_PT3_SI_jT4_jjP12ihipStream_tbEUlT_E_NS1_11comp_targetILNS1_3genE8ELNS1_11target_archE1030ELNS1_3gpuE2ELNS1_3repE0EEENS1_52radix_sort_onesweep_histogram_config_static_selectorELNS0_4arch9wavefront6targetE0EEEvSG_,comdat
.Lfunc_end812:
	.size	_ZN7rocprim17ROCPRIM_400000_NS6detail17trampoline_kernelINS0_14default_configENS1_35radix_sort_onesweep_config_selectorIiiEEZNS1_34radix_sort_onesweep_global_offsetsIS3_Lb0EN6thrust23THRUST_200600_302600_NS6detail15normal_iteratorINS8_10device_ptrIiEEEESD_jNS0_19identity_decomposerEEE10hipError_tT1_T2_PT3_SI_jT4_jjP12ihipStream_tbEUlT_E_NS1_11comp_targetILNS1_3genE8ELNS1_11target_archE1030ELNS1_3gpuE2ELNS1_3repE0EEENS1_52radix_sort_onesweep_histogram_config_static_selectorELNS0_4arch9wavefront6targetE0EEEvSG_, .Lfunc_end812-_ZN7rocprim17ROCPRIM_400000_NS6detail17trampoline_kernelINS0_14default_configENS1_35radix_sort_onesweep_config_selectorIiiEEZNS1_34radix_sort_onesweep_global_offsetsIS3_Lb0EN6thrust23THRUST_200600_302600_NS6detail15normal_iteratorINS8_10device_ptrIiEEEESD_jNS0_19identity_decomposerEEE10hipError_tT1_T2_PT3_SI_jT4_jjP12ihipStream_tbEUlT_E_NS1_11comp_targetILNS1_3genE8ELNS1_11target_archE1030ELNS1_3gpuE2ELNS1_3repE0EEENS1_52radix_sort_onesweep_histogram_config_static_selectorELNS0_4arch9wavefront6targetE0EEEvSG_
                                        ; -- End function
	.set _ZN7rocprim17ROCPRIM_400000_NS6detail17trampoline_kernelINS0_14default_configENS1_35radix_sort_onesweep_config_selectorIiiEEZNS1_34radix_sort_onesweep_global_offsetsIS3_Lb0EN6thrust23THRUST_200600_302600_NS6detail15normal_iteratorINS8_10device_ptrIiEEEESD_jNS0_19identity_decomposerEEE10hipError_tT1_T2_PT3_SI_jT4_jjP12ihipStream_tbEUlT_E_NS1_11comp_targetILNS1_3genE8ELNS1_11target_archE1030ELNS1_3gpuE2ELNS1_3repE0EEENS1_52radix_sort_onesweep_histogram_config_static_selectorELNS0_4arch9wavefront6targetE0EEEvSG_.num_vgpr, 28
	.set _ZN7rocprim17ROCPRIM_400000_NS6detail17trampoline_kernelINS0_14default_configENS1_35radix_sort_onesweep_config_selectorIiiEEZNS1_34radix_sort_onesweep_global_offsetsIS3_Lb0EN6thrust23THRUST_200600_302600_NS6detail15normal_iteratorINS8_10device_ptrIiEEEESD_jNS0_19identity_decomposerEEE10hipError_tT1_T2_PT3_SI_jT4_jjP12ihipStream_tbEUlT_E_NS1_11comp_targetILNS1_3genE8ELNS1_11target_archE1030ELNS1_3gpuE2ELNS1_3repE0EEENS1_52radix_sort_onesweep_histogram_config_static_selectorELNS0_4arch9wavefront6targetE0EEEvSG_.num_agpr, 0
	.set _ZN7rocprim17ROCPRIM_400000_NS6detail17trampoline_kernelINS0_14default_configENS1_35radix_sort_onesweep_config_selectorIiiEEZNS1_34radix_sort_onesweep_global_offsetsIS3_Lb0EN6thrust23THRUST_200600_302600_NS6detail15normal_iteratorINS8_10device_ptrIiEEEESD_jNS0_19identity_decomposerEEE10hipError_tT1_T2_PT3_SI_jT4_jjP12ihipStream_tbEUlT_E_NS1_11comp_targetILNS1_3genE8ELNS1_11target_archE1030ELNS1_3gpuE2ELNS1_3repE0EEENS1_52radix_sort_onesweep_histogram_config_static_selectorELNS0_4arch9wavefront6targetE0EEEvSG_.numbered_sgpr, 14
	.set _ZN7rocprim17ROCPRIM_400000_NS6detail17trampoline_kernelINS0_14default_configENS1_35radix_sort_onesweep_config_selectorIiiEEZNS1_34radix_sort_onesweep_global_offsetsIS3_Lb0EN6thrust23THRUST_200600_302600_NS6detail15normal_iteratorINS8_10device_ptrIiEEEESD_jNS0_19identity_decomposerEEE10hipError_tT1_T2_PT3_SI_jT4_jjP12ihipStream_tbEUlT_E_NS1_11comp_targetILNS1_3genE8ELNS1_11target_archE1030ELNS1_3gpuE2ELNS1_3repE0EEENS1_52radix_sort_onesweep_histogram_config_static_selectorELNS0_4arch9wavefront6targetE0EEEvSG_.num_named_barrier, 0
	.set _ZN7rocprim17ROCPRIM_400000_NS6detail17trampoline_kernelINS0_14default_configENS1_35radix_sort_onesweep_config_selectorIiiEEZNS1_34radix_sort_onesweep_global_offsetsIS3_Lb0EN6thrust23THRUST_200600_302600_NS6detail15normal_iteratorINS8_10device_ptrIiEEEESD_jNS0_19identity_decomposerEEE10hipError_tT1_T2_PT3_SI_jT4_jjP12ihipStream_tbEUlT_E_NS1_11comp_targetILNS1_3genE8ELNS1_11target_archE1030ELNS1_3gpuE2ELNS1_3repE0EEENS1_52radix_sort_onesweep_histogram_config_static_selectorELNS0_4arch9wavefront6targetE0EEEvSG_.private_seg_size, 0
	.set _ZN7rocprim17ROCPRIM_400000_NS6detail17trampoline_kernelINS0_14default_configENS1_35radix_sort_onesweep_config_selectorIiiEEZNS1_34radix_sort_onesweep_global_offsetsIS3_Lb0EN6thrust23THRUST_200600_302600_NS6detail15normal_iteratorINS8_10device_ptrIiEEEESD_jNS0_19identity_decomposerEEE10hipError_tT1_T2_PT3_SI_jT4_jjP12ihipStream_tbEUlT_E_NS1_11comp_targetILNS1_3genE8ELNS1_11target_archE1030ELNS1_3gpuE2ELNS1_3repE0EEENS1_52radix_sort_onesweep_histogram_config_static_selectorELNS0_4arch9wavefront6targetE0EEEvSG_.uses_vcc, 1
	.set _ZN7rocprim17ROCPRIM_400000_NS6detail17trampoline_kernelINS0_14default_configENS1_35radix_sort_onesweep_config_selectorIiiEEZNS1_34radix_sort_onesweep_global_offsetsIS3_Lb0EN6thrust23THRUST_200600_302600_NS6detail15normal_iteratorINS8_10device_ptrIiEEEESD_jNS0_19identity_decomposerEEE10hipError_tT1_T2_PT3_SI_jT4_jjP12ihipStream_tbEUlT_E_NS1_11comp_targetILNS1_3genE8ELNS1_11target_archE1030ELNS1_3gpuE2ELNS1_3repE0EEENS1_52radix_sort_onesweep_histogram_config_static_selectorELNS0_4arch9wavefront6targetE0EEEvSG_.uses_flat_scratch, 0
	.set _ZN7rocprim17ROCPRIM_400000_NS6detail17trampoline_kernelINS0_14default_configENS1_35radix_sort_onesweep_config_selectorIiiEEZNS1_34radix_sort_onesweep_global_offsetsIS3_Lb0EN6thrust23THRUST_200600_302600_NS6detail15normal_iteratorINS8_10device_ptrIiEEEESD_jNS0_19identity_decomposerEEE10hipError_tT1_T2_PT3_SI_jT4_jjP12ihipStream_tbEUlT_E_NS1_11comp_targetILNS1_3genE8ELNS1_11target_archE1030ELNS1_3gpuE2ELNS1_3repE0EEENS1_52radix_sort_onesweep_histogram_config_static_selectorELNS0_4arch9wavefront6targetE0EEEvSG_.has_dyn_sized_stack, 0
	.set _ZN7rocprim17ROCPRIM_400000_NS6detail17trampoline_kernelINS0_14default_configENS1_35radix_sort_onesweep_config_selectorIiiEEZNS1_34radix_sort_onesweep_global_offsetsIS3_Lb0EN6thrust23THRUST_200600_302600_NS6detail15normal_iteratorINS8_10device_ptrIiEEEESD_jNS0_19identity_decomposerEEE10hipError_tT1_T2_PT3_SI_jT4_jjP12ihipStream_tbEUlT_E_NS1_11comp_targetILNS1_3genE8ELNS1_11target_archE1030ELNS1_3gpuE2ELNS1_3repE0EEENS1_52radix_sort_onesweep_histogram_config_static_selectorELNS0_4arch9wavefront6targetE0EEEvSG_.has_recursion, 0
	.set _ZN7rocprim17ROCPRIM_400000_NS6detail17trampoline_kernelINS0_14default_configENS1_35radix_sort_onesweep_config_selectorIiiEEZNS1_34radix_sort_onesweep_global_offsetsIS3_Lb0EN6thrust23THRUST_200600_302600_NS6detail15normal_iteratorINS8_10device_ptrIiEEEESD_jNS0_19identity_decomposerEEE10hipError_tT1_T2_PT3_SI_jT4_jjP12ihipStream_tbEUlT_E_NS1_11comp_targetILNS1_3genE8ELNS1_11target_archE1030ELNS1_3gpuE2ELNS1_3repE0EEENS1_52radix_sort_onesweep_histogram_config_static_selectorELNS0_4arch9wavefront6targetE0EEEvSG_.has_indirect_call, 0
	.section	.AMDGPU.csdata,"",@progbits
; Kernel info:
; codeLenInByte = 10996
; TotalNumSgprs: 16
; NumVgprs: 28
; ScratchSize: 0
; MemoryBound: 0
; FloatMode: 240
; IeeeMode: 1
; LDSByteSize: 16384 bytes/workgroup (compile time only)
; SGPRBlocks: 0
; VGPRBlocks: 3
; NumSGPRsForWavesPerEU: 16
; NumVGPRsForWavesPerEU: 28
; Occupancy: 16
; WaveLimiterHint : 1
; COMPUTE_PGM_RSRC2:SCRATCH_EN: 0
; COMPUTE_PGM_RSRC2:USER_SGPR: 6
; COMPUTE_PGM_RSRC2:TRAP_HANDLER: 0
; COMPUTE_PGM_RSRC2:TGID_X_EN: 1
; COMPUTE_PGM_RSRC2:TGID_Y_EN: 0
; COMPUTE_PGM_RSRC2:TGID_Z_EN: 0
; COMPUTE_PGM_RSRC2:TIDIG_COMP_CNT: 0
	.section	.text._ZN7rocprim17ROCPRIM_400000_NS6detail17trampoline_kernelINS0_14default_configENS1_35radix_sort_onesweep_config_selectorIiiEEZNS1_34radix_sort_onesweep_global_offsetsIS3_Lb0EN6thrust23THRUST_200600_302600_NS6detail15normal_iteratorINS8_10device_ptrIiEEEESD_jNS0_19identity_decomposerEEE10hipError_tT1_T2_PT3_SI_jT4_jjP12ihipStream_tbEUlT_E0_NS1_11comp_targetILNS1_3genE0ELNS1_11target_archE4294967295ELNS1_3gpuE0ELNS1_3repE0EEENS1_52radix_sort_onesweep_histogram_config_static_selectorELNS0_4arch9wavefront6targetE0EEEvSG_,"axG",@progbits,_ZN7rocprim17ROCPRIM_400000_NS6detail17trampoline_kernelINS0_14default_configENS1_35radix_sort_onesweep_config_selectorIiiEEZNS1_34radix_sort_onesweep_global_offsetsIS3_Lb0EN6thrust23THRUST_200600_302600_NS6detail15normal_iteratorINS8_10device_ptrIiEEEESD_jNS0_19identity_decomposerEEE10hipError_tT1_T2_PT3_SI_jT4_jjP12ihipStream_tbEUlT_E0_NS1_11comp_targetILNS1_3genE0ELNS1_11target_archE4294967295ELNS1_3gpuE0ELNS1_3repE0EEENS1_52radix_sort_onesweep_histogram_config_static_selectorELNS0_4arch9wavefront6targetE0EEEvSG_,comdat
	.protected	_ZN7rocprim17ROCPRIM_400000_NS6detail17trampoline_kernelINS0_14default_configENS1_35radix_sort_onesweep_config_selectorIiiEEZNS1_34radix_sort_onesweep_global_offsetsIS3_Lb0EN6thrust23THRUST_200600_302600_NS6detail15normal_iteratorINS8_10device_ptrIiEEEESD_jNS0_19identity_decomposerEEE10hipError_tT1_T2_PT3_SI_jT4_jjP12ihipStream_tbEUlT_E0_NS1_11comp_targetILNS1_3genE0ELNS1_11target_archE4294967295ELNS1_3gpuE0ELNS1_3repE0EEENS1_52radix_sort_onesweep_histogram_config_static_selectorELNS0_4arch9wavefront6targetE0EEEvSG_ ; -- Begin function _ZN7rocprim17ROCPRIM_400000_NS6detail17trampoline_kernelINS0_14default_configENS1_35radix_sort_onesweep_config_selectorIiiEEZNS1_34radix_sort_onesweep_global_offsetsIS3_Lb0EN6thrust23THRUST_200600_302600_NS6detail15normal_iteratorINS8_10device_ptrIiEEEESD_jNS0_19identity_decomposerEEE10hipError_tT1_T2_PT3_SI_jT4_jjP12ihipStream_tbEUlT_E0_NS1_11comp_targetILNS1_3genE0ELNS1_11target_archE4294967295ELNS1_3gpuE0ELNS1_3repE0EEENS1_52radix_sort_onesweep_histogram_config_static_selectorELNS0_4arch9wavefront6targetE0EEEvSG_
	.globl	_ZN7rocprim17ROCPRIM_400000_NS6detail17trampoline_kernelINS0_14default_configENS1_35radix_sort_onesweep_config_selectorIiiEEZNS1_34radix_sort_onesweep_global_offsetsIS3_Lb0EN6thrust23THRUST_200600_302600_NS6detail15normal_iteratorINS8_10device_ptrIiEEEESD_jNS0_19identity_decomposerEEE10hipError_tT1_T2_PT3_SI_jT4_jjP12ihipStream_tbEUlT_E0_NS1_11comp_targetILNS1_3genE0ELNS1_11target_archE4294967295ELNS1_3gpuE0ELNS1_3repE0EEENS1_52radix_sort_onesweep_histogram_config_static_selectorELNS0_4arch9wavefront6targetE0EEEvSG_
	.p2align	8
	.type	_ZN7rocprim17ROCPRIM_400000_NS6detail17trampoline_kernelINS0_14default_configENS1_35radix_sort_onesweep_config_selectorIiiEEZNS1_34radix_sort_onesweep_global_offsetsIS3_Lb0EN6thrust23THRUST_200600_302600_NS6detail15normal_iteratorINS8_10device_ptrIiEEEESD_jNS0_19identity_decomposerEEE10hipError_tT1_T2_PT3_SI_jT4_jjP12ihipStream_tbEUlT_E0_NS1_11comp_targetILNS1_3genE0ELNS1_11target_archE4294967295ELNS1_3gpuE0ELNS1_3repE0EEENS1_52radix_sort_onesweep_histogram_config_static_selectorELNS0_4arch9wavefront6targetE0EEEvSG_,@function
_ZN7rocprim17ROCPRIM_400000_NS6detail17trampoline_kernelINS0_14default_configENS1_35radix_sort_onesweep_config_selectorIiiEEZNS1_34radix_sort_onesweep_global_offsetsIS3_Lb0EN6thrust23THRUST_200600_302600_NS6detail15normal_iteratorINS8_10device_ptrIiEEEESD_jNS0_19identity_decomposerEEE10hipError_tT1_T2_PT3_SI_jT4_jjP12ihipStream_tbEUlT_E0_NS1_11comp_targetILNS1_3genE0ELNS1_11target_archE4294967295ELNS1_3gpuE0ELNS1_3repE0EEENS1_52radix_sort_onesweep_histogram_config_static_selectorELNS0_4arch9wavefront6targetE0EEEvSG_: ; @_ZN7rocprim17ROCPRIM_400000_NS6detail17trampoline_kernelINS0_14default_configENS1_35radix_sort_onesweep_config_selectorIiiEEZNS1_34radix_sort_onesweep_global_offsetsIS3_Lb0EN6thrust23THRUST_200600_302600_NS6detail15normal_iteratorINS8_10device_ptrIiEEEESD_jNS0_19identity_decomposerEEE10hipError_tT1_T2_PT3_SI_jT4_jjP12ihipStream_tbEUlT_E0_NS1_11comp_targetILNS1_3genE0ELNS1_11target_archE4294967295ELNS1_3gpuE0ELNS1_3repE0EEENS1_52radix_sort_onesweep_histogram_config_static_selectorELNS0_4arch9wavefront6targetE0EEEvSG_
; %bb.0:
	.section	.rodata,"a",@progbits
	.p2align	6, 0x0
	.amdhsa_kernel _ZN7rocprim17ROCPRIM_400000_NS6detail17trampoline_kernelINS0_14default_configENS1_35radix_sort_onesweep_config_selectorIiiEEZNS1_34radix_sort_onesweep_global_offsetsIS3_Lb0EN6thrust23THRUST_200600_302600_NS6detail15normal_iteratorINS8_10device_ptrIiEEEESD_jNS0_19identity_decomposerEEE10hipError_tT1_T2_PT3_SI_jT4_jjP12ihipStream_tbEUlT_E0_NS1_11comp_targetILNS1_3genE0ELNS1_11target_archE4294967295ELNS1_3gpuE0ELNS1_3repE0EEENS1_52radix_sort_onesweep_histogram_config_static_selectorELNS0_4arch9wavefront6targetE0EEEvSG_
		.amdhsa_group_segment_fixed_size 0
		.amdhsa_private_segment_fixed_size 0
		.amdhsa_kernarg_size 8
		.amdhsa_user_sgpr_count 6
		.amdhsa_user_sgpr_private_segment_buffer 1
		.amdhsa_user_sgpr_dispatch_ptr 0
		.amdhsa_user_sgpr_queue_ptr 0
		.amdhsa_user_sgpr_kernarg_segment_ptr 1
		.amdhsa_user_sgpr_dispatch_id 0
		.amdhsa_user_sgpr_flat_scratch_init 0
		.amdhsa_user_sgpr_private_segment_size 0
		.amdhsa_wavefront_size32 1
		.amdhsa_uses_dynamic_stack 0
		.amdhsa_system_sgpr_private_segment_wavefront_offset 0
		.amdhsa_system_sgpr_workgroup_id_x 1
		.amdhsa_system_sgpr_workgroup_id_y 0
		.amdhsa_system_sgpr_workgroup_id_z 0
		.amdhsa_system_sgpr_workgroup_info 0
		.amdhsa_system_vgpr_workitem_id 0
		.amdhsa_next_free_vgpr 1
		.amdhsa_next_free_sgpr 1
		.amdhsa_reserve_vcc 0
		.amdhsa_reserve_flat_scratch 0
		.amdhsa_float_round_mode_32 0
		.amdhsa_float_round_mode_16_64 0
		.amdhsa_float_denorm_mode_32 3
		.amdhsa_float_denorm_mode_16_64 3
		.amdhsa_dx10_clamp 1
		.amdhsa_ieee_mode 1
		.amdhsa_fp16_overflow 0
		.amdhsa_workgroup_processor_mode 1
		.amdhsa_memory_ordered 1
		.amdhsa_forward_progress 1
		.amdhsa_shared_vgpr_count 0
		.amdhsa_exception_fp_ieee_invalid_op 0
		.amdhsa_exception_fp_denorm_src 0
		.amdhsa_exception_fp_ieee_div_zero 0
		.amdhsa_exception_fp_ieee_overflow 0
		.amdhsa_exception_fp_ieee_underflow 0
		.amdhsa_exception_fp_ieee_inexact 0
		.amdhsa_exception_int_div_zero 0
	.end_amdhsa_kernel
	.section	.text._ZN7rocprim17ROCPRIM_400000_NS6detail17trampoline_kernelINS0_14default_configENS1_35radix_sort_onesweep_config_selectorIiiEEZNS1_34radix_sort_onesweep_global_offsetsIS3_Lb0EN6thrust23THRUST_200600_302600_NS6detail15normal_iteratorINS8_10device_ptrIiEEEESD_jNS0_19identity_decomposerEEE10hipError_tT1_T2_PT3_SI_jT4_jjP12ihipStream_tbEUlT_E0_NS1_11comp_targetILNS1_3genE0ELNS1_11target_archE4294967295ELNS1_3gpuE0ELNS1_3repE0EEENS1_52radix_sort_onesweep_histogram_config_static_selectorELNS0_4arch9wavefront6targetE0EEEvSG_,"axG",@progbits,_ZN7rocprim17ROCPRIM_400000_NS6detail17trampoline_kernelINS0_14default_configENS1_35radix_sort_onesweep_config_selectorIiiEEZNS1_34radix_sort_onesweep_global_offsetsIS3_Lb0EN6thrust23THRUST_200600_302600_NS6detail15normal_iteratorINS8_10device_ptrIiEEEESD_jNS0_19identity_decomposerEEE10hipError_tT1_T2_PT3_SI_jT4_jjP12ihipStream_tbEUlT_E0_NS1_11comp_targetILNS1_3genE0ELNS1_11target_archE4294967295ELNS1_3gpuE0ELNS1_3repE0EEENS1_52radix_sort_onesweep_histogram_config_static_selectorELNS0_4arch9wavefront6targetE0EEEvSG_,comdat
.Lfunc_end813:
	.size	_ZN7rocprim17ROCPRIM_400000_NS6detail17trampoline_kernelINS0_14default_configENS1_35radix_sort_onesweep_config_selectorIiiEEZNS1_34radix_sort_onesweep_global_offsetsIS3_Lb0EN6thrust23THRUST_200600_302600_NS6detail15normal_iteratorINS8_10device_ptrIiEEEESD_jNS0_19identity_decomposerEEE10hipError_tT1_T2_PT3_SI_jT4_jjP12ihipStream_tbEUlT_E0_NS1_11comp_targetILNS1_3genE0ELNS1_11target_archE4294967295ELNS1_3gpuE0ELNS1_3repE0EEENS1_52radix_sort_onesweep_histogram_config_static_selectorELNS0_4arch9wavefront6targetE0EEEvSG_, .Lfunc_end813-_ZN7rocprim17ROCPRIM_400000_NS6detail17trampoline_kernelINS0_14default_configENS1_35radix_sort_onesweep_config_selectorIiiEEZNS1_34radix_sort_onesweep_global_offsetsIS3_Lb0EN6thrust23THRUST_200600_302600_NS6detail15normal_iteratorINS8_10device_ptrIiEEEESD_jNS0_19identity_decomposerEEE10hipError_tT1_T2_PT3_SI_jT4_jjP12ihipStream_tbEUlT_E0_NS1_11comp_targetILNS1_3genE0ELNS1_11target_archE4294967295ELNS1_3gpuE0ELNS1_3repE0EEENS1_52radix_sort_onesweep_histogram_config_static_selectorELNS0_4arch9wavefront6targetE0EEEvSG_
                                        ; -- End function
	.set _ZN7rocprim17ROCPRIM_400000_NS6detail17trampoline_kernelINS0_14default_configENS1_35radix_sort_onesweep_config_selectorIiiEEZNS1_34radix_sort_onesweep_global_offsetsIS3_Lb0EN6thrust23THRUST_200600_302600_NS6detail15normal_iteratorINS8_10device_ptrIiEEEESD_jNS0_19identity_decomposerEEE10hipError_tT1_T2_PT3_SI_jT4_jjP12ihipStream_tbEUlT_E0_NS1_11comp_targetILNS1_3genE0ELNS1_11target_archE4294967295ELNS1_3gpuE0ELNS1_3repE0EEENS1_52radix_sort_onesweep_histogram_config_static_selectorELNS0_4arch9wavefront6targetE0EEEvSG_.num_vgpr, 0
	.set _ZN7rocprim17ROCPRIM_400000_NS6detail17trampoline_kernelINS0_14default_configENS1_35radix_sort_onesweep_config_selectorIiiEEZNS1_34radix_sort_onesweep_global_offsetsIS3_Lb0EN6thrust23THRUST_200600_302600_NS6detail15normal_iteratorINS8_10device_ptrIiEEEESD_jNS0_19identity_decomposerEEE10hipError_tT1_T2_PT3_SI_jT4_jjP12ihipStream_tbEUlT_E0_NS1_11comp_targetILNS1_3genE0ELNS1_11target_archE4294967295ELNS1_3gpuE0ELNS1_3repE0EEENS1_52radix_sort_onesweep_histogram_config_static_selectorELNS0_4arch9wavefront6targetE0EEEvSG_.num_agpr, 0
	.set _ZN7rocprim17ROCPRIM_400000_NS6detail17trampoline_kernelINS0_14default_configENS1_35radix_sort_onesweep_config_selectorIiiEEZNS1_34radix_sort_onesweep_global_offsetsIS3_Lb0EN6thrust23THRUST_200600_302600_NS6detail15normal_iteratorINS8_10device_ptrIiEEEESD_jNS0_19identity_decomposerEEE10hipError_tT1_T2_PT3_SI_jT4_jjP12ihipStream_tbEUlT_E0_NS1_11comp_targetILNS1_3genE0ELNS1_11target_archE4294967295ELNS1_3gpuE0ELNS1_3repE0EEENS1_52radix_sort_onesweep_histogram_config_static_selectorELNS0_4arch9wavefront6targetE0EEEvSG_.numbered_sgpr, 0
	.set _ZN7rocprim17ROCPRIM_400000_NS6detail17trampoline_kernelINS0_14default_configENS1_35radix_sort_onesweep_config_selectorIiiEEZNS1_34radix_sort_onesweep_global_offsetsIS3_Lb0EN6thrust23THRUST_200600_302600_NS6detail15normal_iteratorINS8_10device_ptrIiEEEESD_jNS0_19identity_decomposerEEE10hipError_tT1_T2_PT3_SI_jT4_jjP12ihipStream_tbEUlT_E0_NS1_11comp_targetILNS1_3genE0ELNS1_11target_archE4294967295ELNS1_3gpuE0ELNS1_3repE0EEENS1_52radix_sort_onesweep_histogram_config_static_selectorELNS0_4arch9wavefront6targetE0EEEvSG_.num_named_barrier, 0
	.set _ZN7rocprim17ROCPRIM_400000_NS6detail17trampoline_kernelINS0_14default_configENS1_35radix_sort_onesweep_config_selectorIiiEEZNS1_34radix_sort_onesweep_global_offsetsIS3_Lb0EN6thrust23THRUST_200600_302600_NS6detail15normal_iteratorINS8_10device_ptrIiEEEESD_jNS0_19identity_decomposerEEE10hipError_tT1_T2_PT3_SI_jT4_jjP12ihipStream_tbEUlT_E0_NS1_11comp_targetILNS1_3genE0ELNS1_11target_archE4294967295ELNS1_3gpuE0ELNS1_3repE0EEENS1_52radix_sort_onesweep_histogram_config_static_selectorELNS0_4arch9wavefront6targetE0EEEvSG_.private_seg_size, 0
	.set _ZN7rocprim17ROCPRIM_400000_NS6detail17trampoline_kernelINS0_14default_configENS1_35radix_sort_onesweep_config_selectorIiiEEZNS1_34radix_sort_onesweep_global_offsetsIS3_Lb0EN6thrust23THRUST_200600_302600_NS6detail15normal_iteratorINS8_10device_ptrIiEEEESD_jNS0_19identity_decomposerEEE10hipError_tT1_T2_PT3_SI_jT4_jjP12ihipStream_tbEUlT_E0_NS1_11comp_targetILNS1_3genE0ELNS1_11target_archE4294967295ELNS1_3gpuE0ELNS1_3repE0EEENS1_52radix_sort_onesweep_histogram_config_static_selectorELNS0_4arch9wavefront6targetE0EEEvSG_.uses_vcc, 0
	.set _ZN7rocprim17ROCPRIM_400000_NS6detail17trampoline_kernelINS0_14default_configENS1_35radix_sort_onesweep_config_selectorIiiEEZNS1_34radix_sort_onesweep_global_offsetsIS3_Lb0EN6thrust23THRUST_200600_302600_NS6detail15normal_iteratorINS8_10device_ptrIiEEEESD_jNS0_19identity_decomposerEEE10hipError_tT1_T2_PT3_SI_jT4_jjP12ihipStream_tbEUlT_E0_NS1_11comp_targetILNS1_3genE0ELNS1_11target_archE4294967295ELNS1_3gpuE0ELNS1_3repE0EEENS1_52radix_sort_onesweep_histogram_config_static_selectorELNS0_4arch9wavefront6targetE0EEEvSG_.uses_flat_scratch, 0
	.set _ZN7rocprim17ROCPRIM_400000_NS6detail17trampoline_kernelINS0_14default_configENS1_35radix_sort_onesweep_config_selectorIiiEEZNS1_34radix_sort_onesweep_global_offsetsIS3_Lb0EN6thrust23THRUST_200600_302600_NS6detail15normal_iteratorINS8_10device_ptrIiEEEESD_jNS0_19identity_decomposerEEE10hipError_tT1_T2_PT3_SI_jT4_jjP12ihipStream_tbEUlT_E0_NS1_11comp_targetILNS1_3genE0ELNS1_11target_archE4294967295ELNS1_3gpuE0ELNS1_3repE0EEENS1_52radix_sort_onesweep_histogram_config_static_selectorELNS0_4arch9wavefront6targetE0EEEvSG_.has_dyn_sized_stack, 0
	.set _ZN7rocprim17ROCPRIM_400000_NS6detail17trampoline_kernelINS0_14default_configENS1_35radix_sort_onesweep_config_selectorIiiEEZNS1_34radix_sort_onesweep_global_offsetsIS3_Lb0EN6thrust23THRUST_200600_302600_NS6detail15normal_iteratorINS8_10device_ptrIiEEEESD_jNS0_19identity_decomposerEEE10hipError_tT1_T2_PT3_SI_jT4_jjP12ihipStream_tbEUlT_E0_NS1_11comp_targetILNS1_3genE0ELNS1_11target_archE4294967295ELNS1_3gpuE0ELNS1_3repE0EEENS1_52radix_sort_onesweep_histogram_config_static_selectorELNS0_4arch9wavefront6targetE0EEEvSG_.has_recursion, 0
	.set _ZN7rocprim17ROCPRIM_400000_NS6detail17trampoline_kernelINS0_14default_configENS1_35radix_sort_onesweep_config_selectorIiiEEZNS1_34radix_sort_onesweep_global_offsetsIS3_Lb0EN6thrust23THRUST_200600_302600_NS6detail15normal_iteratorINS8_10device_ptrIiEEEESD_jNS0_19identity_decomposerEEE10hipError_tT1_T2_PT3_SI_jT4_jjP12ihipStream_tbEUlT_E0_NS1_11comp_targetILNS1_3genE0ELNS1_11target_archE4294967295ELNS1_3gpuE0ELNS1_3repE0EEENS1_52radix_sort_onesweep_histogram_config_static_selectorELNS0_4arch9wavefront6targetE0EEEvSG_.has_indirect_call, 0
	.section	.AMDGPU.csdata,"",@progbits
; Kernel info:
; codeLenInByte = 0
; TotalNumSgprs: 0
; NumVgprs: 0
; ScratchSize: 0
; MemoryBound: 0
; FloatMode: 240
; IeeeMode: 1
; LDSByteSize: 0 bytes/workgroup (compile time only)
; SGPRBlocks: 0
; VGPRBlocks: 0
; NumSGPRsForWavesPerEU: 1
; NumVGPRsForWavesPerEU: 1
; Occupancy: 16
; WaveLimiterHint : 0
; COMPUTE_PGM_RSRC2:SCRATCH_EN: 0
; COMPUTE_PGM_RSRC2:USER_SGPR: 6
; COMPUTE_PGM_RSRC2:TRAP_HANDLER: 0
; COMPUTE_PGM_RSRC2:TGID_X_EN: 1
; COMPUTE_PGM_RSRC2:TGID_Y_EN: 0
; COMPUTE_PGM_RSRC2:TGID_Z_EN: 0
; COMPUTE_PGM_RSRC2:TIDIG_COMP_CNT: 0
	.section	.text._ZN7rocprim17ROCPRIM_400000_NS6detail17trampoline_kernelINS0_14default_configENS1_35radix_sort_onesweep_config_selectorIiiEEZNS1_34radix_sort_onesweep_global_offsetsIS3_Lb0EN6thrust23THRUST_200600_302600_NS6detail15normal_iteratorINS8_10device_ptrIiEEEESD_jNS0_19identity_decomposerEEE10hipError_tT1_T2_PT3_SI_jT4_jjP12ihipStream_tbEUlT_E0_NS1_11comp_targetILNS1_3genE6ELNS1_11target_archE950ELNS1_3gpuE13ELNS1_3repE0EEENS1_52radix_sort_onesweep_histogram_config_static_selectorELNS0_4arch9wavefront6targetE0EEEvSG_,"axG",@progbits,_ZN7rocprim17ROCPRIM_400000_NS6detail17trampoline_kernelINS0_14default_configENS1_35radix_sort_onesweep_config_selectorIiiEEZNS1_34radix_sort_onesweep_global_offsetsIS3_Lb0EN6thrust23THRUST_200600_302600_NS6detail15normal_iteratorINS8_10device_ptrIiEEEESD_jNS0_19identity_decomposerEEE10hipError_tT1_T2_PT3_SI_jT4_jjP12ihipStream_tbEUlT_E0_NS1_11comp_targetILNS1_3genE6ELNS1_11target_archE950ELNS1_3gpuE13ELNS1_3repE0EEENS1_52radix_sort_onesweep_histogram_config_static_selectorELNS0_4arch9wavefront6targetE0EEEvSG_,comdat
	.protected	_ZN7rocprim17ROCPRIM_400000_NS6detail17trampoline_kernelINS0_14default_configENS1_35radix_sort_onesweep_config_selectorIiiEEZNS1_34radix_sort_onesweep_global_offsetsIS3_Lb0EN6thrust23THRUST_200600_302600_NS6detail15normal_iteratorINS8_10device_ptrIiEEEESD_jNS0_19identity_decomposerEEE10hipError_tT1_T2_PT3_SI_jT4_jjP12ihipStream_tbEUlT_E0_NS1_11comp_targetILNS1_3genE6ELNS1_11target_archE950ELNS1_3gpuE13ELNS1_3repE0EEENS1_52radix_sort_onesweep_histogram_config_static_selectorELNS0_4arch9wavefront6targetE0EEEvSG_ ; -- Begin function _ZN7rocprim17ROCPRIM_400000_NS6detail17trampoline_kernelINS0_14default_configENS1_35radix_sort_onesweep_config_selectorIiiEEZNS1_34radix_sort_onesweep_global_offsetsIS3_Lb0EN6thrust23THRUST_200600_302600_NS6detail15normal_iteratorINS8_10device_ptrIiEEEESD_jNS0_19identity_decomposerEEE10hipError_tT1_T2_PT3_SI_jT4_jjP12ihipStream_tbEUlT_E0_NS1_11comp_targetILNS1_3genE6ELNS1_11target_archE950ELNS1_3gpuE13ELNS1_3repE0EEENS1_52radix_sort_onesweep_histogram_config_static_selectorELNS0_4arch9wavefront6targetE0EEEvSG_
	.globl	_ZN7rocprim17ROCPRIM_400000_NS6detail17trampoline_kernelINS0_14default_configENS1_35radix_sort_onesweep_config_selectorIiiEEZNS1_34radix_sort_onesweep_global_offsetsIS3_Lb0EN6thrust23THRUST_200600_302600_NS6detail15normal_iteratorINS8_10device_ptrIiEEEESD_jNS0_19identity_decomposerEEE10hipError_tT1_T2_PT3_SI_jT4_jjP12ihipStream_tbEUlT_E0_NS1_11comp_targetILNS1_3genE6ELNS1_11target_archE950ELNS1_3gpuE13ELNS1_3repE0EEENS1_52radix_sort_onesweep_histogram_config_static_selectorELNS0_4arch9wavefront6targetE0EEEvSG_
	.p2align	8
	.type	_ZN7rocprim17ROCPRIM_400000_NS6detail17trampoline_kernelINS0_14default_configENS1_35radix_sort_onesweep_config_selectorIiiEEZNS1_34radix_sort_onesweep_global_offsetsIS3_Lb0EN6thrust23THRUST_200600_302600_NS6detail15normal_iteratorINS8_10device_ptrIiEEEESD_jNS0_19identity_decomposerEEE10hipError_tT1_T2_PT3_SI_jT4_jjP12ihipStream_tbEUlT_E0_NS1_11comp_targetILNS1_3genE6ELNS1_11target_archE950ELNS1_3gpuE13ELNS1_3repE0EEENS1_52radix_sort_onesweep_histogram_config_static_selectorELNS0_4arch9wavefront6targetE0EEEvSG_,@function
_ZN7rocprim17ROCPRIM_400000_NS6detail17trampoline_kernelINS0_14default_configENS1_35radix_sort_onesweep_config_selectorIiiEEZNS1_34radix_sort_onesweep_global_offsetsIS3_Lb0EN6thrust23THRUST_200600_302600_NS6detail15normal_iteratorINS8_10device_ptrIiEEEESD_jNS0_19identity_decomposerEEE10hipError_tT1_T2_PT3_SI_jT4_jjP12ihipStream_tbEUlT_E0_NS1_11comp_targetILNS1_3genE6ELNS1_11target_archE950ELNS1_3gpuE13ELNS1_3repE0EEENS1_52radix_sort_onesweep_histogram_config_static_selectorELNS0_4arch9wavefront6targetE0EEEvSG_: ; @_ZN7rocprim17ROCPRIM_400000_NS6detail17trampoline_kernelINS0_14default_configENS1_35radix_sort_onesweep_config_selectorIiiEEZNS1_34radix_sort_onesweep_global_offsetsIS3_Lb0EN6thrust23THRUST_200600_302600_NS6detail15normal_iteratorINS8_10device_ptrIiEEEESD_jNS0_19identity_decomposerEEE10hipError_tT1_T2_PT3_SI_jT4_jjP12ihipStream_tbEUlT_E0_NS1_11comp_targetILNS1_3genE6ELNS1_11target_archE950ELNS1_3gpuE13ELNS1_3repE0EEENS1_52radix_sort_onesweep_histogram_config_static_selectorELNS0_4arch9wavefront6targetE0EEEvSG_
; %bb.0:
	.section	.rodata,"a",@progbits
	.p2align	6, 0x0
	.amdhsa_kernel _ZN7rocprim17ROCPRIM_400000_NS6detail17trampoline_kernelINS0_14default_configENS1_35radix_sort_onesweep_config_selectorIiiEEZNS1_34radix_sort_onesweep_global_offsetsIS3_Lb0EN6thrust23THRUST_200600_302600_NS6detail15normal_iteratorINS8_10device_ptrIiEEEESD_jNS0_19identity_decomposerEEE10hipError_tT1_T2_PT3_SI_jT4_jjP12ihipStream_tbEUlT_E0_NS1_11comp_targetILNS1_3genE6ELNS1_11target_archE950ELNS1_3gpuE13ELNS1_3repE0EEENS1_52radix_sort_onesweep_histogram_config_static_selectorELNS0_4arch9wavefront6targetE0EEEvSG_
		.amdhsa_group_segment_fixed_size 0
		.amdhsa_private_segment_fixed_size 0
		.amdhsa_kernarg_size 8
		.amdhsa_user_sgpr_count 6
		.amdhsa_user_sgpr_private_segment_buffer 1
		.amdhsa_user_sgpr_dispatch_ptr 0
		.amdhsa_user_sgpr_queue_ptr 0
		.amdhsa_user_sgpr_kernarg_segment_ptr 1
		.amdhsa_user_sgpr_dispatch_id 0
		.amdhsa_user_sgpr_flat_scratch_init 0
		.amdhsa_user_sgpr_private_segment_size 0
		.amdhsa_wavefront_size32 1
		.amdhsa_uses_dynamic_stack 0
		.amdhsa_system_sgpr_private_segment_wavefront_offset 0
		.amdhsa_system_sgpr_workgroup_id_x 1
		.amdhsa_system_sgpr_workgroup_id_y 0
		.amdhsa_system_sgpr_workgroup_id_z 0
		.amdhsa_system_sgpr_workgroup_info 0
		.amdhsa_system_vgpr_workitem_id 0
		.amdhsa_next_free_vgpr 1
		.amdhsa_next_free_sgpr 1
		.amdhsa_reserve_vcc 0
		.amdhsa_reserve_flat_scratch 0
		.amdhsa_float_round_mode_32 0
		.amdhsa_float_round_mode_16_64 0
		.amdhsa_float_denorm_mode_32 3
		.amdhsa_float_denorm_mode_16_64 3
		.amdhsa_dx10_clamp 1
		.amdhsa_ieee_mode 1
		.amdhsa_fp16_overflow 0
		.amdhsa_workgroup_processor_mode 1
		.amdhsa_memory_ordered 1
		.amdhsa_forward_progress 1
		.amdhsa_shared_vgpr_count 0
		.amdhsa_exception_fp_ieee_invalid_op 0
		.amdhsa_exception_fp_denorm_src 0
		.amdhsa_exception_fp_ieee_div_zero 0
		.amdhsa_exception_fp_ieee_overflow 0
		.amdhsa_exception_fp_ieee_underflow 0
		.amdhsa_exception_fp_ieee_inexact 0
		.amdhsa_exception_int_div_zero 0
	.end_amdhsa_kernel
	.section	.text._ZN7rocprim17ROCPRIM_400000_NS6detail17trampoline_kernelINS0_14default_configENS1_35radix_sort_onesweep_config_selectorIiiEEZNS1_34radix_sort_onesweep_global_offsetsIS3_Lb0EN6thrust23THRUST_200600_302600_NS6detail15normal_iteratorINS8_10device_ptrIiEEEESD_jNS0_19identity_decomposerEEE10hipError_tT1_T2_PT3_SI_jT4_jjP12ihipStream_tbEUlT_E0_NS1_11comp_targetILNS1_3genE6ELNS1_11target_archE950ELNS1_3gpuE13ELNS1_3repE0EEENS1_52radix_sort_onesweep_histogram_config_static_selectorELNS0_4arch9wavefront6targetE0EEEvSG_,"axG",@progbits,_ZN7rocprim17ROCPRIM_400000_NS6detail17trampoline_kernelINS0_14default_configENS1_35radix_sort_onesweep_config_selectorIiiEEZNS1_34radix_sort_onesweep_global_offsetsIS3_Lb0EN6thrust23THRUST_200600_302600_NS6detail15normal_iteratorINS8_10device_ptrIiEEEESD_jNS0_19identity_decomposerEEE10hipError_tT1_T2_PT3_SI_jT4_jjP12ihipStream_tbEUlT_E0_NS1_11comp_targetILNS1_3genE6ELNS1_11target_archE950ELNS1_3gpuE13ELNS1_3repE0EEENS1_52radix_sort_onesweep_histogram_config_static_selectorELNS0_4arch9wavefront6targetE0EEEvSG_,comdat
.Lfunc_end814:
	.size	_ZN7rocprim17ROCPRIM_400000_NS6detail17trampoline_kernelINS0_14default_configENS1_35radix_sort_onesweep_config_selectorIiiEEZNS1_34radix_sort_onesweep_global_offsetsIS3_Lb0EN6thrust23THRUST_200600_302600_NS6detail15normal_iteratorINS8_10device_ptrIiEEEESD_jNS0_19identity_decomposerEEE10hipError_tT1_T2_PT3_SI_jT4_jjP12ihipStream_tbEUlT_E0_NS1_11comp_targetILNS1_3genE6ELNS1_11target_archE950ELNS1_3gpuE13ELNS1_3repE0EEENS1_52radix_sort_onesweep_histogram_config_static_selectorELNS0_4arch9wavefront6targetE0EEEvSG_, .Lfunc_end814-_ZN7rocprim17ROCPRIM_400000_NS6detail17trampoline_kernelINS0_14default_configENS1_35radix_sort_onesweep_config_selectorIiiEEZNS1_34radix_sort_onesweep_global_offsetsIS3_Lb0EN6thrust23THRUST_200600_302600_NS6detail15normal_iteratorINS8_10device_ptrIiEEEESD_jNS0_19identity_decomposerEEE10hipError_tT1_T2_PT3_SI_jT4_jjP12ihipStream_tbEUlT_E0_NS1_11comp_targetILNS1_3genE6ELNS1_11target_archE950ELNS1_3gpuE13ELNS1_3repE0EEENS1_52radix_sort_onesweep_histogram_config_static_selectorELNS0_4arch9wavefront6targetE0EEEvSG_
                                        ; -- End function
	.set _ZN7rocprim17ROCPRIM_400000_NS6detail17trampoline_kernelINS0_14default_configENS1_35radix_sort_onesweep_config_selectorIiiEEZNS1_34radix_sort_onesweep_global_offsetsIS3_Lb0EN6thrust23THRUST_200600_302600_NS6detail15normal_iteratorINS8_10device_ptrIiEEEESD_jNS0_19identity_decomposerEEE10hipError_tT1_T2_PT3_SI_jT4_jjP12ihipStream_tbEUlT_E0_NS1_11comp_targetILNS1_3genE6ELNS1_11target_archE950ELNS1_3gpuE13ELNS1_3repE0EEENS1_52radix_sort_onesweep_histogram_config_static_selectorELNS0_4arch9wavefront6targetE0EEEvSG_.num_vgpr, 0
	.set _ZN7rocprim17ROCPRIM_400000_NS6detail17trampoline_kernelINS0_14default_configENS1_35radix_sort_onesweep_config_selectorIiiEEZNS1_34radix_sort_onesweep_global_offsetsIS3_Lb0EN6thrust23THRUST_200600_302600_NS6detail15normal_iteratorINS8_10device_ptrIiEEEESD_jNS0_19identity_decomposerEEE10hipError_tT1_T2_PT3_SI_jT4_jjP12ihipStream_tbEUlT_E0_NS1_11comp_targetILNS1_3genE6ELNS1_11target_archE950ELNS1_3gpuE13ELNS1_3repE0EEENS1_52radix_sort_onesweep_histogram_config_static_selectorELNS0_4arch9wavefront6targetE0EEEvSG_.num_agpr, 0
	.set _ZN7rocprim17ROCPRIM_400000_NS6detail17trampoline_kernelINS0_14default_configENS1_35radix_sort_onesweep_config_selectorIiiEEZNS1_34radix_sort_onesweep_global_offsetsIS3_Lb0EN6thrust23THRUST_200600_302600_NS6detail15normal_iteratorINS8_10device_ptrIiEEEESD_jNS0_19identity_decomposerEEE10hipError_tT1_T2_PT3_SI_jT4_jjP12ihipStream_tbEUlT_E0_NS1_11comp_targetILNS1_3genE6ELNS1_11target_archE950ELNS1_3gpuE13ELNS1_3repE0EEENS1_52radix_sort_onesweep_histogram_config_static_selectorELNS0_4arch9wavefront6targetE0EEEvSG_.numbered_sgpr, 0
	.set _ZN7rocprim17ROCPRIM_400000_NS6detail17trampoline_kernelINS0_14default_configENS1_35radix_sort_onesweep_config_selectorIiiEEZNS1_34radix_sort_onesweep_global_offsetsIS3_Lb0EN6thrust23THRUST_200600_302600_NS6detail15normal_iteratorINS8_10device_ptrIiEEEESD_jNS0_19identity_decomposerEEE10hipError_tT1_T2_PT3_SI_jT4_jjP12ihipStream_tbEUlT_E0_NS1_11comp_targetILNS1_3genE6ELNS1_11target_archE950ELNS1_3gpuE13ELNS1_3repE0EEENS1_52radix_sort_onesweep_histogram_config_static_selectorELNS0_4arch9wavefront6targetE0EEEvSG_.num_named_barrier, 0
	.set _ZN7rocprim17ROCPRIM_400000_NS6detail17trampoline_kernelINS0_14default_configENS1_35radix_sort_onesweep_config_selectorIiiEEZNS1_34radix_sort_onesweep_global_offsetsIS3_Lb0EN6thrust23THRUST_200600_302600_NS6detail15normal_iteratorINS8_10device_ptrIiEEEESD_jNS0_19identity_decomposerEEE10hipError_tT1_T2_PT3_SI_jT4_jjP12ihipStream_tbEUlT_E0_NS1_11comp_targetILNS1_3genE6ELNS1_11target_archE950ELNS1_3gpuE13ELNS1_3repE0EEENS1_52radix_sort_onesweep_histogram_config_static_selectorELNS0_4arch9wavefront6targetE0EEEvSG_.private_seg_size, 0
	.set _ZN7rocprim17ROCPRIM_400000_NS6detail17trampoline_kernelINS0_14default_configENS1_35radix_sort_onesweep_config_selectorIiiEEZNS1_34radix_sort_onesweep_global_offsetsIS3_Lb0EN6thrust23THRUST_200600_302600_NS6detail15normal_iteratorINS8_10device_ptrIiEEEESD_jNS0_19identity_decomposerEEE10hipError_tT1_T2_PT3_SI_jT4_jjP12ihipStream_tbEUlT_E0_NS1_11comp_targetILNS1_3genE6ELNS1_11target_archE950ELNS1_3gpuE13ELNS1_3repE0EEENS1_52radix_sort_onesweep_histogram_config_static_selectorELNS0_4arch9wavefront6targetE0EEEvSG_.uses_vcc, 0
	.set _ZN7rocprim17ROCPRIM_400000_NS6detail17trampoline_kernelINS0_14default_configENS1_35radix_sort_onesweep_config_selectorIiiEEZNS1_34radix_sort_onesweep_global_offsetsIS3_Lb0EN6thrust23THRUST_200600_302600_NS6detail15normal_iteratorINS8_10device_ptrIiEEEESD_jNS0_19identity_decomposerEEE10hipError_tT1_T2_PT3_SI_jT4_jjP12ihipStream_tbEUlT_E0_NS1_11comp_targetILNS1_3genE6ELNS1_11target_archE950ELNS1_3gpuE13ELNS1_3repE0EEENS1_52radix_sort_onesweep_histogram_config_static_selectorELNS0_4arch9wavefront6targetE0EEEvSG_.uses_flat_scratch, 0
	.set _ZN7rocprim17ROCPRIM_400000_NS6detail17trampoline_kernelINS0_14default_configENS1_35radix_sort_onesweep_config_selectorIiiEEZNS1_34radix_sort_onesweep_global_offsetsIS3_Lb0EN6thrust23THRUST_200600_302600_NS6detail15normal_iteratorINS8_10device_ptrIiEEEESD_jNS0_19identity_decomposerEEE10hipError_tT1_T2_PT3_SI_jT4_jjP12ihipStream_tbEUlT_E0_NS1_11comp_targetILNS1_3genE6ELNS1_11target_archE950ELNS1_3gpuE13ELNS1_3repE0EEENS1_52radix_sort_onesweep_histogram_config_static_selectorELNS0_4arch9wavefront6targetE0EEEvSG_.has_dyn_sized_stack, 0
	.set _ZN7rocprim17ROCPRIM_400000_NS6detail17trampoline_kernelINS0_14default_configENS1_35radix_sort_onesweep_config_selectorIiiEEZNS1_34radix_sort_onesweep_global_offsetsIS3_Lb0EN6thrust23THRUST_200600_302600_NS6detail15normal_iteratorINS8_10device_ptrIiEEEESD_jNS0_19identity_decomposerEEE10hipError_tT1_T2_PT3_SI_jT4_jjP12ihipStream_tbEUlT_E0_NS1_11comp_targetILNS1_3genE6ELNS1_11target_archE950ELNS1_3gpuE13ELNS1_3repE0EEENS1_52radix_sort_onesweep_histogram_config_static_selectorELNS0_4arch9wavefront6targetE0EEEvSG_.has_recursion, 0
	.set _ZN7rocprim17ROCPRIM_400000_NS6detail17trampoline_kernelINS0_14default_configENS1_35radix_sort_onesweep_config_selectorIiiEEZNS1_34radix_sort_onesweep_global_offsetsIS3_Lb0EN6thrust23THRUST_200600_302600_NS6detail15normal_iteratorINS8_10device_ptrIiEEEESD_jNS0_19identity_decomposerEEE10hipError_tT1_T2_PT3_SI_jT4_jjP12ihipStream_tbEUlT_E0_NS1_11comp_targetILNS1_3genE6ELNS1_11target_archE950ELNS1_3gpuE13ELNS1_3repE0EEENS1_52radix_sort_onesweep_histogram_config_static_selectorELNS0_4arch9wavefront6targetE0EEEvSG_.has_indirect_call, 0
	.section	.AMDGPU.csdata,"",@progbits
; Kernel info:
; codeLenInByte = 0
; TotalNumSgprs: 0
; NumVgprs: 0
; ScratchSize: 0
; MemoryBound: 0
; FloatMode: 240
; IeeeMode: 1
; LDSByteSize: 0 bytes/workgroup (compile time only)
; SGPRBlocks: 0
; VGPRBlocks: 0
; NumSGPRsForWavesPerEU: 1
; NumVGPRsForWavesPerEU: 1
; Occupancy: 16
; WaveLimiterHint : 0
; COMPUTE_PGM_RSRC2:SCRATCH_EN: 0
; COMPUTE_PGM_RSRC2:USER_SGPR: 6
; COMPUTE_PGM_RSRC2:TRAP_HANDLER: 0
; COMPUTE_PGM_RSRC2:TGID_X_EN: 1
; COMPUTE_PGM_RSRC2:TGID_Y_EN: 0
; COMPUTE_PGM_RSRC2:TGID_Z_EN: 0
; COMPUTE_PGM_RSRC2:TIDIG_COMP_CNT: 0
	.section	.text._ZN7rocprim17ROCPRIM_400000_NS6detail17trampoline_kernelINS0_14default_configENS1_35radix_sort_onesweep_config_selectorIiiEEZNS1_34radix_sort_onesweep_global_offsetsIS3_Lb0EN6thrust23THRUST_200600_302600_NS6detail15normal_iteratorINS8_10device_ptrIiEEEESD_jNS0_19identity_decomposerEEE10hipError_tT1_T2_PT3_SI_jT4_jjP12ihipStream_tbEUlT_E0_NS1_11comp_targetILNS1_3genE5ELNS1_11target_archE942ELNS1_3gpuE9ELNS1_3repE0EEENS1_52radix_sort_onesweep_histogram_config_static_selectorELNS0_4arch9wavefront6targetE0EEEvSG_,"axG",@progbits,_ZN7rocprim17ROCPRIM_400000_NS6detail17trampoline_kernelINS0_14default_configENS1_35radix_sort_onesweep_config_selectorIiiEEZNS1_34radix_sort_onesweep_global_offsetsIS3_Lb0EN6thrust23THRUST_200600_302600_NS6detail15normal_iteratorINS8_10device_ptrIiEEEESD_jNS0_19identity_decomposerEEE10hipError_tT1_T2_PT3_SI_jT4_jjP12ihipStream_tbEUlT_E0_NS1_11comp_targetILNS1_3genE5ELNS1_11target_archE942ELNS1_3gpuE9ELNS1_3repE0EEENS1_52radix_sort_onesweep_histogram_config_static_selectorELNS0_4arch9wavefront6targetE0EEEvSG_,comdat
	.protected	_ZN7rocprim17ROCPRIM_400000_NS6detail17trampoline_kernelINS0_14default_configENS1_35radix_sort_onesweep_config_selectorIiiEEZNS1_34radix_sort_onesweep_global_offsetsIS3_Lb0EN6thrust23THRUST_200600_302600_NS6detail15normal_iteratorINS8_10device_ptrIiEEEESD_jNS0_19identity_decomposerEEE10hipError_tT1_T2_PT3_SI_jT4_jjP12ihipStream_tbEUlT_E0_NS1_11comp_targetILNS1_3genE5ELNS1_11target_archE942ELNS1_3gpuE9ELNS1_3repE0EEENS1_52radix_sort_onesweep_histogram_config_static_selectorELNS0_4arch9wavefront6targetE0EEEvSG_ ; -- Begin function _ZN7rocprim17ROCPRIM_400000_NS6detail17trampoline_kernelINS0_14default_configENS1_35radix_sort_onesweep_config_selectorIiiEEZNS1_34radix_sort_onesweep_global_offsetsIS3_Lb0EN6thrust23THRUST_200600_302600_NS6detail15normal_iteratorINS8_10device_ptrIiEEEESD_jNS0_19identity_decomposerEEE10hipError_tT1_T2_PT3_SI_jT4_jjP12ihipStream_tbEUlT_E0_NS1_11comp_targetILNS1_3genE5ELNS1_11target_archE942ELNS1_3gpuE9ELNS1_3repE0EEENS1_52radix_sort_onesweep_histogram_config_static_selectorELNS0_4arch9wavefront6targetE0EEEvSG_
	.globl	_ZN7rocprim17ROCPRIM_400000_NS6detail17trampoline_kernelINS0_14default_configENS1_35radix_sort_onesweep_config_selectorIiiEEZNS1_34radix_sort_onesweep_global_offsetsIS3_Lb0EN6thrust23THRUST_200600_302600_NS6detail15normal_iteratorINS8_10device_ptrIiEEEESD_jNS0_19identity_decomposerEEE10hipError_tT1_T2_PT3_SI_jT4_jjP12ihipStream_tbEUlT_E0_NS1_11comp_targetILNS1_3genE5ELNS1_11target_archE942ELNS1_3gpuE9ELNS1_3repE0EEENS1_52radix_sort_onesweep_histogram_config_static_selectorELNS0_4arch9wavefront6targetE0EEEvSG_
	.p2align	8
	.type	_ZN7rocprim17ROCPRIM_400000_NS6detail17trampoline_kernelINS0_14default_configENS1_35radix_sort_onesweep_config_selectorIiiEEZNS1_34radix_sort_onesweep_global_offsetsIS3_Lb0EN6thrust23THRUST_200600_302600_NS6detail15normal_iteratorINS8_10device_ptrIiEEEESD_jNS0_19identity_decomposerEEE10hipError_tT1_T2_PT3_SI_jT4_jjP12ihipStream_tbEUlT_E0_NS1_11comp_targetILNS1_3genE5ELNS1_11target_archE942ELNS1_3gpuE9ELNS1_3repE0EEENS1_52radix_sort_onesweep_histogram_config_static_selectorELNS0_4arch9wavefront6targetE0EEEvSG_,@function
_ZN7rocprim17ROCPRIM_400000_NS6detail17trampoline_kernelINS0_14default_configENS1_35radix_sort_onesweep_config_selectorIiiEEZNS1_34radix_sort_onesweep_global_offsetsIS3_Lb0EN6thrust23THRUST_200600_302600_NS6detail15normal_iteratorINS8_10device_ptrIiEEEESD_jNS0_19identity_decomposerEEE10hipError_tT1_T2_PT3_SI_jT4_jjP12ihipStream_tbEUlT_E0_NS1_11comp_targetILNS1_3genE5ELNS1_11target_archE942ELNS1_3gpuE9ELNS1_3repE0EEENS1_52radix_sort_onesweep_histogram_config_static_selectorELNS0_4arch9wavefront6targetE0EEEvSG_: ; @_ZN7rocprim17ROCPRIM_400000_NS6detail17trampoline_kernelINS0_14default_configENS1_35radix_sort_onesweep_config_selectorIiiEEZNS1_34radix_sort_onesweep_global_offsetsIS3_Lb0EN6thrust23THRUST_200600_302600_NS6detail15normal_iteratorINS8_10device_ptrIiEEEESD_jNS0_19identity_decomposerEEE10hipError_tT1_T2_PT3_SI_jT4_jjP12ihipStream_tbEUlT_E0_NS1_11comp_targetILNS1_3genE5ELNS1_11target_archE942ELNS1_3gpuE9ELNS1_3repE0EEENS1_52radix_sort_onesweep_histogram_config_static_selectorELNS0_4arch9wavefront6targetE0EEEvSG_
; %bb.0:
	.section	.rodata,"a",@progbits
	.p2align	6, 0x0
	.amdhsa_kernel _ZN7rocprim17ROCPRIM_400000_NS6detail17trampoline_kernelINS0_14default_configENS1_35radix_sort_onesweep_config_selectorIiiEEZNS1_34radix_sort_onesweep_global_offsetsIS3_Lb0EN6thrust23THRUST_200600_302600_NS6detail15normal_iteratorINS8_10device_ptrIiEEEESD_jNS0_19identity_decomposerEEE10hipError_tT1_T2_PT3_SI_jT4_jjP12ihipStream_tbEUlT_E0_NS1_11comp_targetILNS1_3genE5ELNS1_11target_archE942ELNS1_3gpuE9ELNS1_3repE0EEENS1_52radix_sort_onesweep_histogram_config_static_selectorELNS0_4arch9wavefront6targetE0EEEvSG_
		.amdhsa_group_segment_fixed_size 0
		.amdhsa_private_segment_fixed_size 0
		.amdhsa_kernarg_size 8
		.amdhsa_user_sgpr_count 6
		.amdhsa_user_sgpr_private_segment_buffer 1
		.amdhsa_user_sgpr_dispatch_ptr 0
		.amdhsa_user_sgpr_queue_ptr 0
		.amdhsa_user_sgpr_kernarg_segment_ptr 1
		.amdhsa_user_sgpr_dispatch_id 0
		.amdhsa_user_sgpr_flat_scratch_init 0
		.amdhsa_user_sgpr_private_segment_size 0
		.amdhsa_wavefront_size32 1
		.amdhsa_uses_dynamic_stack 0
		.amdhsa_system_sgpr_private_segment_wavefront_offset 0
		.amdhsa_system_sgpr_workgroup_id_x 1
		.amdhsa_system_sgpr_workgroup_id_y 0
		.amdhsa_system_sgpr_workgroup_id_z 0
		.amdhsa_system_sgpr_workgroup_info 0
		.amdhsa_system_vgpr_workitem_id 0
		.amdhsa_next_free_vgpr 1
		.amdhsa_next_free_sgpr 1
		.amdhsa_reserve_vcc 0
		.amdhsa_reserve_flat_scratch 0
		.amdhsa_float_round_mode_32 0
		.amdhsa_float_round_mode_16_64 0
		.amdhsa_float_denorm_mode_32 3
		.amdhsa_float_denorm_mode_16_64 3
		.amdhsa_dx10_clamp 1
		.amdhsa_ieee_mode 1
		.amdhsa_fp16_overflow 0
		.amdhsa_workgroup_processor_mode 1
		.amdhsa_memory_ordered 1
		.amdhsa_forward_progress 1
		.amdhsa_shared_vgpr_count 0
		.amdhsa_exception_fp_ieee_invalid_op 0
		.amdhsa_exception_fp_denorm_src 0
		.amdhsa_exception_fp_ieee_div_zero 0
		.amdhsa_exception_fp_ieee_overflow 0
		.amdhsa_exception_fp_ieee_underflow 0
		.amdhsa_exception_fp_ieee_inexact 0
		.amdhsa_exception_int_div_zero 0
	.end_amdhsa_kernel
	.section	.text._ZN7rocprim17ROCPRIM_400000_NS6detail17trampoline_kernelINS0_14default_configENS1_35radix_sort_onesweep_config_selectorIiiEEZNS1_34radix_sort_onesweep_global_offsetsIS3_Lb0EN6thrust23THRUST_200600_302600_NS6detail15normal_iteratorINS8_10device_ptrIiEEEESD_jNS0_19identity_decomposerEEE10hipError_tT1_T2_PT3_SI_jT4_jjP12ihipStream_tbEUlT_E0_NS1_11comp_targetILNS1_3genE5ELNS1_11target_archE942ELNS1_3gpuE9ELNS1_3repE0EEENS1_52radix_sort_onesweep_histogram_config_static_selectorELNS0_4arch9wavefront6targetE0EEEvSG_,"axG",@progbits,_ZN7rocprim17ROCPRIM_400000_NS6detail17trampoline_kernelINS0_14default_configENS1_35radix_sort_onesweep_config_selectorIiiEEZNS1_34radix_sort_onesweep_global_offsetsIS3_Lb0EN6thrust23THRUST_200600_302600_NS6detail15normal_iteratorINS8_10device_ptrIiEEEESD_jNS0_19identity_decomposerEEE10hipError_tT1_T2_PT3_SI_jT4_jjP12ihipStream_tbEUlT_E0_NS1_11comp_targetILNS1_3genE5ELNS1_11target_archE942ELNS1_3gpuE9ELNS1_3repE0EEENS1_52radix_sort_onesweep_histogram_config_static_selectorELNS0_4arch9wavefront6targetE0EEEvSG_,comdat
.Lfunc_end815:
	.size	_ZN7rocprim17ROCPRIM_400000_NS6detail17trampoline_kernelINS0_14default_configENS1_35radix_sort_onesweep_config_selectorIiiEEZNS1_34radix_sort_onesweep_global_offsetsIS3_Lb0EN6thrust23THRUST_200600_302600_NS6detail15normal_iteratorINS8_10device_ptrIiEEEESD_jNS0_19identity_decomposerEEE10hipError_tT1_T2_PT3_SI_jT4_jjP12ihipStream_tbEUlT_E0_NS1_11comp_targetILNS1_3genE5ELNS1_11target_archE942ELNS1_3gpuE9ELNS1_3repE0EEENS1_52radix_sort_onesweep_histogram_config_static_selectorELNS0_4arch9wavefront6targetE0EEEvSG_, .Lfunc_end815-_ZN7rocprim17ROCPRIM_400000_NS6detail17trampoline_kernelINS0_14default_configENS1_35radix_sort_onesweep_config_selectorIiiEEZNS1_34radix_sort_onesweep_global_offsetsIS3_Lb0EN6thrust23THRUST_200600_302600_NS6detail15normal_iteratorINS8_10device_ptrIiEEEESD_jNS0_19identity_decomposerEEE10hipError_tT1_T2_PT3_SI_jT4_jjP12ihipStream_tbEUlT_E0_NS1_11comp_targetILNS1_3genE5ELNS1_11target_archE942ELNS1_3gpuE9ELNS1_3repE0EEENS1_52radix_sort_onesweep_histogram_config_static_selectorELNS0_4arch9wavefront6targetE0EEEvSG_
                                        ; -- End function
	.set _ZN7rocprim17ROCPRIM_400000_NS6detail17trampoline_kernelINS0_14default_configENS1_35radix_sort_onesweep_config_selectorIiiEEZNS1_34radix_sort_onesweep_global_offsetsIS3_Lb0EN6thrust23THRUST_200600_302600_NS6detail15normal_iteratorINS8_10device_ptrIiEEEESD_jNS0_19identity_decomposerEEE10hipError_tT1_T2_PT3_SI_jT4_jjP12ihipStream_tbEUlT_E0_NS1_11comp_targetILNS1_3genE5ELNS1_11target_archE942ELNS1_3gpuE9ELNS1_3repE0EEENS1_52radix_sort_onesweep_histogram_config_static_selectorELNS0_4arch9wavefront6targetE0EEEvSG_.num_vgpr, 0
	.set _ZN7rocprim17ROCPRIM_400000_NS6detail17trampoline_kernelINS0_14default_configENS1_35radix_sort_onesweep_config_selectorIiiEEZNS1_34radix_sort_onesweep_global_offsetsIS3_Lb0EN6thrust23THRUST_200600_302600_NS6detail15normal_iteratorINS8_10device_ptrIiEEEESD_jNS0_19identity_decomposerEEE10hipError_tT1_T2_PT3_SI_jT4_jjP12ihipStream_tbEUlT_E0_NS1_11comp_targetILNS1_3genE5ELNS1_11target_archE942ELNS1_3gpuE9ELNS1_3repE0EEENS1_52radix_sort_onesweep_histogram_config_static_selectorELNS0_4arch9wavefront6targetE0EEEvSG_.num_agpr, 0
	.set _ZN7rocprim17ROCPRIM_400000_NS6detail17trampoline_kernelINS0_14default_configENS1_35radix_sort_onesweep_config_selectorIiiEEZNS1_34radix_sort_onesweep_global_offsetsIS3_Lb0EN6thrust23THRUST_200600_302600_NS6detail15normal_iteratorINS8_10device_ptrIiEEEESD_jNS0_19identity_decomposerEEE10hipError_tT1_T2_PT3_SI_jT4_jjP12ihipStream_tbEUlT_E0_NS1_11comp_targetILNS1_3genE5ELNS1_11target_archE942ELNS1_3gpuE9ELNS1_3repE0EEENS1_52radix_sort_onesweep_histogram_config_static_selectorELNS0_4arch9wavefront6targetE0EEEvSG_.numbered_sgpr, 0
	.set _ZN7rocprim17ROCPRIM_400000_NS6detail17trampoline_kernelINS0_14default_configENS1_35radix_sort_onesweep_config_selectorIiiEEZNS1_34radix_sort_onesweep_global_offsetsIS3_Lb0EN6thrust23THRUST_200600_302600_NS6detail15normal_iteratorINS8_10device_ptrIiEEEESD_jNS0_19identity_decomposerEEE10hipError_tT1_T2_PT3_SI_jT4_jjP12ihipStream_tbEUlT_E0_NS1_11comp_targetILNS1_3genE5ELNS1_11target_archE942ELNS1_3gpuE9ELNS1_3repE0EEENS1_52radix_sort_onesweep_histogram_config_static_selectorELNS0_4arch9wavefront6targetE0EEEvSG_.num_named_barrier, 0
	.set _ZN7rocprim17ROCPRIM_400000_NS6detail17trampoline_kernelINS0_14default_configENS1_35radix_sort_onesweep_config_selectorIiiEEZNS1_34radix_sort_onesweep_global_offsetsIS3_Lb0EN6thrust23THRUST_200600_302600_NS6detail15normal_iteratorINS8_10device_ptrIiEEEESD_jNS0_19identity_decomposerEEE10hipError_tT1_T2_PT3_SI_jT4_jjP12ihipStream_tbEUlT_E0_NS1_11comp_targetILNS1_3genE5ELNS1_11target_archE942ELNS1_3gpuE9ELNS1_3repE0EEENS1_52radix_sort_onesweep_histogram_config_static_selectorELNS0_4arch9wavefront6targetE0EEEvSG_.private_seg_size, 0
	.set _ZN7rocprim17ROCPRIM_400000_NS6detail17trampoline_kernelINS0_14default_configENS1_35radix_sort_onesweep_config_selectorIiiEEZNS1_34radix_sort_onesweep_global_offsetsIS3_Lb0EN6thrust23THRUST_200600_302600_NS6detail15normal_iteratorINS8_10device_ptrIiEEEESD_jNS0_19identity_decomposerEEE10hipError_tT1_T2_PT3_SI_jT4_jjP12ihipStream_tbEUlT_E0_NS1_11comp_targetILNS1_3genE5ELNS1_11target_archE942ELNS1_3gpuE9ELNS1_3repE0EEENS1_52radix_sort_onesweep_histogram_config_static_selectorELNS0_4arch9wavefront6targetE0EEEvSG_.uses_vcc, 0
	.set _ZN7rocprim17ROCPRIM_400000_NS6detail17trampoline_kernelINS0_14default_configENS1_35radix_sort_onesweep_config_selectorIiiEEZNS1_34radix_sort_onesweep_global_offsetsIS3_Lb0EN6thrust23THRUST_200600_302600_NS6detail15normal_iteratorINS8_10device_ptrIiEEEESD_jNS0_19identity_decomposerEEE10hipError_tT1_T2_PT3_SI_jT4_jjP12ihipStream_tbEUlT_E0_NS1_11comp_targetILNS1_3genE5ELNS1_11target_archE942ELNS1_3gpuE9ELNS1_3repE0EEENS1_52radix_sort_onesweep_histogram_config_static_selectorELNS0_4arch9wavefront6targetE0EEEvSG_.uses_flat_scratch, 0
	.set _ZN7rocprim17ROCPRIM_400000_NS6detail17trampoline_kernelINS0_14default_configENS1_35radix_sort_onesweep_config_selectorIiiEEZNS1_34radix_sort_onesweep_global_offsetsIS3_Lb0EN6thrust23THRUST_200600_302600_NS6detail15normal_iteratorINS8_10device_ptrIiEEEESD_jNS0_19identity_decomposerEEE10hipError_tT1_T2_PT3_SI_jT4_jjP12ihipStream_tbEUlT_E0_NS1_11comp_targetILNS1_3genE5ELNS1_11target_archE942ELNS1_3gpuE9ELNS1_3repE0EEENS1_52radix_sort_onesweep_histogram_config_static_selectorELNS0_4arch9wavefront6targetE0EEEvSG_.has_dyn_sized_stack, 0
	.set _ZN7rocprim17ROCPRIM_400000_NS6detail17trampoline_kernelINS0_14default_configENS1_35radix_sort_onesweep_config_selectorIiiEEZNS1_34radix_sort_onesweep_global_offsetsIS3_Lb0EN6thrust23THRUST_200600_302600_NS6detail15normal_iteratorINS8_10device_ptrIiEEEESD_jNS0_19identity_decomposerEEE10hipError_tT1_T2_PT3_SI_jT4_jjP12ihipStream_tbEUlT_E0_NS1_11comp_targetILNS1_3genE5ELNS1_11target_archE942ELNS1_3gpuE9ELNS1_3repE0EEENS1_52radix_sort_onesweep_histogram_config_static_selectorELNS0_4arch9wavefront6targetE0EEEvSG_.has_recursion, 0
	.set _ZN7rocprim17ROCPRIM_400000_NS6detail17trampoline_kernelINS0_14default_configENS1_35radix_sort_onesweep_config_selectorIiiEEZNS1_34radix_sort_onesweep_global_offsetsIS3_Lb0EN6thrust23THRUST_200600_302600_NS6detail15normal_iteratorINS8_10device_ptrIiEEEESD_jNS0_19identity_decomposerEEE10hipError_tT1_T2_PT3_SI_jT4_jjP12ihipStream_tbEUlT_E0_NS1_11comp_targetILNS1_3genE5ELNS1_11target_archE942ELNS1_3gpuE9ELNS1_3repE0EEENS1_52radix_sort_onesweep_histogram_config_static_selectorELNS0_4arch9wavefront6targetE0EEEvSG_.has_indirect_call, 0
	.section	.AMDGPU.csdata,"",@progbits
; Kernel info:
; codeLenInByte = 0
; TotalNumSgprs: 0
; NumVgprs: 0
; ScratchSize: 0
; MemoryBound: 0
; FloatMode: 240
; IeeeMode: 1
; LDSByteSize: 0 bytes/workgroup (compile time only)
; SGPRBlocks: 0
; VGPRBlocks: 0
; NumSGPRsForWavesPerEU: 1
; NumVGPRsForWavesPerEU: 1
; Occupancy: 16
; WaveLimiterHint : 0
; COMPUTE_PGM_RSRC2:SCRATCH_EN: 0
; COMPUTE_PGM_RSRC2:USER_SGPR: 6
; COMPUTE_PGM_RSRC2:TRAP_HANDLER: 0
; COMPUTE_PGM_RSRC2:TGID_X_EN: 1
; COMPUTE_PGM_RSRC2:TGID_Y_EN: 0
; COMPUTE_PGM_RSRC2:TGID_Z_EN: 0
; COMPUTE_PGM_RSRC2:TIDIG_COMP_CNT: 0
	.section	.text._ZN7rocprim17ROCPRIM_400000_NS6detail17trampoline_kernelINS0_14default_configENS1_35radix_sort_onesweep_config_selectorIiiEEZNS1_34radix_sort_onesweep_global_offsetsIS3_Lb0EN6thrust23THRUST_200600_302600_NS6detail15normal_iteratorINS8_10device_ptrIiEEEESD_jNS0_19identity_decomposerEEE10hipError_tT1_T2_PT3_SI_jT4_jjP12ihipStream_tbEUlT_E0_NS1_11comp_targetILNS1_3genE2ELNS1_11target_archE906ELNS1_3gpuE6ELNS1_3repE0EEENS1_52radix_sort_onesweep_histogram_config_static_selectorELNS0_4arch9wavefront6targetE0EEEvSG_,"axG",@progbits,_ZN7rocprim17ROCPRIM_400000_NS6detail17trampoline_kernelINS0_14default_configENS1_35radix_sort_onesweep_config_selectorIiiEEZNS1_34radix_sort_onesweep_global_offsetsIS3_Lb0EN6thrust23THRUST_200600_302600_NS6detail15normal_iteratorINS8_10device_ptrIiEEEESD_jNS0_19identity_decomposerEEE10hipError_tT1_T2_PT3_SI_jT4_jjP12ihipStream_tbEUlT_E0_NS1_11comp_targetILNS1_3genE2ELNS1_11target_archE906ELNS1_3gpuE6ELNS1_3repE0EEENS1_52radix_sort_onesweep_histogram_config_static_selectorELNS0_4arch9wavefront6targetE0EEEvSG_,comdat
	.protected	_ZN7rocprim17ROCPRIM_400000_NS6detail17trampoline_kernelINS0_14default_configENS1_35radix_sort_onesweep_config_selectorIiiEEZNS1_34radix_sort_onesweep_global_offsetsIS3_Lb0EN6thrust23THRUST_200600_302600_NS6detail15normal_iteratorINS8_10device_ptrIiEEEESD_jNS0_19identity_decomposerEEE10hipError_tT1_T2_PT3_SI_jT4_jjP12ihipStream_tbEUlT_E0_NS1_11comp_targetILNS1_3genE2ELNS1_11target_archE906ELNS1_3gpuE6ELNS1_3repE0EEENS1_52radix_sort_onesweep_histogram_config_static_selectorELNS0_4arch9wavefront6targetE0EEEvSG_ ; -- Begin function _ZN7rocprim17ROCPRIM_400000_NS6detail17trampoline_kernelINS0_14default_configENS1_35radix_sort_onesweep_config_selectorIiiEEZNS1_34radix_sort_onesweep_global_offsetsIS3_Lb0EN6thrust23THRUST_200600_302600_NS6detail15normal_iteratorINS8_10device_ptrIiEEEESD_jNS0_19identity_decomposerEEE10hipError_tT1_T2_PT3_SI_jT4_jjP12ihipStream_tbEUlT_E0_NS1_11comp_targetILNS1_3genE2ELNS1_11target_archE906ELNS1_3gpuE6ELNS1_3repE0EEENS1_52radix_sort_onesweep_histogram_config_static_selectorELNS0_4arch9wavefront6targetE0EEEvSG_
	.globl	_ZN7rocprim17ROCPRIM_400000_NS6detail17trampoline_kernelINS0_14default_configENS1_35radix_sort_onesweep_config_selectorIiiEEZNS1_34radix_sort_onesweep_global_offsetsIS3_Lb0EN6thrust23THRUST_200600_302600_NS6detail15normal_iteratorINS8_10device_ptrIiEEEESD_jNS0_19identity_decomposerEEE10hipError_tT1_T2_PT3_SI_jT4_jjP12ihipStream_tbEUlT_E0_NS1_11comp_targetILNS1_3genE2ELNS1_11target_archE906ELNS1_3gpuE6ELNS1_3repE0EEENS1_52radix_sort_onesweep_histogram_config_static_selectorELNS0_4arch9wavefront6targetE0EEEvSG_
	.p2align	8
	.type	_ZN7rocprim17ROCPRIM_400000_NS6detail17trampoline_kernelINS0_14default_configENS1_35radix_sort_onesweep_config_selectorIiiEEZNS1_34radix_sort_onesweep_global_offsetsIS3_Lb0EN6thrust23THRUST_200600_302600_NS6detail15normal_iteratorINS8_10device_ptrIiEEEESD_jNS0_19identity_decomposerEEE10hipError_tT1_T2_PT3_SI_jT4_jjP12ihipStream_tbEUlT_E0_NS1_11comp_targetILNS1_3genE2ELNS1_11target_archE906ELNS1_3gpuE6ELNS1_3repE0EEENS1_52radix_sort_onesweep_histogram_config_static_selectorELNS0_4arch9wavefront6targetE0EEEvSG_,@function
_ZN7rocprim17ROCPRIM_400000_NS6detail17trampoline_kernelINS0_14default_configENS1_35radix_sort_onesweep_config_selectorIiiEEZNS1_34radix_sort_onesweep_global_offsetsIS3_Lb0EN6thrust23THRUST_200600_302600_NS6detail15normal_iteratorINS8_10device_ptrIiEEEESD_jNS0_19identity_decomposerEEE10hipError_tT1_T2_PT3_SI_jT4_jjP12ihipStream_tbEUlT_E0_NS1_11comp_targetILNS1_3genE2ELNS1_11target_archE906ELNS1_3gpuE6ELNS1_3repE0EEENS1_52radix_sort_onesweep_histogram_config_static_selectorELNS0_4arch9wavefront6targetE0EEEvSG_: ; @_ZN7rocprim17ROCPRIM_400000_NS6detail17trampoline_kernelINS0_14default_configENS1_35radix_sort_onesweep_config_selectorIiiEEZNS1_34radix_sort_onesweep_global_offsetsIS3_Lb0EN6thrust23THRUST_200600_302600_NS6detail15normal_iteratorINS8_10device_ptrIiEEEESD_jNS0_19identity_decomposerEEE10hipError_tT1_T2_PT3_SI_jT4_jjP12ihipStream_tbEUlT_E0_NS1_11comp_targetILNS1_3genE2ELNS1_11target_archE906ELNS1_3gpuE6ELNS1_3repE0EEENS1_52radix_sort_onesweep_histogram_config_static_selectorELNS0_4arch9wavefront6targetE0EEEvSG_
; %bb.0:
	.section	.rodata,"a",@progbits
	.p2align	6, 0x0
	.amdhsa_kernel _ZN7rocprim17ROCPRIM_400000_NS6detail17trampoline_kernelINS0_14default_configENS1_35radix_sort_onesweep_config_selectorIiiEEZNS1_34radix_sort_onesweep_global_offsetsIS3_Lb0EN6thrust23THRUST_200600_302600_NS6detail15normal_iteratorINS8_10device_ptrIiEEEESD_jNS0_19identity_decomposerEEE10hipError_tT1_T2_PT3_SI_jT4_jjP12ihipStream_tbEUlT_E0_NS1_11comp_targetILNS1_3genE2ELNS1_11target_archE906ELNS1_3gpuE6ELNS1_3repE0EEENS1_52radix_sort_onesweep_histogram_config_static_selectorELNS0_4arch9wavefront6targetE0EEEvSG_
		.amdhsa_group_segment_fixed_size 0
		.amdhsa_private_segment_fixed_size 0
		.amdhsa_kernarg_size 8
		.amdhsa_user_sgpr_count 6
		.amdhsa_user_sgpr_private_segment_buffer 1
		.amdhsa_user_sgpr_dispatch_ptr 0
		.amdhsa_user_sgpr_queue_ptr 0
		.amdhsa_user_sgpr_kernarg_segment_ptr 1
		.amdhsa_user_sgpr_dispatch_id 0
		.amdhsa_user_sgpr_flat_scratch_init 0
		.amdhsa_user_sgpr_private_segment_size 0
		.amdhsa_wavefront_size32 1
		.amdhsa_uses_dynamic_stack 0
		.amdhsa_system_sgpr_private_segment_wavefront_offset 0
		.amdhsa_system_sgpr_workgroup_id_x 1
		.amdhsa_system_sgpr_workgroup_id_y 0
		.amdhsa_system_sgpr_workgroup_id_z 0
		.amdhsa_system_sgpr_workgroup_info 0
		.amdhsa_system_vgpr_workitem_id 0
		.amdhsa_next_free_vgpr 1
		.amdhsa_next_free_sgpr 1
		.amdhsa_reserve_vcc 0
		.amdhsa_reserve_flat_scratch 0
		.amdhsa_float_round_mode_32 0
		.amdhsa_float_round_mode_16_64 0
		.amdhsa_float_denorm_mode_32 3
		.amdhsa_float_denorm_mode_16_64 3
		.amdhsa_dx10_clamp 1
		.amdhsa_ieee_mode 1
		.amdhsa_fp16_overflow 0
		.amdhsa_workgroup_processor_mode 1
		.amdhsa_memory_ordered 1
		.amdhsa_forward_progress 1
		.amdhsa_shared_vgpr_count 0
		.amdhsa_exception_fp_ieee_invalid_op 0
		.amdhsa_exception_fp_denorm_src 0
		.amdhsa_exception_fp_ieee_div_zero 0
		.amdhsa_exception_fp_ieee_overflow 0
		.amdhsa_exception_fp_ieee_underflow 0
		.amdhsa_exception_fp_ieee_inexact 0
		.amdhsa_exception_int_div_zero 0
	.end_amdhsa_kernel
	.section	.text._ZN7rocprim17ROCPRIM_400000_NS6detail17trampoline_kernelINS0_14default_configENS1_35radix_sort_onesweep_config_selectorIiiEEZNS1_34radix_sort_onesweep_global_offsetsIS3_Lb0EN6thrust23THRUST_200600_302600_NS6detail15normal_iteratorINS8_10device_ptrIiEEEESD_jNS0_19identity_decomposerEEE10hipError_tT1_T2_PT3_SI_jT4_jjP12ihipStream_tbEUlT_E0_NS1_11comp_targetILNS1_3genE2ELNS1_11target_archE906ELNS1_3gpuE6ELNS1_3repE0EEENS1_52radix_sort_onesweep_histogram_config_static_selectorELNS0_4arch9wavefront6targetE0EEEvSG_,"axG",@progbits,_ZN7rocprim17ROCPRIM_400000_NS6detail17trampoline_kernelINS0_14default_configENS1_35radix_sort_onesweep_config_selectorIiiEEZNS1_34radix_sort_onesweep_global_offsetsIS3_Lb0EN6thrust23THRUST_200600_302600_NS6detail15normal_iteratorINS8_10device_ptrIiEEEESD_jNS0_19identity_decomposerEEE10hipError_tT1_T2_PT3_SI_jT4_jjP12ihipStream_tbEUlT_E0_NS1_11comp_targetILNS1_3genE2ELNS1_11target_archE906ELNS1_3gpuE6ELNS1_3repE0EEENS1_52radix_sort_onesweep_histogram_config_static_selectorELNS0_4arch9wavefront6targetE0EEEvSG_,comdat
.Lfunc_end816:
	.size	_ZN7rocprim17ROCPRIM_400000_NS6detail17trampoline_kernelINS0_14default_configENS1_35radix_sort_onesweep_config_selectorIiiEEZNS1_34radix_sort_onesweep_global_offsetsIS3_Lb0EN6thrust23THRUST_200600_302600_NS6detail15normal_iteratorINS8_10device_ptrIiEEEESD_jNS0_19identity_decomposerEEE10hipError_tT1_T2_PT3_SI_jT4_jjP12ihipStream_tbEUlT_E0_NS1_11comp_targetILNS1_3genE2ELNS1_11target_archE906ELNS1_3gpuE6ELNS1_3repE0EEENS1_52radix_sort_onesweep_histogram_config_static_selectorELNS0_4arch9wavefront6targetE0EEEvSG_, .Lfunc_end816-_ZN7rocprim17ROCPRIM_400000_NS6detail17trampoline_kernelINS0_14default_configENS1_35radix_sort_onesweep_config_selectorIiiEEZNS1_34radix_sort_onesweep_global_offsetsIS3_Lb0EN6thrust23THRUST_200600_302600_NS6detail15normal_iteratorINS8_10device_ptrIiEEEESD_jNS0_19identity_decomposerEEE10hipError_tT1_T2_PT3_SI_jT4_jjP12ihipStream_tbEUlT_E0_NS1_11comp_targetILNS1_3genE2ELNS1_11target_archE906ELNS1_3gpuE6ELNS1_3repE0EEENS1_52radix_sort_onesweep_histogram_config_static_selectorELNS0_4arch9wavefront6targetE0EEEvSG_
                                        ; -- End function
	.set _ZN7rocprim17ROCPRIM_400000_NS6detail17trampoline_kernelINS0_14default_configENS1_35radix_sort_onesweep_config_selectorIiiEEZNS1_34radix_sort_onesweep_global_offsetsIS3_Lb0EN6thrust23THRUST_200600_302600_NS6detail15normal_iteratorINS8_10device_ptrIiEEEESD_jNS0_19identity_decomposerEEE10hipError_tT1_T2_PT3_SI_jT4_jjP12ihipStream_tbEUlT_E0_NS1_11comp_targetILNS1_3genE2ELNS1_11target_archE906ELNS1_3gpuE6ELNS1_3repE0EEENS1_52radix_sort_onesweep_histogram_config_static_selectorELNS0_4arch9wavefront6targetE0EEEvSG_.num_vgpr, 0
	.set _ZN7rocprim17ROCPRIM_400000_NS6detail17trampoline_kernelINS0_14default_configENS1_35radix_sort_onesweep_config_selectorIiiEEZNS1_34radix_sort_onesweep_global_offsetsIS3_Lb0EN6thrust23THRUST_200600_302600_NS6detail15normal_iteratorINS8_10device_ptrIiEEEESD_jNS0_19identity_decomposerEEE10hipError_tT1_T2_PT3_SI_jT4_jjP12ihipStream_tbEUlT_E0_NS1_11comp_targetILNS1_3genE2ELNS1_11target_archE906ELNS1_3gpuE6ELNS1_3repE0EEENS1_52radix_sort_onesweep_histogram_config_static_selectorELNS0_4arch9wavefront6targetE0EEEvSG_.num_agpr, 0
	.set _ZN7rocprim17ROCPRIM_400000_NS6detail17trampoline_kernelINS0_14default_configENS1_35radix_sort_onesweep_config_selectorIiiEEZNS1_34radix_sort_onesweep_global_offsetsIS3_Lb0EN6thrust23THRUST_200600_302600_NS6detail15normal_iteratorINS8_10device_ptrIiEEEESD_jNS0_19identity_decomposerEEE10hipError_tT1_T2_PT3_SI_jT4_jjP12ihipStream_tbEUlT_E0_NS1_11comp_targetILNS1_3genE2ELNS1_11target_archE906ELNS1_3gpuE6ELNS1_3repE0EEENS1_52radix_sort_onesweep_histogram_config_static_selectorELNS0_4arch9wavefront6targetE0EEEvSG_.numbered_sgpr, 0
	.set _ZN7rocprim17ROCPRIM_400000_NS6detail17trampoline_kernelINS0_14default_configENS1_35radix_sort_onesweep_config_selectorIiiEEZNS1_34radix_sort_onesweep_global_offsetsIS3_Lb0EN6thrust23THRUST_200600_302600_NS6detail15normal_iteratorINS8_10device_ptrIiEEEESD_jNS0_19identity_decomposerEEE10hipError_tT1_T2_PT3_SI_jT4_jjP12ihipStream_tbEUlT_E0_NS1_11comp_targetILNS1_3genE2ELNS1_11target_archE906ELNS1_3gpuE6ELNS1_3repE0EEENS1_52radix_sort_onesweep_histogram_config_static_selectorELNS0_4arch9wavefront6targetE0EEEvSG_.num_named_barrier, 0
	.set _ZN7rocprim17ROCPRIM_400000_NS6detail17trampoline_kernelINS0_14default_configENS1_35radix_sort_onesweep_config_selectorIiiEEZNS1_34radix_sort_onesweep_global_offsetsIS3_Lb0EN6thrust23THRUST_200600_302600_NS6detail15normal_iteratorINS8_10device_ptrIiEEEESD_jNS0_19identity_decomposerEEE10hipError_tT1_T2_PT3_SI_jT4_jjP12ihipStream_tbEUlT_E0_NS1_11comp_targetILNS1_3genE2ELNS1_11target_archE906ELNS1_3gpuE6ELNS1_3repE0EEENS1_52radix_sort_onesweep_histogram_config_static_selectorELNS0_4arch9wavefront6targetE0EEEvSG_.private_seg_size, 0
	.set _ZN7rocprim17ROCPRIM_400000_NS6detail17trampoline_kernelINS0_14default_configENS1_35radix_sort_onesweep_config_selectorIiiEEZNS1_34radix_sort_onesweep_global_offsetsIS3_Lb0EN6thrust23THRUST_200600_302600_NS6detail15normal_iteratorINS8_10device_ptrIiEEEESD_jNS0_19identity_decomposerEEE10hipError_tT1_T2_PT3_SI_jT4_jjP12ihipStream_tbEUlT_E0_NS1_11comp_targetILNS1_3genE2ELNS1_11target_archE906ELNS1_3gpuE6ELNS1_3repE0EEENS1_52radix_sort_onesweep_histogram_config_static_selectorELNS0_4arch9wavefront6targetE0EEEvSG_.uses_vcc, 0
	.set _ZN7rocprim17ROCPRIM_400000_NS6detail17trampoline_kernelINS0_14default_configENS1_35radix_sort_onesweep_config_selectorIiiEEZNS1_34radix_sort_onesweep_global_offsetsIS3_Lb0EN6thrust23THRUST_200600_302600_NS6detail15normal_iteratorINS8_10device_ptrIiEEEESD_jNS0_19identity_decomposerEEE10hipError_tT1_T2_PT3_SI_jT4_jjP12ihipStream_tbEUlT_E0_NS1_11comp_targetILNS1_3genE2ELNS1_11target_archE906ELNS1_3gpuE6ELNS1_3repE0EEENS1_52radix_sort_onesweep_histogram_config_static_selectorELNS0_4arch9wavefront6targetE0EEEvSG_.uses_flat_scratch, 0
	.set _ZN7rocprim17ROCPRIM_400000_NS6detail17trampoline_kernelINS0_14default_configENS1_35radix_sort_onesweep_config_selectorIiiEEZNS1_34radix_sort_onesweep_global_offsetsIS3_Lb0EN6thrust23THRUST_200600_302600_NS6detail15normal_iteratorINS8_10device_ptrIiEEEESD_jNS0_19identity_decomposerEEE10hipError_tT1_T2_PT3_SI_jT4_jjP12ihipStream_tbEUlT_E0_NS1_11comp_targetILNS1_3genE2ELNS1_11target_archE906ELNS1_3gpuE6ELNS1_3repE0EEENS1_52radix_sort_onesweep_histogram_config_static_selectorELNS0_4arch9wavefront6targetE0EEEvSG_.has_dyn_sized_stack, 0
	.set _ZN7rocprim17ROCPRIM_400000_NS6detail17trampoline_kernelINS0_14default_configENS1_35radix_sort_onesweep_config_selectorIiiEEZNS1_34radix_sort_onesweep_global_offsetsIS3_Lb0EN6thrust23THRUST_200600_302600_NS6detail15normal_iteratorINS8_10device_ptrIiEEEESD_jNS0_19identity_decomposerEEE10hipError_tT1_T2_PT3_SI_jT4_jjP12ihipStream_tbEUlT_E0_NS1_11comp_targetILNS1_3genE2ELNS1_11target_archE906ELNS1_3gpuE6ELNS1_3repE0EEENS1_52radix_sort_onesweep_histogram_config_static_selectorELNS0_4arch9wavefront6targetE0EEEvSG_.has_recursion, 0
	.set _ZN7rocprim17ROCPRIM_400000_NS6detail17trampoline_kernelINS0_14default_configENS1_35radix_sort_onesweep_config_selectorIiiEEZNS1_34radix_sort_onesweep_global_offsetsIS3_Lb0EN6thrust23THRUST_200600_302600_NS6detail15normal_iteratorINS8_10device_ptrIiEEEESD_jNS0_19identity_decomposerEEE10hipError_tT1_T2_PT3_SI_jT4_jjP12ihipStream_tbEUlT_E0_NS1_11comp_targetILNS1_3genE2ELNS1_11target_archE906ELNS1_3gpuE6ELNS1_3repE0EEENS1_52radix_sort_onesweep_histogram_config_static_selectorELNS0_4arch9wavefront6targetE0EEEvSG_.has_indirect_call, 0
	.section	.AMDGPU.csdata,"",@progbits
; Kernel info:
; codeLenInByte = 0
; TotalNumSgprs: 0
; NumVgprs: 0
; ScratchSize: 0
; MemoryBound: 0
; FloatMode: 240
; IeeeMode: 1
; LDSByteSize: 0 bytes/workgroup (compile time only)
; SGPRBlocks: 0
; VGPRBlocks: 0
; NumSGPRsForWavesPerEU: 1
; NumVGPRsForWavesPerEU: 1
; Occupancy: 16
; WaveLimiterHint : 0
; COMPUTE_PGM_RSRC2:SCRATCH_EN: 0
; COMPUTE_PGM_RSRC2:USER_SGPR: 6
; COMPUTE_PGM_RSRC2:TRAP_HANDLER: 0
; COMPUTE_PGM_RSRC2:TGID_X_EN: 1
; COMPUTE_PGM_RSRC2:TGID_Y_EN: 0
; COMPUTE_PGM_RSRC2:TGID_Z_EN: 0
; COMPUTE_PGM_RSRC2:TIDIG_COMP_CNT: 0
	.section	.text._ZN7rocprim17ROCPRIM_400000_NS6detail17trampoline_kernelINS0_14default_configENS1_35radix_sort_onesweep_config_selectorIiiEEZNS1_34radix_sort_onesweep_global_offsetsIS3_Lb0EN6thrust23THRUST_200600_302600_NS6detail15normal_iteratorINS8_10device_ptrIiEEEESD_jNS0_19identity_decomposerEEE10hipError_tT1_T2_PT3_SI_jT4_jjP12ihipStream_tbEUlT_E0_NS1_11comp_targetILNS1_3genE4ELNS1_11target_archE910ELNS1_3gpuE8ELNS1_3repE0EEENS1_52radix_sort_onesweep_histogram_config_static_selectorELNS0_4arch9wavefront6targetE0EEEvSG_,"axG",@progbits,_ZN7rocprim17ROCPRIM_400000_NS6detail17trampoline_kernelINS0_14default_configENS1_35radix_sort_onesweep_config_selectorIiiEEZNS1_34radix_sort_onesweep_global_offsetsIS3_Lb0EN6thrust23THRUST_200600_302600_NS6detail15normal_iteratorINS8_10device_ptrIiEEEESD_jNS0_19identity_decomposerEEE10hipError_tT1_T2_PT3_SI_jT4_jjP12ihipStream_tbEUlT_E0_NS1_11comp_targetILNS1_3genE4ELNS1_11target_archE910ELNS1_3gpuE8ELNS1_3repE0EEENS1_52radix_sort_onesweep_histogram_config_static_selectorELNS0_4arch9wavefront6targetE0EEEvSG_,comdat
	.protected	_ZN7rocprim17ROCPRIM_400000_NS6detail17trampoline_kernelINS0_14default_configENS1_35radix_sort_onesweep_config_selectorIiiEEZNS1_34radix_sort_onesweep_global_offsetsIS3_Lb0EN6thrust23THRUST_200600_302600_NS6detail15normal_iteratorINS8_10device_ptrIiEEEESD_jNS0_19identity_decomposerEEE10hipError_tT1_T2_PT3_SI_jT4_jjP12ihipStream_tbEUlT_E0_NS1_11comp_targetILNS1_3genE4ELNS1_11target_archE910ELNS1_3gpuE8ELNS1_3repE0EEENS1_52radix_sort_onesweep_histogram_config_static_selectorELNS0_4arch9wavefront6targetE0EEEvSG_ ; -- Begin function _ZN7rocprim17ROCPRIM_400000_NS6detail17trampoline_kernelINS0_14default_configENS1_35radix_sort_onesweep_config_selectorIiiEEZNS1_34radix_sort_onesweep_global_offsetsIS3_Lb0EN6thrust23THRUST_200600_302600_NS6detail15normal_iteratorINS8_10device_ptrIiEEEESD_jNS0_19identity_decomposerEEE10hipError_tT1_T2_PT3_SI_jT4_jjP12ihipStream_tbEUlT_E0_NS1_11comp_targetILNS1_3genE4ELNS1_11target_archE910ELNS1_3gpuE8ELNS1_3repE0EEENS1_52radix_sort_onesweep_histogram_config_static_selectorELNS0_4arch9wavefront6targetE0EEEvSG_
	.globl	_ZN7rocprim17ROCPRIM_400000_NS6detail17trampoline_kernelINS0_14default_configENS1_35radix_sort_onesweep_config_selectorIiiEEZNS1_34radix_sort_onesweep_global_offsetsIS3_Lb0EN6thrust23THRUST_200600_302600_NS6detail15normal_iteratorINS8_10device_ptrIiEEEESD_jNS0_19identity_decomposerEEE10hipError_tT1_T2_PT3_SI_jT4_jjP12ihipStream_tbEUlT_E0_NS1_11comp_targetILNS1_3genE4ELNS1_11target_archE910ELNS1_3gpuE8ELNS1_3repE0EEENS1_52radix_sort_onesweep_histogram_config_static_selectorELNS0_4arch9wavefront6targetE0EEEvSG_
	.p2align	8
	.type	_ZN7rocprim17ROCPRIM_400000_NS6detail17trampoline_kernelINS0_14default_configENS1_35radix_sort_onesweep_config_selectorIiiEEZNS1_34radix_sort_onesweep_global_offsetsIS3_Lb0EN6thrust23THRUST_200600_302600_NS6detail15normal_iteratorINS8_10device_ptrIiEEEESD_jNS0_19identity_decomposerEEE10hipError_tT1_T2_PT3_SI_jT4_jjP12ihipStream_tbEUlT_E0_NS1_11comp_targetILNS1_3genE4ELNS1_11target_archE910ELNS1_3gpuE8ELNS1_3repE0EEENS1_52radix_sort_onesweep_histogram_config_static_selectorELNS0_4arch9wavefront6targetE0EEEvSG_,@function
_ZN7rocprim17ROCPRIM_400000_NS6detail17trampoline_kernelINS0_14default_configENS1_35radix_sort_onesweep_config_selectorIiiEEZNS1_34radix_sort_onesweep_global_offsetsIS3_Lb0EN6thrust23THRUST_200600_302600_NS6detail15normal_iteratorINS8_10device_ptrIiEEEESD_jNS0_19identity_decomposerEEE10hipError_tT1_T2_PT3_SI_jT4_jjP12ihipStream_tbEUlT_E0_NS1_11comp_targetILNS1_3genE4ELNS1_11target_archE910ELNS1_3gpuE8ELNS1_3repE0EEENS1_52radix_sort_onesweep_histogram_config_static_selectorELNS0_4arch9wavefront6targetE0EEEvSG_: ; @_ZN7rocprim17ROCPRIM_400000_NS6detail17trampoline_kernelINS0_14default_configENS1_35radix_sort_onesweep_config_selectorIiiEEZNS1_34radix_sort_onesweep_global_offsetsIS3_Lb0EN6thrust23THRUST_200600_302600_NS6detail15normal_iteratorINS8_10device_ptrIiEEEESD_jNS0_19identity_decomposerEEE10hipError_tT1_T2_PT3_SI_jT4_jjP12ihipStream_tbEUlT_E0_NS1_11comp_targetILNS1_3genE4ELNS1_11target_archE910ELNS1_3gpuE8ELNS1_3repE0EEENS1_52radix_sort_onesweep_histogram_config_static_selectorELNS0_4arch9wavefront6targetE0EEEvSG_
; %bb.0:
	.section	.rodata,"a",@progbits
	.p2align	6, 0x0
	.amdhsa_kernel _ZN7rocprim17ROCPRIM_400000_NS6detail17trampoline_kernelINS0_14default_configENS1_35radix_sort_onesweep_config_selectorIiiEEZNS1_34radix_sort_onesweep_global_offsetsIS3_Lb0EN6thrust23THRUST_200600_302600_NS6detail15normal_iteratorINS8_10device_ptrIiEEEESD_jNS0_19identity_decomposerEEE10hipError_tT1_T2_PT3_SI_jT4_jjP12ihipStream_tbEUlT_E0_NS1_11comp_targetILNS1_3genE4ELNS1_11target_archE910ELNS1_3gpuE8ELNS1_3repE0EEENS1_52radix_sort_onesweep_histogram_config_static_selectorELNS0_4arch9wavefront6targetE0EEEvSG_
		.amdhsa_group_segment_fixed_size 0
		.amdhsa_private_segment_fixed_size 0
		.amdhsa_kernarg_size 8
		.amdhsa_user_sgpr_count 6
		.amdhsa_user_sgpr_private_segment_buffer 1
		.amdhsa_user_sgpr_dispatch_ptr 0
		.amdhsa_user_sgpr_queue_ptr 0
		.amdhsa_user_sgpr_kernarg_segment_ptr 1
		.amdhsa_user_sgpr_dispatch_id 0
		.amdhsa_user_sgpr_flat_scratch_init 0
		.amdhsa_user_sgpr_private_segment_size 0
		.amdhsa_wavefront_size32 1
		.amdhsa_uses_dynamic_stack 0
		.amdhsa_system_sgpr_private_segment_wavefront_offset 0
		.amdhsa_system_sgpr_workgroup_id_x 1
		.amdhsa_system_sgpr_workgroup_id_y 0
		.amdhsa_system_sgpr_workgroup_id_z 0
		.amdhsa_system_sgpr_workgroup_info 0
		.amdhsa_system_vgpr_workitem_id 0
		.amdhsa_next_free_vgpr 1
		.amdhsa_next_free_sgpr 1
		.amdhsa_reserve_vcc 0
		.amdhsa_reserve_flat_scratch 0
		.amdhsa_float_round_mode_32 0
		.amdhsa_float_round_mode_16_64 0
		.amdhsa_float_denorm_mode_32 3
		.amdhsa_float_denorm_mode_16_64 3
		.amdhsa_dx10_clamp 1
		.amdhsa_ieee_mode 1
		.amdhsa_fp16_overflow 0
		.amdhsa_workgroup_processor_mode 1
		.amdhsa_memory_ordered 1
		.amdhsa_forward_progress 1
		.amdhsa_shared_vgpr_count 0
		.amdhsa_exception_fp_ieee_invalid_op 0
		.amdhsa_exception_fp_denorm_src 0
		.amdhsa_exception_fp_ieee_div_zero 0
		.amdhsa_exception_fp_ieee_overflow 0
		.amdhsa_exception_fp_ieee_underflow 0
		.amdhsa_exception_fp_ieee_inexact 0
		.amdhsa_exception_int_div_zero 0
	.end_amdhsa_kernel
	.section	.text._ZN7rocprim17ROCPRIM_400000_NS6detail17trampoline_kernelINS0_14default_configENS1_35radix_sort_onesweep_config_selectorIiiEEZNS1_34radix_sort_onesweep_global_offsetsIS3_Lb0EN6thrust23THRUST_200600_302600_NS6detail15normal_iteratorINS8_10device_ptrIiEEEESD_jNS0_19identity_decomposerEEE10hipError_tT1_T2_PT3_SI_jT4_jjP12ihipStream_tbEUlT_E0_NS1_11comp_targetILNS1_3genE4ELNS1_11target_archE910ELNS1_3gpuE8ELNS1_3repE0EEENS1_52radix_sort_onesweep_histogram_config_static_selectorELNS0_4arch9wavefront6targetE0EEEvSG_,"axG",@progbits,_ZN7rocprim17ROCPRIM_400000_NS6detail17trampoline_kernelINS0_14default_configENS1_35radix_sort_onesweep_config_selectorIiiEEZNS1_34radix_sort_onesweep_global_offsetsIS3_Lb0EN6thrust23THRUST_200600_302600_NS6detail15normal_iteratorINS8_10device_ptrIiEEEESD_jNS0_19identity_decomposerEEE10hipError_tT1_T2_PT3_SI_jT4_jjP12ihipStream_tbEUlT_E0_NS1_11comp_targetILNS1_3genE4ELNS1_11target_archE910ELNS1_3gpuE8ELNS1_3repE0EEENS1_52radix_sort_onesweep_histogram_config_static_selectorELNS0_4arch9wavefront6targetE0EEEvSG_,comdat
.Lfunc_end817:
	.size	_ZN7rocprim17ROCPRIM_400000_NS6detail17trampoline_kernelINS0_14default_configENS1_35radix_sort_onesweep_config_selectorIiiEEZNS1_34radix_sort_onesweep_global_offsetsIS3_Lb0EN6thrust23THRUST_200600_302600_NS6detail15normal_iteratorINS8_10device_ptrIiEEEESD_jNS0_19identity_decomposerEEE10hipError_tT1_T2_PT3_SI_jT4_jjP12ihipStream_tbEUlT_E0_NS1_11comp_targetILNS1_3genE4ELNS1_11target_archE910ELNS1_3gpuE8ELNS1_3repE0EEENS1_52radix_sort_onesweep_histogram_config_static_selectorELNS0_4arch9wavefront6targetE0EEEvSG_, .Lfunc_end817-_ZN7rocprim17ROCPRIM_400000_NS6detail17trampoline_kernelINS0_14default_configENS1_35radix_sort_onesweep_config_selectorIiiEEZNS1_34radix_sort_onesweep_global_offsetsIS3_Lb0EN6thrust23THRUST_200600_302600_NS6detail15normal_iteratorINS8_10device_ptrIiEEEESD_jNS0_19identity_decomposerEEE10hipError_tT1_T2_PT3_SI_jT4_jjP12ihipStream_tbEUlT_E0_NS1_11comp_targetILNS1_3genE4ELNS1_11target_archE910ELNS1_3gpuE8ELNS1_3repE0EEENS1_52radix_sort_onesweep_histogram_config_static_selectorELNS0_4arch9wavefront6targetE0EEEvSG_
                                        ; -- End function
	.set _ZN7rocprim17ROCPRIM_400000_NS6detail17trampoline_kernelINS0_14default_configENS1_35radix_sort_onesweep_config_selectorIiiEEZNS1_34radix_sort_onesweep_global_offsetsIS3_Lb0EN6thrust23THRUST_200600_302600_NS6detail15normal_iteratorINS8_10device_ptrIiEEEESD_jNS0_19identity_decomposerEEE10hipError_tT1_T2_PT3_SI_jT4_jjP12ihipStream_tbEUlT_E0_NS1_11comp_targetILNS1_3genE4ELNS1_11target_archE910ELNS1_3gpuE8ELNS1_3repE0EEENS1_52radix_sort_onesweep_histogram_config_static_selectorELNS0_4arch9wavefront6targetE0EEEvSG_.num_vgpr, 0
	.set _ZN7rocprim17ROCPRIM_400000_NS6detail17trampoline_kernelINS0_14default_configENS1_35radix_sort_onesweep_config_selectorIiiEEZNS1_34radix_sort_onesweep_global_offsetsIS3_Lb0EN6thrust23THRUST_200600_302600_NS6detail15normal_iteratorINS8_10device_ptrIiEEEESD_jNS0_19identity_decomposerEEE10hipError_tT1_T2_PT3_SI_jT4_jjP12ihipStream_tbEUlT_E0_NS1_11comp_targetILNS1_3genE4ELNS1_11target_archE910ELNS1_3gpuE8ELNS1_3repE0EEENS1_52radix_sort_onesweep_histogram_config_static_selectorELNS0_4arch9wavefront6targetE0EEEvSG_.num_agpr, 0
	.set _ZN7rocprim17ROCPRIM_400000_NS6detail17trampoline_kernelINS0_14default_configENS1_35radix_sort_onesweep_config_selectorIiiEEZNS1_34radix_sort_onesweep_global_offsetsIS3_Lb0EN6thrust23THRUST_200600_302600_NS6detail15normal_iteratorINS8_10device_ptrIiEEEESD_jNS0_19identity_decomposerEEE10hipError_tT1_T2_PT3_SI_jT4_jjP12ihipStream_tbEUlT_E0_NS1_11comp_targetILNS1_3genE4ELNS1_11target_archE910ELNS1_3gpuE8ELNS1_3repE0EEENS1_52radix_sort_onesweep_histogram_config_static_selectorELNS0_4arch9wavefront6targetE0EEEvSG_.numbered_sgpr, 0
	.set _ZN7rocprim17ROCPRIM_400000_NS6detail17trampoline_kernelINS0_14default_configENS1_35radix_sort_onesweep_config_selectorIiiEEZNS1_34radix_sort_onesweep_global_offsetsIS3_Lb0EN6thrust23THRUST_200600_302600_NS6detail15normal_iteratorINS8_10device_ptrIiEEEESD_jNS0_19identity_decomposerEEE10hipError_tT1_T2_PT3_SI_jT4_jjP12ihipStream_tbEUlT_E0_NS1_11comp_targetILNS1_3genE4ELNS1_11target_archE910ELNS1_3gpuE8ELNS1_3repE0EEENS1_52radix_sort_onesweep_histogram_config_static_selectorELNS0_4arch9wavefront6targetE0EEEvSG_.num_named_barrier, 0
	.set _ZN7rocprim17ROCPRIM_400000_NS6detail17trampoline_kernelINS0_14default_configENS1_35radix_sort_onesweep_config_selectorIiiEEZNS1_34radix_sort_onesweep_global_offsetsIS3_Lb0EN6thrust23THRUST_200600_302600_NS6detail15normal_iteratorINS8_10device_ptrIiEEEESD_jNS0_19identity_decomposerEEE10hipError_tT1_T2_PT3_SI_jT4_jjP12ihipStream_tbEUlT_E0_NS1_11comp_targetILNS1_3genE4ELNS1_11target_archE910ELNS1_3gpuE8ELNS1_3repE0EEENS1_52radix_sort_onesweep_histogram_config_static_selectorELNS0_4arch9wavefront6targetE0EEEvSG_.private_seg_size, 0
	.set _ZN7rocprim17ROCPRIM_400000_NS6detail17trampoline_kernelINS0_14default_configENS1_35radix_sort_onesweep_config_selectorIiiEEZNS1_34radix_sort_onesweep_global_offsetsIS3_Lb0EN6thrust23THRUST_200600_302600_NS6detail15normal_iteratorINS8_10device_ptrIiEEEESD_jNS0_19identity_decomposerEEE10hipError_tT1_T2_PT3_SI_jT4_jjP12ihipStream_tbEUlT_E0_NS1_11comp_targetILNS1_3genE4ELNS1_11target_archE910ELNS1_3gpuE8ELNS1_3repE0EEENS1_52radix_sort_onesweep_histogram_config_static_selectorELNS0_4arch9wavefront6targetE0EEEvSG_.uses_vcc, 0
	.set _ZN7rocprim17ROCPRIM_400000_NS6detail17trampoline_kernelINS0_14default_configENS1_35radix_sort_onesweep_config_selectorIiiEEZNS1_34radix_sort_onesweep_global_offsetsIS3_Lb0EN6thrust23THRUST_200600_302600_NS6detail15normal_iteratorINS8_10device_ptrIiEEEESD_jNS0_19identity_decomposerEEE10hipError_tT1_T2_PT3_SI_jT4_jjP12ihipStream_tbEUlT_E0_NS1_11comp_targetILNS1_3genE4ELNS1_11target_archE910ELNS1_3gpuE8ELNS1_3repE0EEENS1_52radix_sort_onesweep_histogram_config_static_selectorELNS0_4arch9wavefront6targetE0EEEvSG_.uses_flat_scratch, 0
	.set _ZN7rocprim17ROCPRIM_400000_NS6detail17trampoline_kernelINS0_14default_configENS1_35radix_sort_onesweep_config_selectorIiiEEZNS1_34radix_sort_onesweep_global_offsetsIS3_Lb0EN6thrust23THRUST_200600_302600_NS6detail15normal_iteratorINS8_10device_ptrIiEEEESD_jNS0_19identity_decomposerEEE10hipError_tT1_T2_PT3_SI_jT4_jjP12ihipStream_tbEUlT_E0_NS1_11comp_targetILNS1_3genE4ELNS1_11target_archE910ELNS1_3gpuE8ELNS1_3repE0EEENS1_52radix_sort_onesweep_histogram_config_static_selectorELNS0_4arch9wavefront6targetE0EEEvSG_.has_dyn_sized_stack, 0
	.set _ZN7rocprim17ROCPRIM_400000_NS6detail17trampoline_kernelINS0_14default_configENS1_35radix_sort_onesweep_config_selectorIiiEEZNS1_34radix_sort_onesweep_global_offsetsIS3_Lb0EN6thrust23THRUST_200600_302600_NS6detail15normal_iteratorINS8_10device_ptrIiEEEESD_jNS0_19identity_decomposerEEE10hipError_tT1_T2_PT3_SI_jT4_jjP12ihipStream_tbEUlT_E0_NS1_11comp_targetILNS1_3genE4ELNS1_11target_archE910ELNS1_3gpuE8ELNS1_3repE0EEENS1_52radix_sort_onesweep_histogram_config_static_selectorELNS0_4arch9wavefront6targetE0EEEvSG_.has_recursion, 0
	.set _ZN7rocprim17ROCPRIM_400000_NS6detail17trampoline_kernelINS0_14default_configENS1_35radix_sort_onesweep_config_selectorIiiEEZNS1_34radix_sort_onesweep_global_offsetsIS3_Lb0EN6thrust23THRUST_200600_302600_NS6detail15normal_iteratorINS8_10device_ptrIiEEEESD_jNS0_19identity_decomposerEEE10hipError_tT1_T2_PT3_SI_jT4_jjP12ihipStream_tbEUlT_E0_NS1_11comp_targetILNS1_3genE4ELNS1_11target_archE910ELNS1_3gpuE8ELNS1_3repE0EEENS1_52radix_sort_onesweep_histogram_config_static_selectorELNS0_4arch9wavefront6targetE0EEEvSG_.has_indirect_call, 0
	.section	.AMDGPU.csdata,"",@progbits
; Kernel info:
; codeLenInByte = 0
; TotalNumSgprs: 0
; NumVgprs: 0
; ScratchSize: 0
; MemoryBound: 0
; FloatMode: 240
; IeeeMode: 1
; LDSByteSize: 0 bytes/workgroup (compile time only)
; SGPRBlocks: 0
; VGPRBlocks: 0
; NumSGPRsForWavesPerEU: 1
; NumVGPRsForWavesPerEU: 1
; Occupancy: 16
; WaveLimiterHint : 0
; COMPUTE_PGM_RSRC2:SCRATCH_EN: 0
; COMPUTE_PGM_RSRC2:USER_SGPR: 6
; COMPUTE_PGM_RSRC2:TRAP_HANDLER: 0
; COMPUTE_PGM_RSRC2:TGID_X_EN: 1
; COMPUTE_PGM_RSRC2:TGID_Y_EN: 0
; COMPUTE_PGM_RSRC2:TGID_Z_EN: 0
; COMPUTE_PGM_RSRC2:TIDIG_COMP_CNT: 0
	.section	.text._ZN7rocprim17ROCPRIM_400000_NS6detail17trampoline_kernelINS0_14default_configENS1_35radix_sort_onesweep_config_selectorIiiEEZNS1_34radix_sort_onesweep_global_offsetsIS3_Lb0EN6thrust23THRUST_200600_302600_NS6detail15normal_iteratorINS8_10device_ptrIiEEEESD_jNS0_19identity_decomposerEEE10hipError_tT1_T2_PT3_SI_jT4_jjP12ihipStream_tbEUlT_E0_NS1_11comp_targetILNS1_3genE3ELNS1_11target_archE908ELNS1_3gpuE7ELNS1_3repE0EEENS1_52radix_sort_onesweep_histogram_config_static_selectorELNS0_4arch9wavefront6targetE0EEEvSG_,"axG",@progbits,_ZN7rocprim17ROCPRIM_400000_NS6detail17trampoline_kernelINS0_14default_configENS1_35radix_sort_onesweep_config_selectorIiiEEZNS1_34radix_sort_onesweep_global_offsetsIS3_Lb0EN6thrust23THRUST_200600_302600_NS6detail15normal_iteratorINS8_10device_ptrIiEEEESD_jNS0_19identity_decomposerEEE10hipError_tT1_T2_PT3_SI_jT4_jjP12ihipStream_tbEUlT_E0_NS1_11comp_targetILNS1_3genE3ELNS1_11target_archE908ELNS1_3gpuE7ELNS1_3repE0EEENS1_52radix_sort_onesweep_histogram_config_static_selectorELNS0_4arch9wavefront6targetE0EEEvSG_,comdat
	.protected	_ZN7rocprim17ROCPRIM_400000_NS6detail17trampoline_kernelINS0_14default_configENS1_35radix_sort_onesweep_config_selectorIiiEEZNS1_34radix_sort_onesweep_global_offsetsIS3_Lb0EN6thrust23THRUST_200600_302600_NS6detail15normal_iteratorINS8_10device_ptrIiEEEESD_jNS0_19identity_decomposerEEE10hipError_tT1_T2_PT3_SI_jT4_jjP12ihipStream_tbEUlT_E0_NS1_11comp_targetILNS1_3genE3ELNS1_11target_archE908ELNS1_3gpuE7ELNS1_3repE0EEENS1_52radix_sort_onesweep_histogram_config_static_selectorELNS0_4arch9wavefront6targetE0EEEvSG_ ; -- Begin function _ZN7rocprim17ROCPRIM_400000_NS6detail17trampoline_kernelINS0_14default_configENS1_35radix_sort_onesweep_config_selectorIiiEEZNS1_34radix_sort_onesweep_global_offsetsIS3_Lb0EN6thrust23THRUST_200600_302600_NS6detail15normal_iteratorINS8_10device_ptrIiEEEESD_jNS0_19identity_decomposerEEE10hipError_tT1_T2_PT3_SI_jT4_jjP12ihipStream_tbEUlT_E0_NS1_11comp_targetILNS1_3genE3ELNS1_11target_archE908ELNS1_3gpuE7ELNS1_3repE0EEENS1_52radix_sort_onesweep_histogram_config_static_selectorELNS0_4arch9wavefront6targetE0EEEvSG_
	.globl	_ZN7rocprim17ROCPRIM_400000_NS6detail17trampoline_kernelINS0_14default_configENS1_35radix_sort_onesweep_config_selectorIiiEEZNS1_34radix_sort_onesweep_global_offsetsIS3_Lb0EN6thrust23THRUST_200600_302600_NS6detail15normal_iteratorINS8_10device_ptrIiEEEESD_jNS0_19identity_decomposerEEE10hipError_tT1_T2_PT3_SI_jT4_jjP12ihipStream_tbEUlT_E0_NS1_11comp_targetILNS1_3genE3ELNS1_11target_archE908ELNS1_3gpuE7ELNS1_3repE0EEENS1_52radix_sort_onesweep_histogram_config_static_selectorELNS0_4arch9wavefront6targetE0EEEvSG_
	.p2align	8
	.type	_ZN7rocprim17ROCPRIM_400000_NS6detail17trampoline_kernelINS0_14default_configENS1_35radix_sort_onesweep_config_selectorIiiEEZNS1_34radix_sort_onesweep_global_offsetsIS3_Lb0EN6thrust23THRUST_200600_302600_NS6detail15normal_iteratorINS8_10device_ptrIiEEEESD_jNS0_19identity_decomposerEEE10hipError_tT1_T2_PT3_SI_jT4_jjP12ihipStream_tbEUlT_E0_NS1_11comp_targetILNS1_3genE3ELNS1_11target_archE908ELNS1_3gpuE7ELNS1_3repE0EEENS1_52radix_sort_onesweep_histogram_config_static_selectorELNS0_4arch9wavefront6targetE0EEEvSG_,@function
_ZN7rocprim17ROCPRIM_400000_NS6detail17trampoline_kernelINS0_14default_configENS1_35radix_sort_onesweep_config_selectorIiiEEZNS1_34radix_sort_onesweep_global_offsetsIS3_Lb0EN6thrust23THRUST_200600_302600_NS6detail15normal_iteratorINS8_10device_ptrIiEEEESD_jNS0_19identity_decomposerEEE10hipError_tT1_T2_PT3_SI_jT4_jjP12ihipStream_tbEUlT_E0_NS1_11comp_targetILNS1_3genE3ELNS1_11target_archE908ELNS1_3gpuE7ELNS1_3repE0EEENS1_52radix_sort_onesweep_histogram_config_static_selectorELNS0_4arch9wavefront6targetE0EEEvSG_: ; @_ZN7rocprim17ROCPRIM_400000_NS6detail17trampoline_kernelINS0_14default_configENS1_35radix_sort_onesweep_config_selectorIiiEEZNS1_34radix_sort_onesweep_global_offsetsIS3_Lb0EN6thrust23THRUST_200600_302600_NS6detail15normal_iteratorINS8_10device_ptrIiEEEESD_jNS0_19identity_decomposerEEE10hipError_tT1_T2_PT3_SI_jT4_jjP12ihipStream_tbEUlT_E0_NS1_11comp_targetILNS1_3genE3ELNS1_11target_archE908ELNS1_3gpuE7ELNS1_3repE0EEENS1_52radix_sort_onesweep_histogram_config_static_selectorELNS0_4arch9wavefront6targetE0EEEvSG_
; %bb.0:
	.section	.rodata,"a",@progbits
	.p2align	6, 0x0
	.amdhsa_kernel _ZN7rocprim17ROCPRIM_400000_NS6detail17trampoline_kernelINS0_14default_configENS1_35radix_sort_onesweep_config_selectorIiiEEZNS1_34radix_sort_onesweep_global_offsetsIS3_Lb0EN6thrust23THRUST_200600_302600_NS6detail15normal_iteratorINS8_10device_ptrIiEEEESD_jNS0_19identity_decomposerEEE10hipError_tT1_T2_PT3_SI_jT4_jjP12ihipStream_tbEUlT_E0_NS1_11comp_targetILNS1_3genE3ELNS1_11target_archE908ELNS1_3gpuE7ELNS1_3repE0EEENS1_52radix_sort_onesweep_histogram_config_static_selectorELNS0_4arch9wavefront6targetE0EEEvSG_
		.amdhsa_group_segment_fixed_size 0
		.amdhsa_private_segment_fixed_size 0
		.amdhsa_kernarg_size 8
		.amdhsa_user_sgpr_count 6
		.amdhsa_user_sgpr_private_segment_buffer 1
		.amdhsa_user_sgpr_dispatch_ptr 0
		.amdhsa_user_sgpr_queue_ptr 0
		.amdhsa_user_sgpr_kernarg_segment_ptr 1
		.amdhsa_user_sgpr_dispatch_id 0
		.amdhsa_user_sgpr_flat_scratch_init 0
		.amdhsa_user_sgpr_private_segment_size 0
		.amdhsa_wavefront_size32 1
		.amdhsa_uses_dynamic_stack 0
		.amdhsa_system_sgpr_private_segment_wavefront_offset 0
		.amdhsa_system_sgpr_workgroup_id_x 1
		.amdhsa_system_sgpr_workgroup_id_y 0
		.amdhsa_system_sgpr_workgroup_id_z 0
		.amdhsa_system_sgpr_workgroup_info 0
		.amdhsa_system_vgpr_workitem_id 0
		.amdhsa_next_free_vgpr 1
		.amdhsa_next_free_sgpr 1
		.amdhsa_reserve_vcc 0
		.amdhsa_reserve_flat_scratch 0
		.amdhsa_float_round_mode_32 0
		.amdhsa_float_round_mode_16_64 0
		.amdhsa_float_denorm_mode_32 3
		.amdhsa_float_denorm_mode_16_64 3
		.amdhsa_dx10_clamp 1
		.amdhsa_ieee_mode 1
		.amdhsa_fp16_overflow 0
		.amdhsa_workgroup_processor_mode 1
		.amdhsa_memory_ordered 1
		.amdhsa_forward_progress 1
		.amdhsa_shared_vgpr_count 0
		.amdhsa_exception_fp_ieee_invalid_op 0
		.amdhsa_exception_fp_denorm_src 0
		.amdhsa_exception_fp_ieee_div_zero 0
		.amdhsa_exception_fp_ieee_overflow 0
		.amdhsa_exception_fp_ieee_underflow 0
		.amdhsa_exception_fp_ieee_inexact 0
		.amdhsa_exception_int_div_zero 0
	.end_amdhsa_kernel
	.section	.text._ZN7rocprim17ROCPRIM_400000_NS6detail17trampoline_kernelINS0_14default_configENS1_35radix_sort_onesweep_config_selectorIiiEEZNS1_34radix_sort_onesweep_global_offsetsIS3_Lb0EN6thrust23THRUST_200600_302600_NS6detail15normal_iteratorINS8_10device_ptrIiEEEESD_jNS0_19identity_decomposerEEE10hipError_tT1_T2_PT3_SI_jT4_jjP12ihipStream_tbEUlT_E0_NS1_11comp_targetILNS1_3genE3ELNS1_11target_archE908ELNS1_3gpuE7ELNS1_3repE0EEENS1_52radix_sort_onesweep_histogram_config_static_selectorELNS0_4arch9wavefront6targetE0EEEvSG_,"axG",@progbits,_ZN7rocprim17ROCPRIM_400000_NS6detail17trampoline_kernelINS0_14default_configENS1_35radix_sort_onesweep_config_selectorIiiEEZNS1_34radix_sort_onesweep_global_offsetsIS3_Lb0EN6thrust23THRUST_200600_302600_NS6detail15normal_iteratorINS8_10device_ptrIiEEEESD_jNS0_19identity_decomposerEEE10hipError_tT1_T2_PT3_SI_jT4_jjP12ihipStream_tbEUlT_E0_NS1_11comp_targetILNS1_3genE3ELNS1_11target_archE908ELNS1_3gpuE7ELNS1_3repE0EEENS1_52radix_sort_onesweep_histogram_config_static_selectorELNS0_4arch9wavefront6targetE0EEEvSG_,comdat
.Lfunc_end818:
	.size	_ZN7rocprim17ROCPRIM_400000_NS6detail17trampoline_kernelINS0_14default_configENS1_35radix_sort_onesweep_config_selectorIiiEEZNS1_34radix_sort_onesweep_global_offsetsIS3_Lb0EN6thrust23THRUST_200600_302600_NS6detail15normal_iteratorINS8_10device_ptrIiEEEESD_jNS0_19identity_decomposerEEE10hipError_tT1_T2_PT3_SI_jT4_jjP12ihipStream_tbEUlT_E0_NS1_11comp_targetILNS1_3genE3ELNS1_11target_archE908ELNS1_3gpuE7ELNS1_3repE0EEENS1_52radix_sort_onesweep_histogram_config_static_selectorELNS0_4arch9wavefront6targetE0EEEvSG_, .Lfunc_end818-_ZN7rocprim17ROCPRIM_400000_NS6detail17trampoline_kernelINS0_14default_configENS1_35radix_sort_onesweep_config_selectorIiiEEZNS1_34radix_sort_onesweep_global_offsetsIS3_Lb0EN6thrust23THRUST_200600_302600_NS6detail15normal_iteratorINS8_10device_ptrIiEEEESD_jNS0_19identity_decomposerEEE10hipError_tT1_T2_PT3_SI_jT4_jjP12ihipStream_tbEUlT_E0_NS1_11comp_targetILNS1_3genE3ELNS1_11target_archE908ELNS1_3gpuE7ELNS1_3repE0EEENS1_52radix_sort_onesweep_histogram_config_static_selectorELNS0_4arch9wavefront6targetE0EEEvSG_
                                        ; -- End function
	.set _ZN7rocprim17ROCPRIM_400000_NS6detail17trampoline_kernelINS0_14default_configENS1_35radix_sort_onesweep_config_selectorIiiEEZNS1_34radix_sort_onesweep_global_offsetsIS3_Lb0EN6thrust23THRUST_200600_302600_NS6detail15normal_iteratorINS8_10device_ptrIiEEEESD_jNS0_19identity_decomposerEEE10hipError_tT1_T2_PT3_SI_jT4_jjP12ihipStream_tbEUlT_E0_NS1_11comp_targetILNS1_3genE3ELNS1_11target_archE908ELNS1_3gpuE7ELNS1_3repE0EEENS1_52radix_sort_onesweep_histogram_config_static_selectorELNS0_4arch9wavefront6targetE0EEEvSG_.num_vgpr, 0
	.set _ZN7rocprim17ROCPRIM_400000_NS6detail17trampoline_kernelINS0_14default_configENS1_35radix_sort_onesweep_config_selectorIiiEEZNS1_34radix_sort_onesweep_global_offsetsIS3_Lb0EN6thrust23THRUST_200600_302600_NS6detail15normal_iteratorINS8_10device_ptrIiEEEESD_jNS0_19identity_decomposerEEE10hipError_tT1_T2_PT3_SI_jT4_jjP12ihipStream_tbEUlT_E0_NS1_11comp_targetILNS1_3genE3ELNS1_11target_archE908ELNS1_3gpuE7ELNS1_3repE0EEENS1_52radix_sort_onesweep_histogram_config_static_selectorELNS0_4arch9wavefront6targetE0EEEvSG_.num_agpr, 0
	.set _ZN7rocprim17ROCPRIM_400000_NS6detail17trampoline_kernelINS0_14default_configENS1_35radix_sort_onesweep_config_selectorIiiEEZNS1_34radix_sort_onesweep_global_offsetsIS3_Lb0EN6thrust23THRUST_200600_302600_NS6detail15normal_iteratorINS8_10device_ptrIiEEEESD_jNS0_19identity_decomposerEEE10hipError_tT1_T2_PT3_SI_jT4_jjP12ihipStream_tbEUlT_E0_NS1_11comp_targetILNS1_3genE3ELNS1_11target_archE908ELNS1_3gpuE7ELNS1_3repE0EEENS1_52radix_sort_onesweep_histogram_config_static_selectorELNS0_4arch9wavefront6targetE0EEEvSG_.numbered_sgpr, 0
	.set _ZN7rocprim17ROCPRIM_400000_NS6detail17trampoline_kernelINS0_14default_configENS1_35radix_sort_onesweep_config_selectorIiiEEZNS1_34radix_sort_onesweep_global_offsetsIS3_Lb0EN6thrust23THRUST_200600_302600_NS6detail15normal_iteratorINS8_10device_ptrIiEEEESD_jNS0_19identity_decomposerEEE10hipError_tT1_T2_PT3_SI_jT4_jjP12ihipStream_tbEUlT_E0_NS1_11comp_targetILNS1_3genE3ELNS1_11target_archE908ELNS1_3gpuE7ELNS1_3repE0EEENS1_52radix_sort_onesweep_histogram_config_static_selectorELNS0_4arch9wavefront6targetE0EEEvSG_.num_named_barrier, 0
	.set _ZN7rocprim17ROCPRIM_400000_NS6detail17trampoline_kernelINS0_14default_configENS1_35radix_sort_onesweep_config_selectorIiiEEZNS1_34radix_sort_onesweep_global_offsetsIS3_Lb0EN6thrust23THRUST_200600_302600_NS6detail15normal_iteratorINS8_10device_ptrIiEEEESD_jNS0_19identity_decomposerEEE10hipError_tT1_T2_PT3_SI_jT4_jjP12ihipStream_tbEUlT_E0_NS1_11comp_targetILNS1_3genE3ELNS1_11target_archE908ELNS1_3gpuE7ELNS1_3repE0EEENS1_52radix_sort_onesweep_histogram_config_static_selectorELNS0_4arch9wavefront6targetE0EEEvSG_.private_seg_size, 0
	.set _ZN7rocprim17ROCPRIM_400000_NS6detail17trampoline_kernelINS0_14default_configENS1_35radix_sort_onesweep_config_selectorIiiEEZNS1_34radix_sort_onesweep_global_offsetsIS3_Lb0EN6thrust23THRUST_200600_302600_NS6detail15normal_iteratorINS8_10device_ptrIiEEEESD_jNS0_19identity_decomposerEEE10hipError_tT1_T2_PT3_SI_jT4_jjP12ihipStream_tbEUlT_E0_NS1_11comp_targetILNS1_3genE3ELNS1_11target_archE908ELNS1_3gpuE7ELNS1_3repE0EEENS1_52radix_sort_onesweep_histogram_config_static_selectorELNS0_4arch9wavefront6targetE0EEEvSG_.uses_vcc, 0
	.set _ZN7rocprim17ROCPRIM_400000_NS6detail17trampoline_kernelINS0_14default_configENS1_35radix_sort_onesweep_config_selectorIiiEEZNS1_34radix_sort_onesweep_global_offsetsIS3_Lb0EN6thrust23THRUST_200600_302600_NS6detail15normal_iteratorINS8_10device_ptrIiEEEESD_jNS0_19identity_decomposerEEE10hipError_tT1_T2_PT3_SI_jT4_jjP12ihipStream_tbEUlT_E0_NS1_11comp_targetILNS1_3genE3ELNS1_11target_archE908ELNS1_3gpuE7ELNS1_3repE0EEENS1_52radix_sort_onesweep_histogram_config_static_selectorELNS0_4arch9wavefront6targetE0EEEvSG_.uses_flat_scratch, 0
	.set _ZN7rocprim17ROCPRIM_400000_NS6detail17trampoline_kernelINS0_14default_configENS1_35radix_sort_onesweep_config_selectorIiiEEZNS1_34radix_sort_onesweep_global_offsetsIS3_Lb0EN6thrust23THRUST_200600_302600_NS6detail15normal_iteratorINS8_10device_ptrIiEEEESD_jNS0_19identity_decomposerEEE10hipError_tT1_T2_PT3_SI_jT4_jjP12ihipStream_tbEUlT_E0_NS1_11comp_targetILNS1_3genE3ELNS1_11target_archE908ELNS1_3gpuE7ELNS1_3repE0EEENS1_52radix_sort_onesweep_histogram_config_static_selectorELNS0_4arch9wavefront6targetE0EEEvSG_.has_dyn_sized_stack, 0
	.set _ZN7rocprim17ROCPRIM_400000_NS6detail17trampoline_kernelINS0_14default_configENS1_35radix_sort_onesweep_config_selectorIiiEEZNS1_34radix_sort_onesweep_global_offsetsIS3_Lb0EN6thrust23THRUST_200600_302600_NS6detail15normal_iteratorINS8_10device_ptrIiEEEESD_jNS0_19identity_decomposerEEE10hipError_tT1_T2_PT3_SI_jT4_jjP12ihipStream_tbEUlT_E0_NS1_11comp_targetILNS1_3genE3ELNS1_11target_archE908ELNS1_3gpuE7ELNS1_3repE0EEENS1_52radix_sort_onesweep_histogram_config_static_selectorELNS0_4arch9wavefront6targetE0EEEvSG_.has_recursion, 0
	.set _ZN7rocprim17ROCPRIM_400000_NS6detail17trampoline_kernelINS0_14default_configENS1_35radix_sort_onesweep_config_selectorIiiEEZNS1_34radix_sort_onesweep_global_offsetsIS3_Lb0EN6thrust23THRUST_200600_302600_NS6detail15normal_iteratorINS8_10device_ptrIiEEEESD_jNS0_19identity_decomposerEEE10hipError_tT1_T2_PT3_SI_jT4_jjP12ihipStream_tbEUlT_E0_NS1_11comp_targetILNS1_3genE3ELNS1_11target_archE908ELNS1_3gpuE7ELNS1_3repE0EEENS1_52radix_sort_onesweep_histogram_config_static_selectorELNS0_4arch9wavefront6targetE0EEEvSG_.has_indirect_call, 0
	.section	.AMDGPU.csdata,"",@progbits
; Kernel info:
; codeLenInByte = 0
; TotalNumSgprs: 0
; NumVgprs: 0
; ScratchSize: 0
; MemoryBound: 0
; FloatMode: 240
; IeeeMode: 1
; LDSByteSize: 0 bytes/workgroup (compile time only)
; SGPRBlocks: 0
; VGPRBlocks: 0
; NumSGPRsForWavesPerEU: 1
; NumVGPRsForWavesPerEU: 1
; Occupancy: 16
; WaveLimiterHint : 0
; COMPUTE_PGM_RSRC2:SCRATCH_EN: 0
; COMPUTE_PGM_RSRC2:USER_SGPR: 6
; COMPUTE_PGM_RSRC2:TRAP_HANDLER: 0
; COMPUTE_PGM_RSRC2:TGID_X_EN: 1
; COMPUTE_PGM_RSRC2:TGID_Y_EN: 0
; COMPUTE_PGM_RSRC2:TGID_Z_EN: 0
; COMPUTE_PGM_RSRC2:TIDIG_COMP_CNT: 0
	.section	.text._ZN7rocprim17ROCPRIM_400000_NS6detail17trampoline_kernelINS0_14default_configENS1_35radix_sort_onesweep_config_selectorIiiEEZNS1_34radix_sort_onesweep_global_offsetsIS3_Lb0EN6thrust23THRUST_200600_302600_NS6detail15normal_iteratorINS8_10device_ptrIiEEEESD_jNS0_19identity_decomposerEEE10hipError_tT1_T2_PT3_SI_jT4_jjP12ihipStream_tbEUlT_E0_NS1_11comp_targetILNS1_3genE10ELNS1_11target_archE1201ELNS1_3gpuE5ELNS1_3repE0EEENS1_52radix_sort_onesweep_histogram_config_static_selectorELNS0_4arch9wavefront6targetE0EEEvSG_,"axG",@progbits,_ZN7rocprim17ROCPRIM_400000_NS6detail17trampoline_kernelINS0_14default_configENS1_35radix_sort_onesweep_config_selectorIiiEEZNS1_34radix_sort_onesweep_global_offsetsIS3_Lb0EN6thrust23THRUST_200600_302600_NS6detail15normal_iteratorINS8_10device_ptrIiEEEESD_jNS0_19identity_decomposerEEE10hipError_tT1_T2_PT3_SI_jT4_jjP12ihipStream_tbEUlT_E0_NS1_11comp_targetILNS1_3genE10ELNS1_11target_archE1201ELNS1_3gpuE5ELNS1_3repE0EEENS1_52radix_sort_onesweep_histogram_config_static_selectorELNS0_4arch9wavefront6targetE0EEEvSG_,comdat
	.protected	_ZN7rocprim17ROCPRIM_400000_NS6detail17trampoline_kernelINS0_14default_configENS1_35radix_sort_onesweep_config_selectorIiiEEZNS1_34radix_sort_onesweep_global_offsetsIS3_Lb0EN6thrust23THRUST_200600_302600_NS6detail15normal_iteratorINS8_10device_ptrIiEEEESD_jNS0_19identity_decomposerEEE10hipError_tT1_T2_PT3_SI_jT4_jjP12ihipStream_tbEUlT_E0_NS1_11comp_targetILNS1_3genE10ELNS1_11target_archE1201ELNS1_3gpuE5ELNS1_3repE0EEENS1_52radix_sort_onesweep_histogram_config_static_selectorELNS0_4arch9wavefront6targetE0EEEvSG_ ; -- Begin function _ZN7rocprim17ROCPRIM_400000_NS6detail17trampoline_kernelINS0_14default_configENS1_35radix_sort_onesweep_config_selectorIiiEEZNS1_34radix_sort_onesweep_global_offsetsIS3_Lb0EN6thrust23THRUST_200600_302600_NS6detail15normal_iteratorINS8_10device_ptrIiEEEESD_jNS0_19identity_decomposerEEE10hipError_tT1_T2_PT3_SI_jT4_jjP12ihipStream_tbEUlT_E0_NS1_11comp_targetILNS1_3genE10ELNS1_11target_archE1201ELNS1_3gpuE5ELNS1_3repE0EEENS1_52radix_sort_onesweep_histogram_config_static_selectorELNS0_4arch9wavefront6targetE0EEEvSG_
	.globl	_ZN7rocprim17ROCPRIM_400000_NS6detail17trampoline_kernelINS0_14default_configENS1_35radix_sort_onesweep_config_selectorIiiEEZNS1_34radix_sort_onesweep_global_offsetsIS3_Lb0EN6thrust23THRUST_200600_302600_NS6detail15normal_iteratorINS8_10device_ptrIiEEEESD_jNS0_19identity_decomposerEEE10hipError_tT1_T2_PT3_SI_jT4_jjP12ihipStream_tbEUlT_E0_NS1_11comp_targetILNS1_3genE10ELNS1_11target_archE1201ELNS1_3gpuE5ELNS1_3repE0EEENS1_52radix_sort_onesweep_histogram_config_static_selectorELNS0_4arch9wavefront6targetE0EEEvSG_
	.p2align	8
	.type	_ZN7rocprim17ROCPRIM_400000_NS6detail17trampoline_kernelINS0_14default_configENS1_35radix_sort_onesweep_config_selectorIiiEEZNS1_34radix_sort_onesweep_global_offsetsIS3_Lb0EN6thrust23THRUST_200600_302600_NS6detail15normal_iteratorINS8_10device_ptrIiEEEESD_jNS0_19identity_decomposerEEE10hipError_tT1_T2_PT3_SI_jT4_jjP12ihipStream_tbEUlT_E0_NS1_11comp_targetILNS1_3genE10ELNS1_11target_archE1201ELNS1_3gpuE5ELNS1_3repE0EEENS1_52radix_sort_onesweep_histogram_config_static_selectorELNS0_4arch9wavefront6targetE0EEEvSG_,@function
_ZN7rocprim17ROCPRIM_400000_NS6detail17trampoline_kernelINS0_14default_configENS1_35radix_sort_onesweep_config_selectorIiiEEZNS1_34radix_sort_onesweep_global_offsetsIS3_Lb0EN6thrust23THRUST_200600_302600_NS6detail15normal_iteratorINS8_10device_ptrIiEEEESD_jNS0_19identity_decomposerEEE10hipError_tT1_T2_PT3_SI_jT4_jjP12ihipStream_tbEUlT_E0_NS1_11comp_targetILNS1_3genE10ELNS1_11target_archE1201ELNS1_3gpuE5ELNS1_3repE0EEENS1_52radix_sort_onesweep_histogram_config_static_selectorELNS0_4arch9wavefront6targetE0EEEvSG_: ; @_ZN7rocprim17ROCPRIM_400000_NS6detail17trampoline_kernelINS0_14default_configENS1_35radix_sort_onesweep_config_selectorIiiEEZNS1_34radix_sort_onesweep_global_offsetsIS3_Lb0EN6thrust23THRUST_200600_302600_NS6detail15normal_iteratorINS8_10device_ptrIiEEEESD_jNS0_19identity_decomposerEEE10hipError_tT1_T2_PT3_SI_jT4_jjP12ihipStream_tbEUlT_E0_NS1_11comp_targetILNS1_3genE10ELNS1_11target_archE1201ELNS1_3gpuE5ELNS1_3repE0EEENS1_52radix_sort_onesweep_histogram_config_static_selectorELNS0_4arch9wavefront6targetE0EEEvSG_
; %bb.0:
	.section	.rodata,"a",@progbits
	.p2align	6, 0x0
	.amdhsa_kernel _ZN7rocprim17ROCPRIM_400000_NS6detail17trampoline_kernelINS0_14default_configENS1_35radix_sort_onesweep_config_selectorIiiEEZNS1_34radix_sort_onesweep_global_offsetsIS3_Lb0EN6thrust23THRUST_200600_302600_NS6detail15normal_iteratorINS8_10device_ptrIiEEEESD_jNS0_19identity_decomposerEEE10hipError_tT1_T2_PT3_SI_jT4_jjP12ihipStream_tbEUlT_E0_NS1_11comp_targetILNS1_3genE10ELNS1_11target_archE1201ELNS1_3gpuE5ELNS1_3repE0EEENS1_52radix_sort_onesweep_histogram_config_static_selectorELNS0_4arch9wavefront6targetE0EEEvSG_
		.amdhsa_group_segment_fixed_size 0
		.amdhsa_private_segment_fixed_size 0
		.amdhsa_kernarg_size 8
		.amdhsa_user_sgpr_count 6
		.amdhsa_user_sgpr_private_segment_buffer 1
		.amdhsa_user_sgpr_dispatch_ptr 0
		.amdhsa_user_sgpr_queue_ptr 0
		.amdhsa_user_sgpr_kernarg_segment_ptr 1
		.amdhsa_user_sgpr_dispatch_id 0
		.amdhsa_user_sgpr_flat_scratch_init 0
		.amdhsa_user_sgpr_private_segment_size 0
		.amdhsa_wavefront_size32 1
		.amdhsa_uses_dynamic_stack 0
		.amdhsa_system_sgpr_private_segment_wavefront_offset 0
		.amdhsa_system_sgpr_workgroup_id_x 1
		.amdhsa_system_sgpr_workgroup_id_y 0
		.amdhsa_system_sgpr_workgroup_id_z 0
		.amdhsa_system_sgpr_workgroup_info 0
		.amdhsa_system_vgpr_workitem_id 0
		.amdhsa_next_free_vgpr 1
		.amdhsa_next_free_sgpr 1
		.amdhsa_reserve_vcc 0
		.amdhsa_reserve_flat_scratch 0
		.amdhsa_float_round_mode_32 0
		.amdhsa_float_round_mode_16_64 0
		.amdhsa_float_denorm_mode_32 3
		.amdhsa_float_denorm_mode_16_64 3
		.amdhsa_dx10_clamp 1
		.amdhsa_ieee_mode 1
		.amdhsa_fp16_overflow 0
		.amdhsa_workgroup_processor_mode 1
		.amdhsa_memory_ordered 1
		.amdhsa_forward_progress 1
		.amdhsa_shared_vgpr_count 0
		.amdhsa_exception_fp_ieee_invalid_op 0
		.amdhsa_exception_fp_denorm_src 0
		.amdhsa_exception_fp_ieee_div_zero 0
		.amdhsa_exception_fp_ieee_overflow 0
		.amdhsa_exception_fp_ieee_underflow 0
		.amdhsa_exception_fp_ieee_inexact 0
		.amdhsa_exception_int_div_zero 0
	.end_amdhsa_kernel
	.section	.text._ZN7rocprim17ROCPRIM_400000_NS6detail17trampoline_kernelINS0_14default_configENS1_35radix_sort_onesweep_config_selectorIiiEEZNS1_34radix_sort_onesweep_global_offsetsIS3_Lb0EN6thrust23THRUST_200600_302600_NS6detail15normal_iteratorINS8_10device_ptrIiEEEESD_jNS0_19identity_decomposerEEE10hipError_tT1_T2_PT3_SI_jT4_jjP12ihipStream_tbEUlT_E0_NS1_11comp_targetILNS1_3genE10ELNS1_11target_archE1201ELNS1_3gpuE5ELNS1_3repE0EEENS1_52radix_sort_onesweep_histogram_config_static_selectorELNS0_4arch9wavefront6targetE0EEEvSG_,"axG",@progbits,_ZN7rocprim17ROCPRIM_400000_NS6detail17trampoline_kernelINS0_14default_configENS1_35radix_sort_onesweep_config_selectorIiiEEZNS1_34radix_sort_onesweep_global_offsetsIS3_Lb0EN6thrust23THRUST_200600_302600_NS6detail15normal_iteratorINS8_10device_ptrIiEEEESD_jNS0_19identity_decomposerEEE10hipError_tT1_T2_PT3_SI_jT4_jjP12ihipStream_tbEUlT_E0_NS1_11comp_targetILNS1_3genE10ELNS1_11target_archE1201ELNS1_3gpuE5ELNS1_3repE0EEENS1_52radix_sort_onesweep_histogram_config_static_selectorELNS0_4arch9wavefront6targetE0EEEvSG_,comdat
.Lfunc_end819:
	.size	_ZN7rocprim17ROCPRIM_400000_NS6detail17trampoline_kernelINS0_14default_configENS1_35radix_sort_onesweep_config_selectorIiiEEZNS1_34radix_sort_onesweep_global_offsetsIS3_Lb0EN6thrust23THRUST_200600_302600_NS6detail15normal_iteratorINS8_10device_ptrIiEEEESD_jNS0_19identity_decomposerEEE10hipError_tT1_T2_PT3_SI_jT4_jjP12ihipStream_tbEUlT_E0_NS1_11comp_targetILNS1_3genE10ELNS1_11target_archE1201ELNS1_3gpuE5ELNS1_3repE0EEENS1_52radix_sort_onesweep_histogram_config_static_selectorELNS0_4arch9wavefront6targetE0EEEvSG_, .Lfunc_end819-_ZN7rocprim17ROCPRIM_400000_NS6detail17trampoline_kernelINS0_14default_configENS1_35radix_sort_onesweep_config_selectorIiiEEZNS1_34radix_sort_onesweep_global_offsetsIS3_Lb0EN6thrust23THRUST_200600_302600_NS6detail15normal_iteratorINS8_10device_ptrIiEEEESD_jNS0_19identity_decomposerEEE10hipError_tT1_T2_PT3_SI_jT4_jjP12ihipStream_tbEUlT_E0_NS1_11comp_targetILNS1_3genE10ELNS1_11target_archE1201ELNS1_3gpuE5ELNS1_3repE0EEENS1_52radix_sort_onesweep_histogram_config_static_selectorELNS0_4arch9wavefront6targetE0EEEvSG_
                                        ; -- End function
	.set _ZN7rocprim17ROCPRIM_400000_NS6detail17trampoline_kernelINS0_14default_configENS1_35radix_sort_onesweep_config_selectorIiiEEZNS1_34radix_sort_onesweep_global_offsetsIS3_Lb0EN6thrust23THRUST_200600_302600_NS6detail15normal_iteratorINS8_10device_ptrIiEEEESD_jNS0_19identity_decomposerEEE10hipError_tT1_T2_PT3_SI_jT4_jjP12ihipStream_tbEUlT_E0_NS1_11comp_targetILNS1_3genE10ELNS1_11target_archE1201ELNS1_3gpuE5ELNS1_3repE0EEENS1_52radix_sort_onesweep_histogram_config_static_selectorELNS0_4arch9wavefront6targetE0EEEvSG_.num_vgpr, 0
	.set _ZN7rocprim17ROCPRIM_400000_NS6detail17trampoline_kernelINS0_14default_configENS1_35radix_sort_onesweep_config_selectorIiiEEZNS1_34radix_sort_onesweep_global_offsetsIS3_Lb0EN6thrust23THRUST_200600_302600_NS6detail15normal_iteratorINS8_10device_ptrIiEEEESD_jNS0_19identity_decomposerEEE10hipError_tT1_T2_PT3_SI_jT4_jjP12ihipStream_tbEUlT_E0_NS1_11comp_targetILNS1_3genE10ELNS1_11target_archE1201ELNS1_3gpuE5ELNS1_3repE0EEENS1_52radix_sort_onesweep_histogram_config_static_selectorELNS0_4arch9wavefront6targetE0EEEvSG_.num_agpr, 0
	.set _ZN7rocprim17ROCPRIM_400000_NS6detail17trampoline_kernelINS0_14default_configENS1_35radix_sort_onesweep_config_selectorIiiEEZNS1_34radix_sort_onesweep_global_offsetsIS3_Lb0EN6thrust23THRUST_200600_302600_NS6detail15normal_iteratorINS8_10device_ptrIiEEEESD_jNS0_19identity_decomposerEEE10hipError_tT1_T2_PT3_SI_jT4_jjP12ihipStream_tbEUlT_E0_NS1_11comp_targetILNS1_3genE10ELNS1_11target_archE1201ELNS1_3gpuE5ELNS1_3repE0EEENS1_52radix_sort_onesweep_histogram_config_static_selectorELNS0_4arch9wavefront6targetE0EEEvSG_.numbered_sgpr, 0
	.set _ZN7rocprim17ROCPRIM_400000_NS6detail17trampoline_kernelINS0_14default_configENS1_35radix_sort_onesweep_config_selectorIiiEEZNS1_34radix_sort_onesweep_global_offsetsIS3_Lb0EN6thrust23THRUST_200600_302600_NS6detail15normal_iteratorINS8_10device_ptrIiEEEESD_jNS0_19identity_decomposerEEE10hipError_tT1_T2_PT3_SI_jT4_jjP12ihipStream_tbEUlT_E0_NS1_11comp_targetILNS1_3genE10ELNS1_11target_archE1201ELNS1_3gpuE5ELNS1_3repE0EEENS1_52radix_sort_onesweep_histogram_config_static_selectorELNS0_4arch9wavefront6targetE0EEEvSG_.num_named_barrier, 0
	.set _ZN7rocprim17ROCPRIM_400000_NS6detail17trampoline_kernelINS0_14default_configENS1_35radix_sort_onesweep_config_selectorIiiEEZNS1_34radix_sort_onesweep_global_offsetsIS3_Lb0EN6thrust23THRUST_200600_302600_NS6detail15normal_iteratorINS8_10device_ptrIiEEEESD_jNS0_19identity_decomposerEEE10hipError_tT1_T2_PT3_SI_jT4_jjP12ihipStream_tbEUlT_E0_NS1_11comp_targetILNS1_3genE10ELNS1_11target_archE1201ELNS1_3gpuE5ELNS1_3repE0EEENS1_52radix_sort_onesweep_histogram_config_static_selectorELNS0_4arch9wavefront6targetE0EEEvSG_.private_seg_size, 0
	.set _ZN7rocprim17ROCPRIM_400000_NS6detail17trampoline_kernelINS0_14default_configENS1_35radix_sort_onesweep_config_selectorIiiEEZNS1_34radix_sort_onesweep_global_offsetsIS3_Lb0EN6thrust23THRUST_200600_302600_NS6detail15normal_iteratorINS8_10device_ptrIiEEEESD_jNS0_19identity_decomposerEEE10hipError_tT1_T2_PT3_SI_jT4_jjP12ihipStream_tbEUlT_E0_NS1_11comp_targetILNS1_3genE10ELNS1_11target_archE1201ELNS1_3gpuE5ELNS1_3repE0EEENS1_52radix_sort_onesweep_histogram_config_static_selectorELNS0_4arch9wavefront6targetE0EEEvSG_.uses_vcc, 0
	.set _ZN7rocprim17ROCPRIM_400000_NS6detail17trampoline_kernelINS0_14default_configENS1_35radix_sort_onesweep_config_selectorIiiEEZNS1_34radix_sort_onesweep_global_offsetsIS3_Lb0EN6thrust23THRUST_200600_302600_NS6detail15normal_iteratorINS8_10device_ptrIiEEEESD_jNS0_19identity_decomposerEEE10hipError_tT1_T2_PT3_SI_jT4_jjP12ihipStream_tbEUlT_E0_NS1_11comp_targetILNS1_3genE10ELNS1_11target_archE1201ELNS1_3gpuE5ELNS1_3repE0EEENS1_52radix_sort_onesweep_histogram_config_static_selectorELNS0_4arch9wavefront6targetE0EEEvSG_.uses_flat_scratch, 0
	.set _ZN7rocprim17ROCPRIM_400000_NS6detail17trampoline_kernelINS0_14default_configENS1_35radix_sort_onesweep_config_selectorIiiEEZNS1_34radix_sort_onesweep_global_offsetsIS3_Lb0EN6thrust23THRUST_200600_302600_NS6detail15normal_iteratorINS8_10device_ptrIiEEEESD_jNS0_19identity_decomposerEEE10hipError_tT1_T2_PT3_SI_jT4_jjP12ihipStream_tbEUlT_E0_NS1_11comp_targetILNS1_3genE10ELNS1_11target_archE1201ELNS1_3gpuE5ELNS1_3repE0EEENS1_52radix_sort_onesweep_histogram_config_static_selectorELNS0_4arch9wavefront6targetE0EEEvSG_.has_dyn_sized_stack, 0
	.set _ZN7rocprim17ROCPRIM_400000_NS6detail17trampoline_kernelINS0_14default_configENS1_35radix_sort_onesweep_config_selectorIiiEEZNS1_34radix_sort_onesweep_global_offsetsIS3_Lb0EN6thrust23THRUST_200600_302600_NS6detail15normal_iteratorINS8_10device_ptrIiEEEESD_jNS0_19identity_decomposerEEE10hipError_tT1_T2_PT3_SI_jT4_jjP12ihipStream_tbEUlT_E0_NS1_11comp_targetILNS1_3genE10ELNS1_11target_archE1201ELNS1_3gpuE5ELNS1_3repE0EEENS1_52radix_sort_onesweep_histogram_config_static_selectorELNS0_4arch9wavefront6targetE0EEEvSG_.has_recursion, 0
	.set _ZN7rocprim17ROCPRIM_400000_NS6detail17trampoline_kernelINS0_14default_configENS1_35radix_sort_onesweep_config_selectorIiiEEZNS1_34radix_sort_onesweep_global_offsetsIS3_Lb0EN6thrust23THRUST_200600_302600_NS6detail15normal_iteratorINS8_10device_ptrIiEEEESD_jNS0_19identity_decomposerEEE10hipError_tT1_T2_PT3_SI_jT4_jjP12ihipStream_tbEUlT_E0_NS1_11comp_targetILNS1_3genE10ELNS1_11target_archE1201ELNS1_3gpuE5ELNS1_3repE0EEENS1_52radix_sort_onesweep_histogram_config_static_selectorELNS0_4arch9wavefront6targetE0EEEvSG_.has_indirect_call, 0
	.section	.AMDGPU.csdata,"",@progbits
; Kernel info:
; codeLenInByte = 0
; TotalNumSgprs: 0
; NumVgprs: 0
; ScratchSize: 0
; MemoryBound: 0
; FloatMode: 240
; IeeeMode: 1
; LDSByteSize: 0 bytes/workgroup (compile time only)
; SGPRBlocks: 0
; VGPRBlocks: 0
; NumSGPRsForWavesPerEU: 1
; NumVGPRsForWavesPerEU: 1
; Occupancy: 16
; WaveLimiterHint : 0
; COMPUTE_PGM_RSRC2:SCRATCH_EN: 0
; COMPUTE_PGM_RSRC2:USER_SGPR: 6
; COMPUTE_PGM_RSRC2:TRAP_HANDLER: 0
; COMPUTE_PGM_RSRC2:TGID_X_EN: 1
; COMPUTE_PGM_RSRC2:TGID_Y_EN: 0
; COMPUTE_PGM_RSRC2:TGID_Z_EN: 0
; COMPUTE_PGM_RSRC2:TIDIG_COMP_CNT: 0
	.section	.text._ZN7rocprim17ROCPRIM_400000_NS6detail17trampoline_kernelINS0_14default_configENS1_35radix_sort_onesweep_config_selectorIiiEEZNS1_34radix_sort_onesweep_global_offsetsIS3_Lb0EN6thrust23THRUST_200600_302600_NS6detail15normal_iteratorINS8_10device_ptrIiEEEESD_jNS0_19identity_decomposerEEE10hipError_tT1_T2_PT3_SI_jT4_jjP12ihipStream_tbEUlT_E0_NS1_11comp_targetILNS1_3genE9ELNS1_11target_archE1100ELNS1_3gpuE3ELNS1_3repE0EEENS1_52radix_sort_onesweep_histogram_config_static_selectorELNS0_4arch9wavefront6targetE0EEEvSG_,"axG",@progbits,_ZN7rocprim17ROCPRIM_400000_NS6detail17trampoline_kernelINS0_14default_configENS1_35radix_sort_onesweep_config_selectorIiiEEZNS1_34radix_sort_onesweep_global_offsetsIS3_Lb0EN6thrust23THRUST_200600_302600_NS6detail15normal_iteratorINS8_10device_ptrIiEEEESD_jNS0_19identity_decomposerEEE10hipError_tT1_T2_PT3_SI_jT4_jjP12ihipStream_tbEUlT_E0_NS1_11comp_targetILNS1_3genE9ELNS1_11target_archE1100ELNS1_3gpuE3ELNS1_3repE0EEENS1_52radix_sort_onesweep_histogram_config_static_selectorELNS0_4arch9wavefront6targetE0EEEvSG_,comdat
	.protected	_ZN7rocprim17ROCPRIM_400000_NS6detail17trampoline_kernelINS0_14default_configENS1_35radix_sort_onesweep_config_selectorIiiEEZNS1_34radix_sort_onesweep_global_offsetsIS3_Lb0EN6thrust23THRUST_200600_302600_NS6detail15normal_iteratorINS8_10device_ptrIiEEEESD_jNS0_19identity_decomposerEEE10hipError_tT1_T2_PT3_SI_jT4_jjP12ihipStream_tbEUlT_E0_NS1_11comp_targetILNS1_3genE9ELNS1_11target_archE1100ELNS1_3gpuE3ELNS1_3repE0EEENS1_52radix_sort_onesweep_histogram_config_static_selectorELNS0_4arch9wavefront6targetE0EEEvSG_ ; -- Begin function _ZN7rocprim17ROCPRIM_400000_NS6detail17trampoline_kernelINS0_14default_configENS1_35radix_sort_onesweep_config_selectorIiiEEZNS1_34radix_sort_onesweep_global_offsetsIS3_Lb0EN6thrust23THRUST_200600_302600_NS6detail15normal_iteratorINS8_10device_ptrIiEEEESD_jNS0_19identity_decomposerEEE10hipError_tT1_T2_PT3_SI_jT4_jjP12ihipStream_tbEUlT_E0_NS1_11comp_targetILNS1_3genE9ELNS1_11target_archE1100ELNS1_3gpuE3ELNS1_3repE0EEENS1_52radix_sort_onesweep_histogram_config_static_selectorELNS0_4arch9wavefront6targetE0EEEvSG_
	.globl	_ZN7rocprim17ROCPRIM_400000_NS6detail17trampoline_kernelINS0_14default_configENS1_35radix_sort_onesweep_config_selectorIiiEEZNS1_34radix_sort_onesweep_global_offsetsIS3_Lb0EN6thrust23THRUST_200600_302600_NS6detail15normal_iteratorINS8_10device_ptrIiEEEESD_jNS0_19identity_decomposerEEE10hipError_tT1_T2_PT3_SI_jT4_jjP12ihipStream_tbEUlT_E0_NS1_11comp_targetILNS1_3genE9ELNS1_11target_archE1100ELNS1_3gpuE3ELNS1_3repE0EEENS1_52radix_sort_onesweep_histogram_config_static_selectorELNS0_4arch9wavefront6targetE0EEEvSG_
	.p2align	8
	.type	_ZN7rocprim17ROCPRIM_400000_NS6detail17trampoline_kernelINS0_14default_configENS1_35radix_sort_onesweep_config_selectorIiiEEZNS1_34radix_sort_onesweep_global_offsetsIS3_Lb0EN6thrust23THRUST_200600_302600_NS6detail15normal_iteratorINS8_10device_ptrIiEEEESD_jNS0_19identity_decomposerEEE10hipError_tT1_T2_PT3_SI_jT4_jjP12ihipStream_tbEUlT_E0_NS1_11comp_targetILNS1_3genE9ELNS1_11target_archE1100ELNS1_3gpuE3ELNS1_3repE0EEENS1_52radix_sort_onesweep_histogram_config_static_selectorELNS0_4arch9wavefront6targetE0EEEvSG_,@function
_ZN7rocprim17ROCPRIM_400000_NS6detail17trampoline_kernelINS0_14default_configENS1_35radix_sort_onesweep_config_selectorIiiEEZNS1_34radix_sort_onesweep_global_offsetsIS3_Lb0EN6thrust23THRUST_200600_302600_NS6detail15normal_iteratorINS8_10device_ptrIiEEEESD_jNS0_19identity_decomposerEEE10hipError_tT1_T2_PT3_SI_jT4_jjP12ihipStream_tbEUlT_E0_NS1_11comp_targetILNS1_3genE9ELNS1_11target_archE1100ELNS1_3gpuE3ELNS1_3repE0EEENS1_52radix_sort_onesweep_histogram_config_static_selectorELNS0_4arch9wavefront6targetE0EEEvSG_: ; @_ZN7rocprim17ROCPRIM_400000_NS6detail17trampoline_kernelINS0_14default_configENS1_35radix_sort_onesweep_config_selectorIiiEEZNS1_34radix_sort_onesweep_global_offsetsIS3_Lb0EN6thrust23THRUST_200600_302600_NS6detail15normal_iteratorINS8_10device_ptrIiEEEESD_jNS0_19identity_decomposerEEE10hipError_tT1_T2_PT3_SI_jT4_jjP12ihipStream_tbEUlT_E0_NS1_11comp_targetILNS1_3genE9ELNS1_11target_archE1100ELNS1_3gpuE3ELNS1_3repE0EEENS1_52radix_sort_onesweep_histogram_config_static_selectorELNS0_4arch9wavefront6targetE0EEEvSG_
; %bb.0:
	.section	.rodata,"a",@progbits
	.p2align	6, 0x0
	.amdhsa_kernel _ZN7rocprim17ROCPRIM_400000_NS6detail17trampoline_kernelINS0_14default_configENS1_35radix_sort_onesweep_config_selectorIiiEEZNS1_34radix_sort_onesweep_global_offsetsIS3_Lb0EN6thrust23THRUST_200600_302600_NS6detail15normal_iteratorINS8_10device_ptrIiEEEESD_jNS0_19identity_decomposerEEE10hipError_tT1_T2_PT3_SI_jT4_jjP12ihipStream_tbEUlT_E0_NS1_11comp_targetILNS1_3genE9ELNS1_11target_archE1100ELNS1_3gpuE3ELNS1_3repE0EEENS1_52radix_sort_onesweep_histogram_config_static_selectorELNS0_4arch9wavefront6targetE0EEEvSG_
		.amdhsa_group_segment_fixed_size 0
		.amdhsa_private_segment_fixed_size 0
		.amdhsa_kernarg_size 8
		.amdhsa_user_sgpr_count 6
		.amdhsa_user_sgpr_private_segment_buffer 1
		.amdhsa_user_sgpr_dispatch_ptr 0
		.amdhsa_user_sgpr_queue_ptr 0
		.amdhsa_user_sgpr_kernarg_segment_ptr 1
		.amdhsa_user_sgpr_dispatch_id 0
		.amdhsa_user_sgpr_flat_scratch_init 0
		.amdhsa_user_sgpr_private_segment_size 0
		.amdhsa_wavefront_size32 1
		.amdhsa_uses_dynamic_stack 0
		.amdhsa_system_sgpr_private_segment_wavefront_offset 0
		.amdhsa_system_sgpr_workgroup_id_x 1
		.amdhsa_system_sgpr_workgroup_id_y 0
		.amdhsa_system_sgpr_workgroup_id_z 0
		.amdhsa_system_sgpr_workgroup_info 0
		.amdhsa_system_vgpr_workitem_id 0
		.amdhsa_next_free_vgpr 1
		.amdhsa_next_free_sgpr 1
		.amdhsa_reserve_vcc 0
		.amdhsa_reserve_flat_scratch 0
		.amdhsa_float_round_mode_32 0
		.amdhsa_float_round_mode_16_64 0
		.amdhsa_float_denorm_mode_32 3
		.amdhsa_float_denorm_mode_16_64 3
		.amdhsa_dx10_clamp 1
		.amdhsa_ieee_mode 1
		.amdhsa_fp16_overflow 0
		.amdhsa_workgroup_processor_mode 1
		.amdhsa_memory_ordered 1
		.amdhsa_forward_progress 1
		.amdhsa_shared_vgpr_count 0
		.amdhsa_exception_fp_ieee_invalid_op 0
		.amdhsa_exception_fp_denorm_src 0
		.amdhsa_exception_fp_ieee_div_zero 0
		.amdhsa_exception_fp_ieee_overflow 0
		.amdhsa_exception_fp_ieee_underflow 0
		.amdhsa_exception_fp_ieee_inexact 0
		.amdhsa_exception_int_div_zero 0
	.end_amdhsa_kernel
	.section	.text._ZN7rocprim17ROCPRIM_400000_NS6detail17trampoline_kernelINS0_14default_configENS1_35radix_sort_onesweep_config_selectorIiiEEZNS1_34radix_sort_onesweep_global_offsetsIS3_Lb0EN6thrust23THRUST_200600_302600_NS6detail15normal_iteratorINS8_10device_ptrIiEEEESD_jNS0_19identity_decomposerEEE10hipError_tT1_T2_PT3_SI_jT4_jjP12ihipStream_tbEUlT_E0_NS1_11comp_targetILNS1_3genE9ELNS1_11target_archE1100ELNS1_3gpuE3ELNS1_3repE0EEENS1_52radix_sort_onesweep_histogram_config_static_selectorELNS0_4arch9wavefront6targetE0EEEvSG_,"axG",@progbits,_ZN7rocprim17ROCPRIM_400000_NS6detail17trampoline_kernelINS0_14default_configENS1_35radix_sort_onesweep_config_selectorIiiEEZNS1_34radix_sort_onesweep_global_offsetsIS3_Lb0EN6thrust23THRUST_200600_302600_NS6detail15normal_iteratorINS8_10device_ptrIiEEEESD_jNS0_19identity_decomposerEEE10hipError_tT1_T2_PT3_SI_jT4_jjP12ihipStream_tbEUlT_E0_NS1_11comp_targetILNS1_3genE9ELNS1_11target_archE1100ELNS1_3gpuE3ELNS1_3repE0EEENS1_52radix_sort_onesweep_histogram_config_static_selectorELNS0_4arch9wavefront6targetE0EEEvSG_,comdat
.Lfunc_end820:
	.size	_ZN7rocprim17ROCPRIM_400000_NS6detail17trampoline_kernelINS0_14default_configENS1_35radix_sort_onesweep_config_selectorIiiEEZNS1_34radix_sort_onesweep_global_offsetsIS3_Lb0EN6thrust23THRUST_200600_302600_NS6detail15normal_iteratorINS8_10device_ptrIiEEEESD_jNS0_19identity_decomposerEEE10hipError_tT1_T2_PT3_SI_jT4_jjP12ihipStream_tbEUlT_E0_NS1_11comp_targetILNS1_3genE9ELNS1_11target_archE1100ELNS1_3gpuE3ELNS1_3repE0EEENS1_52radix_sort_onesweep_histogram_config_static_selectorELNS0_4arch9wavefront6targetE0EEEvSG_, .Lfunc_end820-_ZN7rocprim17ROCPRIM_400000_NS6detail17trampoline_kernelINS0_14default_configENS1_35radix_sort_onesweep_config_selectorIiiEEZNS1_34radix_sort_onesweep_global_offsetsIS3_Lb0EN6thrust23THRUST_200600_302600_NS6detail15normal_iteratorINS8_10device_ptrIiEEEESD_jNS0_19identity_decomposerEEE10hipError_tT1_T2_PT3_SI_jT4_jjP12ihipStream_tbEUlT_E0_NS1_11comp_targetILNS1_3genE9ELNS1_11target_archE1100ELNS1_3gpuE3ELNS1_3repE0EEENS1_52radix_sort_onesweep_histogram_config_static_selectorELNS0_4arch9wavefront6targetE0EEEvSG_
                                        ; -- End function
	.set _ZN7rocprim17ROCPRIM_400000_NS6detail17trampoline_kernelINS0_14default_configENS1_35radix_sort_onesweep_config_selectorIiiEEZNS1_34radix_sort_onesweep_global_offsetsIS3_Lb0EN6thrust23THRUST_200600_302600_NS6detail15normal_iteratorINS8_10device_ptrIiEEEESD_jNS0_19identity_decomposerEEE10hipError_tT1_T2_PT3_SI_jT4_jjP12ihipStream_tbEUlT_E0_NS1_11comp_targetILNS1_3genE9ELNS1_11target_archE1100ELNS1_3gpuE3ELNS1_3repE0EEENS1_52radix_sort_onesweep_histogram_config_static_selectorELNS0_4arch9wavefront6targetE0EEEvSG_.num_vgpr, 0
	.set _ZN7rocprim17ROCPRIM_400000_NS6detail17trampoline_kernelINS0_14default_configENS1_35radix_sort_onesweep_config_selectorIiiEEZNS1_34radix_sort_onesweep_global_offsetsIS3_Lb0EN6thrust23THRUST_200600_302600_NS6detail15normal_iteratorINS8_10device_ptrIiEEEESD_jNS0_19identity_decomposerEEE10hipError_tT1_T2_PT3_SI_jT4_jjP12ihipStream_tbEUlT_E0_NS1_11comp_targetILNS1_3genE9ELNS1_11target_archE1100ELNS1_3gpuE3ELNS1_3repE0EEENS1_52radix_sort_onesweep_histogram_config_static_selectorELNS0_4arch9wavefront6targetE0EEEvSG_.num_agpr, 0
	.set _ZN7rocprim17ROCPRIM_400000_NS6detail17trampoline_kernelINS0_14default_configENS1_35radix_sort_onesweep_config_selectorIiiEEZNS1_34radix_sort_onesweep_global_offsetsIS3_Lb0EN6thrust23THRUST_200600_302600_NS6detail15normal_iteratorINS8_10device_ptrIiEEEESD_jNS0_19identity_decomposerEEE10hipError_tT1_T2_PT3_SI_jT4_jjP12ihipStream_tbEUlT_E0_NS1_11comp_targetILNS1_3genE9ELNS1_11target_archE1100ELNS1_3gpuE3ELNS1_3repE0EEENS1_52radix_sort_onesweep_histogram_config_static_selectorELNS0_4arch9wavefront6targetE0EEEvSG_.numbered_sgpr, 0
	.set _ZN7rocprim17ROCPRIM_400000_NS6detail17trampoline_kernelINS0_14default_configENS1_35radix_sort_onesweep_config_selectorIiiEEZNS1_34radix_sort_onesweep_global_offsetsIS3_Lb0EN6thrust23THRUST_200600_302600_NS6detail15normal_iteratorINS8_10device_ptrIiEEEESD_jNS0_19identity_decomposerEEE10hipError_tT1_T2_PT3_SI_jT4_jjP12ihipStream_tbEUlT_E0_NS1_11comp_targetILNS1_3genE9ELNS1_11target_archE1100ELNS1_3gpuE3ELNS1_3repE0EEENS1_52radix_sort_onesweep_histogram_config_static_selectorELNS0_4arch9wavefront6targetE0EEEvSG_.num_named_barrier, 0
	.set _ZN7rocprim17ROCPRIM_400000_NS6detail17trampoline_kernelINS0_14default_configENS1_35radix_sort_onesweep_config_selectorIiiEEZNS1_34radix_sort_onesweep_global_offsetsIS3_Lb0EN6thrust23THRUST_200600_302600_NS6detail15normal_iteratorINS8_10device_ptrIiEEEESD_jNS0_19identity_decomposerEEE10hipError_tT1_T2_PT3_SI_jT4_jjP12ihipStream_tbEUlT_E0_NS1_11comp_targetILNS1_3genE9ELNS1_11target_archE1100ELNS1_3gpuE3ELNS1_3repE0EEENS1_52radix_sort_onesweep_histogram_config_static_selectorELNS0_4arch9wavefront6targetE0EEEvSG_.private_seg_size, 0
	.set _ZN7rocprim17ROCPRIM_400000_NS6detail17trampoline_kernelINS0_14default_configENS1_35radix_sort_onesweep_config_selectorIiiEEZNS1_34radix_sort_onesweep_global_offsetsIS3_Lb0EN6thrust23THRUST_200600_302600_NS6detail15normal_iteratorINS8_10device_ptrIiEEEESD_jNS0_19identity_decomposerEEE10hipError_tT1_T2_PT3_SI_jT4_jjP12ihipStream_tbEUlT_E0_NS1_11comp_targetILNS1_3genE9ELNS1_11target_archE1100ELNS1_3gpuE3ELNS1_3repE0EEENS1_52radix_sort_onesweep_histogram_config_static_selectorELNS0_4arch9wavefront6targetE0EEEvSG_.uses_vcc, 0
	.set _ZN7rocprim17ROCPRIM_400000_NS6detail17trampoline_kernelINS0_14default_configENS1_35radix_sort_onesweep_config_selectorIiiEEZNS1_34radix_sort_onesweep_global_offsetsIS3_Lb0EN6thrust23THRUST_200600_302600_NS6detail15normal_iteratorINS8_10device_ptrIiEEEESD_jNS0_19identity_decomposerEEE10hipError_tT1_T2_PT3_SI_jT4_jjP12ihipStream_tbEUlT_E0_NS1_11comp_targetILNS1_3genE9ELNS1_11target_archE1100ELNS1_3gpuE3ELNS1_3repE0EEENS1_52radix_sort_onesweep_histogram_config_static_selectorELNS0_4arch9wavefront6targetE0EEEvSG_.uses_flat_scratch, 0
	.set _ZN7rocprim17ROCPRIM_400000_NS6detail17trampoline_kernelINS0_14default_configENS1_35radix_sort_onesweep_config_selectorIiiEEZNS1_34radix_sort_onesweep_global_offsetsIS3_Lb0EN6thrust23THRUST_200600_302600_NS6detail15normal_iteratorINS8_10device_ptrIiEEEESD_jNS0_19identity_decomposerEEE10hipError_tT1_T2_PT3_SI_jT4_jjP12ihipStream_tbEUlT_E0_NS1_11comp_targetILNS1_3genE9ELNS1_11target_archE1100ELNS1_3gpuE3ELNS1_3repE0EEENS1_52radix_sort_onesweep_histogram_config_static_selectorELNS0_4arch9wavefront6targetE0EEEvSG_.has_dyn_sized_stack, 0
	.set _ZN7rocprim17ROCPRIM_400000_NS6detail17trampoline_kernelINS0_14default_configENS1_35radix_sort_onesweep_config_selectorIiiEEZNS1_34radix_sort_onesweep_global_offsetsIS3_Lb0EN6thrust23THRUST_200600_302600_NS6detail15normal_iteratorINS8_10device_ptrIiEEEESD_jNS0_19identity_decomposerEEE10hipError_tT1_T2_PT3_SI_jT4_jjP12ihipStream_tbEUlT_E0_NS1_11comp_targetILNS1_3genE9ELNS1_11target_archE1100ELNS1_3gpuE3ELNS1_3repE0EEENS1_52radix_sort_onesweep_histogram_config_static_selectorELNS0_4arch9wavefront6targetE0EEEvSG_.has_recursion, 0
	.set _ZN7rocprim17ROCPRIM_400000_NS6detail17trampoline_kernelINS0_14default_configENS1_35radix_sort_onesweep_config_selectorIiiEEZNS1_34radix_sort_onesweep_global_offsetsIS3_Lb0EN6thrust23THRUST_200600_302600_NS6detail15normal_iteratorINS8_10device_ptrIiEEEESD_jNS0_19identity_decomposerEEE10hipError_tT1_T2_PT3_SI_jT4_jjP12ihipStream_tbEUlT_E0_NS1_11comp_targetILNS1_3genE9ELNS1_11target_archE1100ELNS1_3gpuE3ELNS1_3repE0EEENS1_52radix_sort_onesweep_histogram_config_static_selectorELNS0_4arch9wavefront6targetE0EEEvSG_.has_indirect_call, 0
	.section	.AMDGPU.csdata,"",@progbits
; Kernel info:
; codeLenInByte = 0
; TotalNumSgprs: 0
; NumVgprs: 0
; ScratchSize: 0
; MemoryBound: 0
; FloatMode: 240
; IeeeMode: 1
; LDSByteSize: 0 bytes/workgroup (compile time only)
; SGPRBlocks: 0
; VGPRBlocks: 0
; NumSGPRsForWavesPerEU: 1
; NumVGPRsForWavesPerEU: 1
; Occupancy: 16
; WaveLimiterHint : 0
; COMPUTE_PGM_RSRC2:SCRATCH_EN: 0
; COMPUTE_PGM_RSRC2:USER_SGPR: 6
; COMPUTE_PGM_RSRC2:TRAP_HANDLER: 0
; COMPUTE_PGM_RSRC2:TGID_X_EN: 1
; COMPUTE_PGM_RSRC2:TGID_Y_EN: 0
; COMPUTE_PGM_RSRC2:TGID_Z_EN: 0
; COMPUTE_PGM_RSRC2:TIDIG_COMP_CNT: 0
	.section	.text._ZN7rocprim17ROCPRIM_400000_NS6detail17trampoline_kernelINS0_14default_configENS1_35radix_sort_onesweep_config_selectorIiiEEZNS1_34radix_sort_onesweep_global_offsetsIS3_Lb0EN6thrust23THRUST_200600_302600_NS6detail15normal_iteratorINS8_10device_ptrIiEEEESD_jNS0_19identity_decomposerEEE10hipError_tT1_T2_PT3_SI_jT4_jjP12ihipStream_tbEUlT_E0_NS1_11comp_targetILNS1_3genE8ELNS1_11target_archE1030ELNS1_3gpuE2ELNS1_3repE0EEENS1_52radix_sort_onesweep_histogram_config_static_selectorELNS0_4arch9wavefront6targetE0EEEvSG_,"axG",@progbits,_ZN7rocprim17ROCPRIM_400000_NS6detail17trampoline_kernelINS0_14default_configENS1_35radix_sort_onesweep_config_selectorIiiEEZNS1_34radix_sort_onesweep_global_offsetsIS3_Lb0EN6thrust23THRUST_200600_302600_NS6detail15normal_iteratorINS8_10device_ptrIiEEEESD_jNS0_19identity_decomposerEEE10hipError_tT1_T2_PT3_SI_jT4_jjP12ihipStream_tbEUlT_E0_NS1_11comp_targetILNS1_3genE8ELNS1_11target_archE1030ELNS1_3gpuE2ELNS1_3repE0EEENS1_52radix_sort_onesweep_histogram_config_static_selectorELNS0_4arch9wavefront6targetE0EEEvSG_,comdat
	.protected	_ZN7rocprim17ROCPRIM_400000_NS6detail17trampoline_kernelINS0_14default_configENS1_35radix_sort_onesweep_config_selectorIiiEEZNS1_34radix_sort_onesweep_global_offsetsIS3_Lb0EN6thrust23THRUST_200600_302600_NS6detail15normal_iteratorINS8_10device_ptrIiEEEESD_jNS0_19identity_decomposerEEE10hipError_tT1_T2_PT3_SI_jT4_jjP12ihipStream_tbEUlT_E0_NS1_11comp_targetILNS1_3genE8ELNS1_11target_archE1030ELNS1_3gpuE2ELNS1_3repE0EEENS1_52radix_sort_onesweep_histogram_config_static_selectorELNS0_4arch9wavefront6targetE0EEEvSG_ ; -- Begin function _ZN7rocprim17ROCPRIM_400000_NS6detail17trampoline_kernelINS0_14default_configENS1_35radix_sort_onesweep_config_selectorIiiEEZNS1_34radix_sort_onesweep_global_offsetsIS3_Lb0EN6thrust23THRUST_200600_302600_NS6detail15normal_iteratorINS8_10device_ptrIiEEEESD_jNS0_19identity_decomposerEEE10hipError_tT1_T2_PT3_SI_jT4_jjP12ihipStream_tbEUlT_E0_NS1_11comp_targetILNS1_3genE8ELNS1_11target_archE1030ELNS1_3gpuE2ELNS1_3repE0EEENS1_52radix_sort_onesweep_histogram_config_static_selectorELNS0_4arch9wavefront6targetE0EEEvSG_
	.globl	_ZN7rocprim17ROCPRIM_400000_NS6detail17trampoline_kernelINS0_14default_configENS1_35radix_sort_onesweep_config_selectorIiiEEZNS1_34radix_sort_onesweep_global_offsetsIS3_Lb0EN6thrust23THRUST_200600_302600_NS6detail15normal_iteratorINS8_10device_ptrIiEEEESD_jNS0_19identity_decomposerEEE10hipError_tT1_T2_PT3_SI_jT4_jjP12ihipStream_tbEUlT_E0_NS1_11comp_targetILNS1_3genE8ELNS1_11target_archE1030ELNS1_3gpuE2ELNS1_3repE0EEENS1_52radix_sort_onesweep_histogram_config_static_selectorELNS0_4arch9wavefront6targetE0EEEvSG_
	.p2align	8
	.type	_ZN7rocprim17ROCPRIM_400000_NS6detail17trampoline_kernelINS0_14default_configENS1_35radix_sort_onesweep_config_selectorIiiEEZNS1_34radix_sort_onesweep_global_offsetsIS3_Lb0EN6thrust23THRUST_200600_302600_NS6detail15normal_iteratorINS8_10device_ptrIiEEEESD_jNS0_19identity_decomposerEEE10hipError_tT1_T2_PT3_SI_jT4_jjP12ihipStream_tbEUlT_E0_NS1_11comp_targetILNS1_3genE8ELNS1_11target_archE1030ELNS1_3gpuE2ELNS1_3repE0EEENS1_52radix_sort_onesweep_histogram_config_static_selectorELNS0_4arch9wavefront6targetE0EEEvSG_,@function
_ZN7rocprim17ROCPRIM_400000_NS6detail17trampoline_kernelINS0_14default_configENS1_35radix_sort_onesweep_config_selectorIiiEEZNS1_34radix_sort_onesweep_global_offsetsIS3_Lb0EN6thrust23THRUST_200600_302600_NS6detail15normal_iteratorINS8_10device_ptrIiEEEESD_jNS0_19identity_decomposerEEE10hipError_tT1_T2_PT3_SI_jT4_jjP12ihipStream_tbEUlT_E0_NS1_11comp_targetILNS1_3genE8ELNS1_11target_archE1030ELNS1_3gpuE2ELNS1_3repE0EEENS1_52radix_sort_onesweep_histogram_config_static_selectorELNS0_4arch9wavefront6targetE0EEEvSG_: ; @_ZN7rocprim17ROCPRIM_400000_NS6detail17trampoline_kernelINS0_14default_configENS1_35radix_sort_onesweep_config_selectorIiiEEZNS1_34radix_sort_onesweep_global_offsetsIS3_Lb0EN6thrust23THRUST_200600_302600_NS6detail15normal_iteratorINS8_10device_ptrIiEEEESD_jNS0_19identity_decomposerEEE10hipError_tT1_T2_PT3_SI_jT4_jjP12ihipStream_tbEUlT_E0_NS1_11comp_targetILNS1_3genE8ELNS1_11target_archE1030ELNS1_3gpuE2ELNS1_3repE0EEENS1_52radix_sort_onesweep_histogram_config_static_selectorELNS0_4arch9wavefront6targetE0EEEvSG_
; %bb.0:
	s_load_dwordx2 s[0:1], s[4:5], 0x0
	s_lshl_b32 s2, s6, 8
	s_mov_b32 s3, 0
	v_cmp_gt_u32_e32 vcc_lo, 0x100, v0
	s_lshl_b64 s[2:3], s[2:3], 2
	v_lshlrev_b32_e32 v1, 2, v0
                                        ; implicit-def: $vgpr3
	s_waitcnt lgkmcnt(0)
	s_add_u32 s8, s0, s2
	s_addc_u32 s9, s1, s3
	s_and_saveexec_b32 s0, vcc_lo
	s_cbranch_execz .LBB821_2
; %bb.1:
	global_load_dword v3, v1, s[8:9]
.LBB821_2:
	s_or_b32 exec_lo, exec_lo, s0
	v_mbcnt_lo_u32_b32 v2, -1, 0
	s_waitcnt vmcnt(0)
	v_mov_b32_dpp v5, v3 row_shr:1 row_mask:0xf bank_mask:0xf
	v_and_b32_e32 v7, 31, v0
	s_mov_b32 s6, exec_lo
	v_and_b32_e32 v4, 15, v2
	v_and_b32_e32 v6, 16, v2
	v_cmp_eq_u32_e64 s0, 0, v4
	v_cmp_lt_u32_e64 s1, 1, v4
	v_cmp_lt_u32_e64 s2, 3, v4
	;; [unrolled: 1-line block ×3, first 2 shown]
	v_cmp_eq_u32_e64 s4, 0, v6
	v_cndmask_b32_e64 v5, v5, 0, s0
	v_add_nc_u32_e32 v3, v5, v3
	v_mov_b32_dpp v5, v3 row_shr:2 row_mask:0xf bank_mask:0xf
	v_cndmask_b32_e64 v5, 0, v5, s1
	v_add_nc_u32_e32 v3, v3, v5
	v_mov_b32_dpp v5, v3 row_shr:4 row_mask:0xf bank_mask:0xf
	;; [unrolled: 3-line block ×3, first 2 shown]
	v_cndmask_b32_e64 v4, 0, v5, s3
	v_bfe_i32 v5, v2, 4, 1
	v_add_nc_u32_e32 v3, v3, v4
	ds_swizzle_b32 v4, v3 offset:swizzle(BROADCAST,32,15)
	s_waitcnt lgkmcnt(0)
	v_and_b32_e32 v5, v5, v4
	v_lshrrev_b32_e32 v4, 5, v0
	v_add_nc_u32_e32 v3, v3, v5
	v_cmpx_eq_u32_e32 31, v7
; %bb.3:
	v_lshlrev_b32_e32 v5, 2, v4
	ds_write_b32 v5, v3
; %bb.4:
	s_or_b32 exec_lo, exec_lo, s6
	v_cmp_lt_u32_e64 s5, 31, v0
	s_mov_b32 s7, exec_lo
	s_waitcnt lgkmcnt(0)
	s_barrier
	buffer_gl0_inv
	v_cmpx_gt_u32_e32 32, v0
	s_cbranch_execz .LBB821_6
; %bb.5:
	ds_read_b32 v0, v1
	s_waitcnt lgkmcnt(0)
	v_mov_b32_dpp v5, v0 row_shr:1 row_mask:0xf bank_mask:0xf
	v_cndmask_b32_e64 v5, v5, 0, s0
	v_add_nc_u32_e32 v0, v5, v0
	v_mov_b32_dpp v5, v0 row_shr:2 row_mask:0xf bank_mask:0xf
	v_cndmask_b32_e64 v5, 0, v5, s1
	v_add_nc_u32_e32 v0, v0, v5
	;; [unrolled: 3-line block ×4, first 2 shown]
	ds_swizzle_b32 v5, v0 offset:swizzle(BROADCAST,32,15)
	s_waitcnt lgkmcnt(0)
	v_cndmask_b32_e64 v5, v5, 0, s4
	v_add_nc_u32_e32 v0, v0, v5
	ds_write_b32 v1, v0
.LBB821_6:
	s_or_b32 exec_lo, exec_lo, s7
	v_mov_b32_e32 v0, 0
	s_waitcnt lgkmcnt(0)
	s_barrier
	buffer_gl0_inv
	s_and_saveexec_b32 s0, s5
; %bb.7:
	v_lshl_add_u32 v0, v4, 2, -4
	ds_read_b32 v0, v0
; %bb.8:
	s_or_b32 exec_lo, exec_lo, s0
	v_add_nc_u32_e32 v4, -1, v2
	s_waitcnt lgkmcnt(0)
	v_add_nc_u32_e32 v3, v0, v3
	v_cmp_gt_i32_e64 s0, 0, v4
	v_cndmask_b32_e64 v4, v4, v2, s0
	v_lshlrev_b32_e32 v4, 2, v4
	ds_bpermute_b32 v3, v4, v3
	s_and_saveexec_b32 s0, vcc_lo
	s_cbranch_execz .LBB821_10
; %bb.9:
	v_cmp_eq_u32_e32 vcc_lo, 0, v2
	s_waitcnt lgkmcnt(0)
	v_cndmask_b32_e32 v0, v3, v0, vcc_lo
	global_store_dword v1, v0, s[8:9]
.LBB821_10:
	s_endpgm
	.section	.rodata,"a",@progbits
	.p2align	6, 0x0
	.amdhsa_kernel _ZN7rocprim17ROCPRIM_400000_NS6detail17trampoline_kernelINS0_14default_configENS1_35radix_sort_onesweep_config_selectorIiiEEZNS1_34radix_sort_onesweep_global_offsetsIS3_Lb0EN6thrust23THRUST_200600_302600_NS6detail15normal_iteratorINS8_10device_ptrIiEEEESD_jNS0_19identity_decomposerEEE10hipError_tT1_T2_PT3_SI_jT4_jjP12ihipStream_tbEUlT_E0_NS1_11comp_targetILNS1_3genE8ELNS1_11target_archE1030ELNS1_3gpuE2ELNS1_3repE0EEENS1_52radix_sort_onesweep_histogram_config_static_selectorELNS0_4arch9wavefront6targetE0EEEvSG_
		.amdhsa_group_segment_fixed_size 128
		.amdhsa_private_segment_fixed_size 0
		.amdhsa_kernarg_size 8
		.amdhsa_user_sgpr_count 6
		.amdhsa_user_sgpr_private_segment_buffer 1
		.amdhsa_user_sgpr_dispatch_ptr 0
		.amdhsa_user_sgpr_queue_ptr 0
		.amdhsa_user_sgpr_kernarg_segment_ptr 1
		.amdhsa_user_sgpr_dispatch_id 0
		.amdhsa_user_sgpr_flat_scratch_init 0
		.amdhsa_user_sgpr_private_segment_size 0
		.amdhsa_wavefront_size32 1
		.amdhsa_uses_dynamic_stack 0
		.amdhsa_system_sgpr_private_segment_wavefront_offset 0
		.amdhsa_system_sgpr_workgroup_id_x 1
		.amdhsa_system_sgpr_workgroup_id_y 0
		.amdhsa_system_sgpr_workgroup_id_z 0
		.amdhsa_system_sgpr_workgroup_info 0
		.amdhsa_system_vgpr_workitem_id 0
		.amdhsa_next_free_vgpr 8
		.amdhsa_next_free_sgpr 10
		.amdhsa_reserve_vcc 1
		.amdhsa_reserve_flat_scratch 0
		.amdhsa_float_round_mode_32 0
		.amdhsa_float_round_mode_16_64 0
		.amdhsa_float_denorm_mode_32 3
		.amdhsa_float_denorm_mode_16_64 3
		.amdhsa_dx10_clamp 1
		.amdhsa_ieee_mode 1
		.amdhsa_fp16_overflow 0
		.amdhsa_workgroup_processor_mode 1
		.amdhsa_memory_ordered 1
		.amdhsa_forward_progress 1
		.amdhsa_shared_vgpr_count 0
		.amdhsa_exception_fp_ieee_invalid_op 0
		.amdhsa_exception_fp_denorm_src 0
		.amdhsa_exception_fp_ieee_div_zero 0
		.amdhsa_exception_fp_ieee_overflow 0
		.amdhsa_exception_fp_ieee_underflow 0
		.amdhsa_exception_fp_ieee_inexact 0
		.amdhsa_exception_int_div_zero 0
	.end_amdhsa_kernel
	.section	.text._ZN7rocprim17ROCPRIM_400000_NS6detail17trampoline_kernelINS0_14default_configENS1_35radix_sort_onesweep_config_selectorIiiEEZNS1_34radix_sort_onesweep_global_offsetsIS3_Lb0EN6thrust23THRUST_200600_302600_NS6detail15normal_iteratorINS8_10device_ptrIiEEEESD_jNS0_19identity_decomposerEEE10hipError_tT1_T2_PT3_SI_jT4_jjP12ihipStream_tbEUlT_E0_NS1_11comp_targetILNS1_3genE8ELNS1_11target_archE1030ELNS1_3gpuE2ELNS1_3repE0EEENS1_52radix_sort_onesweep_histogram_config_static_selectorELNS0_4arch9wavefront6targetE0EEEvSG_,"axG",@progbits,_ZN7rocprim17ROCPRIM_400000_NS6detail17trampoline_kernelINS0_14default_configENS1_35radix_sort_onesweep_config_selectorIiiEEZNS1_34radix_sort_onesweep_global_offsetsIS3_Lb0EN6thrust23THRUST_200600_302600_NS6detail15normal_iteratorINS8_10device_ptrIiEEEESD_jNS0_19identity_decomposerEEE10hipError_tT1_T2_PT3_SI_jT4_jjP12ihipStream_tbEUlT_E0_NS1_11comp_targetILNS1_3genE8ELNS1_11target_archE1030ELNS1_3gpuE2ELNS1_3repE0EEENS1_52radix_sort_onesweep_histogram_config_static_selectorELNS0_4arch9wavefront6targetE0EEEvSG_,comdat
.Lfunc_end821:
	.size	_ZN7rocprim17ROCPRIM_400000_NS6detail17trampoline_kernelINS0_14default_configENS1_35radix_sort_onesweep_config_selectorIiiEEZNS1_34radix_sort_onesweep_global_offsetsIS3_Lb0EN6thrust23THRUST_200600_302600_NS6detail15normal_iteratorINS8_10device_ptrIiEEEESD_jNS0_19identity_decomposerEEE10hipError_tT1_T2_PT3_SI_jT4_jjP12ihipStream_tbEUlT_E0_NS1_11comp_targetILNS1_3genE8ELNS1_11target_archE1030ELNS1_3gpuE2ELNS1_3repE0EEENS1_52radix_sort_onesweep_histogram_config_static_selectorELNS0_4arch9wavefront6targetE0EEEvSG_, .Lfunc_end821-_ZN7rocprim17ROCPRIM_400000_NS6detail17trampoline_kernelINS0_14default_configENS1_35radix_sort_onesweep_config_selectorIiiEEZNS1_34radix_sort_onesweep_global_offsetsIS3_Lb0EN6thrust23THRUST_200600_302600_NS6detail15normal_iteratorINS8_10device_ptrIiEEEESD_jNS0_19identity_decomposerEEE10hipError_tT1_T2_PT3_SI_jT4_jjP12ihipStream_tbEUlT_E0_NS1_11comp_targetILNS1_3genE8ELNS1_11target_archE1030ELNS1_3gpuE2ELNS1_3repE0EEENS1_52radix_sort_onesweep_histogram_config_static_selectorELNS0_4arch9wavefront6targetE0EEEvSG_
                                        ; -- End function
	.set _ZN7rocprim17ROCPRIM_400000_NS6detail17trampoline_kernelINS0_14default_configENS1_35radix_sort_onesweep_config_selectorIiiEEZNS1_34radix_sort_onesweep_global_offsetsIS3_Lb0EN6thrust23THRUST_200600_302600_NS6detail15normal_iteratorINS8_10device_ptrIiEEEESD_jNS0_19identity_decomposerEEE10hipError_tT1_T2_PT3_SI_jT4_jjP12ihipStream_tbEUlT_E0_NS1_11comp_targetILNS1_3genE8ELNS1_11target_archE1030ELNS1_3gpuE2ELNS1_3repE0EEENS1_52radix_sort_onesweep_histogram_config_static_selectorELNS0_4arch9wavefront6targetE0EEEvSG_.num_vgpr, 8
	.set _ZN7rocprim17ROCPRIM_400000_NS6detail17trampoline_kernelINS0_14default_configENS1_35radix_sort_onesweep_config_selectorIiiEEZNS1_34radix_sort_onesweep_global_offsetsIS3_Lb0EN6thrust23THRUST_200600_302600_NS6detail15normal_iteratorINS8_10device_ptrIiEEEESD_jNS0_19identity_decomposerEEE10hipError_tT1_T2_PT3_SI_jT4_jjP12ihipStream_tbEUlT_E0_NS1_11comp_targetILNS1_3genE8ELNS1_11target_archE1030ELNS1_3gpuE2ELNS1_3repE0EEENS1_52radix_sort_onesweep_histogram_config_static_selectorELNS0_4arch9wavefront6targetE0EEEvSG_.num_agpr, 0
	.set _ZN7rocprim17ROCPRIM_400000_NS6detail17trampoline_kernelINS0_14default_configENS1_35radix_sort_onesweep_config_selectorIiiEEZNS1_34radix_sort_onesweep_global_offsetsIS3_Lb0EN6thrust23THRUST_200600_302600_NS6detail15normal_iteratorINS8_10device_ptrIiEEEESD_jNS0_19identity_decomposerEEE10hipError_tT1_T2_PT3_SI_jT4_jjP12ihipStream_tbEUlT_E0_NS1_11comp_targetILNS1_3genE8ELNS1_11target_archE1030ELNS1_3gpuE2ELNS1_3repE0EEENS1_52radix_sort_onesweep_histogram_config_static_selectorELNS0_4arch9wavefront6targetE0EEEvSG_.numbered_sgpr, 10
	.set _ZN7rocprim17ROCPRIM_400000_NS6detail17trampoline_kernelINS0_14default_configENS1_35radix_sort_onesweep_config_selectorIiiEEZNS1_34radix_sort_onesweep_global_offsetsIS3_Lb0EN6thrust23THRUST_200600_302600_NS6detail15normal_iteratorINS8_10device_ptrIiEEEESD_jNS0_19identity_decomposerEEE10hipError_tT1_T2_PT3_SI_jT4_jjP12ihipStream_tbEUlT_E0_NS1_11comp_targetILNS1_3genE8ELNS1_11target_archE1030ELNS1_3gpuE2ELNS1_3repE0EEENS1_52radix_sort_onesweep_histogram_config_static_selectorELNS0_4arch9wavefront6targetE0EEEvSG_.num_named_barrier, 0
	.set _ZN7rocprim17ROCPRIM_400000_NS6detail17trampoline_kernelINS0_14default_configENS1_35radix_sort_onesweep_config_selectorIiiEEZNS1_34radix_sort_onesweep_global_offsetsIS3_Lb0EN6thrust23THRUST_200600_302600_NS6detail15normal_iteratorINS8_10device_ptrIiEEEESD_jNS0_19identity_decomposerEEE10hipError_tT1_T2_PT3_SI_jT4_jjP12ihipStream_tbEUlT_E0_NS1_11comp_targetILNS1_3genE8ELNS1_11target_archE1030ELNS1_3gpuE2ELNS1_3repE0EEENS1_52radix_sort_onesweep_histogram_config_static_selectorELNS0_4arch9wavefront6targetE0EEEvSG_.private_seg_size, 0
	.set _ZN7rocprim17ROCPRIM_400000_NS6detail17trampoline_kernelINS0_14default_configENS1_35radix_sort_onesweep_config_selectorIiiEEZNS1_34radix_sort_onesweep_global_offsetsIS3_Lb0EN6thrust23THRUST_200600_302600_NS6detail15normal_iteratorINS8_10device_ptrIiEEEESD_jNS0_19identity_decomposerEEE10hipError_tT1_T2_PT3_SI_jT4_jjP12ihipStream_tbEUlT_E0_NS1_11comp_targetILNS1_3genE8ELNS1_11target_archE1030ELNS1_3gpuE2ELNS1_3repE0EEENS1_52radix_sort_onesweep_histogram_config_static_selectorELNS0_4arch9wavefront6targetE0EEEvSG_.uses_vcc, 1
	.set _ZN7rocprim17ROCPRIM_400000_NS6detail17trampoline_kernelINS0_14default_configENS1_35radix_sort_onesweep_config_selectorIiiEEZNS1_34radix_sort_onesweep_global_offsetsIS3_Lb0EN6thrust23THRUST_200600_302600_NS6detail15normal_iteratorINS8_10device_ptrIiEEEESD_jNS0_19identity_decomposerEEE10hipError_tT1_T2_PT3_SI_jT4_jjP12ihipStream_tbEUlT_E0_NS1_11comp_targetILNS1_3genE8ELNS1_11target_archE1030ELNS1_3gpuE2ELNS1_3repE0EEENS1_52radix_sort_onesweep_histogram_config_static_selectorELNS0_4arch9wavefront6targetE0EEEvSG_.uses_flat_scratch, 0
	.set _ZN7rocprim17ROCPRIM_400000_NS6detail17trampoline_kernelINS0_14default_configENS1_35radix_sort_onesweep_config_selectorIiiEEZNS1_34radix_sort_onesweep_global_offsetsIS3_Lb0EN6thrust23THRUST_200600_302600_NS6detail15normal_iteratorINS8_10device_ptrIiEEEESD_jNS0_19identity_decomposerEEE10hipError_tT1_T2_PT3_SI_jT4_jjP12ihipStream_tbEUlT_E0_NS1_11comp_targetILNS1_3genE8ELNS1_11target_archE1030ELNS1_3gpuE2ELNS1_3repE0EEENS1_52radix_sort_onesweep_histogram_config_static_selectorELNS0_4arch9wavefront6targetE0EEEvSG_.has_dyn_sized_stack, 0
	.set _ZN7rocprim17ROCPRIM_400000_NS6detail17trampoline_kernelINS0_14default_configENS1_35radix_sort_onesweep_config_selectorIiiEEZNS1_34radix_sort_onesweep_global_offsetsIS3_Lb0EN6thrust23THRUST_200600_302600_NS6detail15normal_iteratorINS8_10device_ptrIiEEEESD_jNS0_19identity_decomposerEEE10hipError_tT1_T2_PT3_SI_jT4_jjP12ihipStream_tbEUlT_E0_NS1_11comp_targetILNS1_3genE8ELNS1_11target_archE1030ELNS1_3gpuE2ELNS1_3repE0EEENS1_52radix_sort_onesweep_histogram_config_static_selectorELNS0_4arch9wavefront6targetE0EEEvSG_.has_recursion, 0
	.set _ZN7rocprim17ROCPRIM_400000_NS6detail17trampoline_kernelINS0_14default_configENS1_35radix_sort_onesweep_config_selectorIiiEEZNS1_34radix_sort_onesweep_global_offsetsIS3_Lb0EN6thrust23THRUST_200600_302600_NS6detail15normal_iteratorINS8_10device_ptrIiEEEESD_jNS0_19identity_decomposerEEE10hipError_tT1_T2_PT3_SI_jT4_jjP12ihipStream_tbEUlT_E0_NS1_11comp_targetILNS1_3genE8ELNS1_11target_archE1030ELNS1_3gpuE2ELNS1_3repE0EEENS1_52radix_sort_onesweep_histogram_config_static_selectorELNS0_4arch9wavefront6targetE0EEEvSG_.has_indirect_call, 0
	.section	.AMDGPU.csdata,"",@progbits
; Kernel info:
; codeLenInByte = 544
; TotalNumSgprs: 12
; NumVgprs: 8
; ScratchSize: 0
; MemoryBound: 0
; FloatMode: 240
; IeeeMode: 1
; LDSByteSize: 128 bytes/workgroup (compile time only)
; SGPRBlocks: 0
; VGPRBlocks: 0
; NumSGPRsForWavesPerEU: 12
; NumVGPRsForWavesPerEU: 8
; Occupancy: 16
; WaveLimiterHint : 0
; COMPUTE_PGM_RSRC2:SCRATCH_EN: 0
; COMPUTE_PGM_RSRC2:USER_SGPR: 6
; COMPUTE_PGM_RSRC2:TRAP_HANDLER: 0
; COMPUTE_PGM_RSRC2:TGID_X_EN: 1
; COMPUTE_PGM_RSRC2:TGID_Y_EN: 0
; COMPUTE_PGM_RSRC2:TGID_Z_EN: 0
; COMPUTE_PGM_RSRC2:TIDIG_COMP_CNT: 0
	.section	.text._ZN7rocprim17ROCPRIM_400000_NS6detail17trampoline_kernelINS0_14default_configENS1_35radix_sort_onesweep_config_selectorIiiEEZZNS1_29radix_sort_onesweep_iterationIS3_Lb0EN6thrust23THRUST_200600_302600_NS6detail15normal_iteratorINS8_10device_ptrIiEEEESD_SD_SD_jNS0_19identity_decomposerENS1_16block_id_wrapperIjLb1EEEEE10hipError_tT1_PNSt15iterator_traitsISI_E10value_typeET2_T3_PNSJ_ISO_E10value_typeET4_T5_PST_SU_PNS1_23onesweep_lookback_stateEbbT6_jjT7_P12ihipStream_tbENKUlT_T0_SI_SN_E_clISD_SD_SD_SD_EEDaS11_S12_SI_SN_EUlS11_E_NS1_11comp_targetILNS1_3genE0ELNS1_11target_archE4294967295ELNS1_3gpuE0ELNS1_3repE0EEENS1_47radix_sort_onesweep_sort_config_static_selectorELNS0_4arch9wavefront6targetE0EEEvSI_,"axG",@progbits,_ZN7rocprim17ROCPRIM_400000_NS6detail17trampoline_kernelINS0_14default_configENS1_35radix_sort_onesweep_config_selectorIiiEEZZNS1_29radix_sort_onesweep_iterationIS3_Lb0EN6thrust23THRUST_200600_302600_NS6detail15normal_iteratorINS8_10device_ptrIiEEEESD_SD_SD_jNS0_19identity_decomposerENS1_16block_id_wrapperIjLb1EEEEE10hipError_tT1_PNSt15iterator_traitsISI_E10value_typeET2_T3_PNSJ_ISO_E10value_typeET4_T5_PST_SU_PNS1_23onesweep_lookback_stateEbbT6_jjT7_P12ihipStream_tbENKUlT_T0_SI_SN_E_clISD_SD_SD_SD_EEDaS11_S12_SI_SN_EUlS11_E_NS1_11comp_targetILNS1_3genE0ELNS1_11target_archE4294967295ELNS1_3gpuE0ELNS1_3repE0EEENS1_47radix_sort_onesweep_sort_config_static_selectorELNS0_4arch9wavefront6targetE0EEEvSI_,comdat
	.protected	_ZN7rocprim17ROCPRIM_400000_NS6detail17trampoline_kernelINS0_14default_configENS1_35radix_sort_onesweep_config_selectorIiiEEZZNS1_29radix_sort_onesweep_iterationIS3_Lb0EN6thrust23THRUST_200600_302600_NS6detail15normal_iteratorINS8_10device_ptrIiEEEESD_SD_SD_jNS0_19identity_decomposerENS1_16block_id_wrapperIjLb1EEEEE10hipError_tT1_PNSt15iterator_traitsISI_E10value_typeET2_T3_PNSJ_ISO_E10value_typeET4_T5_PST_SU_PNS1_23onesweep_lookback_stateEbbT6_jjT7_P12ihipStream_tbENKUlT_T0_SI_SN_E_clISD_SD_SD_SD_EEDaS11_S12_SI_SN_EUlS11_E_NS1_11comp_targetILNS1_3genE0ELNS1_11target_archE4294967295ELNS1_3gpuE0ELNS1_3repE0EEENS1_47radix_sort_onesweep_sort_config_static_selectorELNS0_4arch9wavefront6targetE0EEEvSI_ ; -- Begin function _ZN7rocprim17ROCPRIM_400000_NS6detail17trampoline_kernelINS0_14default_configENS1_35radix_sort_onesweep_config_selectorIiiEEZZNS1_29radix_sort_onesweep_iterationIS3_Lb0EN6thrust23THRUST_200600_302600_NS6detail15normal_iteratorINS8_10device_ptrIiEEEESD_SD_SD_jNS0_19identity_decomposerENS1_16block_id_wrapperIjLb1EEEEE10hipError_tT1_PNSt15iterator_traitsISI_E10value_typeET2_T3_PNSJ_ISO_E10value_typeET4_T5_PST_SU_PNS1_23onesweep_lookback_stateEbbT6_jjT7_P12ihipStream_tbENKUlT_T0_SI_SN_E_clISD_SD_SD_SD_EEDaS11_S12_SI_SN_EUlS11_E_NS1_11comp_targetILNS1_3genE0ELNS1_11target_archE4294967295ELNS1_3gpuE0ELNS1_3repE0EEENS1_47radix_sort_onesweep_sort_config_static_selectorELNS0_4arch9wavefront6targetE0EEEvSI_
	.globl	_ZN7rocprim17ROCPRIM_400000_NS6detail17trampoline_kernelINS0_14default_configENS1_35radix_sort_onesweep_config_selectorIiiEEZZNS1_29radix_sort_onesweep_iterationIS3_Lb0EN6thrust23THRUST_200600_302600_NS6detail15normal_iteratorINS8_10device_ptrIiEEEESD_SD_SD_jNS0_19identity_decomposerENS1_16block_id_wrapperIjLb1EEEEE10hipError_tT1_PNSt15iterator_traitsISI_E10value_typeET2_T3_PNSJ_ISO_E10value_typeET4_T5_PST_SU_PNS1_23onesweep_lookback_stateEbbT6_jjT7_P12ihipStream_tbENKUlT_T0_SI_SN_E_clISD_SD_SD_SD_EEDaS11_S12_SI_SN_EUlS11_E_NS1_11comp_targetILNS1_3genE0ELNS1_11target_archE4294967295ELNS1_3gpuE0ELNS1_3repE0EEENS1_47radix_sort_onesweep_sort_config_static_selectorELNS0_4arch9wavefront6targetE0EEEvSI_
	.p2align	8
	.type	_ZN7rocprim17ROCPRIM_400000_NS6detail17trampoline_kernelINS0_14default_configENS1_35radix_sort_onesweep_config_selectorIiiEEZZNS1_29radix_sort_onesweep_iterationIS3_Lb0EN6thrust23THRUST_200600_302600_NS6detail15normal_iteratorINS8_10device_ptrIiEEEESD_SD_SD_jNS0_19identity_decomposerENS1_16block_id_wrapperIjLb1EEEEE10hipError_tT1_PNSt15iterator_traitsISI_E10value_typeET2_T3_PNSJ_ISO_E10value_typeET4_T5_PST_SU_PNS1_23onesweep_lookback_stateEbbT6_jjT7_P12ihipStream_tbENKUlT_T0_SI_SN_E_clISD_SD_SD_SD_EEDaS11_S12_SI_SN_EUlS11_E_NS1_11comp_targetILNS1_3genE0ELNS1_11target_archE4294967295ELNS1_3gpuE0ELNS1_3repE0EEENS1_47radix_sort_onesweep_sort_config_static_selectorELNS0_4arch9wavefront6targetE0EEEvSI_,@function
_ZN7rocprim17ROCPRIM_400000_NS6detail17trampoline_kernelINS0_14default_configENS1_35radix_sort_onesweep_config_selectorIiiEEZZNS1_29radix_sort_onesweep_iterationIS3_Lb0EN6thrust23THRUST_200600_302600_NS6detail15normal_iteratorINS8_10device_ptrIiEEEESD_SD_SD_jNS0_19identity_decomposerENS1_16block_id_wrapperIjLb1EEEEE10hipError_tT1_PNSt15iterator_traitsISI_E10value_typeET2_T3_PNSJ_ISO_E10value_typeET4_T5_PST_SU_PNS1_23onesweep_lookback_stateEbbT6_jjT7_P12ihipStream_tbENKUlT_T0_SI_SN_E_clISD_SD_SD_SD_EEDaS11_S12_SI_SN_EUlS11_E_NS1_11comp_targetILNS1_3genE0ELNS1_11target_archE4294967295ELNS1_3gpuE0ELNS1_3repE0EEENS1_47radix_sort_onesweep_sort_config_static_selectorELNS0_4arch9wavefront6targetE0EEEvSI_: ; @_ZN7rocprim17ROCPRIM_400000_NS6detail17trampoline_kernelINS0_14default_configENS1_35radix_sort_onesweep_config_selectorIiiEEZZNS1_29radix_sort_onesweep_iterationIS3_Lb0EN6thrust23THRUST_200600_302600_NS6detail15normal_iteratorINS8_10device_ptrIiEEEESD_SD_SD_jNS0_19identity_decomposerENS1_16block_id_wrapperIjLb1EEEEE10hipError_tT1_PNSt15iterator_traitsISI_E10value_typeET2_T3_PNSJ_ISO_E10value_typeET4_T5_PST_SU_PNS1_23onesweep_lookback_stateEbbT6_jjT7_P12ihipStream_tbENKUlT_T0_SI_SN_E_clISD_SD_SD_SD_EEDaS11_S12_SI_SN_EUlS11_E_NS1_11comp_targetILNS1_3genE0ELNS1_11target_archE4294967295ELNS1_3gpuE0ELNS1_3repE0EEENS1_47radix_sort_onesweep_sort_config_static_selectorELNS0_4arch9wavefront6targetE0EEEvSI_
; %bb.0:
	.section	.rodata,"a",@progbits
	.p2align	6, 0x0
	.amdhsa_kernel _ZN7rocprim17ROCPRIM_400000_NS6detail17trampoline_kernelINS0_14default_configENS1_35radix_sort_onesweep_config_selectorIiiEEZZNS1_29radix_sort_onesweep_iterationIS3_Lb0EN6thrust23THRUST_200600_302600_NS6detail15normal_iteratorINS8_10device_ptrIiEEEESD_SD_SD_jNS0_19identity_decomposerENS1_16block_id_wrapperIjLb1EEEEE10hipError_tT1_PNSt15iterator_traitsISI_E10value_typeET2_T3_PNSJ_ISO_E10value_typeET4_T5_PST_SU_PNS1_23onesweep_lookback_stateEbbT6_jjT7_P12ihipStream_tbENKUlT_T0_SI_SN_E_clISD_SD_SD_SD_EEDaS11_S12_SI_SN_EUlS11_E_NS1_11comp_targetILNS1_3genE0ELNS1_11target_archE4294967295ELNS1_3gpuE0ELNS1_3repE0EEENS1_47radix_sort_onesweep_sort_config_static_selectorELNS0_4arch9wavefront6targetE0EEEvSI_
		.amdhsa_group_segment_fixed_size 0
		.amdhsa_private_segment_fixed_size 0
		.amdhsa_kernarg_size 88
		.amdhsa_user_sgpr_count 6
		.amdhsa_user_sgpr_private_segment_buffer 1
		.amdhsa_user_sgpr_dispatch_ptr 0
		.amdhsa_user_sgpr_queue_ptr 0
		.amdhsa_user_sgpr_kernarg_segment_ptr 1
		.amdhsa_user_sgpr_dispatch_id 0
		.amdhsa_user_sgpr_flat_scratch_init 0
		.amdhsa_user_sgpr_private_segment_size 0
		.amdhsa_wavefront_size32 1
		.amdhsa_uses_dynamic_stack 0
		.amdhsa_system_sgpr_private_segment_wavefront_offset 0
		.amdhsa_system_sgpr_workgroup_id_x 1
		.amdhsa_system_sgpr_workgroup_id_y 0
		.amdhsa_system_sgpr_workgroup_id_z 0
		.amdhsa_system_sgpr_workgroup_info 0
		.amdhsa_system_vgpr_workitem_id 0
		.amdhsa_next_free_vgpr 1
		.amdhsa_next_free_sgpr 1
		.amdhsa_reserve_vcc 0
		.amdhsa_reserve_flat_scratch 0
		.amdhsa_float_round_mode_32 0
		.amdhsa_float_round_mode_16_64 0
		.amdhsa_float_denorm_mode_32 3
		.amdhsa_float_denorm_mode_16_64 3
		.amdhsa_dx10_clamp 1
		.amdhsa_ieee_mode 1
		.amdhsa_fp16_overflow 0
		.amdhsa_workgroup_processor_mode 1
		.amdhsa_memory_ordered 1
		.amdhsa_forward_progress 1
		.amdhsa_shared_vgpr_count 0
		.amdhsa_exception_fp_ieee_invalid_op 0
		.amdhsa_exception_fp_denorm_src 0
		.amdhsa_exception_fp_ieee_div_zero 0
		.amdhsa_exception_fp_ieee_overflow 0
		.amdhsa_exception_fp_ieee_underflow 0
		.amdhsa_exception_fp_ieee_inexact 0
		.amdhsa_exception_int_div_zero 0
	.end_amdhsa_kernel
	.section	.text._ZN7rocprim17ROCPRIM_400000_NS6detail17trampoline_kernelINS0_14default_configENS1_35radix_sort_onesweep_config_selectorIiiEEZZNS1_29radix_sort_onesweep_iterationIS3_Lb0EN6thrust23THRUST_200600_302600_NS6detail15normal_iteratorINS8_10device_ptrIiEEEESD_SD_SD_jNS0_19identity_decomposerENS1_16block_id_wrapperIjLb1EEEEE10hipError_tT1_PNSt15iterator_traitsISI_E10value_typeET2_T3_PNSJ_ISO_E10value_typeET4_T5_PST_SU_PNS1_23onesweep_lookback_stateEbbT6_jjT7_P12ihipStream_tbENKUlT_T0_SI_SN_E_clISD_SD_SD_SD_EEDaS11_S12_SI_SN_EUlS11_E_NS1_11comp_targetILNS1_3genE0ELNS1_11target_archE4294967295ELNS1_3gpuE0ELNS1_3repE0EEENS1_47radix_sort_onesweep_sort_config_static_selectorELNS0_4arch9wavefront6targetE0EEEvSI_,"axG",@progbits,_ZN7rocprim17ROCPRIM_400000_NS6detail17trampoline_kernelINS0_14default_configENS1_35radix_sort_onesweep_config_selectorIiiEEZZNS1_29radix_sort_onesweep_iterationIS3_Lb0EN6thrust23THRUST_200600_302600_NS6detail15normal_iteratorINS8_10device_ptrIiEEEESD_SD_SD_jNS0_19identity_decomposerENS1_16block_id_wrapperIjLb1EEEEE10hipError_tT1_PNSt15iterator_traitsISI_E10value_typeET2_T3_PNSJ_ISO_E10value_typeET4_T5_PST_SU_PNS1_23onesweep_lookback_stateEbbT6_jjT7_P12ihipStream_tbENKUlT_T0_SI_SN_E_clISD_SD_SD_SD_EEDaS11_S12_SI_SN_EUlS11_E_NS1_11comp_targetILNS1_3genE0ELNS1_11target_archE4294967295ELNS1_3gpuE0ELNS1_3repE0EEENS1_47radix_sort_onesweep_sort_config_static_selectorELNS0_4arch9wavefront6targetE0EEEvSI_,comdat
.Lfunc_end822:
	.size	_ZN7rocprim17ROCPRIM_400000_NS6detail17trampoline_kernelINS0_14default_configENS1_35radix_sort_onesweep_config_selectorIiiEEZZNS1_29radix_sort_onesweep_iterationIS3_Lb0EN6thrust23THRUST_200600_302600_NS6detail15normal_iteratorINS8_10device_ptrIiEEEESD_SD_SD_jNS0_19identity_decomposerENS1_16block_id_wrapperIjLb1EEEEE10hipError_tT1_PNSt15iterator_traitsISI_E10value_typeET2_T3_PNSJ_ISO_E10value_typeET4_T5_PST_SU_PNS1_23onesweep_lookback_stateEbbT6_jjT7_P12ihipStream_tbENKUlT_T0_SI_SN_E_clISD_SD_SD_SD_EEDaS11_S12_SI_SN_EUlS11_E_NS1_11comp_targetILNS1_3genE0ELNS1_11target_archE4294967295ELNS1_3gpuE0ELNS1_3repE0EEENS1_47radix_sort_onesweep_sort_config_static_selectorELNS0_4arch9wavefront6targetE0EEEvSI_, .Lfunc_end822-_ZN7rocprim17ROCPRIM_400000_NS6detail17trampoline_kernelINS0_14default_configENS1_35radix_sort_onesweep_config_selectorIiiEEZZNS1_29radix_sort_onesweep_iterationIS3_Lb0EN6thrust23THRUST_200600_302600_NS6detail15normal_iteratorINS8_10device_ptrIiEEEESD_SD_SD_jNS0_19identity_decomposerENS1_16block_id_wrapperIjLb1EEEEE10hipError_tT1_PNSt15iterator_traitsISI_E10value_typeET2_T3_PNSJ_ISO_E10value_typeET4_T5_PST_SU_PNS1_23onesweep_lookback_stateEbbT6_jjT7_P12ihipStream_tbENKUlT_T0_SI_SN_E_clISD_SD_SD_SD_EEDaS11_S12_SI_SN_EUlS11_E_NS1_11comp_targetILNS1_3genE0ELNS1_11target_archE4294967295ELNS1_3gpuE0ELNS1_3repE0EEENS1_47radix_sort_onesweep_sort_config_static_selectorELNS0_4arch9wavefront6targetE0EEEvSI_
                                        ; -- End function
	.set _ZN7rocprim17ROCPRIM_400000_NS6detail17trampoline_kernelINS0_14default_configENS1_35radix_sort_onesweep_config_selectorIiiEEZZNS1_29radix_sort_onesweep_iterationIS3_Lb0EN6thrust23THRUST_200600_302600_NS6detail15normal_iteratorINS8_10device_ptrIiEEEESD_SD_SD_jNS0_19identity_decomposerENS1_16block_id_wrapperIjLb1EEEEE10hipError_tT1_PNSt15iterator_traitsISI_E10value_typeET2_T3_PNSJ_ISO_E10value_typeET4_T5_PST_SU_PNS1_23onesweep_lookback_stateEbbT6_jjT7_P12ihipStream_tbENKUlT_T0_SI_SN_E_clISD_SD_SD_SD_EEDaS11_S12_SI_SN_EUlS11_E_NS1_11comp_targetILNS1_3genE0ELNS1_11target_archE4294967295ELNS1_3gpuE0ELNS1_3repE0EEENS1_47radix_sort_onesweep_sort_config_static_selectorELNS0_4arch9wavefront6targetE0EEEvSI_.num_vgpr, 0
	.set _ZN7rocprim17ROCPRIM_400000_NS6detail17trampoline_kernelINS0_14default_configENS1_35radix_sort_onesweep_config_selectorIiiEEZZNS1_29radix_sort_onesweep_iterationIS3_Lb0EN6thrust23THRUST_200600_302600_NS6detail15normal_iteratorINS8_10device_ptrIiEEEESD_SD_SD_jNS0_19identity_decomposerENS1_16block_id_wrapperIjLb1EEEEE10hipError_tT1_PNSt15iterator_traitsISI_E10value_typeET2_T3_PNSJ_ISO_E10value_typeET4_T5_PST_SU_PNS1_23onesweep_lookback_stateEbbT6_jjT7_P12ihipStream_tbENKUlT_T0_SI_SN_E_clISD_SD_SD_SD_EEDaS11_S12_SI_SN_EUlS11_E_NS1_11comp_targetILNS1_3genE0ELNS1_11target_archE4294967295ELNS1_3gpuE0ELNS1_3repE0EEENS1_47radix_sort_onesweep_sort_config_static_selectorELNS0_4arch9wavefront6targetE0EEEvSI_.num_agpr, 0
	.set _ZN7rocprim17ROCPRIM_400000_NS6detail17trampoline_kernelINS0_14default_configENS1_35radix_sort_onesweep_config_selectorIiiEEZZNS1_29radix_sort_onesweep_iterationIS3_Lb0EN6thrust23THRUST_200600_302600_NS6detail15normal_iteratorINS8_10device_ptrIiEEEESD_SD_SD_jNS0_19identity_decomposerENS1_16block_id_wrapperIjLb1EEEEE10hipError_tT1_PNSt15iterator_traitsISI_E10value_typeET2_T3_PNSJ_ISO_E10value_typeET4_T5_PST_SU_PNS1_23onesweep_lookback_stateEbbT6_jjT7_P12ihipStream_tbENKUlT_T0_SI_SN_E_clISD_SD_SD_SD_EEDaS11_S12_SI_SN_EUlS11_E_NS1_11comp_targetILNS1_3genE0ELNS1_11target_archE4294967295ELNS1_3gpuE0ELNS1_3repE0EEENS1_47radix_sort_onesweep_sort_config_static_selectorELNS0_4arch9wavefront6targetE0EEEvSI_.numbered_sgpr, 0
	.set _ZN7rocprim17ROCPRIM_400000_NS6detail17trampoline_kernelINS0_14default_configENS1_35radix_sort_onesweep_config_selectorIiiEEZZNS1_29radix_sort_onesweep_iterationIS3_Lb0EN6thrust23THRUST_200600_302600_NS6detail15normal_iteratorINS8_10device_ptrIiEEEESD_SD_SD_jNS0_19identity_decomposerENS1_16block_id_wrapperIjLb1EEEEE10hipError_tT1_PNSt15iterator_traitsISI_E10value_typeET2_T3_PNSJ_ISO_E10value_typeET4_T5_PST_SU_PNS1_23onesweep_lookback_stateEbbT6_jjT7_P12ihipStream_tbENKUlT_T0_SI_SN_E_clISD_SD_SD_SD_EEDaS11_S12_SI_SN_EUlS11_E_NS1_11comp_targetILNS1_3genE0ELNS1_11target_archE4294967295ELNS1_3gpuE0ELNS1_3repE0EEENS1_47radix_sort_onesweep_sort_config_static_selectorELNS0_4arch9wavefront6targetE0EEEvSI_.num_named_barrier, 0
	.set _ZN7rocprim17ROCPRIM_400000_NS6detail17trampoline_kernelINS0_14default_configENS1_35radix_sort_onesweep_config_selectorIiiEEZZNS1_29radix_sort_onesweep_iterationIS3_Lb0EN6thrust23THRUST_200600_302600_NS6detail15normal_iteratorINS8_10device_ptrIiEEEESD_SD_SD_jNS0_19identity_decomposerENS1_16block_id_wrapperIjLb1EEEEE10hipError_tT1_PNSt15iterator_traitsISI_E10value_typeET2_T3_PNSJ_ISO_E10value_typeET4_T5_PST_SU_PNS1_23onesweep_lookback_stateEbbT6_jjT7_P12ihipStream_tbENKUlT_T0_SI_SN_E_clISD_SD_SD_SD_EEDaS11_S12_SI_SN_EUlS11_E_NS1_11comp_targetILNS1_3genE0ELNS1_11target_archE4294967295ELNS1_3gpuE0ELNS1_3repE0EEENS1_47radix_sort_onesweep_sort_config_static_selectorELNS0_4arch9wavefront6targetE0EEEvSI_.private_seg_size, 0
	.set _ZN7rocprim17ROCPRIM_400000_NS6detail17trampoline_kernelINS0_14default_configENS1_35radix_sort_onesweep_config_selectorIiiEEZZNS1_29radix_sort_onesweep_iterationIS3_Lb0EN6thrust23THRUST_200600_302600_NS6detail15normal_iteratorINS8_10device_ptrIiEEEESD_SD_SD_jNS0_19identity_decomposerENS1_16block_id_wrapperIjLb1EEEEE10hipError_tT1_PNSt15iterator_traitsISI_E10value_typeET2_T3_PNSJ_ISO_E10value_typeET4_T5_PST_SU_PNS1_23onesweep_lookback_stateEbbT6_jjT7_P12ihipStream_tbENKUlT_T0_SI_SN_E_clISD_SD_SD_SD_EEDaS11_S12_SI_SN_EUlS11_E_NS1_11comp_targetILNS1_3genE0ELNS1_11target_archE4294967295ELNS1_3gpuE0ELNS1_3repE0EEENS1_47radix_sort_onesweep_sort_config_static_selectorELNS0_4arch9wavefront6targetE0EEEvSI_.uses_vcc, 0
	.set _ZN7rocprim17ROCPRIM_400000_NS6detail17trampoline_kernelINS0_14default_configENS1_35radix_sort_onesweep_config_selectorIiiEEZZNS1_29radix_sort_onesweep_iterationIS3_Lb0EN6thrust23THRUST_200600_302600_NS6detail15normal_iteratorINS8_10device_ptrIiEEEESD_SD_SD_jNS0_19identity_decomposerENS1_16block_id_wrapperIjLb1EEEEE10hipError_tT1_PNSt15iterator_traitsISI_E10value_typeET2_T3_PNSJ_ISO_E10value_typeET4_T5_PST_SU_PNS1_23onesweep_lookback_stateEbbT6_jjT7_P12ihipStream_tbENKUlT_T0_SI_SN_E_clISD_SD_SD_SD_EEDaS11_S12_SI_SN_EUlS11_E_NS1_11comp_targetILNS1_3genE0ELNS1_11target_archE4294967295ELNS1_3gpuE0ELNS1_3repE0EEENS1_47radix_sort_onesweep_sort_config_static_selectorELNS0_4arch9wavefront6targetE0EEEvSI_.uses_flat_scratch, 0
	.set _ZN7rocprim17ROCPRIM_400000_NS6detail17trampoline_kernelINS0_14default_configENS1_35radix_sort_onesweep_config_selectorIiiEEZZNS1_29radix_sort_onesweep_iterationIS3_Lb0EN6thrust23THRUST_200600_302600_NS6detail15normal_iteratorINS8_10device_ptrIiEEEESD_SD_SD_jNS0_19identity_decomposerENS1_16block_id_wrapperIjLb1EEEEE10hipError_tT1_PNSt15iterator_traitsISI_E10value_typeET2_T3_PNSJ_ISO_E10value_typeET4_T5_PST_SU_PNS1_23onesweep_lookback_stateEbbT6_jjT7_P12ihipStream_tbENKUlT_T0_SI_SN_E_clISD_SD_SD_SD_EEDaS11_S12_SI_SN_EUlS11_E_NS1_11comp_targetILNS1_3genE0ELNS1_11target_archE4294967295ELNS1_3gpuE0ELNS1_3repE0EEENS1_47radix_sort_onesweep_sort_config_static_selectorELNS0_4arch9wavefront6targetE0EEEvSI_.has_dyn_sized_stack, 0
	.set _ZN7rocprim17ROCPRIM_400000_NS6detail17trampoline_kernelINS0_14default_configENS1_35radix_sort_onesweep_config_selectorIiiEEZZNS1_29radix_sort_onesweep_iterationIS3_Lb0EN6thrust23THRUST_200600_302600_NS6detail15normal_iteratorINS8_10device_ptrIiEEEESD_SD_SD_jNS0_19identity_decomposerENS1_16block_id_wrapperIjLb1EEEEE10hipError_tT1_PNSt15iterator_traitsISI_E10value_typeET2_T3_PNSJ_ISO_E10value_typeET4_T5_PST_SU_PNS1_23onesweep_lookback_stateEbbT6_jjT7_P12ihipStream_tbENKUlT_T0_SI_SN_E_clISD_SD_SD_SD_EEDaS11_S12_SI_SN_EUlS11_E_NS1_11comp_targetILNS1_3genE0ELNS1_11target_archE4294967295ELNS1_3gpuE0ELNS1_3repE0EEENS1_47radix_sort_onesweep_sort_config_static_selectorELNS0_4arch9wavefront6targetE0EEEvSI_.has_recursion, 0
	.set _ZN7rocprim17ROCPRIM_400000_NS6detail17trampoline_kernelINS0_14default_configENS1_35radix_sort_onesweep_config_selectorIiiEEZZNS1_29radix_sort_onesweep_iterationIS3_Lb0EN6thrust23THRUST_200600_302600_NS6detail15normal_iteratorINS8_10device_ptrIiEEEESD_SD_SD_jNS0_19identity_decomposerENS1_16block_id_wrapperIjLb1EEEEE10hipError_tT1_PNSt15iterator_traitsISI_E10value_typeET2_T3_PNSJ_ISO_E10value_typeET4_T5_PST_SU_PNS1_23onesweep_lookback_stateEbbT6_jjT7_P12ihipStream_tbENKUlT_T0_SI_SN_E_clISD_SD_SD_SD_EEDaS11_S12_SI_SN_EUlS11_E_NS1_11comp_targetILNS1_3genE0ELNS1_11target_archE4294967295ELNS1_3gpuE0ELNS1_3repE0EEENS1_47radix_sort_onesweep_sort_config_static_selectorELNS0_4arch9wavefront6targetE0EEEvSI_.has_indirect_call, 0
	.section	.AMDGPU.csdata,"",@progbits
; Kernel info:
; codeLenInByte = 0
; TotalNumSgprs: 0
; NumVgprs: 0
; ScratchSize: 0
; MemoryBound: 0
; FloatMode: 240
; IeeeMode: 1
; LDSByteSize: 0 bytes/workgroup (compile time only)
; SGPRBlocks: 0
; VGPRBlocks: 0
; NumSGPRsForWavesPerEU: 1
; NumVGPRsForWavesPerEU: 1
; Occupancy: 16
; WaveLimiterHint : 0
; COMPUTE_PGM_RSRC2:SCRATCH_EN: 0
; COMPUTE_PGM_RSRC2:USER_SGPR: 6
; COMPUTE_PGM_RSRC2:TRAP_HANDLER: 0
; COMPUTE_PGM_RSRC2:TGID_X_EN: 1
; COMPUTE_PGM_RSRC2:TGID_Y_EN: 0
; COMPUTE_PGM_RSRC2:TGID_Z_EN: 0
; COMPUTE_PGM_RSRC2:TIDIG_COMP_CNT: 0
	.section	.text._ZN7rocprim17ROCPRIM_400000_NS6detail17trampoline_kernelINS0_14default_configENS1_35radix_sort_onesweep_config_selectorIiiEEZZNS1_29radix_sort_onesweep_iterationIS3_Lb0EN6thrust23THRUST_200600_302600_NS6detail15normal_iteratorINS8_10device_ptrIiEEEESD_SD_SD_jNS0_19identity_decomposerENS1_16block_id_wrapperIjLb1EEEEE10hipError_tT1_PNSt15iterator_traitsISI_E10value_typeET2_T3_PNSJ_ISO_E10value_typeET4_T5_PST_SU_PNS1_23onesweep_lookback_stateEbbT6_jjT7_P12ihipStream_tbENKUlT_T0_SI_SN_E_clISD_SD_SD_SD_EEDaS11_S12_SI_SN_EUlS11_E_NS1_11comp_targetILNS1_3genE6ELNS1_11target_archE950ELNS1_3gpuE13ELNS1_3repE0EEENS1_47radix_sort_onesweep_sort_config_static_selectorELNS0_4arch9wavefront6targetE0EEEvSI_,"axG",@progbits,_ZN7rocprim17ROCPRIM_400000_NS6detail17trampoline_kernelINS0_14default_configENS1_35radix_sort_onesweep_config_selectorIiiEEZZNS1_29radix_sort_onesweep_iterationIS3_Lb0EN6thrust23THRUST_200600_302600_NS6detail15normal_iteratorINS8_10device_ptrIiEEEESD_SD_SD_jNS0_19identity_decomposerENS1_16block_id_wrapperIjLb1EEEEE10hipError_tT1_PNSt15iterator_traitsISI_E10value_typeET2_T3_PNSJ_ISO_E10value_typeET4_T5_PST_SU_PNS1_23onesweep_lookback_stateEbbT6_jjT7_P12ihipStream_tbENKUlT_T0_SI_SN_E_clISD_SD_SD_SD_EEDaS11_S12_SI_SN_EUlS11_E_NS1_11comp_targetILNS1_3genE6ELNS1_11target_archE950ELNS1_3gpuE13ELNS1_3repE0EEENS1_47radix_sort_onesweep_sort_config_static_selectorELNS0_4arch9wavefront6targetE0EEEvSI_,comdat
	.protected	_ZN7rocprim17ROCPRIM_400000_NS6detail17trampoline_kernelINS0_14default_configENS1_35radix_sort_onesweep_config_selectorIiiEEZZNS1_29radix_sort_onesweep_iterationIS3_Lb0EN6thrust23THRUST_200600_302600_NS6detail15normal_iteratorINS8_10device_ptrIiEEEESD_SD_SD_jNS0_19identity_decomposerENS1_16block_id_wrapperIjLb1EEEEE10hipError_tT1_PNSt15iterator_traitsISI_E10value_typeET2_T3_PNSJ_ISO_E10value_typeET4_T5_PST_SU_PNS1_23onesweep_lookback_stateEbbT6_jjT7_P12ihipStream_tbENKUlT_T0_SI_SN_E_clISD_SD_SD_SD_EEDaS11_S12_SI_SN_EUlS11_E_NS1_11comp_targetILNS1_3genE6ELNS1_11target_archE950ELNS1_3gpuE13ELNS1_3repE0EEENS1_47radix_sort_onesweep_sort_config_static_selectorELNS0_4arch9wavefront6targetE0EEEvSI_ ; -- Begin function _ZN7rocprim17ROCPRIM_400000_NS6detail17trampoline_kernelINS0_14default_configENS1_35radix_sort_onesweep_config_selectorIiiEEZZNS1_29radix_sort_onesweep_iterationIS3_Lb0EN6thrust23THRUST_200600_302600_NS6detail15normal_iteratorINS8_10device_ptrIiEEEESD_SD_SD_jNS0_19identity_decomposerENS1_16block_id_wrapperIjLb1EEEEE10hipError_tT1_PNSt15iterator_traitsISI_E10value_typeET2_T3_PNSJ_ISO_E10value_typeET4_T5_PST_SU_PNS1_23onesweep_lookback_stateEbbT6_jjT7_P12ihipStream_tbENKUlT_T0_SI_SN_E_clISD_SD_SD_SD_EEDaS11_S12_SI_SN_EUlS11_E_NS1_11comp_targetILNS1_3genE6ELNS1_11target_archE950ELNS1_3gpuE13ELNS1_3repE0EEENS1_47radix_sort_onesweep_sort_config_static_selectorELNS0_4arch9wavefront6targetE0EEEvSI_
	.globl	_ZN7rocprim17ROCPRIM_400000_NS6detail17trampoline_kernelINS0_14default_configENS1_35radix_sort_onesweep_config_selectorIiiEEZZNS1_29radix_sort_onesweep_iterationIS3_Lb0EN6thrust23THRUST_200600_302600_NS6detail15normal_iteratorINS8_10device_ptrIiEEEESD_SD_SD_jNS0_19identity_decomposerENS1_16block_id_wrapperIjLb1EEEEE10hipError_tT1_PNSt15iterator_traitsISI_E10value_typeET2_T3_PNSJ_ISO_E10value_typeET4_T5_PST_SU_PNS1_23onesweep_lookback_stateEbbT6_jjT7_P12ihipStream_tbENKUlT_T0_SI_SN_E_clISD_SD_SD_SD_EEDaS11_S12_SI_SN_EUlS11_E_NS1_11comp_targetILNS1_3genE6ELNS1_11target_archE950ELNS1_3gpuE13ELNS1_3repE0EEENS1_47radix_sort_onesweep_sort_config_static_selectorELNS0_4arch9wavefront6targetE0EEEvSI_
	.p2align	8
	.type	_ZN7rocprim17ROCPRIM_400000_NS6detail17trampoline_kernelINS0_14default_configENS1_35radix_sort_onesweep_config_selectorIiiEEZZNS1_29radix_sort_onesweep_iterationIS3_Lb0EN6thrust23THRUST_200600_302600_NS6detail15normal_iteratorINS8_10device_ptrIiEEEESD_SD_SD_jNS0_19identity_decomposerENS1_16block_id_wrapperIjLb1EEEEE10hipError_tT1_PNSt15iterator_traitsISI_E10value_typeET2_T3_PNSJ_ISO_E10value_typeET4_T5_PST_SU_PNS1_23onesweep_lookback_stateEbbT6_jjT7_P12ihipStream_tbENKUlT_T0_SI_SN_E_clISD_SD_SD_SD_EEDaS11_S12_SI_SN_EUlS11_E_NS1_11comp_targetILNS1_3genE6ELNS1_11target_archE950ELNS1_3gpuE13ELNS1_3repE0EEENS1_47radix_sort_onesweep_sort_config_static_selectorELNS0_4arch9wavefront6targetE0EEEvSI_,@function
_ZN7rocprim17ROCPRIM_400000_NS6detail17trampoline_kernelINS0_14default_configENS1_35radix_sort_onesweep_config_selectorIiiEEZZNS1_29radix_sort_onesweep_iterationIS3_Lb0EN6thrust23THRUST_200600_302600_NS6detail15normal_iteratorINS8_10device_ptrIiEEEESD_SD_SD_jNS0_19identity_decomposerENS1_16block_id_wrapperIjLb1EEEEE10hipError_tT1_PNSt15iterator_traitsISI_E10value_typeET2_T3_PNSJ_ISO_E10value_typeET4_T5_PST_SU_PNS1_23onesweep_lookback_stateEbbT6_jjT7_P12ihipStream_tbENKUlT_T0_SI_SN_E_clISD_SD_SD_SD_EEDaS11_S12_SI_SN_EUlS11_E_NS1_11comp_targetILNS1_3genE6ELNS1_11target_archE950ELNS1_3gpuE13ELNS1_3repE0EEENS1_47radix_sort_onesweep_sort_config_static_selectorELNS0_4arch9wavefront6targetE0EEEvSI_: ; @_ZN7rocprim17ROCPRIM_400000_NS6detail17trampoline_kernelINS0_14default_configENS1_35radix_sort_onesweep_config_selectorIiiEEZZNS1_29radix_sort_onesweep_iterationIS3_Lb0EN6thrust23THRUST_200600_302600_NS6detail15normal_iteratorINS8_10device_ptrIiEEEESD_SD_SD_jNS0_19identity_decomposerENS1_16block_id_wrapperIjLb1EEEEE10hipError_tT1_PNSt15iterator_traitsISI_E10value_typeET2_T3_PNSJ_ISO_E10value_typeET4_T5_PST_SU_PNS1_23onesweep_lookback_stateEbbT6_jjT7_P12ihipStream_tbENKUlT_T0_SI_SN_E_clISD_SD_SD_SD_EEDaS11_S12_SI_SN_EUlS11_E_NS1_11comp_targetILNS1_3genE6ELNS1_11target_archE950ELNS1_3gpuE13ELNS1_3repE0EEENS1_47radix_sort_onesweep_sort_config_static_selectorELNS0_4arch9wavefront6targetE0EEEvSI_
; %bb.0:
	.section	.rodata,"a",@progbits
	.p2align	6, 0x0
	.amdhsa_kernel _ZN7rocprim17ROCPRIM_400000_NS6detail17trampoline_kernelINS0_14default_configENS1_35radix_sort_onesweep_config_selectorIiiEEZZNS1_29radix_sort_onesweep_iterationIS3_Lb0EN6thrust23THRUST_200600_302600_NS6detail15normal_iteratorINS8_10device_ptrIiEEEESD_SD_SD_jNS0_19identity_decomposerENS1_16block_id_wrapperIjLb1EEEEE10hipError_tT1_PNSt15iterator_traitsISI_E10value_typeET2_T3_PNSJ_ISO_E10value_typeET4_T5_PST_SU_PNS1_23onesweep_lookback_stateEbbT6_jjT7_P12ihipStream_tbENKUlT_T0_SI_SN_E_clISD_SD_SD_SD_EEDaS11_S12_SI_SN_EUlS11_E_NS1_11comp_targetILNS1_3genE6ELNS1_11target_archE950ELNS1_3gpuE13ELNS1_3repE0EEENS1_47radix_sort_onesweep_sort_config_static_selectorELNS0_4arch9wavefront6targetE0EEEvSI_
		.amdhsa_group_segment_fixed_size 0
		.amdhsa_private_segment_fixed_size 0
		.amdhsa_kernarg_size 88
		.amdhsa_user_sgpr_count 6
		.amdhsa_user_sgpr_private_segment_buffer 1
		.amdhsa_user_sgpr_dispatch_ptr 0
		.amdhsa_user_sgpr_queue_ptr 0
		.amdhsa_user_sgpr_kernarg_segment_ptr 1
		.amdhsa_user_sgpr_dispatch_id 0
		.amdhsa_user_sgpr_flat_scratch_init 0
		.amdhsa_user_sgpr_private_segment_size 0
		.amdhsa_wavefront_size32 1
		.amdhsa_uses_dynamic_stack 0
		.amdhsa_system_sgpr_private_segment_wavefront_offset 0
		.amdhsa_system_sgpr_workgroup_id_x 1
		.amdhsa_system_sgpr_workgroup_id_y 0
		.amdhsa_system_sgpr_workgroup_id_z 0
		.amdhsa_system_sgpr_workgroup_info 0
		.amdhsa_system_vgpr_workitem_id 0
		.amdhsa_next_free_vgpr 1
		.amdhsa_next_free_sgpr 1
		.amdhsa_reserve_vcc 0
		.amdhsa_reserve_flat_scratch 0
		.amdhsa_float_round_mode_32 0
		.amdhsa_float_round_mode_16_64 0
		.amdhsa_float_denorm_mode_32 3
		.amdhsa_float_denorm_mode_16_64 3
		.amdhsa_dx10_clamp 1
		.amdhsa_ieee_mode 1
		.amdhsa_fp16_overflow 0
		.amdhsa_workgroup_processor_mode 1
		.amdhsa_memory_ordered 1
		.amdhsa_forward_progress 1
		.amdhsa_shared_vgpr_count 0
		.amdhsa_exception_fp_ieee_invalid_op 0
		.amdhsa_exception_fp_denorm_src 0
		.amdhsa_exception_fp_ieee_div_zero 0
		.amdhsa_exception_fp_ieee_overflow 0
		.amdhsa_exception_fp_ieee_underflow 0
		.amdhsa_exception_fp_ieee_inexact 0
		.amdhsa_exception_int_div_zero 0
	.end_amdhsa_kernel
	.section	.text._ZN7rocprim17ROCPRIM_400000_NS6detail17trampoline_kernelINS0_14default_configENS1_35radix_sort_onesweep_config_selectorIiiEEZZNS1_29radix_sort_onesweep_iterationIS3_Lb0EN6thrust23THRUST_200600_302600_NS6detail15normal_iteratorINS8_10device_ptrIiEEEESD_SD_SD_jNS0_19identity_decomposerENS1_16block_id_wrapperIjLb1EEEEE10hipError_tT1_PNSt15iterator_traitsISI_E10value_typeET2_T3_PNSJ_ISO_E10value_typeET4_T5_PST_SU_PNS1_23onesweep_lookback_stateEbbT6_jjT7_P12ihipStream_tbENKUlT_T0_SI_SN_E_clISD_SD_SD_SD_EEDaS11_S12_SI_SN_EUlS11_E_NS1_11comp_targetILNS1_3genE6ELNS1_11target_archE950ELNS1_3gpuE13ELNS1_3repE0EEENS1_47radix_sort_onesweep_sort_config_static_selectorELNS0_4arch9wavefront6targetE0EEEvSI_,"axG",@progbits,_ZN7rocprim17ROCPRIM_400000_NS6detail17trampoline_kernelINS0_14default_configENS1_35radix_sort_onesweep_config_selectorIiiEEZZNS1_29radix_sort_onesweep_iterationIS3_Lb0EN6thrust23THRUST_200600_302600_NS6detail15normal_iteratorINS8_10device_ptrIiEEEESD_SD_SD_jNS0_19identity_decomposerENS1_16block_id_wrapperIjLb1EEEEE10hipError_tT1_PNSt15iterator_traitsISI_E10value_typeET2_T3_PNSJ_ISO_E10value_typeET4_T5_PST_SU_PNS1_23onesweep_lookback_stateEbbT6_jjT7_P12ihipStream_tbENKUlT_T0_SI_SN_E_clISD_SD_SD_SD_EEDaS11_S12_SI_SN_EUlS11_E_NS1_11comp_targetILNS1_3genE6ELNS1_11target_archE950ELNS1_3gpuE13ELNS1_3repE0EEENS1_47radix_sort_onesweep_sort_config_static_selectorELNS0_4arch9wavefront6targetE0EEEvSI_,comdat
.Lfunc_end823:
	.size	_ZN7rocprim17ROCPRIM_400000_NS6detail17trampoline_kernelINS0_14default_configENS1_35radix_sort_onesweep_config_selectorIiiEEZZNS1_29radix_sort_onesweep_iterationIS3_Lb0EN6thrust23THRUST_200600_302600_NS6detail15normal_iteratorINS8_10device_ptrIiEEEESD_SD_SD_jNS0_19identity_decomposerENS1_16block_id_wrapperIjLb1EEEEE10hipError_tT1_PNSt15iterator_traitsISI_E10value_typeET2_T3_PNSJ_ISO_E10value_typeET4_T5_PST_SU_PNS1_23onesweep_lookback_stateEbbT6_jjT7_P12ihipStream_tbENKUlT_T0_SI_SN_E_clISD_SD_SD_SD_EEDaS11_S12_SI_SN_EUlS11_E_NS1_11comp_targetILNS1_3genE6ELNS1_11target_archE950ELNS1_3gpuE13ELNS1_3repE0EEENS1_47radix_sort_onesweep_sort_config_static_selectorELNS0_4arch9wavefront6targetE0EEEvSI_, .Lfunc_end823-_ZN7rocprim17ROCPRIM_400000_NS6detail17trampoline_kernelINS0_14default_configENS1_35radix_sort_onesweep_config_selectorIiiEEZZNS1_29radix_sort_onesweep_iterationIS3_Lb0EN6thrust23THRUST_200600_302600_NS6detail15normal_iteratorINS8_10device_ptrIiEEEESD_SD_SD_jNS0_19identity_decomposerENS1_16block_id_wrapperIjLb1EEEEE10hipError_tT1_PNSt15iterator_traitsISI_E10value_typeET2_T3_PNSJ_ISO_E10value_typeET4_T5_PST_SU_PNS1_23onesweep_lookback_stateEbbT6_jjT7_P12ihipStream_tbENKUlT_T0_SI_SN_E_clISD_SD_SD_SD_EEDaS11_S12_SI_SN_EUlS11_E_NS1_11comp_targetILNS1_3genE6ELNS1_11target_archE950ELNS1_3gpuE13ELNS1_3repE0EEENS1_47radix_sort_onesweep_sort_config_static_selectorELNS0_4arch9wavefront6targetE0EEEvSI_
                                        ; -- End function
	.set _ZN7rocprim17ROCPRIM_400000_NS6detail17trampoline_kernelINS0_14default_configENS1_35radix_sort_onesweep_config_selectorIiiEEZZNS1_29radix_sort_onesweep_iterationIS3_Lb0EN6thrust23THRUST_200600_302600_NS6detail15normal_iteratorINS8_10device_ptrIiEEEESD_SD_SD_jNS0_19identity_decomposerENS1_16block_id_wrapperIjLb1EEEEE10hipError_tT1_PNSt15iterator_traitsISI_E10value_typeET2_T3_PNSJ_ISO_E10value_typeET4_T5_PST_SU_PNS1_23onesweep_lookback_stateEbbT6_jjT7_P12ihipStream_tbENKUlT_T0_SI_SN_E_clISD_SD_SD_SD_EEDaS11_S12_SI_SN_EUlS11_E_NS1_11comp_targetILNS1_3genE6ELNS1_11target_archE950ELNS1_3gpuE13ELNS1_3repE0EEENS1_47radix_sort_onesweep_sort_config_static_selectorELNS0_4arch9wavefront6targetE0EEEvSI_.num_vgpr, 0
	.set _ZN7rocprim17ROCPRIM_400000_NS6detail17trampoline_kernelINS0_14default_configENS1_35radix_sort_onesweep_config_selectorIiiEEZZNS1_29radix_sort_onesweep_iterationIS3_Lb0EN6thrust23THRUST_200600_302600_NS6detail15normal_iteratorINS8_10device_ptrIiEEEESD_SD_SD_jNS0_19identity_decomposerENS1_16block_id_wrapperIjLb1EEEEE10hipError_tT1_PNSt15iterator_traitsISI_E10value_typeET2_T3_PNSJ_ISO_E10value_typeET4_T5_PST_SU_PNS1_23onesweep_lookback_stateEbbT6_jjT7_P12ihipStream_tbENKUlT_T0_SI_SN_E_clISD_SD_SD_SD_EEDaS11_S12_SI_SN_EUlS11_E_NS1_11comp_targetILNS1_3genE6ELNS1_11target_archE950ELNS1_3gpuE13ELNS1_3repE0EEENS1_47radix_sort_onesweep_sort_config_static_selectorELNS0_4arch9wavefront6targetE0EEEvSI_.num_agpr, 0
	.set _ZN7rocprim17ROCPRIM_400000_NS6detail17trampoline_kernelINS0_14default_configENS1_35radix_sort_onesweep_config_selectorIiiEEZZNS1_29radix_sort_onesweep_iterationIS3_Lb0EN6thrust23THRUST_200600_302600_NS6detail15normal_iteratorINS8_10device_ptrIiEEEESD_SD_SD_jNS0_19identity_decomposerENS1_16block_id_wrapperIjLb1EEEEE10hipError_tT1_PNSt15iterator_traitsISI_E10value_typeET2_T3_PNSJ_ISO_E10value_typeET4_T5_PST_SU_PNS1_23onesweep_lookback_stateEbbT6_jjT7_P12ihipStream_tbENKUlT_T0_SI_SN_E_clISD_SD_SD_SD_EEDaS11_S12_SI_SN_EUlS11_E_NS1_11comp_targetILNS1_3genE6ELNS1_11target_archE950ELNS1_3gpuE13ELNS1_3repE0EEENS1_47radix_sort_onesweep_sort_config_static_selectorELNS0_4arch9wavefront6targetE0EEEvSI_.numbered_sgpr, 0
	.set _ZN7rocprim17ROCPRIM_400000_NS6detail17trampoline_kernelINS0_14default_configENS1_35radix_sort_onesweep_config_selectorIiiEEZZNS1_29radix_sort_onesweep_iterationIS3_Lb0EN6thrust23THRUST_200600_302600_NS6detail15normal_iteratorINS8_10device_ptrIiEEEESD_SD_SD_jNS0_19identity_decomposerENS1_16block_id_wrapperIjLb1EEEEE10hipError_tT1_PNSt15iterator_traitsISI_E10value_typeET2_T3_PNSJ_ISO_E10value_typeET4_T5_PST_SU_PNS1_23onesweep_lookback_stateEbbT6_jjT7_P12ihipStream_tbENKUlT_T0_SI_SN_E_clISD_SD_SD_SD_EEDaS11_S12_SI_SN_EUlS11_E_NS1_11comp_targetILNS1_3genE6ELNS1_11target_archE950ELNS1_3gpuE13ELNS1_3repE0EEENS1_47radix_sort_onesweep_sort_config_static_selectorELNS0_4arch9wavefront6targetE0EEEvSI_.num_named_barrier, 0
	.set _ZN7rocprim17ROCPRIM_400000_NS6detail17trampoline_kernelINS0_14default_configENS1_35radix_sort_onesweep_config_selectorIiiEEZZNS1_29radix_sort_onesweep_iterationIS3_Lb0EN6thrust23THRUST_200600_302600_NS6detail15normal_iteratorINS8_10device_ptrIiEEEESD_SD_SD_jNS0_19identity_decomposerENS1_16block_id_wrapperIjLb1EEEEE10hipError_tT1_PNSt15iterator_traitsISI_E10value_typeET2_T3_PNSJ_ISO_E10value_typeET4_T5_PST_SU_PNS1_23onesweep_lookback_stateEbbT6_jjT7_P12ihipStream_tbENKUlT_T0_SI_SN_E_clISD_SD_SD_SD_EEDaS11_S12_SI_SN_EUlS11_E_NS1_11comp_targetILNS1_3genE6ELNS1_11target_archE950ELNS1_3gpuE13ELNS1_3repE0EEENS1_47radix_sort_onesweep_sort_config_static_selectorELNS0_4arch9wavefront6targetE0EEEvSI_.private_seg_size, 0
	.set _ZN7rocprim17ROCPRIM_400000_NS6detail17trampoline_kernelINS0_14default_configENS1_35radix_sort_onesweep_config_selectorIiiEEZZNS1_29radix_sort_onesweep_iterationIS3_Lb0EN6thrust23THRUST_200600_302600_NS6detail15normal_iteratorINS8_10device_ptrIiEEEESD_SD_SD_jNS0_19identity_decomposerENS1_16block_id_wrapperIjLb1EEEEE10hipError_tT1_PNSt15iterator_traitsISI_E10value_typeET2_T3_PNSJ_ISO_E10value_typeET4_T5_PST_SU_PNS1_23onesweep_lookback_stateEbbT6_jjT7_P12ihipStream_tbENKUlT_T0_SI_SN_E_clISD_SD_SD_SD_EEDaS11_S12_SI_SN_EUlS11_E_NS1_11comp_targetILNS1_3genE6ELNS1_11target_archE950ELNS1_3gpuE13ELNS1_3repE0EEENS1_47radix_sort_onesweep_sort_config_static_selectorELNS0_4arch9wavefront6targetE0EEEvSI_.uses_vcc, 0
	.set _ZN7rocprim17ROCPRIM_400000_NS6detail17trampoline_kernelINS0_14default_configENS1_35radix_sort_onesweep_config_selectorIiiEEZZNS1_29radix_sort_onesweep_iterationIS3_Lb0EN6thrust23THRUST_200600_302600_NS6detail15normal_iteratorINS8_10device_ptrIiEEEESD_SD_SD_jNS0_19identity_decomposerENS1_16block_id_wrapperIjLb1EEEEE10hipError_tT1_PNSt15iterator_traitsISI_E10value_typeET2_T3_PNSJ_ISO_E10value_typeET4_T5_PST_SU_PNS1_23onesweep_lookback_stateEbbT6_jjT7_P12ihipStream_tbENKUlT_T0_SI_SN_E_clISD_SD_SD_SD_EEDaS11_S12_SI_SN_EUlS11_E_NS1_11comp_targetILNS1_3genE6ELNS1_11target_archE950ELNS1_3gpuE13ELNS1_3repE0EEENS1_47radix_sort_onesweep_sort_config_static_selectorELNS0_4arch9wavefront6targetE0EEEvSI_.uses_flat_scratch, 0
	.set _ZN7rocprim17ROCPRIM_400000_NS6detail17trampoline_kernelINS0_14default_configENS1_35radix_sort_onesweep_config_selectorIiiEEZZNS1_29radix_sort_onesweep_iterationIS3_Lb0EN6thrust23THRUST_200600_302600_NS6detail15normal_iteratorINS8_10device_ptrIiEEEESD_SD_SD_jNS0_19identity_decomposerENS1_16block_id_wrapperIjLb1EEEEE10hipError_tT1_PNSt15iterator_traitsISI_E10value_typeET2_T3_PNSJ_ISO_E10value_typeET4_T5_PST_SU_PNS1_23onesweep_lookback_stateEbbT6_jjT7_P12ihipStream_tbENKUlT_T0_SI_SN_E_clISD_SD_SD_SD_EEDaS11_S12_SI_SN_EUlS11_E_NS1_11comp_targetILNS1_3genE6ELNS1_11target_archE950ELNS1_3gpuE13ELNS1_3repE0EEENS1_47radix_sort_onesweep_sort_config_static_selectorELNS0_4arch9wavefront6targetE0EEEvSI_.has_dyn_sized_stack, 0
	.set _ZN7rocprim17ROCPRIM_400000_NS6detail17trampoline_kernelINS0_14default_configENS1_35radix_sort_onesweep_config_selectorIiiEEZZNS1_29radix_sort_onesweep_iterationIS3_Lb0EN6thrust23THRUST_200600_302600_NS6detail15normal_iteratorINS8_10device_ptrIiEEEESD_SD_SD_jNS0_19identity_decomposerENS1_16block_id_wrapperIjLb1EEEEE10hipError_tT1_PNSt15iterator_traitsISI_E10value_typeET2_T3_PNSJ_ISO_E10value_typeET4_T5_PST_SU_PNS1_23onesweep_lookback_stateEbbT6_jjT7_P12ihipStream_tbENKUlT_T0_SI_SN_E_clISD_SD_SD_SD_EEDaS11_S12_SI_SN_EUlS11_E_NS1_11comp_targetILNS1_3genE6ELNS1_11target_archE950ELNS1_3gpuE13ELNS1_3repE0EEENS1_47radix_sort_onesweep_sort_config_static_selectorELNS0_4arch9wavefront6targetE0EEEvSI_.has_recursion, 0
	.set _ZN7rocprim17ROCPRIM_400000_NS6detail17trampoline_kernelINS0_14default_configENS1_35radix_sort_onesweep_config_selectorIiiEEZZNS1_29radix_sort_onesweep_iterationIS3_Lb0EN6thrust23THRUST_200600_302600_NS6detail15normal_iteratorINS8_10device_ptrIiEEEESD_SD_SD_jNS0_19identity_decomposerENS1_16block_id_wrapperIjLb1EEEEE10hipError_tT1_PNSt15iterator_traitsISI_E10value_typeET2_T3_PNSJ_ISO_E10value_typeET4_T5_PST_SU_PNS1_23onesweep_lookback_stateEbbT6_jjT7_P12ihipStream_tbENKUlT_T0_SI_SN_E_clISD_SD_SD_SD_EEDaS11_S12_SI_SN_EUlS11_E_NS1_11comp_targetILNS1_3genE6ELNS1_11target_archE950ELNS1_3gpuE13ELNS1_3repE0EEENS1_47radix_sort_onesweep_sort_config_static_selectorELNS0_4arch9wavefront6targetE0EEEvSI_.has_indirect_call, 0
	.section	.AMDGPU.csdata,"",@progbits
; Kernel info:
; codeLenInByte = 0
; TotalNumSgprs: 0
; NumVgprs: 0
; ScratchSize: 0
; MemoryBound: 0
; FloatMode: 240
; IeeeMode: 1
; LDSByteSize: 0 bytes/workgroup (compile time only)
; SGPRBlocks: 0
; VGPRBlocks: 0
; NumSGPRsForWavesPerEU: 1
; NumVGPRsForWavesPerEU: 1
; Occupancy: 16
; WaveLimiterHint : 0
; COMPUTE_PGM_RSRC2:SCRATCH_EN: 0
; COMPUTE_PGM_RSRC2:USER_SGPR: 6
; COMPUTE_PGM_RSRC2:TRAP_HANDLER: 0
; COMPUTE_PGM_RSRC2:TGID_X_EN: 1
; COMPUTE_PGM_RSRC2:TGID_Y_EN: 0
; COMPUTE_PGM_RSRC2:TGID_Z_EN: 0
; COMPUTE_PGM_RSRC2:TIDIG_COMP_CNT: 0
	.section	.text._ZN7rocprim17ROCPRIM_400000_NS6detail17trampoline_kernelINS0_14default_configENS1_35radix_sort_onesweep_config_selectorIiiEEZZNS1_29radix_sort_onesweep_iterationIS3_Lb0EN6thrust23THRUST_200600_302600_NS6detail15normal_iteratorINS8_10device_ptrIiEEEESD_SD_SD_jNS0_19identity_decomposerENS1_16block_id_wrapperIjLb1EEEEE10hipError_tT1_PNSt15iterator_traitsISI_E10value_typeET2_T3_PNSJ_ISO_E10value_typeET4_T5_PST_SU_PNS1_23onesweep_lookback_stateEbbT6_jjT7_P12ihipStream_tbENKUlT_T0_SI_SN_E_clISD_SD_SD_SD_EEDaS11_S12_SI_SN_EUlS11_E_NS1_11comp_targetILNS1_3genE5ELNS1_11target_archE942ELNS1_3gpuE9ELNS1_3repE0EEENS1_47radix_sort_onesweep_sort_config_static_selectorELNS0_4arch9wavefront6targetE0EEEvSI_,"axG",@progbits,_ZN7rocprim17ROCPRIM_400000_NS6detail17trampoline_kernelINS0_14default_configENS1_35radix_sort_onesweep_config_selectorIiiEEZZNS1_29radix_sort_onesweep_iterationIS3_Lb0EN6thrust23THRUST_200600_302600_NS6detail15normal_iteratorINS8_10device_ptrIiEEEESD_SD_SD_jNS0_19identity_decomposerENS1_16block_id_wrapperIjLb1EEEEE10hipError_tT1_PNSt15iterator_traitsISI_E10value_typeET2_T3_PNSJ_ISO_E10value_typeET4_T5_PST_SU_PNS1_23onesweep_lookback_stateEbbT6_jjT7_P12ihipStream_tbENKUlT_T0_SI_SN_E_clISD_SD_SD_SD_EEDaS11_S12_SI_SN_EUlS11_E_NS1_11comp_targetILNS1_3genE5ELNS1_11target_archE942ELNS1_3gpuE9ELNS1_3repE0EEENS1_47radix_sort_onesweep_sort_config_static_selectorELNS0_4arch9wavefront6targetE0EEEvSI_,comdat
	.protected	_ZN7rocprim17ROCPRIM_400000_NS6detail17trampoline_kernelINS0_14default_configENS1_35radix_sort_onesweep_config_selectorIiiEEZZNS1_29radix_sort_onesweep_iterationIS3_Lb0EN6thrust23THRUST_200600_302600_NS6detail15normal_iteratorINS8_10device_ptrIiEEEESD_SD_SD_jNS0_19identity_decomposerENS1_16block_id_wrapperIjLb1EEEEE10hipError_tT1_PNSt15iterator_traitsISI_E10value_typeET2_T3_PNSJ_ISO_E10value_typeET4_T5_PST_SU_PNS1_23onesweep_lookback_stateEbbT6_jjT7_P12ihipStream_tbENKUlT_T0_SI_SN_E_clISD_SD_SD_SD_EEDaS11_S12_SI_SN_EUlS11_E_NS1_11comp_targetILNS1_3genE5ELNS1_11target_archE942ELNS1_3gpuE9ELNS1_3repE0EEENS1_47radix_sort_onesweep_sort_config_static_selectorELNS0_4arch9wavefront6targetE0EEEvSI_ ; -- Begin function _ZN7rocprim17ROCPRIM_400000_NS6detail17trampoline_kernelINS0_14default_configENS1_35radix_sort_onesweep_config_selectorIiiEEZZNS1_29radix_sort_onesweep_iterationIS3_Lb0EN6thrust23THRUST_200600_302600_NS6detail15normal_iteratorINS8_10device_ptrIiEEEESD_SD_SD_jNS0_19identity_decomposerENS1_16block_id_wrapperIjLb1EEEEE10hipError_tT1_PNSt15iterator_traitsISI_E10value_typeET2_T3_PNSJ_ISO_E10value_typeET4_T5_PST_SU_PNS1_23onesweep_lookback_stateEbbT6_jjT7_P12ihipStream_tbENKUlT_T0_SI_SN_E_clISD_SD_SD_SD_EEDaS11_S12_SI_SN_EUlS11_E_NS1_11comp_targetILNS1_3genE5ELNS1_11target_archE942ELNS1_3gpuE9ELNS1_3repE0EEENS1_47radix_sort_onesweep_sort_config_static_selectorELNS0_4arch9wavefront6targetE0EEEvSI_
	.globl	_ZN7rocprim17ROCPRIM_400000_NS6detail17trampoline_kernelINS0_14default_configENS1_35radix_sort_onesweep_config_selectorIiiEEZZNS1_29radix_sort_onesweep_iterationIS3_Lb0EN6thrust23THRUST_200600_302600_NS6detail15normal_iteratorINS8_10device_ptrIiEEEESD_SD_SD_jNS0_19identity_decomposerENS1_16block_id_wrapperIjLb1EEEEE10hipError_tT1_PNSt15iterator_traitsISI_E10value_typeET2_T3_PNSJ_ISO_E10value_typeET4_T5_PST_SU_PNS1_23onesweep_lookback_stateEbbT6_jjT7_P12ihipStream_tbENKUlT_T0_SI_SN_E_clISD_SD_SD_SD_EEDaS11_S12_SI_SN_EUlS11_E_NS1_11comp_targetILNS1_3genE5ELNS1_11target_archE942ELNS1_3gpuE9ELNS1_3repE0EEENS1_47radix_sort_onesweep_sort_config_static_selectorELNS0_4arch9wavefront6targetE0EEEvSI_
	.p2align	8
	.type	_ZN7rocprim17ROCPRIM_400000_NS6detail17trampoline_kernelINS0_14default_configENS1_35radix_sort_onesweep_config_selectorIiiEEZZNS1_29radix_sort_onesweep_iterationIS3_Lb0EN6thrust23THRUST_200600_302600_NS6detail15normal_iteratorINS8_10device_ptrIiEEEESD_SD_SD_jNS0_19identity_decomposerENS1_16block_id_wrapperIjLb1EEEEE10hipError_tT1_PNSt15iterator_traitsISI_E10value_typeET2_T3_PNSJ_ISO_E10value_typeET4_T5_PST_SU_PNS1_23onesweep_lookback_stateEbbT6_jjT7_P12ihipStream_tbENKUlT_T0_SI_SN_E_clISD_SD_SD_SD_EEDaS11_S12_SI_SN_EUlS11_E_NS1_11comp_targetILNS1_3genE5ELNS1_11target_archE942ELNS1_3gpuE9ELNS1_3repE0EEENS1_47radix_sort_onesweep_sort_config_static_selectorELNS0_4arch9wavefront6targetE0EEEvSI_,@function
_ZN7rocprim17ROCPRIM_400000_NS6detail17trampoline_kernelINS0_14default_configENS1_35radix_sort_onesweep_config_selectorIiiEEZZNS1_29radix_sort_onesweep_iterationIS3_Lb0EN6thrust23THRUST_200600_302600_NS6detail15normal_iteratorINS8_10device_ptrIiEEEESD_SD_SD_jNS0_19identity_decomposerENS1_16block_id_wrapperIjLb1EEEEE10hipError_tT1_PNSt15iterator_traitsISI_E10value_typeET2_T3_PNSJ_ISO_E10value_typeET4_T5_PST_SU_PNS1_23onesweep_lookback_stateEbbT6_jjT7_P12ihipStream_tbENKUlT_T0_SI_SN_E_clISD_SD_SD_SD_EEDaS11_S12_SI_SN_EUlS11_E_NS1_11comp_targetILNS1_3genE5ELNS1_11target_archE942ELNS1_3gpuE9ELNS1_3repE0EEENS1_47radix_sort_onesweep_sort_config_static_selectorELNS0_4arch9wavefront6targetE0EEEvSI_: ; @_ZN7rocprim17ROCPRIM_400000_NS6detail17trampoline_kernelINS0_14default_configENS1_35radix_sort_onesweep_config_selectorIiiEEZZNS1_29radix_sort_onesweep_iterationIS3_Lb0EN6thrust23THRUST_200600_302600_NS6detail15normal_iteratorINS8_10device_ptrIiEEEESD_SD_SD_jNS0_19identity_decomposerENS1_16block_id_wrapperIjLb1EEEEE10hipError_tT1_PNSt15iterator_traitsISI_E10value_typeET2_T3_PNSJ_ISO_E10value_typeET4_T5_PST_SU_PNS1_23onesweep_lookback_stateEbbT6_jjT7_P12ihipStream_tbENKUlT_T0_SI_SN_E_clISD_SD_SD_SD_EEDaS11_S12_SI_SN_EUlS11_E_NS1_11comp_targetILNS1_3genE5ELNS1_11target_archE942ELNS1_3gpuE9ELNS1_3repE0EEENS1_47radix_sort_onesweep_sort_config_static_selectorELNS0_4arch9wavefront6targetE0EEEvSI_
; %bb.0:
	.section	.rodata,"a",@progbits
	.p2align	6, 0x0
	.amdhsa_kernel _ZN7rocprim17ROCPRIM_400000_NS6detail17trampoline_kernelINS0_14default_configENS1_35radix_sort_onesweep_config_selectorIiiEEZZNS1_29radix_sort_onesweep_iterationIS3_Lb0EN6thrust23THRUST_200600_302600_NS6detail15normal_iteratorINS8_10device_ptrIiEEEESD_SD_SD_jNS0_19identity_decomposerENS1_16block_id_wrapperIjLb1EEEEE10hipError_tT1_PNSt15iterator_traitsISI_E10value_typeET2_T3_PNSJ_ISO_E10value_typeET4_T5_PST_SU_PNS1_23onesweep_lookback_stateEbbT6_jjT7_P12ihipStream_tbENKUlT_T0_SI_SN_E_clISD_SD_SD_SD_EEDaS11_S12_SI_SN_EUlS11_E_NS1_11comp_targetILNS1_3genE5ELNS1_11target_archE942ELNS1_3gpuE9ELNS1_3repE0EEENS1_47radix_sort_onesweep_sort_config_static_selectorELNS0_4arch9wavefront6targetE0EEEvSI_
		.amdhsa_group_segment_fixed_size 0
		.amdhsa_private_segment_fixed_size 0
		.amdhsa_kernarg_size 88
		.amdhsa_user_sgpr_count 6
		.amdhsa_user_sgpr_private_segment_buffer 1
		.amdhsa_user_sgpr_dispatch_ptr 0
		.amdhsa_user_sgpr_queue_ptr 0
		.amdhsa_user_sgpr_kernarg_segment_ptr 1
		.amdhsa_user_sgpr_dispatch_id 0
		.amdhsa_user_sgpr_flat_scratch_init 0
		.amdhsa_user_sgpr_private_segment_size 0
		.amdhsa_wavefront_size32 1
		.amdhsa_uses_dynamic_stack 0
		.amdhsa_system_sgpr_private_segment_wavefront_offset 0
		.amdhsa_system_sgpr_workgroup_id_x 1
		.amdhsa_system_sgpr_workgroup_id_y 0
		.amdhsa_system_sgpr_workgroup_id_z 0
		.amdhsa_system_sgpr_workgroup_info 0
		.amdhsa_system_vgpr_workitem_id 0
		.amdhsa_next_free_vgpr 1
		.amdhsa_next_free_sgpr 1
		.amdhsa_reserve_vcc 0
		.amdhsa_reserve_flat_scratch 0
		.amdhsa_float_round_mode_32 0
		.amdhsa_float_round_mode_16_64 0
		.amdhsa_float_denorm_mode_32 3
		.amdhsa_float_denorm_mode_16_64 3
		.amdhsa_dx10_clamp 1
		.amdhsa_ieee_mode 1
		.amdhsa_fp16_overflow 0
		.amdhsa_workgroup_processor_mode 1
		.amdhsa_memory_ordered 1
		.amdhsa_forward_progress 1
		.amdhsa_shared_vgpr_count 0
		.amdhsa_exception_fp_ieee_invalid_op 0
		.amdhsa_exception_fp_denorm_src 0
		.amdhsa_exception_fp_ieee_div_zero 0
		.amdhsa_exception_fp_ieee_overflow 0
		.amdhsa_exception_fp_ieee_underflow 0
		.amdhsa_exception_fp_ieee_inexact 0
		.amdhsa_exception_int_div_zero 0
	.end_amdhsa_kernel
	.section	.text._ZN7rocprim17ROCPRIM_400000_NS6detail17trampoline_kernelINS0_14default_configENS1_35radix_sort_onesweep_config_selectorIiiEEZZNS1_29radix_sort_onesweep_iterationIS3_Lb0EN6thrust23THRUST_200600_302600_NS6detail15normal_iteratorINS8_10device_ptrIiEEEESD_SD_SD_jNS0_19identity_decomposerENS1_16block_id_wrapperIjLb1EEEEE10hipError_tT1_PNSt15iterator_traitsISI_E10value_typeET2_T3_PNSJ_ISO_E10value_typeET4_T5_PST_SU_PNS1_23onesweep_lookback_stateEbbT6_jjT7_P12ihipStream_tbENKUlT_T0_SI_SN_E_clISD_SD_SD_SD_EEDaS11_S12_SI_SN_EUlS11_E_NS1_11comp_targetILNS1_3genE5ELNS1_11target_archE942ELNS1_3gpuE9ELNS1_3repE0EEENS1_47radix_sort_onesweep_sort_config_static_selectorELNS0_4arch9wavefront6targetE0EEEvSI_,"axG",@progbits,_ZN7rocprim17ROCPRIM_400000_NS6detail17trampoline_kernelINS0_14default_configENS1_35radix_sort_onesweep_config_selectorIiiEEZZNS1_29radix_sort_onesweep_iterationIS3_Lb0EN6thrust23THRUST_200600_302600_NS6detail15normal_iteratorINS8_10device_ptrIiEEEESD_SD_SD_jNS0_19identity_decomposerENS1_16block_id_wrapperIjLb1EEEEE10hipError_tT1_PNSt15iterator_traitsISI_E10value_typeET2_T3_PNSJ_ISO_E10value_typeET4_T5_PST_SU_PNS1_23onesweep_lookback_stateEbbT6_jjT7_P12ihipStream_tbENKUlT_T0_SI_SN_E_clISD_SD_SD_SD_EEDaS11_S12_SI_SN_EUlS11_E_NS1_11comp_targetILNS1_3genE5ELNS1_11target_archE942ELNS1_3gpuE9ELNS1_3repE0EEENS1_47radix_sort_onesweep_sort_config_static_selectorELNS0_4arch9wavefront6targetE0EEEvSI_,comdat
.Lfunc_end824:
	.size	_ZN7rocprim17ROCPRIM_400000_NS6detail17trampoline_kernelINS0_14default_configENS1_35radix_sort_onesweep_config_selectorIiiEEZZNS1_29radix_sort_onesweep_iterationIS3_Lb0EN6thrust23THRUST_200600_302600_NS6detail15normal_iteratorINS8_10device_ptrIiEEEESD_SD_SD_jNS0_19identity_decomposerENS1_16block_id_wrapperIjLb1EEEEE10hipError_tT1_PNSt15iterator_traitsISI_E10value_typeET2_T3_PNSJ_ISO_E10value_typeET4_T5_PST_SU_PNS1_23onesweep_lookback_stateEbbT6_jjT7_P12ihipStream_tbENKUlT_T0_SI_SN_E_clISD_SD_SD_SD_EEDaS11_S12_SI_SN_EUlS11_E_NS1_11comp_targetILNS1_3genE5ELNS1_11target_archE942ELNS1_3gpuE9ELNS1_3repE0EEENS1_47radix_sort_onesweep_sort_config_static_selectorELNS0_4arch9wavefront6targetE0EEEvSI_, .Lfunc_end824-_ZN7rocprim17ROCPRIM_400000_NS6detail17trampoline_kernelINS0_14default_configENS1_35radix_sort_onesweep_config_selectorIiiEEZZNS1_29radix_sort_onesweep_iterationIS3_Lb0EN6thrust23THRUST_200600_302600_NS6detail15normal_iteratorINS8_10device_ptrIiEEEESD_SD_SD_jNS0_19identity_decomposerENS1_16block_id_wrapperIjLb1EEEEE10hipError_tT1_PNSt15iterator_traitsISI_E10value_typeET2_T3_PNSJ_ISO_E10value_typeET4_T5_PST_SU_PNS1_23onesweep_lookback_stateEbbT6_jjT7_P12ihipStream_tbENKUlT_T0_SI_SN_E_clISD_SD_SD_SD_EEDaS11_S12_SI_SN_EUlS11_E_NS1_11comp_targetILNS1_3genE5ELNS1_11target_archE942ELNS1_3gpuE9ELNS1_3repE0EEENS1_47radix_sort_onesweep_sort_config_static_selectorELNS0_4arch9wavefront6targetE0EEEvSI_
                                        ; -- End function
	.set _ZN7rocprim17ROCPRIM_400000_NS6detail17trampoline_kernelINS0_14default_configENS1_35radix_sort_onesweep_config_selectorIiiEEZZNS1_29radix_sort_onesweep_iterationIS3_Lb0EN6thrust23THRUST_200600_302600_NS6detail15normal_iteratorINS8_10device_ptrIiEEEESD_SD_SD_jNS0_19identity_decomposerENS1_16block_id_wrapperIjLb1EEEEE10hipError_tT1_PNSt15iterator_traitsISI_E10value_typeET2_T3_PNSJ_ISO_E10value_typeET4_T5_PST_SU_PNS1_23onesweep_lookback_stateEbbT6_jjT7_P12ihipStream_tbENKUlT_T0_SI_SN_E_clISD_SD_SD_SD_EEDaS11_S12_SI_SN_EUlS11_E_NS1_11comp_targetILNS1_3genE5ELNS1_11target_archE942ELNS1_3gpuE9ELNS1_3repE0EEENS1_47radix_sort_onesweep_sort_config_static_selectorELNS0_4arch9wavefront6targetE0EEEvSI_.num_vgpr, 0
	.set _ZN7rocprim17ROCPRIM_400000_NS6detail17trampoline_kernelINS0_14default_configENS1_35radix_sort_onesweep_config_selectorIiiEEZZNS1_29radix_sort_onesweep_iterationIS3_Lb0EN6thrust23THRUST_200600_302600_NS6detail15normal_iteratorINS8_10device_ptrIiEEEESD_SD_SD_jNS0_19identity_decomposerENS1_16block_id_wrapperIjLb1EEEEE10hipError_tT1_PNSt15iterator_traitsISI_E10value_typeET2_T3_PNSJ_ISO_E10value_typeET4_T5_PST_SU_PNS1_23onesweep_lookback_stateEbbT6_jjT7_P12ihipStream_tbENKUlT_T0_SI_SN_E_clISD_SD_SD_SD_EEDaS11_S12_SI_SN_EUlS11_E_NS1_11comp_targetILNS1_3genE5ELNS1_11target_archE942ELNS1_3gpuE9ELNS1_3repE0EEENS1_47radix_sort_onesweep_sort_config_static_selectorELNS0_4arch9wavefront6targetE0EEEvSI_.num_agpr, 0
	.set _ZN7rocprim17ROCPRIM_400000_NS6detail17trampoline_kernelINS0_14default_configENS1_35radix_sort_onesweep_config_selectorIiiEEZZNS1_29radix_sort_onesweep_iterationIS3_Lb0EN6thrust23THRUST_200600_302600_NS6detail15normal_iteratorINS8_10device_ptrIiEEEESD_SD_SD_jNS0_19identity_decomposerENS1_16block_id_wrapperIjLb1EEEEE10hipError_tT1_PNSt15iterator_traitsISI_E10value_typeET2_T3_PNSJ_ISO_E10value_typeET4_T5_PST_SU_PNS1_23onesweep_lookback_stateEbbT6_jjT7_P12ihipStream_tbENKUlT_T0_SI_SN_E_clISD_SD_SD_SD_EEDaS11_S12_SI_SN_EUlS11_E_NS1_11comp_targetILNS1_3genE5ELNS1_11target_archE942ELNS1_3gpuE9ELNS1_3repE0EEENS1_47radix_sort_onesweep_sort_config_static_selectorELNS0_4arch9wavefront6targetE0EEEvSI_.numbered_sgpr, 0
	.set _ZN7rocprim17ROCPRIM_400000_NS6detail17trampoline_kernelINS0_14default_configENS1_35radix_sort_onesweep_config_selectorIiiEEZZNS1_29radix_sort_onesweep_iterationIS3_Lb0EN6thrust23THRUST_200600_302600_NS6detail15normal_iteratorINS8_10device_ptrIiEEEESD_SD_SD_jNS0_19identity_decomposerENS1_16block_id_wrapperIjLb1EEEEE10hipError_tT1_PNSt15iterator_traitsISI_E10value_typeET2_T3_PNSJ_ISO_E10value_typeET4_T5_PST_SU_PNS1_23onesweep_lookback_stateEbbT6_jjT7_P12ihipStream_tbENKUlT_T0_SI_SN_E_clISD_SD_SD_SD_EEDaS11_S12_SI_SN_EUlS11_E_NS1_11comp_targetILNS1_3genE5ELNS1_11target_archE942ELNS1_3gpuE9ELNS1_3repE0EEENS1_47radix_sort_onesweep_sort_config_static_selectorELNS0_4arch9wavefront6targetE0EEEvSI_.num_named_barrier, 0
	.set _ZN7rocprim17ROCPRIM_400000_NS6detail17trampoline_kernelINS0_14default_configENS1_35radix_sort_onesweep_config_selectorIiiEEZZNS1_29radix_sort_onesweep_iterationIS3_Lb0EN6thrust23THRUST_200600_302600_NS6detail15normal_iteratorINS8_10device_ptrIiEEEESD_SD_SD_jNS0_19identity_decomposerENS1_16block_id_wrapperIjLb1EEEEE10hipError_tT1_PNSt15iterator_traitsISI_E10value_typeET2_T3_PNSJ_ISO_E10value_typeET4_T5_PST_SU_PNS1_23onesweep_lookback_stateEbbT6_jjT7_P12ihipStream_tbENKUlT_T0_SI_SN_E_clISD_SD_SD_SD_EEDaS11_S12_SI_SN_EUlS11_E_NS1_11comp_targetILNS1_3genE5ELNS1_11target_archE942ELNS1_3gpuE9ELNS1_3repE0EEENS1_47radix_sort_onesweep_sort_config_static_selectorELNS0_4arch9wavefront6targetE0EEEvSI_.private_seg_size, 0
	.set _ZN7rocprim17ROCPRIM_400000_NS6detail17trampoline_kernelINS0_14default_configENS1_35radix_sort_onesweep_config_selectorIiiEEZZNS1_29radix_sort_onesweep_iterationIS3_Lb0EN6thrust23THRUST_200600_302600_NS6detail15normal_iteratorINS8_10device_ptrIiEEEESD_SD_SD_jNS0_19identity_decomposerENS1_16block_id_wrapperIjLb1EEEEE10hipError_tT1_PNSt15iterator_traitsISI_E10value_typeET2_T3_PNSJ_ISO_E10value_typeET4_T5_PST_SU_PNS1_23onesweep_lookback_stateEbbT6_jjT7_P12ihipStream_tbENKUlT_T0_SI_SN_E_clISD_SD_SD_SD_EEDaS11_S12_SI_SN_EUlS11_E_NS1_11comp_targetILNS1_3genE5ELNS1_11target_archE942ELNS1_3gpuE9ELNS1_3repE0EEENS1_47radix_sort_onesweep_sort_config_static_selectorELNS0_4arch9wavefront6targetE0EEEvSI_.uses_vcc, 0
	.set _ZN7rocprim17ROCPRIM_400000_NS6detail17trampoline_kernelINS0_14default_configENS1_35radix_sort_onesweep_config_selectorIiiEEZZNS1_29radix_sort_onesweep_iterationIS3_Lb0EN6thrust23THRUST_200600_302600_NS6detail15normal_iteratorINS8_10device_ptrIiEEEESD_SD_SD_jNS0_19identity_decomposerENS1_16block_id_wrapperIjLb1EEEEE10hipError_tT1_PNSt15iterator_traitsISI_E10value_typeET2_T3_PNSJ_ISO_E10value_typeET4_T5_PST_SU_PNS1_23onesweep_lookback_stateEbbT6_jjT7_P12ihipStream_tbENKUlT_T0_SI_SN_E_clISD_SD_SD_SD_EEDaS11_S12_SI_SN_EUlS11_E_NS1_11comp_targetILNS1_3genE5ELNS1_11target_archE942ELNS1_3gpuE9ELNS1_3repE0EEENS1_47radix_sort_onesweep_sort_config_static_selectorELNS0_4arch9wavefront6targetE0EEEvSI_.uses_flat_scratch, 0
	.set _ZN7rocprim17ROCPRIM_400000_NS6detail17trampoline_kernelINS0_14default_configENS1_35radix_sort_onesweep_config_selectorIiiEEZZNS1_29radix_sort_onesweep_iterationIS3_Lb0EN6thrust23THRUST_200600_302600_NS6detail15normal_iteratorINS8_10device_ptrIiEEEESD_SD_SD_jNS0_19identity_decomposerENS1_16block_id_wrapperIjLb1EEEEE10hipError_tT1_PNSt15iterator_traitsISI_E10value_typeET2_T3_PNSJ_ISO_E10value_typeET4_T5_PST_SU_PNS1_23onesweep_lookback_stateEbbT6_jjT7_P12ihipStream_tbENKUlT_T0_SI_SN_E_clISD_SD_SD_SD_EEDaS11_S12_SI_SN_EUlS11_E_NS1_11comp_targetILNS1_3genE5ELNS1_11target_archE942ELNS1_3gpuE9ELNS1_3repE0EEENS1_47radix_sort_onesweep_sort_config_static_selectorELNS0_4arch9wavefront6targetE0EEEvSI_.has_dyn_sized_stack, 0
	.set _ZN7rocprim17ROCPRIM_400000_NS6detail17trampoline_kernelINS0_14default_configENS1_35radix_sort_onesweep_config_selectorIiiEEZZNS1_29radix_sort_onesweep_iterationIS3_Lb0EN6thrust23THRUST_200600_302600_NS6detail15normal_iteratorINS8_10device_ptrIiEEEESD_SD_SD_jNS0_19identity_decomposerENS1_16block_id_wrapperIjLb1EEEEE10hipError_tT1_PNSt15iterator_traitsISI_E10value_typeET2_T3_PNSJ_ISO_E10value_typeET4_T5_PST_SU_PNS1_23onesweep_lookback_stateEbbT6_jjT7_P12ihipStream_tbENKUlT_T0_SI_SN_E_clISD_SD_SD_SD_EEDaS11_S12_SI_SN_EUlS11_E_NS1_11comp_targetILNS1_3genE5ELNS1_11target_archE942ELNS1_3gpuE9ELNS1_3repE0EEENS1_47radix_sort_onesweep_sort_config_static_selectorELNS0_4arch9wavefront6targetE0EEEvSI_.has_recursion, 0
	.set _ZN7rocprim17ROCPRIM_400000_NS6detail17trampoline_kernelINS0_14default_configENS1_35radix_sort_onesweep_config_selectorIiiEEZZNS1_29radix_sort_onesweep_iterationIS3_Lb0EN6thrust23THRUST_200600_302600_NS6detail15normal_iteratorINS8_10device_ptrIiEEEESD_SD_SD_jNS0_19identity_decomposerENS1_16block_id_wrapperIjLb1EEEEE10hipError_tT1_PNSt15iterator_traitsISI_E10value_typeET2_T3_PNSJ_ISO_E10value_typeET4_T5_PST_SU_PNS1_23onesweep_lookback_stateEbbT6_jjT7_P12ihipStream_tbENKUlT_T0_SI_SN_E_clISD_SD_SD_SD_EEDaS11_S12_SI_SN_EUlS11_E_NS1_11comp_targetILNS1_3genE5ELNS1_11target_archE942ELNS1_3gpuE9ELNS1_3repE0EEENS1_47radix_sort_onesweep_sort_config_static_selectorELNS0_4arch9wavefront6targetE0EEEvSI_.has_indirect_call, 0
	.section	.AMDGPU.csdata,"",@progbits
; Kernel info:
; codeLenInByte = 0
; TotalNumSgprs: 0
; NumVgprs: 0
; ScratchSize: 0
; MemoryBound: 0
; FloatMode: 240
; IeeeMode: 1
; LDSByteSize: 0 bytes/workgroup (compile time only)
; SGPRBlocks: 0
; VGPRBlocks: 0
; NumSGPRsForWavesPerEU: 1
; NumVGPRsForWavesPerEU: 1
; Occupancy: 16
; WaveLimiterHint : 0
; COMPUTE_PGM_RSRC2:SCRATCH_EN: 0
; COMPUTE_PGM_RSRC2:USER_SGPR: 6
; COMPUTE_PGM_RSRC2:TRAP_HANDLER: 0
; COMPUTE_PGM_RSRC2:TGID_X_EN: 1
; COMPUTE_PGM_RSRC2:TGID_Y_EN: 0
; COMPUTE_PGM_RSRC2:TGID_Z_EN: 0
; COMPUTE_PGM_RSRC2:TIDIG_COMP_CNT: 0
	.section	.text._ZN7rocprim17ROCPRIM_400000_NS6detail17trampoline_kernelINS0_14default_configENS1_35radix_sort_onesweep_config_selectorIiiEEZZNS1_29radix_sort_onesweep_iterationIS3_Lb0EN6thrust23THRUST_200600_302600_NS6detail15normal_iteratorINS8_10device_ptrIiEEEESD_SD_SD_jNS0_19identity_decomposerENS1_16block_id_wrapperIjLb1EEEEE10hipError_tT1_PNSt15iterator_traitsISI_E10value_typeET2_T3_PNSJ_ISO_E10value_typeET4_T5_PST_SU_PNS1_23onesweep_lookback_stateEbbT6_jjT7_P12ihipStream_tbENKUlT_T0_SI_SN_E_clISD_SD_SD_SD_EEDaS11_S12_SI_SN_EUlS11_E_NS1_11comp_targetILNS1_3genE2ELNS1_11target_archE906ELNS1_3gpuE6ELNS1_3repE0EEENS1_47radix_sort_onesweep_sort_config_static_selectorELNS0_4arch9wavefront6targetE0EEEvSI_,"axG",@progbits,_ZN7rocprim17ROCPRIM_400000_NS6detail17trampoline_kernelINS0_14default_configENS1_35radix_sort_onesweep_config_selectorIiiEEZZNS1_29radix_sort_onesweep_iterationIS3_Lb0EN6thrust23THRUST_200600_302600_NS6detail15normal_iteratorINS8_10device_ptrIiEEEESD_SD_SD_jNS0_19identity_decomposerENS1_16block_id_wrapperIjLb1EEEEE10hipError_tT1_PNSt15iterator_traitsISI_E10value_typeET2_T3_PNSJ_ISO_E10value_typeET4_T5_PST_SU_PNS1_23onesweep_lookback_stateEbbT6_jjT7_P12ihipStream_tbENKUlT_T0_SI_SN_E_clISD_SD_SD_SD_EEDaS11_S12_SI_SN_EUlS11_E_NS1_11comp_targetILNS1_3genE2ELNS1_11target_archE906ELNS1_3gpuE6ELNS1_3repE0EEENS1_47radix_sort_onesweep_sort_config_static_selectorELNS0_4arch9wavefront6targetE0EEEvSI_,comdat
	.protected	_ZN7rocprim17ROCPRIM_400000_NS6detail17trampoline_kernelINS0_14default_configENS1_35radix_sort_onesweep_config_selectorIiiEEZZNS1_29radix_sort_onesweep_iterationIS3_Lb0EN6thrust23THRUST_200600_302600_NS6detail15normal_iteratorINS8_10device_ptrIiEEEESD_SD_SD_jNS0_19identity_decomposerENS1_16block_id_wrapperIjLb1EEEEE10hipError_tT1_PNSt15iterator_traitsISI_E10value_typeET2_T3_PNSJ_ISO_E10value_typeET4_T5_PST_SU_PNS1_23onesweep_lookback_stateEbbT6_jjT7_P12ihipStream_tbENKUlT_T0_SI_SN_E_clISD_SD_SD_SD_EEDaS11_S12_SI_SN_EUlS11_E_NS1_11comp_targetILNS1_3genE2ELNS1_11target_archE906ELNS1_3gpuE6ELNS1_3repE0EEENS1_47radix_sort_onesweep_sort_config_static_selectorELNS0_4arch9wavefront6targetE0EEEvSI_ ; -- Begin function _ZN7rocprim17ROCPRIM_400000_NS6detail17trampoline_kernelINS0_14default_configENS1_35radix_sort_onesweep_config_selectorIiiEEZZNS1_29radix_sort_onesweep_iterationIS3_Lb0EN6thrust23THRUST_200600_302600_NS6detail15normal_iteratorINS8_10device_ptrIiEEEESD_SD_SD_jNS0_19identity_decomposerENS1_16block_id_wrapperIjLb1EEEEE10hipError_tT1_PNSt15iterator_traitsISI_E10value_typeET2_T3_PNSJ_ISO_E10value_typeET4_T5_PST_SU_PNS1_23onesweep_lookback_stateEbbT6_jjT7_P12ihipStream_tbENKUlT_T0_SI_SN_E_clISD_SD_SD_SD_EEDaS11_S12_SI_SN_EUlS11_E_NS1_11comp_targetILNS1_3genE2ELNS1_11target_archE906ELNS1_3gpuE6ELNS1_3repE0EEENS1_47radix_sort_onesweep_sort_config_static_selectorELNS0_4arch9wavefront6targetE0EEEvSI_
	.globl	_ZN7rocprim17ROCPRIM_400000_NS6detail17trampoline_kernelINS0_14default_configENS1_35radix_sort_onesweep_config_selectorIiiEEZZNS1_29radix_sort_onesweep_iterationIS3_Lb0EN6thrust23THRUST_200600_302600_NS6detail15normal_iteratorINS8_10device_ptrIiEEEESD_SD_SD_jNS0_19identity_decomposerENS1_16block_id_wrapperIjLb1EEEEE10hipError_tT1_PNSt15iterator_traitsISI_E10value_typeET2_T3_PNSJ_ISO_E10value_typeET4_T5_PST_SU_PNS1_23onesweep_lookback_stateEbbT6_jjT7_P12ihipStream_tbENKUlT_T0_SI_SN_E_clISD_SD_SD_SD_EEDaS11_S12_SI_SN_EUlS11_E_NS1_11comp_targetILNS1_3genE2ELNS1_11target_archE906ELNS1_3gpuE6ELNS1_3repE0EEENS1_47radix_sort_onesweep_sort_config_static_selectorELNS0_4arch9wavefront6targetE0EEEvSI_
	.p2align	8
	.type	_ZN7rocprim17ROCPRIM_400000_NS6detail17trampoline_kernelINS0_14default_configENS1_35radix_sort_onesweep_config_selectorIiiEEZZNS1_29radix_sort_onesweep_iterationIS3_Lb0EN6thrust23THRUST_200600_302600_NS6detail15normal_iteratorINS8_10device_ptrIiEEEESD_SD_SD_jNS0_19identity_decomposerENS1_16block_id_wrapperIjLb1EEEEE10hipError_tT1_PNSt15iterator_traitsISI_E10value_typeET2_T3_PNSJ_ISO_E10value_typeET4_T5_PST_SU_PNS1_23onesweep_lookback_stateEbbT6_jjT7_P12ihipStream_tbENKUlT_T0_SI_SN_E_clISD_SD_SD_SD_EEDaS11_S12_SI_SN_EUlS11_E_NS1_11comp_targetILNS1_3genE2ELNS1_11target_archE906ELNS1_3gpuE6ELNS1_3repE0EEENS1_47radix_sort_onesweep_sort_config_static_selectorELNS0_4arch9wavefront6targetE0EEEvSI_,@function
_ZN7rocprim17ROCPRIM_400000_NS6detail17trampoline_kernelINS0_14default_configENS1_35radix_sort_onesweep_config_selectorIiiEEZZNS1_29radix_sort_onesweep_iterationIS3_Lb0EN6thrust23THRUST_200600_302600_NS6detail15normal_iteratorINS8_10device_ptrIiEEEESD_SD_SD_jNS0_19identity_decomposerENS1_16block_id_wrapperIjLb1EEEEE10hipError_tT1_PNSt15iterator_traitsISI_E10value_typeET2_T3_PNSJ_ISO_E10value_typeET4_T5_PST_SU_PNS1_23onesweep_lookback_stateEbbT6_jjT7_P12ihipStream_tbENKUlT_T0_SI_SN_E_clISD_SD_SD_SD_EEDaS11_S12_SI_SN_EUlS11_E_NS1_11comp_targetILNS1_3genE2ELNS1_11target_archE906ELNS1_3gpuE6ELNS1_3repE0EEENS1_47radix_sort_onesweep_sort_config_static_selectorELNS0_4arch9wavefront6targetE0EEEvSI_: ; @_ZN7rocprim17ROCPRIM_400000_NS6detail17trampoline_kernelINS0_14default_configENS1_35radix_sort_onesweep_config_selectorIiiEEZZNS1_29radix_sort_onesweep_iterationIS3_Lb0EN6thrust23THRUST_200600_302600_NS6detail15normal_iteratorINS8_10device_ptrIiEEEESD_SD_SD_jNS0_19identity_decomposerENS1_16block_id_wrapperIjLb1EEEEE10hipError_tT1_PNSt15iterator_traitsISI_E10value_typeET2_T3_PNSJ_ISO_E10value_typeET4_T5_PST_SU_PNS1_23onesweep_lookback_stateEbbT6_jjT7_P12ihipStream_tbENKUlT_T0_SI_SN_E_clISD_SD_SD_SD_EEDaS11_S12_SI_SN_EUlS11_E_NS1_11comp_targetILNS1_3genE2ELNS1_11target_archE906ELNS1_3gpuE6ELNS1_3repE0EEENS1_47radix_sort_onesweep_sort_config_static_selectorELNS0_4arch9wavefront6targetE0EEEvSI_
; %bb.0:
	.section	.rodata,"a",@progbits
	.p2align	6, 0x0
	.amdhsa_kernel _ZN7rocprim17ROCPRIM_400000_NS6detail17trampoline_kernelINS0_14default_configENS1_35radix_sort_onesweep_config_selectorIiiEEZZNS1_29radix_sort_onesweep_iterationIS3_Lb0EN6thrust23THRUST_200600_302600_NS6detail15normal_iteratorINS8_10device_ptrIiEEEESD_SD_SD_jNS0_19identity_decomposerENS1_16block_id_wrapperIjLb1EEEEE10hipError_tT1_PNSt15iterator_traitsISI_E10value_typeET2_T3_PNSJ_ISO_E10value_typeET4_T5_PST_SU_PNS1_23onesweep_lookback_stateEbbT6_jjT7_P12ihipStream_tbENKUlT_T0_SI_SN_E_clISD_SD_SD_SD_EEDaS11_S12_SI_SN_EUlS11_E_NS1_11comp_targetILNS1_3genE2ELNS1_11target_archE906ELNS1_3gpuE6ELNS1_3repE0EEENS1_47radix_sort_onesweep_sort_config_static_selectorELNS0_4arch9wavefront6targetE0EEEvSI_
		.amdhsa_group_segment_fixed_size 0
		.amdhsa_private_segment_fixed_size 0
		.amdhsa_kernarg_size 88
		.amdhsa_user_sgpr_count 6
		.amdhsa_user_sgpr_private_segment_buffer 1
		.amdhsa_user_sgpr_dispatch_ptr 0
		.amdhsa_user_sgpr_queue_ptr 0
		.amdhsa_user_sgpr_kernarg_segment_ptr 1
		.amdhsa_user_sgpr_dispatch_id 0
		.amdhsa_user_sgpr_flat_scratch_init 0
		.amdhsa_user_sgpr_private_segment_size 0
		.amdhsa_wavefront_size32 1
		.amdhsa_uses_dynamic_stack 0
		.amdhsa_system_sgpr_private_segment_wavefront_offset 0
		.amdhsa_system_sgpr_workgroup_id_x 1
		.amdhsa_system_sgpr_workgroup_id_y 0
		.amdhsa_system_sgpr_workgroup_id_z 0
		.amdhsa_system_sgpr_workgroup_info 0
		.amdhsa_system_vgpr_workitem_id 0
		.amdhsa_next_free_vgpr 1
		.amdhsa_next_free_sgpr 1
		.amdhsa_reserve_vcc 0
		.amdhsa_reserve_flat_scratch 0
		.amdhsa_float_round_mode_32 0
		.amdhsa_float_round_mode_16_64 0
		.amdhsa_float_denorm_mode_32 3
		.amdhsa_float_denorm_mode_16_64 3
		.amdhsa_dx10_clamp 1
		.amdhsa_ieee_mode 1
		.amdhsa_fp16_overflow 0
		.amdhsa_workgroup_processor_mode 1
		.amdhsa_memory_ordered 1
		.amdhsa_forward_progress 1
		.amdhsa_shared_vgpr_count 0
		.amdhsa_exception_fp_ieee_invalid_op 0
		.amdhsa_exception_fp_denorm_src 0
		.amdhsa_exception_fp_ieee_div_zero 0
		.amdhsa_exception_fp_ieee_overflow 0
		.amdhsa_exception_fp_ieee_underflow 0
		.amdhsa_exception_fp_ieee_inexact 0
		.amdhsa_exception_int_div_zero 0
	.end_amdhsa_kernel
	.section	.text._ZN7rocprim17ROCPRIM_400000_NS6detail17trampoline_kernelINS0_14default_configENS1_35radix_sort_onesweep_config_selectorIiiEEZZNS1_29radix_sort_onesweep_iterationIS3_Lb0EN6thrust23THRUST_200600_302600_NS6detail15normal_iteratorINS8_10device_ptrIiEEEESD_SD_SD_jNS0_19identity_decomposerENS1_16block_id_wrapperIjLb1EEEEE10hipError_tT1_PNSt15iterator_traitsISI_E10value_typeET2_T3_PNSJ_ISO_E10value_typeET4_T5_PST_SU_PNS1_23onesweep_lookback_stateEbbT6_jjT7_P12ihipStream_tbENKUlT_T0_SI_SN_E_clISD_SD_SD_SD_EEDaS11_S12_SI_SN_EUlS11_E_NS1_11comp_targetILNS1_3genE2ELNS1_11target_archE906ELNS1_3gpuE6ELNS1_3repE0EEENS1_47radix_sort_onesweep_sort_config_static_selectorELNS0_4arch9wavefront6targetE0EEEvSI_,"axG",@progbits,_ZN7rocprim17ROCPRIM_400000_NS6detail17trampoline_kernelINS0_14default_configENS1_35radix_sort_onesweep_config_selectorIiiEEZZNS1_29radix_sort_onesweep_iterationIS3_Lb0EN6thrust23THRUST_200600_302600_NS6detail15normal_iteratorINS8_10device_ptrIiEEEESD_SD_SD_jNS0_19identity_decomposerENS1_16block_id_wrapperIjLb1EEEEE10hipError_tT1_PNSt15iterator_traitsISI_E10value_typeET2_T3_PNSJ_ISO_E10value_typeET4_T5_PST_SU_PNS1_23onesweep_lookback_stateEbbT6_jjT7_P12ihipStream_tbENKUlT_T0_SI_SN_E_clISD_SD_SD_SD_EEDaS11_S12_SI_SN_EUlS11_E_NS1_11comp_targetILNS1_3genE2ELNS1_11target_archE906ELNS1_3gpuE6ELNS1_3repE0EEENS1_47radix_sort_onesweep_sort_config_static_selectorELNS0_4arch9wavefront6targetE0EEEvSI_,comdat
.Lfunc_end825:
	.size	_ZN7rocprim17ROCPRIM_400000_NS6detail17trampoline_kernelINS0_14default_configENS1_35radix_sort_onesweep_config_selectorIiiEEZZNS1_29radix_sort_onesweep_iterationIS3_Lb0EN6thrust23THRUST_200600_302600_NS6detail15normal_iteratorINS8_10device_ptrIiEEEESD_SD_SD_jNS0_19identity_decomposerENS1_16block_id_wrapperIjLb1EEEEE10hipError_tT1_PNSt15iterator_traitsISI_E10value_typeET2_T3_PNSJ_ISO_E10value_typeET4_T5_PST_SU_PNS1_23onesweep_lookback_stateEbbT6_jjT7_P12ihipStream_tbENKUlT_T0_SI_SN_E_clISD_SD_SD_SD_EEDaS11_S12_SI_SN_EUlS11_E_NS1_11comp_targetILNS1_3genE2ELNS1_11target_archE906ELNS1_3gpuE6ELNS1_3repE0EEENS1_47radix_sort_onesweep_sort_config_static_selectorELNS0_4arch9wavefront6targetE0EEEvSI_, .Lfunc_end825-_ZN7rocprim17ROCPRIM_400000_NS6detail17trampoline_kernelINS0_14default_configENS1_35radix_sort_onesweep_config_selectorIiiEEZZNS1_29radix_sort_onesweep_iterationIS3_Lb0EN6thrust23THRUST_200600_302600_NS6detail15normal_iteratorINS8_10device_ptrIiEEEESD_SD_SD_jNS0_19identity_decomposerENS1_16block_id_wrapperIjLb1EEEEE10hipError_tT1_PNSt15iterator_traitsISI_E10value_typeET2_T3_PNSJ_ISO_E10value_typeET4_T5_PST_SU_PNS1_23onesweep_lookback_stateEbbT6_jjT7_P12ihipStream_tbENKUlT_T0_SI_SN_E_clISD_SD_SD_SD_EEDaS11_S12_SI_SN_EUlS11_E_NS1_11comp_targetILNS1_3genE2ELNS1_11target_archE906ELNS1_3gpuE6ELNS1_3repE0EEENS1_47radix_sort_onesweep_sort_config_static_selectorELNS0_4arch9wavefront6targetE0EEEvSI_
                                        ; -- End function
	.set _ZN7rocprim17ROCPRIM_400000_NS6detail17trampoline_kernelINS0_14default_configENS1_35radix_sort_onesweep_config_selectorIiiEEZZNS1_29radix_sort_onesweep_iterationIS3_Lb0EN6thrust23THRUST_200600_302600_NS6detail15normal_iteratorINS8_10device_ptrIiEEEESD_SD_SD_jNS0_19identity_decomposerENS1_16block_id_wrapperIjLb1EEEEE10hipError_tT1_PNSt15iterator_traitsISI_E10value_typeET2_T3_PNSJ_ISO_E10value_typeET4_T5_PST_SU_PNS1_23onesweep_lookback_stateEbbT6_jjT7_P12ihipStream_tbENKUlT_T0_SI_SN_E_clISD_SD_SD_SD_EEDaS11_S12_SI_SN_EUlS11_E_NS1_11comp_targetILNS1_3genE2ELNS1_11target_archE906ELNS1_3gpuE6ELNS1_3repE0EEENS1_47radix_sort_onesweep_sort_config_static_selectorELNS0_4arch9wavefront6targetE0EEEvSI_.num_vgpr, 0
	.set _ZN7rocprim17ROCPRIM_400000_NS6detail17trampoline_kernelINS0_14default_configENS1_35radix_sort_onesweep_config_selectorIiiEEZZNS1_29radix_sort_onesweep_iterationIS3_Lb0EN6thrust23THRUST_200600_302600_NS6detail15normal_iteratorINS8_10device_ptrIiEEEESD_SD_SD_jNS0_19identity_decomposerENS1_16block_id_wrapperIjLb1EEEEE10hipError_tT1_PNSt15iterator_traitsISI_E10value_typeET2_T3_PNSJ_ISO_E10value_typeET4_T5_PST_SU_PNS1_23onesweep_lookback_stateEbbT6_jjT7_P12ihipStream_tbENKUlT_T0_SI_SN_E_clISD_SD_SD_SD_EEDaS11_S12_SI_SN_EUlS11_E_NS1_11comp_targetILNS1_3genE2ELNS1_11target_archE906ELNS1_3gpuE6ELNS1_3repE0EEENS1_47radix_sort_onesweep_sort_config_static_selectorELNS0_4arch9wavefront6targetE0EEEvSI_.num_agpr, 0
	.set _ZN7rocprim17ROCPRIM_400000_NS6detail17trampoline_kernelINS0_14default_configENS1_35radix_sort_onesweep_config_selectorIiiEEZZNS1_29radix_sort_onesweep_iterationIS3_Lb0EN6thrust23THRUST_200600_302600_NS6detail15normal_iteratorINS8_10device_ptrIiEEEESD_SD_SD_jNS0_19identity_decomposerENS1_16block_id_wrapperIjLb1EEEEE10hipError_tT1_PNSt15iterator_traitsISI_E10value_typeET2_T3_PNSJ_ISO_E10value_typeET4_T5_PST_SU_PNS1_23onesweep_lookback_stateEbbT6_jjT7_P12ihipStream_tbENKUlT_T0_SI_SN_E_clISD_SD_SD_SD_EEDaS11_S12_SI_SN_EUlS11_E_NS1_11comp_targetILNS1_3genE2ELNS1_11target_archE906ELNS1_3gpuE6ELNS1_3repE0EEENS1_47radix_sort_onesweep_sort_config_static_selectorELNS0_4arch9wavefront6targetE0EEEvSI_.numbered_sgpr, 0
	.set _ZN7rocprim17ROCPRIM_400000_NS6detail17trampoline_kernelINS0_14default_configENS1_35radix_sort_onesweep_config_selectorIiiEEZZNS1_29radix_sort_onesweep_iterationIS3_Lb0EN6thrust23THRUST_200600_302600_NS6detail15normal_iteratorINS8_10device_ptrIiEEEESD_SD_SD_jNS0_19identity_decomposerENS1_16block_id_wrapperIjLb1EEEEE10hipError_tT1_PNSt15iterator_traitsISI_E10value_typeET2_T3_PNSJ_ISO_E10value_typeET4_T5_PST_SU_PNS1_23onesweep_lookback_stateEbbT6_jjT7_P12ihipStream_tbENKUlT_T0_SI_SN_E_clISD_SD_SD_SD_EEDaS11_S12_SI_SN_EUlS11_E_NS1_11comp_targetILNS1_3genE2ELNS1_11target_archE906ELNS1_3gpuE6ELNS1_3repE0EEENS1_47radix_sort_onesweep_sort_config_static_selectorELNS0_4arch9wavefront6targetE0EEEvSI_.num_named_barrier, 0
	.set _ZN7rocprim17ROCPRIM_400000_NS6detail17trampoline_kernelINS0_14default_configENS1_35radix_sort_onesweep_config_selectorIiiEEZZNS1_29radix_sort_onesweep_iterationIS3_Lb0EN6thrust23THRUST_200600_302600_NS6detail15normal_iteratorINS8_10device_ptrIiEEEESD_SD_SD_jNS0_19identity_decomposerENS1_16block_id_wrapperIjLb1EEEEE10hipError_tT1_PNSt15iterator_traitsISI_E10value_typeET2_T3_PNSJ_ISO_E10value_typeET4_T5_PST_SU_PNS1_23onesweep_lookback_stateEbbT6_jjT7_P12ihipStream_tbENKUlT_T0_SI_SN_E_clISD_SD_SD_SD_EEDaS11_S12_SI_SN_EUlS11_E_NS1_11comp_targetILNS1_3genE2ELNS1_11target_archE906ELNS1_3gpuE6ELNS1_3repE0EEENS1_47radix_sort_onesweep_sort_config_static_selectorELNS0_4arch9wavefront6targetE0EEEvSI_.private_seg_size, 0
	.set _ZN7rocprim17ROCPRIM_400000_NS6detail17trampoline_kernelINS0_14default_configENS1_35radix_sort_onesweep_config_selectorIiiEEZZNS1_29radix_sort_onesweep_iterationIS3_Lb0EN6thrust23THRUST_200600_302600_NS6detail15normal_iteratorINS8_10device_ptrIiEEEESD_SD_SD_jNS0_19identity_decomposerENS1_16block_id_wrapperIjLb1EEEEE10hipError_tT1_PNSt15iterator_traitsISI_E10value_typeET2_T3_PNSJ_ISO_E10value_typeET4_T5_PST_SU_PNS1_23onesweep_lookback_stateEbbT6_jjT7_P12ihipStream_tbENKUlT_T0_SI_SN_E_clISD_SD_SD_SD_EEDaS11_S12_SI_SN_EUlS11_E_NS1_11comp_targetILNS1_3genE2ELNS1_11target_archE906ELNS1_3gpuE6ELNS1_3repE0EEENS1_47radix_sort_onesweep_sort_config_static_selectorELNS0_4arch9wavefront6targetE0EEEvSI_.uses_vcc, 0
	.set _ZN7rocprim17ROCPRIM_400000_NS6detail17trampoline_kernelINS0_14default_configENS1_35radix_sort_onesweep_config_selectorIiiEEZZNS1_29radix_sort_onesweep_iterationIS3_Lb0EN6thrust23THRUST_200600_302600_NS6detail15normal_iteratorINS8_10device_ptrIiEEEESD_SD_SD_jNS0_19identity_decomposerENS1_16block_id_wrapperIjLb1EEEEE10hipError_tT1_PNSt15iterator_traitsISI_E10value_typeET2_T3_PNSJ_ISO_E10value_typeET4_T5_PST_SU_PNS1_23onesweep_lookback_stateEbbT6_jjT7_P12ihipStream_tbENKUlT_T0_SI_SN_E_clISD_SD_SD_SD_EEDaS11_S12_SI_SN_EUlS11_E_NS1_11comp_targetILNS1_3genE2ELNS1_11target_archE906ELNS1_3gpuE6ELNS1_3repE0EEENS1_47radix_sort_onesweep_sort_config_static_selectorELNS0_4arch9wavefront6targetE0EEEvSI_.uses_flat_scratch, 0
	.set _ZN7rocprim17ROCPRIM_400000_NS6detail17trampoline_kernelINS0_14default_configENS1_35radix_sort_onesweep_config_selectorIiiEEZZNS1_29radix_sort_onesweep_iterationIS3_Lb0EN6thrust23THRUST_200600_302600_NS6detail15normal_iteratorINS8_10device_ptrIiEEEESD_SD_SD_jNS0_19identity_decomposerENS1_16block_id_wrapperIjLb1EEEEE10hipError_tT1_PNSt15iterator_traitsISI_E10value_typeET2_T3_PNSJ_ISO_E10value_typeET4_T5_PST_SU_PNS1_23onesweep_lookback_stateEbbT6_jjT7_P12ihipStream_tbENKUlT_T0_SI_SN_E_clISD_SD_SD_SD_EEDaS11_S12_SI_SN_EUlS11_E_NS1_11comp_targetILNS1_3genE2ELNS1_11target_archE906ELNS1_3gpuE6ELNS1_3repE0EEENS1_47radix_sort_onesweep_sort_config_static_selectorELNS0_4arch9wavefront6targetE0EEEvSI_.has_dyn_sized_stack, 0
	.set _ZN7rocprim17ROCPRIM_400000_NS6detail17trampoline_kernelINS0_14default_configENS1_35radix_sort_onesweep_config_selectorIiiEEZZNS1_29radix_sort_onesweep_iterationIS3_Lb0EN6thrust23THRUST_200600_302600_NS6detail15normal_iteratorINS8_10device_ptrIiEEEESD_SD_SD_jNS0_19identity_decomposerENS1_16block_id_wrapperIjLb1EEEEE10hipError_tT1_PNSt15iterator_traitsISI_E10value_typeET2_T3_PNSJ_ISO_E10value_typeET4_T5_PST_SU_PNS1_23onesweep_lookback_stateEbbT6_jjT7_P12ihipStream_tbENKUlT_T0_SI_SN_E_clISD_SD_SD_SD_EEDaS11_S12_SI_SN_EUlS11_E_NS1_11comp_targetILNS1_3genE2ELNS1_11target_archE906ELNS1_3gpuE6ELNS1_3repE0EEENS1_47radix_sort_onesweep_sort_config_static_selectorELNS0_4arch9wavefront6targetE0EEEvSI_.has_recursion, 0
	.set _ZN7rocprim17ROCPRIM_400000_NS6detail17trampoline_kernelINS0_14default_configENS1_35radix_sort_onesweep_config_selectorIiiEEZZNS1_29radix_sort_onesweep_iterationIS3_Lb0EN6thrust23THRUST_200600_302600_NS6detail15normal_iteratorINS8_10device_ptrIiEEEESD_SD_SD_jNS0_19identity_decomposerENS1_16block_id_wrapperIjLb1EEEEE10hipError_tT1_PNSt15iterator_traitsISI_E10value_typeET2_T3_PNSJ_ISO_E10value_typeET4_T5_PST_SU_PNS1_23onesweep_lookback_stateEbbT6_jjT7_P12ihipStream_tbENKUlT_T0_SI_SN_E_clISD_SD_SD_SD_EEDaS11_S12_SI_SN_EUlS11_E_NS1_11comp_targetILNS1_3genE2ELNS1_11target_archE906ELNS1_3gpuE6ELNS1_3repE0EEENS1_47radix_sort_onesweep_sort_config_static_selectorELNS0_4arch9wavefront6targetE0EEEvSI_.has_indirect_call, 0
	.section	.AMDGPU.csdata,"",@progbits
; Kernel info:
; codeLenInByte = 0
; TotalNumSgprs: 0
; NumVgprs: 0
; ScratchSize: 0
; MemoryBound: 0
; FloatMode: 240
; IeeeMode: 1
; LDSByteSize: 0 bytes/workgroup (compile time only)
; SGPRBlocks: 0
; VGPRBlocks: 0
; NumSGPRsForWavesPerEU: 1
; NumVGPRsForWavesPerEU: 1
; Occupancy: 16
; WaveLimiterHint : 0
; COMPUTE_PGM_RSRC2:SCRATCH_EN: 0
; COMPUTE_PGM_RSRC2:USER_SGPR: 6
; COMPUTE_PGM_RSRC2:TRAP_HANDLER: 0
; COMPUTE_PGM_RSRC2:TGID_X_EN: 1
; COMPUTE_PGM_RSRC2:TGID_Y_EN: 0
; COMPUTE_PGM_RSRC2:TGID_Z_EN: 0
; COMPUTE_PGM_RSRC2:TIDIG_COMP_CNT: 0
	.section	.text._ZN7rocprim17ROCPRIM_400000_NS6detail17trampoline_kernelINS0_14default_configENS1_35radix_sort_onesweep_config_selectorIiiEEZZNS1_29radix_sort_onesweep_iterationIS3_Lb0EN6thrust23THRUST_200600_302600_NS6detail15normal_iteratorINS8_10device_ptrIiEEEESD_SD_SD_jNS0_19identity_decomposerENS1_16block_id_wrapperIjLb1EEEEE10hipError_tT1_PNSt15iterator_traitsISI_E10value_typeET2_T3_PNSJ_ISO_E10value_typeET4_T5_PST_SU_PNS1_23onesweep_lookback_stateEbbT6_jjT7_P12ihipStream_tbENKUlT_T0_SI_SN_E_clISD_SD_SD_SD_EEDaS11_S12_SI_SN_EUlS11_E_NS1_11comp_targetILNS1_3genE4ELNS1_11target_archE910ELNS1_3gpuE8ELNS1_3repE0EEENS1_47radix_sort_onesweep_sort_config_static_selectorELNS0_4arch9wavefront6targetE0EEEvSI_,"axG",@progbits,_ZN7rocprim17ROCPRIM_400000_NS6detail17trampoline_kernelINS0_14default_configENS1_35radix_sort_onesweep_config_selectorIiiEEZZNS1_29radix_sort_onesweep_iterationIS3_Lb0EN6thrust23THRUST_200600_302600_NS6detail15normal_iteratorINS8_10device_ptrIiEEEESD_SD_SD_jNS0_19identity_decomposerENS1_16block_id_wrapperIjLb1EEEEE10hipError_tT1_PNSt15iterator_traitsISI_E10value_typeET2_T3_PNSJ_ISO_E10value_typeET4_T5_PST_SU_PNS1_23onesweep_lookback_stateEbbT6_jjT7_P12ihipStream_tbENKUlT_T0_SI_SN_E_clISD_SD_SD_SD_EEDaS11_S12_SI_SN_EUlS11_E_NS1_11comp_targetILNS1_3genE4ELNS1_11target_archE910ELNS1_3gpuE8ELNS1_3repE0EEENS1_47radix_sort_onesweep_sort_config_static_selectorELNS0_4arch9wavefront6targetE0EEEvSI_,comdat
	.protected	_ZN7rocprim17ROCPRIM_400000_NS6detail17trampoline_kernelINS0_14default_configENS1_35radix_sort_onesweep_config_selectorIiiEEZZNS1_29radix_sort_onesweep_iterationIS3_Lb0EN6thrust23THRUST_200600_302600_NS6detail15normal_iteratorINS8_10device_ptrIiEEEESD_SD_SD_jNS0_19identity_decomposerENS1_16block_id_wrapperIjLb1EEEEE10hipError_tT1_PNSt15iterator_traitsISI_E10value_typeET2_T3_PNSJ_ISO_E10value_typeET4_T5_PST_SU_PNS1_23onesweep_lookback_stateEbbT6_jjT7_P12ihipStream_tbENKUlT_T0_SI_SN_E_clISD_SD_SD_SD_EEDaS11_S12_SI_SN_EUlS11_E_NS1_11comp_targetILNS1_3genE4ELNS1_11target_archE910ELNS1_3gpuE8ELNS1_3repE0EEENS1_47radix_sort_onesweep_sort_config_static_selectorELNS0_4arch9wavefront6targetE0EEEvSI_ ; -- Begin function _ZN7rocprim17ROCPRIM_400000_NS6detail17trampoline_kernelINS0_14default_configENS1_35radix_sort_onesweep_config_selectorIiiEEZZNS1_29radix_sort_onesweep_iterationIS3_Lb0EN6thrust23THRUST_200600_302600_NS6detail15normal_iteratorINS8_10device_ptrIiEEEESD_SD_SD_jNS0_19identity_decomposerENS1_16block_id_wrapperIjLb1EEEEE10hipError_tT1_PNSt15iterator_traitsISI_E10value_typeET2_T3_PNSJ_ISO_E10value_typeET4_T5_PST_SU_PNS1_23onesweep_lookback_stateEbbT6_jjT7_P12ihipStream_tbENKUlT_T0_SI_SN_E_clISD_SD_SD_SD_EEDaS11_S12_SI_SN_EUlS11_E_NS1_11comp_targetILNS1_3genE4ELNS1_11target_archE910ELNS1_3gpuE8ELNS1_3repE0EEENS1_47radix_sort_onesweep_sort_config_static_selectorELNS0_4arch9wavefront6targetE0EEEvSI_
	.globl	_ZN7rocprim17ROCPRIM_400000_NS6detail17trampoline_kernelINS0_14default_configENS1_35radix_sort_onesweep_config_selectorIiiEEZZNS1_29radix_sort_onesweep_iterationIS3_Lb0EN6thrust23THRUST_200600_302600_NS6detail15normal_iteratorINS8_10device_ptrIiEEEESD_SD_SD_jNS0_19identity_decomposerENS1_16block_id_wrapperIjLb1EEEEE10hipError_tT1_PNSt15iterator_traitsISI_E10value_typeET2_T3_PNSJ_ISO_E10value_typeET4_T5_PST_SU_PNS1_23onesweep_lookback_stateEbbT6_jjT7_P12ihipStream_tbENKUlT_T0_SI_SN_E_clISD_SD_SD_SD_EEDaS11_S12_SI_SN_EUlS11_E_NS1_11comp_targetILNS1_3genE4ELNS1_11target_archE910ELNS1_3gpuE8ELNS1_3repE0EEENS1_47radix_sort_onesweep_sort_config_static_selectorELNS0_4arch9wavefront6targetE0EEEvSI_
	.p2align	8
	.type	_ZN7rocprim17ROCPRIM_400000_NS6detail17trampoline_kernelINS0_14default_configENS1_35radix_sort_onesweep_config_selectorIiiEEZZNS1_29radix_sort_onesweep_iterationIS3_Lb0EN6thrust23THRUST_200600_302600_NS6detail15normal_iteratorINS8_10device_ptrIiEEEESD_SD_SD_jNS0_19identity_decomposerENS1_16block_id_wrapperIjLb1EEEEE10hipError_tT1_PNSt15iterator_traitsISI_E10value_typeET2_T3_PNSJ_ISO_E10value_typeET4_T5_PST_SU_PNS1_23onesweep_lookback_stateEbbT6_jjT7_P12ihipStream_tbENKUlT_T0_SI_SN_E_clISD_SD_SD_SD_EEDaS11_S12_SI_SN_EUlS11_E_NS1_11comp_targetILNS1_3genE4ELNS1_11target_archE910ELNS1_3gpuE8ELNS1_3repE0EEENS1_47radix_sort_onesweep_sort_config_static_selectorELNS0_4arch9wavefront6targetE0EEEvSI_,@function
_ZN7rocprim17ROCPRIM_400000_NS6detail17trampoline_kernelINS0_14default_configENS1_35radix_sort_onesweep_config_selectorIiiEEZZNS1_29radix_sort_onesweep_iterationIS3_Lb0EN6thrust23THRUST_200600_302600_NS6detail15normal_iteratorINS8_10device_ptrIiEEEESD_SD_SD_jNS0_19identity_decomposerENS1_16block_id_wrapperIjLb1EEEEE10hipError_tT1_PNSt15iterator_traitsISI_E10value_typeET2_T3_PNSJ_ISO_E10value_typeET4_T5_PST_SU_PNS1_23onesweep_lookback_stateEbbT6_jjT7_P12ihipStream_tbENKUlT_T0_SI_SN_E_clISD_SD_SD_SD_EEDaS11_S12_SI_SN_EUlS11_E_NS1_11comp_targetILNS1_3genE4ELNS1_11target_archE910ELNS1_3gpuE8ELNS1_3repE0EEENS1_47radix_sort_onesweep_sort_config_static_selectorELNS0_4arch9wavefront6targetE0EEEvSI_: ; @_ZN7rocprim17ROCPRIM_400000_NS6detail17trampoline_kernelINS0_14default_configENS1_35radix_sort_onesweep_config_selectorIiiEEZZNS1_29radix_sort_onesweep_iterationIS3_Lb0EN6thrust23THRUST_200600_302600_NS6detail15normal_iteratorINS8_10device_ptrIiEEEESD_SD_SD_jNS0_19identity_decomposerENS1_16block_id_wrapperIjLb1EEEEE10hipError_tT1_PNSt15iterator_traitsISI_E10value_typeET2_T3_PNSJ_ISO_E10value_typeET4_T5_PST_SU_PNS1_23onesweep_lookback_stateEbbT6_jjT7_P12ihipStream_tbENKUlT_T0_SI_SN_E_clISD_SD_SD_SD_EEDaS11_S12_SI_SN_EUlS11_E_NS1_11comp_targetILNS1_3genE4ELNS1_11target_archE910ELNS1_3gpuE8ELNS1_3repE0EEENS1_47radix_sort_onesweep_sort_config_static_selectorELNS0_4arch9wavefront6targetE0EEEvSI_
; %bb.0:
	.section	.rodata,"a",@progbits
	.p2align	6, 0x0
	.amdhsa_kernel _ZN7rocprim17ROCPRIM_400000_NS6detail17trampoline_kernelINS0_14default_configENS1_35radix_sort_onesweep_config_selectorIiiEEZZNS1_29radix_sort_onesweep_iterationIS3_Lb0EN6thrust23THRUST_200600_302600_NS6detail15normal_iteratorINS8_10device_ptrIiEEEESD_SD_SD_jNS0_19identity_decomposerENS1_16block_id_wrapperIjLb1EEEEE10hipError_tT1_PNSt15iterator_traitsISI_E10value_typeET2_T3_PNSJ_ISO_E10value_typeET4_T5_PST_SU_PNS1_23onesweep_lookback_stateEbbT6_jjT7_P12ihipStream_tbENKUlT_T0_SI_SN_E_clISD_SD_SD_SD_EEDaS11_S12_SI_SN_EUlS11_E_NS1_11comp_targetILNS1_3genE4ELNS1_11target_archE910ELNS1_3gpuE8ELNS1_3repE0EEENS1_47radix_sort_onesweep_sort_config_static_selectorELNS0_4arch9wavefront6targetE0EEEvSI_
		.amdhsa_group_segment_fixed_size 0
		.amdhsa_private_segment_fixed_size 0
		.amdhsa_kernarg_size 88
		.amdhsa_user_sgpr_count 6
		.amdhsa_user_sgpr_private_segment_buffer 1
		.amdhsa_user_sgpr_dispatch_ptr 0
		.amdhsa_user_sgpr_queue_ptr 0
		.amdhsa_user_sgpr_kernarg_segment_ptr 1
		.amdhsa_user_sgpr_dispatch_id 0
		.amdhsa_user_sgpr_flat_scratch_init 0
		.amdhsa_user_sgpr_private_segment_size 0
		.amdhsa_wavefront_size32 1
		.amdhsa_uses_dynamic_stack 0
		.amdhsa_system_sgpr_private_segment_wavefront_offset 0
		.amdhsa_system_sgpr_workgroup_id_x 1
		.amdhsa_system_sgpr_workgroup_id_y 0
		.amdhsa_system_sgpr_workgroup_id_z 0
		.amdhsa_system_sgpr_workgroup_info 0
		.amdhsa_system_vgpr_workitem_id 0
		.amdhsa_next_free_vgpr 1
		.amdhsa_next_free_sgpr 1
		.amdhsa_reserve_vcc 0
		.amdhsa_reserve_flat_scratch 0
		.amdhsa_float_round_mode_32 0
		.amdhsa_float_round_mode_16_64 0
		.amdhsa_float_denorm_mode_32 3
		.amdhsa_float_denorm_mode_16_64 3
		.amdhsa_dx10_clamp 1
		.amdhsa_ieee_mode 1
		.amdhsa_fp16_overflow 0
		.amdhsa_workgroup_processor_mode 1
		.amdhsa_memory_ordered 1
		.amdhsa_forward_progress 1
		.amdhsa_shared_vgpr_count 0
		.amdhsa_exception_fp_ieee_invalid_op 0
		.amdhsa_exception_fp_denorm_src 0
		.amdhsa_exception_fp_ieee_div_zero 0
		.amdhsa_exception_fp_ieee_overflow 0
		.amdhsa_exception_fp_ieee_underflow 0
		.amdhsa_exception_fp_ieee_inexact 0
		.amdhsa_exception_int_div_zero 0
	.end_amdhsa_kernel
	.section	.text._ZN7rocprim17ROCPRIM_400000_NS6detail17trampoline_kernelINS0_14default_configENS1_35radix_sort_onesweep_config_selectorIiiEEZZNS1_29radix_sort_onesweep_iterationIS3_Lb0EN6thrust23THRUST_200600_302600_NS6detail15normal_iteratorINS8_10device_ptrIiEEEESD_SD_SD_jNS0_19identity_decomposerENS1_16block_id_wrapperIjLb1EEEEE10hipError_tT1_PNSt15iterator_traitsISI_E10value_typeET2_T3_PNSJ_ISO_E10value_typeET4_T5_PST_SU_PNS1_23onesweep_lookback_stateEbbT6_jjT7_P12ihipStream_tbENKUlT_T0_SI_SN_E_clISD_SD_SD_SD_EEDaS11_S12_SI_SN_EUlS11_E_NS1_11comp_targetILNS1_3genE4ELNS1_11target_archE910ELNS1_3gpuE8ELNS1_3repE0EEENS1_47radix_sort_onesweep_sort_config_static_selectorELNS0_4arch9wavefront6targetE0EEEvSI_,"axG",@progbits,_ZN7rocprim17ROCPRIM_400000_NS6detail17trampoline_kernelINS0_14default_configENS1_35radix_sort_onesweep_config_selectorIiiEEZZNS1_29radix_sort_onesweep_iterationIS3_Lb0EN6thrust23THRUST_200600_302600_NS6detail15normal_iteratorINS8_10device_ptrIiEEEESD_SD_SD_jNS0_19identity_decomposerENS1_16block_id_wrapperIjLb1EEEEE10hipError_tT1_PNSt15iterator_traitsISI_E10value_typeET2_T3_PNSJ_ISO_E10value_typeET4_T5_PST_SU_PNS1_23onesweep_lookback_stateEbbT6_jjT7_P12ihipStream_tbENKUlT_T0_SI_SN_E_clISD_SD_SD_SD_EEDaS11_S12_SI_SN_EUlS11_E_NS1_11comp_targetILNS1_3genE4ELNS1_11target_archE910ELNS1_3gpuE8ELNS1_3repE0EEENS1_47radix_sort_onesweep_sort_config_static_selectorELNS0_4arch9wavefront6targetE0EEEvSI_,comdat
.Lfunc_end826:
	.size	_ZN7rocprim17ROCPRIM_400000_NS6detail17trampoline_kernelINS0_14default_configENS1_35radix_sort_onesweep_config_selectorIiiEEZZNS1_29radix_sort_onesweep_iterationIS3_Lb0EN6thrust23THRUST_200600_302600_NS6detail15normal_iteratorINS8_10device_ptrIiEEEESD_SD_SD_jNS0_19identity_decomposerENS1_16block_id_wrapperIjLb1EEEEE10hipError_tT1_PNSt15iterator_traitsISI_E10value_typeET2_T3_PNSJ_ISO_E10value_typeET4_T5_PST_SU_PNS1_23onesweep_lookback_stateEbbT6_jjT7_P12ihipStream_tbENKUlT_T0_SI_SN_E_clISD_SD_SD_SD_EEDaS11_S12_SI_SN_EUlS11_E_NS1_11comp_targetILNS1_3genE4ELNS1_11target_archE910ELNS1_3gpuE8ELNS1_3repE0EEENS1_47radix_sort_onesweep_sort_config_static_selectorELNS0_4arch9wavefront6targetE0EEEvSI_, .Lfunc_end826-_ZN7rocprim17ROCPRIM_400000_NS6detail17trampoline_kernelINS0_14default_configENS1_35radix_sort_onesweep_config_selectorIiiEEZZNS1_29radix_sort_onesweep_iterationIS3_Lb0EN6thrust23THRUST_200600_302600_NS6detail15normal_iteratorINS8_10device_ptrIiEEEESD_SD_SD_jNS0_19identity_decomposerENS1_16block_id_wrapperIjLb1EEEEE10hipError_tT1_PNSt15iterator_traitsISI_E10value_typeET2_T3_PNSJ_ISO_E10value_typeET4_T5_PST_SU_PNS1_23onesweep_lookback_stateEbbT6_jjT7_P12ihipStream_tbENKUlT_T0_SI_SN_E_clISD_SD_SD_SD_EEDaS11_S12_SI_SN_EUlS11_E_NS1_11comp_targetILNS1_3genE4ELNS1_11target_archE910ELNS1_3gpuE8ELNS1_3repE0EEENS1_47radix_sort_onesweep_sort_config_static_selectorELNS0_4arch9wavefront6targetE0EEEvSI_
                                        ; -- End function
	.set _ZN7rocprim17ROCPRIM_400000_NS6detail17trampoline_kernelINS0_14default_configENS1_35radix_sort_onesweep_config_selectorIiiEEZZNS1_29radix_sort_onesweep_iterationIS3_Lb0EN6thrust23THRUST_200600_302600_NS6detail15normal_iteratorINS8_10device_ptrIiEEEESD_SD_SD_jNS0_19identity_decomposerENS1_16block_id_wrapperIjLb1EEEEE10hipError_tT1_PNSt15iterator_traitsISI_E10value_typeET2_T3_PNSJ_ISO_E10value_typeET4_T5_PST_SU_PNS1_23onesweep_lookback_stateEbbT6_jjT7_P12ihipStream_tbENKUlT_T0_SI_SN_E_clISD_SD_SD_SD_EEDaS11_S12_SI_SN_EUlS11_E_NS1_11comp_targetILNS1_3genE4ELNS1_11target_archE910ELNS1_3gpuE8ELNS1_3repE0EEENS1_47radix_sort_onesweep_sort_config_static_selectorELNS0_4arch9wavefront6targetE0EEEvSI_.num_vgpr, 0
	.set _ZN7rocprim17ROCPRIM_400000_NS6detail17trampoline_kernelINS0_14default_configENS1_35radix_sort_onesweep_config_selectorIiiEEZZNS1_29radix_sort_onesweep_iterationIS3_Lb0EN6thrust23THRUST_200600_302600_NS6detail15normal_iteratorINS8_10device_ptrIiEEEESD_SD_SD_jNS0_19identity_decomposerENS1_16block_id_wrapperIjLb1EEEEE10hipError_tT1_PNSt15iterator_traitsISI_E10value_typeET2_T3_PNSJ_ISO_E10value_typeET4_T5_PST_SU_PNS1_23onesweep_lookback_stateEbbT6_jjT7_P12ihipStream_tbENKUlT_T0_SI_SN_E_clISD_SD_SD_SD_EEDaS11_S12_SI_SN_EUlS11_E_NS1_11comp_targetILNS1_3genE4ELNS1_11target_archE910ELNS1_3gpuE8ELNS1_3repE0EEENS1_47radix_sort_onesweep_sort_config_static_selectorELNS0_4arch9wavefront6targetE0EEEvSI_.num_agpr, 0
	.set _ZN7rocprim17ROCPRIM_400000_NS6detail17trampoline_kernelINS0_14default_configENS1_35radix_sort_onesweep_config_selectorIiiEEZZNS1_29radix_sort_onesweep_iterationIS3_Lb0EN6thrust23THRUST_200600_302600_NS6detail15normal_iteratorINS8_10device_ptrIiEEEESD_SD_SD_jNS0_19identity_decomposerENS1_16block_id_wrapperIjLb1EEEEE10hipError_tT1_PNSt15iterator_traitsISI_E10value_typeET2_T3_PNSJ_ISO_E10value_typeET4_T5_PST_SU_PNS1_23onesweep_lookback_stateEbbT6_jjT7_P12ihipStream_tbENKUlT_T0_SI_SN_E_clISD_SD_SD_SD_EEDaS11_S12_SI_SN_EUlS11_E_NS1_11comp_targetILNS1_3genE4ELNS1_11target_archE910ELNS1_3gpuE8ELNS1_3repE0EEENS1_47radix_sort_onesweep_sort_config_static_selectorELNS0_4arch9wavefront6targetE0EEEvSI_.numbered_sgpr, 0
	.set _ZN7rocprim17ROCPRIM_400000_NS6detail17trampoline_kernelINS0_14default_configENS1_35radix_sort_onesweep_config_selectorIiiEEZZNS1_29radix_sort_onesweep_iterationIS3_Lb0EN6thrust23THRUST_200600_302600_NS6detail15normal_iteratorINS8_10device_ptrIiEEEESD_SD_SD_jNS0_19identity_decomposerENS1_16block_id_wrapperIjLb1EEEEE10hipError_tT1_PNSt15iterator_traitsISI_E10value_typeET2_T3_PNSJ_ISO_E10value_typeET4_T5_PST_SU_PNS1_23onesweep_lookback_stateEbbT6_jjT7_P12ihipStream_tbENKUlT_T0_SI_SN_E_clISD_SD_SD_SD_EEDaS11_S12_SI_SN_EUlS11_E_NS1_11comp_targetILNS1_3genE4ELNS1_11target_archE910ELNS1_3gpuE8ELNS1_3repE0EEENS1_47radix_sort_onesweep_sort_config_static_selectorELNS0_4arch9wavefront6targetE0EEEvSI_.num_named_barrier, 0
	.set _ZN7rocprim17ROCPRIM_400000_NS6detail17trampoline_kernelINS0_14default_configENS1_35radix_sort_onesweep_config_selectorIiiEEZZNS1_29radix_sort_onesweep_iterationIS3_Lb0EN6thrust23THRUST_200600_302600_NS6detail15normal_iteratorINS8_10device_ptrIiEEEESD_SD_SD_jNS0_19identity_decomposerENS1_16block_id_wrapperIjLb1EEEEE10hipError_tT1_PNSt15iterator_traitsISI_E10value_typeET2_T3_PNSJ_ISO_E10value_typeET4_T5_PST_SU_PNS1_23onesweep_lookback_stateEbbT6_jjT7_P12ihipStream_tbENKUlT_T0_SI_SN_E_clISD_SD_SD_SD_EEDaS11_S12_SI_SN_EUlS11_E_NS1_11comp_targetILNS1_3genE4ELNS1_11target_archE910ELNS1_3gpuE8ELNS1_3repE0EEENS1_47radix_sort_onesweep_sort_config_static_selectorELNS0_4arch9wavefront6targetE0EEEvSI_.private_seg_size, 0
	.set _ZN7rocprim17ROCPRIM_400000_NS6detail17trampoline_kernelINS0_14default_configENS1_35radix_sort_onesweep_config_selectorIiiEEZZNS1_29radix_sort_onesweep_iterationIS3_Lb0EN6thrust23THRUST_200600_302600_NS6detail15normal_iteratorINS8_10device_ptrIiEEEESD_SD_SD_jNS0_19identity_decomposerENS1_16block_id_wrapperIjLb1EEEEE10hipError_tT1_PNSt15iterator_traitsISI_E10value_typeET2_T3_PNSJ_ISO_E10value_typeET4_T5_PST_SU_PNS1_23onesweep_lookback_stateEbbT6_jjT7_P12ihipStream_tbENKUlT_T0_SI_SN_E_clISD_SD_SD_SD_EEDaS11_S12_SI_SN_EUlS11_E_NS1_11comp_targetILNS1_3genE4ELNS1_11target_archE910ELNS1_3gpuE8ELNS1_3repE0EEENS1_47radix_sort_onesweep_sort_config_static_selectorELNS0_4arch9wavefront6targetE0EEEvSI_.uses_vcc, 0
	.set _ZN7rocprim17ROCPRIM_400000_NS6detail17trampoline_kernelINS0_14default_configENS1_35radix_sort_onesweep_config_selectorIiiEEZZNS1_29radix_sort_onesweep_iterationIS3_Lb0EN6thrust23THRUST_200600_302600_NS6detail15normal_iteratorINS8_10device_ptrIiEEEESD_SD_SD_jNS0_19identity_decomposerENS1_16block_id_wrapperIjLb1EEEEE10hipError_tT1_PNSt15iterator_traitsISI_E10value_typeET2_T3_PNSJ_ISO_E10value_typeET4_T5_PST_SU_PNS1_23onesweep_lookback_stateEbbT6_jjT7_P12ihipStream_tbENKUlT_T0_SI_SN_E_clISD_SD_SD_SD_EEDaS11_S12_SI_SN_EUlS11_E_NS1_11comp_targetILNS1_3genE4ELNS1_11target_archE910ELNS1_3gpuE8ELNS1_3repE0EEENS1_47radix_sort_onesweep_sort_config_static_selectorELNS0_4arch9wavefront6targetE0EEEvSI_.uses_flat_scratch, 0
	.set _ZN7rocprim17ROCPRIM_400000_NS6detail17trampoline_kernelINS0_14default_configENS1_35radix_sort_onesweep_config_selectorIiiEEZZNS1_29radix_sort_onesweep_iterationIS3_Lb0EN6thrust23THRUST_200600_302600_NS6detail15normal_iteratorINS8_10device_ptrIiEEEESD_SD_SD_jNS0_19identity_decomposerENS1_16block_id_wrapperIjLb1EEEEE10hipError_tT1_PNSt15iterator_traitsISI_E10value_typeET2_T3_PNSJ_ISO_E10value_typeET4_T5_PST_SU_PNS1_23onesweep_lookback_stateEbbT6_jjT7_P12ihipStream_tbENKUlT_T0_SI_SN_E_clISD_SD_SD_SD_EEDaS11_S12_SI_SN_EUlS11_E_NS1_11comp_targetILNS1_3genE4ELNS1_11target_archE910ELNS1_3gpuE8ELNS1_3repE0EEENS1_47radix_sort_onesweep_sort_config_static_selectorELNS0_4arch9wavefront6targetE0EEEvSI_.has_dyn_sized_stack, 0
	.set _ZN7rocprim17ROCPRIM_400000_NS6detail17trampoline_kernelINS0_14default_configENS1_35radix_sort_onesweep_config_selectorIiiEEZZNS1_29radix_sort_onesweep_iterationIS3_Lb0EN6thrust23THRUST_200600_302600_NS6detail15normal_iteratorINS8_10device_ptrIiEEEESD_SD_SD_jNS0_19identity_decomposerENS1_16block_id_wrapperIjLb1EEEEE10hipError_tT1_PNSt15iterator_traitsISI_E10value_typeET2_T3_PNSJ_ISO_E10value_typeET4_T5_PST_SU_PNS1_23onesweep_lookback_stateEbbT6_jjT7_P12ihipStream_tbENKUlT_T0_SI_SN_E_clISD_SD_SD_SD_EEDaS11_S12_SI_SN_EUlS11_E_NS1_11comp_targetILNS1_3genE4ELNS1_11target_archE910ELNS1_3gpuE8ELNS1_3repE0EEENS1_47radix_sort_onesweep_sort_config_static_selectorELNS0_4arch9wavefront6targetE0EEEvSI_.has_recursion, 0
	.set _ZN7rocprim17ROCPRIM_400000_NS6detail17trampoline_kernelINS0_14default_configENS1_35radix_sort_onesweep_config_selectorIiiEEZZNS1_29radix_sort_onesweep_iterationIS3_Lb0EN6thrust23THRUST_200600_302600_NS6detail15normal_iteratorINS8_10device_ptrIiEEEESD_SD_SD_jNS0_19identity_decomposerENS1_16block_id_wrapperIjLb1EEEEE10hipError_tT1_PNSt15iterator_traitsISI_E10value_typeET2_T3_PNSJ_ISO_E10value_typeET4_T5_PST_SU_PNS1_23onesweep_lookback_stateEbbT6_jjT7_P12ihipStream_tbENKUlT_T0_SI_SN_E_clISD_SD_SD_SD_EEDaS11_S12_SI_SN_EUlS11_E_NS1_11comp_targetILNS1_3genE4ELNS1_11target_archE910ELNS1_3gpuE8ELNS1_3repE0EEENS1_47radix_sort_onesweep_sort_config_static_selectorELNS0_4arch9wavefront6targetE0EEEvSI_.has_indirect_call, 0
	.section	.AMDGPU.csdata,"",@progbits
; Kernel info:
; codeLenInByte = 0
; TotalNumSgprs: 0
; NumVgprs: 0
; ScratchSize: 0
; MemoryBound: 0
; FloatMode: 240
; IeeeMode: 1
; LDSByteSize: 0 bytes/workgroup (compile time only)
; SGPRBlocks: 0
; VGPRBlocks: 0
; NumSGPRsForWavesPerEU: 1
; NumVGPRsForWavesPerEU: 1
; Occupancy: 16
; WaveLimiterHint : 0
; COMPUTE_PGM_RSRC2:SCRATCH_EN: 0
; COMPUTE_PGM_RSRC2:USER_SGPR: 6
; COMPUTE_PGM_RSRC2:TRAP_HANDLER: 0
; COMPUTE_PGM_RSRC2:TGID_X_EN: 1
; COMPUTE_PGM_RSRC2:TGID_Y_EN: 0
; COMPUTE_PGM_RSRC2:TGID_Z_EN: 0
; COMPUTE_PGM_RSRC2:TIDIG_COMP_CNT: 0
	.section	.text._ZN7rocprim17ROCPRIM_400000_NS6detail17trampoline_kernelINS0_14default_configENS1_35radix_sort_onesweep_config_selectorIiiEEZZNS1_29radix_sort_onesweep_iterationIS3_Lb0EN6thrust23THRUST_200600_302600_NS6detail15normal_iteratorINS8_10device_ptrIiEEEESD_SD_SD_jNS0_19identity_decomposerENS1_16block_id_wrapperIjLb1EEEEE10hipError_tT1_PNSt15iterator_traitsISI_E10value_typeET2_T3_PNSJ_ISO_E10value_typeET4_T5_PST_SU_PNS1_23onesweep_lookback_stateEbbT6_jjT7_P12ihipStream_tbENKUlT_T0_SI_SN_E_clISD_SD_SD_SD_EEDaS11_S12_SI_SN_EUlS11_E_NS1_11comp_targetILNS1_3genE3ELNS1_11target_archE908ELNS1_3gpuE7ELNS1_3repE0EEENS1_47radix_sort_onesweep_sort_config_static_selectorELNS0_4arch9wavefront6targetE0EEEvSI_,"axG",@progbits,_ZN7rocprim17ROCPRIM_400000_NS6detail17trampoline_kernelINS0_14default_configENS1_35radix_sort_onesweep_config_selectorIiiEEZZNS1_29radix_sort_onesweep_iterationIS3_Lb0EN6thrust23THRUST_200600_302600_NS6detail15normal_iteratorINS8_10device_ptrIiEEEESD_SD_SD_jNS0_19identity_decomposerENS1_16block_id_wrapperIjLb1EEEEE10hipError_tT1_PNSt15iterator_traitsISI_E10value_typeET2_T3_PNSJ_ISO_E10value_typeET4_T5_PST_SU_PNS1_23onesweep_lookback_stateEbbT6_jjT7_P12ihipStream_tbENKUlT_T0_SI_SN_E_clISD_SD_SD_SD_EEDaS11_S12_SI_SN_EUlS11_E_NS1_11comp_targetILNS1_3genE3ELNS1_11target_archE908ELNS1_3gpuE7ELNS1_3repE0EEENS1_47radix_sort_onesweep_sort_config_static_selectorELNS0_4arch9wavefront6targetE0EEEvSI_,comdat
	.protected	_ZN7rocprim17ROCPRIM_400000_NS6detail17trampoline_kernelINS0_14default_configENS1_35radix_sort_onesweep_config_selectorIiiEEZZNS1_29radix_sort_onesweep_iterationIS3_Lb0EN6thrust23THRUST_200600_302600_NS6detail15normal_iteratorINS8_10device_ptrIiEEEESD_SD_SD_jNS0_19identity_decomposerENS1_16block_id_wrapperIjLb1EEEEE10hipError_tT1_PNSt15iterator_traitsISI_E10value_typeET2_T3_PNSJ_ISO_E10value_typeET4_T5_PST_SU_PNS1_23onesweep_lookback_stateEbbT6_jjT7_P12ihipStream_tbENKUlT_T0_SI_SN_E_clISD_SD_SD_SD_EEDaS11_S12_SI_SN_EUlS11_E_NS1_11comp_targetILNS1_3genE3ELNS1_11target_archE908ELNS1_3gpuE7ELNS1_3repE0EEENS1_47radix_sort_onesweep_sort_config_static_selectorELNS0_4arch9wavefront6targetE0EEEvSI_ ; -- Begin function _ZN7rocprim17ROCPRIM_400000_NS6detail17trampoline_kernelINS0_14default_configENS1_35radix_sort_onesweep_config_selectorIiiEEZZNS1_29radix_sort_onesweep_iterationIS3_Lb0EN6thrust23THRUST_200600_302600_NS6detail15normal_iteratorINS8_10device_ptrIiEEEESD_SD_SD_jNS0_19identity_decomposerENS1_16block_id_wrapperIjLb1EEEEE10hipError_tT1_PNSt15iterator_traitsISI_E10value_typeET2_T3_PNSJ_ISO_E10value_typeET4_T5_PST_SU_PNS1_23onesweep_lookback_stateEbbT6_jjT7_P12ihipStream_tbENKUlT_T0_SI_SN_E_clISD_SD_SD_SD_EEDaS11_S12_SI_SN_EUlS11_E_NS1_11comp_targetILNS1_3genE3ELNS1_11target_archE908ELNS1_3gpuE7ELNS1_3repE0EEENS1_47radix_sort_onesweep_sort_config_static_selectorELNS0_4arch9wavefront6targetE0EEEvSI_
	.globl	_ZN7rocprim17ROCPRIM_400000_NS6detail17trampoline_kernelINS0_14default_configENS1_35radix_sort_onesweep_config_selectorIiiEEZZNS1_29radix_sort_onesweep_iterationIS3_Lb0EN6thrust23THRUST_200600_302600_NS6detail15normal_iteratorINS8_10device_ptrIiEEEESD_SD_SD_jNS0_19identity_decomposerENS1_16block_id_wrapperIjLb1EEEEE10hipError_tT1_PNSt15iterator_traitsISI_E10value_typeET2_T3_PNSJ_ISO_E10value_typeET4_T5_PST_SU_PNS1_23onesweep_lookback_stateEbbT6_jjT7_P12ihipStream_tbENKUlT_T0_SI_SN_E_clISD_SD_SD_SD_EEDaS11_S12_SI_SN_EUlS11_E_NS1_11comp_targetILNS1_3genE3ELNS1_11target_archE908ELNS1_3gpuE7ELNS1_3repE0EEENS1_47radix_sort_onesweep_sort_config_static_selectorELNS0_4arch9wavefront6targetE0EEEvSI_
	.p2align	8
	.type	_ZN7rocprim17ROCPRIM_400000_NS6detail17trampoline_kernelINS0_14default_configENS1_35radix_sort_onesweep_config_selectorIiiEEZZNS1_29radix_sort_onesweep_iterationIS3_Lb0EN6thrust23THRUST_200600_302600_NS6detail15normal_iteratorINS8_10device_ptrIiEEEESD_SD_SD_jNS0_19identity_decomposerENS1_16block_id_wrapperIjLb1EEEEE10hipError_tT1_PNSt15iterator_traitsISI_E10value_typeET2_T3_PNSJ_ISO_E10value_typeET4_T5_PST_SU_PNS1_23onesweep_lookback_stateEbbT6_jjT7_P12ihipStream_tbENKUlT_T0_SI_SN_E_clISD_SD_SD_SD_EEDaS11_S12_SI_SN_EUlS11_E_NS1_11comp_targetILNS1_3genE3ELNS1_11target_archE908ELNS1_3gpuE7ELNS1_3repE0EEENS1_47radix_sort_onesweep_sort_config_static_selectorELNS0_4arch9wavefront6targetE0EEEvSI_,@function
_ZN7rocprim17ROCPRIM_400000_NS6detail17trampoline_kernelINS0_14default_configENS1_35radix_sort_onesweep_config_selectorIiiEEZZNS1_29radix_sort_onesweep_iterationIS3_Lb0EN6thrust23THRUST_200600_302600_NS6detail15normal_iteratorINS8_10device_ptrIiEEEESD_SD_SD_jNS0_19identity_decomposerENS1_16block_id_wrapperIjLb1EEEEE10hipError_tT1_PNSt15iterator_traitsISI_E10value_typeET2_T3_PNSJ_ISO_E10value_typeET4_T5_PST_SU_PNS1_23onesweep_lookback_stateEbbT6_jjT7_P12ihipStream_tbENKUlT_T0_SI_SN_E_clISD_SD_SD_SD_EEDaS11_S12_SI_SN_EUlS11_E_NS1_11comp_targetILNS1_3genE3ELNS1_11target_archE908ELNS1_3gpuE7ELNS1_3repE0EEENS1_47radix_sort_onesweep_sort_config_static_selectorELNS0_4arch9wavefront6targetE0EEEvSI_: ; @_ZN7rocprim17ROCPRIM_400000_NS6detail17trampoline_kernelINS0_14default_configENS1_35radix_sort_onesweep_config_selectorIiiEEZZNS1_29radix_sort_onesweep_iterationIS3_Lb0EN6thrust23THRUST_200600_302600_NS6detail15normal_iteratorINS8_10device_ptrIiEEEESD_SD_SD_jNS0_19identity_decomposerENS1_16block_id_wrapperIjLb1EEEEE10hipError_tT1_PNSt15iterator_traitsISI_E10value_typeET2_T3_PNSJ_ISO_E10value_typeET4_T5_PST_SU_PNS1_23onesweep_lookback_stateEbbT6_jjT7_P12ihipStream_tbENKUlT_T0_SI_SN_E_clISD_SD_SD_SD_EEDaS11_S12_SI_SN_EUlS11_E_NS1_11comp_targetILNS1_3genE3ELNS1_11target_archE908ELNS1_3gpuE7ELNS1_3repE0EEENS1_47radix_sort_onesweep_sort_config_static_selectorELNS0_4arch9wavefront6targetE0EEEvSI_
; %bb.0:
	.section	.rodata,"a",@progbits
	.p2align	6, 0x0
	.amdhsa_kernel _ZN7rocprim17ROCPRIM_400000_NS6detail17trampoline_kernelINS0_14default_configENS1_35radix_sort_onesweep_config_selectorIiiEEZZNS1_29radix_sort_onesweep_iterationIS3_Lb0EN6thrust23THRUST_200600_302600_NS6detail15normal_iteratorINS8_10device_ptrIiEEEESD_SD_SD_jNS0_19identity_decomposerENS1_16block_id_wrapperIjLb1EEEEE10hipError_tT1_PNSt15iterator_traitsISI_E10value_typeET2_T3_PNSJ_ISO_E10value_typeET4_T5_PST_SU_PNS1_23onesweep_lookback_stateEbbT6_jjT7_P12ihipStream_tbENKUlT_T0_SI_SN_E_clISD_SD_SD_SD_EEDaS11_S12_SI_SN_EUlS11_E_NS1_11comp_targetILNS1_3genE3ELNS1_11target_archE908ELNS1_3gpuE7ELNS1_3repE0EEENS1_47radix_sort_onesweep_sort_config_static_selectorELNS0_4arch9wavefront6targetE0EEEvSI_
		.amdhsa_group_segment_fixed_size 0
		.amdhsa_private_segment_fixed_size 0
		.amdhsa_kernarg_size 88
		.amdhsa_user_sgpr_count 6
		.amdhsa_user_sgpr_private_segment_buffer 1
		.amdhsa_user_sgpr_dispatch_ptr 0
		.amdhsa_user_sgpr_queue_ptr 0
		.amdhsa_user_sgpr_kernarg_segment_ptr 1
		.amdhsa_user_sgpr_dispatch_id 0
		.amdhsa_user_sgpr_flat_scratch_init 0
		.amdhsa_user_sgpr_private_segment_size 0
		.amdhsa_wavefront_size32 1
		.amdhsa_uses_dynamic_stack 0
		.amdhsa_system_sgpr_private_segment_wavefront_offset 0
		.amdhsa_system_sgpr_workgroup_id_x 1
		.amdhsa_system_sgpr_workgroup_id_y 0
		.amdhsa_system_sgpr_workgroup_id_z 0
		.amdhsa_system_sgpr_workgroup_info 0
		.amdhsa_system_vgpr_workitem_id 0
		.amdhsa_next_free_vgpr 1
		.amdhsa_next_free_sgpr 1
		.amdhsa_reserve_vcc 0
		.amdhsa_reserve_flat_scratch 0
		.amdhsa_float_round_mode_32 0
		.amdhsa_float_round_mode_16_64 0
		.amdhsa_float_denorm_mode_32 3
		.amdhsa_float_denorm_mode_16_64 3
		.amdhsa_dx10_clamp 1
		.amdhsa_ieee_mode 1
		.amdhsa_fp16_overflow 0
		.amdhsa_workgroup_processor_mode 1
		.amdhsa_memory_ordered 1
		.amdhsa_forward_progress 1
		.amdhsa_shared_vgpr_count 0
		.amdhsa_exception_fp_ieee_invalid_op 0
		.amdhsa_exception_fp_denorm_src 0
		.amdhsa_exception_fp_ieee_div_zero 0
		.amdhsa_exception_fp_ieee_overflow 0
		.amdhsa_exception_fp_ieee_underflow 0
		.amdhsa_exception_fp_ieee_inexact 0
		.amdhsa_exception_int_div_zero 0
	.end_amdhsa_kernel
	.section	.text._ZN7rocprim17ROCPRIM_400000_NS6detail17trampoline_kernelINS0_14default_configENS1_35radix_sort_onesweep_config_selectorIiiEEZZNS1_29radix_sort_onesweep_iterationIS3_Lb0EN6thrust23THRUST_200600_302600_NS6detail15normal_iteratorINS8_10device_ptrIiEEEESD_SD_SD_jNS0_19identity_decomposerENS1_16block_id_wrapperIjLb1EEEEE10hipError_tT1_PNSt15iterator_traitsISI_E10value_typeET2_T3_PNSJ_ISO_E10value_typeET4_T5_PST_SU_PNS1_23onesweep_lookback_stateEbbT6_jjT7_P12ihipStream_tbENKUlT_T0_SI_SN_E_clISD_SD_SD_SD_EEDaS11_S12_SI_SN_EUlS11_E_NS1_11comp_targetILNS1_3genE3ELNS1_11target_archE908ELNS1_3gpuE7ELNS1_3repE0EEENS1_47radix_sort_onesweep_sort_config_static_selectorELNS0_4arch9wavefront6targetE0EEEvSI_,"axG",@progbits,_ZN7rocprim17ROCPRIM_400000_NS6detail17trampoline_kernelINS0_14default_configENS1_35radix_sort_onesweep_config_selectorIiiEEZZNS1_29radix_sort_onesweep_iterationIS3_Lb0EN6thrust23THRUST_200600_302600_NS6detail15normal_iteratorINS8_10device_ptrIiEEEESD_SD_SD_jNS0_19identity_decomposerENS1_16block_id_wrapperIjLb1EEEEE10hipError_tT1_PNSt15iterator_traitsISI_E10value_typeET2_T3_PNSJ_ISO_E10value_typeET4_T5_PST_SU_PNS1_23onesweep_lookback_stateEbbT6_jjT7_P12ihipStream_tbENKUlT_T0_SI_SN_E_clISD_SD_SD_SD_EEDaS11_S12_SI_SN_EUlS11_E_NS1_11comp_targetILNS1_3genE3ELNS1_11target_archE908ELNS1_3gpuE7ELNS1_3repE0EEENS1_47radix_sort_onesweep_sort_config_static_selectorELNS0_4arch9wavefront6targetE0EEEvSI_,comdat
.Lfunc_end827:
	.size	_ZN7rocprim17ROCPRIM_400000_NS6detail17trampoline_kernelINS0_14default_configENS1_35radix_sort_onesweep_config_selectorIiiEEZZNS1_29radix_sort_onesweep_iterationIS3_Lb0EN6thrust23THRUST_200600_302600_NS6detail15normal_iteratorINS8_10device_ptrIiEEEESD_SD_SD_jNS0_19identity_decomposerENS1_16block_id_wrapperIjLb1EEEEE10hipError_tT1_PNSt15iterator_traitsISI_E10value_typeET2_T3_PNSJ_ISO_E10value_typeET4_T5_PST_SU_PNS1_23onesweep_lookback_stateEbbT6_jjT7_P12ihipStream_tbENKUlT_T0_SI_SN_E_clISD_SD_SD_SD_EEDaS11_S12_SI_SN_EUlS11_E_NS1_11comp_targetILNS1_3genE3ELNS1_11target_archE908ELNS1_3gpuE7ELNS1_3repE0EEENS1_47radix_sort_onesweep_sort_config_static_selectorELNS0_4arch9wavefront6targetE0EEEvSI_, .Lfunc_end827-_ZN7rocprim17ROCPRIM_400000_NS6detail17trampoline_kernelINS0_14default_configENS1_35radix_sort_onesweep_config_selectorIiiEEZZNS1_29radix_sort_onesweep_iterationIS3_Lb0EN6thrust23THRUST_200600_302600_NS6detail15normal_iteratorINS8_10device_ptrIiEEEESD_SD_SD_jNS0_19identity_decomposerENS1_16block_id_wrapperIjLb1EEEEE10hipError_tT1_PNSt15iterator_traitsISI_E10value_typeET2_T3_PNSJ_ISO_E10value_typeET4_T5_PST_SU_PNS1_23onesweep_lookback_stateEbbT6_jjT7_P12ihipStream_tbENKUlT_T0_SI_SN_E_clISD_SD_SD_SD_EEDaS11_S12_SI_SN_EUlS11_E_NS1_11comp_targetILNS1_3genE3ELNS1_11target_archE908ELNS1_3gpuE7ELNS1_3repE0EEENS1_47radix_sort_onesweep_sort_config_static_selectorELNS0_4arch9wavefront6targetE0EEEvSI_
                                        ; -- End function
	.set _ZN7rocprim17ROCPRIM_400000_NS6detail17trampoline_kernelINS0_14default_configENS1_35radix_sort_onesweep_config_selectorIiiEEZZNS1_29radix_sort_onesweep_iterationIS3_Lb0EN6thrust23THRUST_200600_302600_NS6detail15normal_iteratorINS8_10device_ptrIiEEEESD_SD_SD_jNS0_19identity_decomposerENS1_16block_id_wrapperIjLb1EEEEE10hipError_tT1_PNSt15iterator_traitsISI_E10value_typeET2_T3_PNSJ_ISO_E10value_typeET4_T5_PST_SU_PNS1_23onesweep_lookback_stateEbbT6_jjT7_P12ihipStream_tbENKUlT_T0_SI_SN_E_clISD_SD_SD_SD_EEDaS11_S12_SI_SN_EUlS11_E_NS1_11comp_targetILNS1_3genE3ELNS1_11target_archE908ELNS1_3gpuE7ELNS1_3repE0EEENS1_47radix_sort_onesweep_sort_config_static_selectorELNS0_4arch9wavefront6targetE0EEEvSI_.num_vgpr, 0
	.set _ZN7rocprim17ROCPRIM_400000_NS6detail17trampoline_kernelINS0_14default_configENS1_35radix_sort_onesweep_config_selectorIiiEEZZNS1_29radix_sort_onesweep_iterationIS3_Lb0EN6thrust23THRUST_200600_302600_NS6detail15normal_iteratorINS8_10device_ptrIiEEEESD_SD_SD_jNS0_19identity_decomposerENS1_16block_id_wrapperIjLb1EEEEE10hipError_tT1_PNSt15iterator_traitsISI_E10value_typeET2_T3_PNSJ_ISO_E10value_typeET4_T5_PST_SU_PNS1_23onesweep_lookback_stateEbbT6_jjT7_P12ihipStream_tbENKUlT_T0_SI_SN_E_clISD_SD_SD_SD_EEDaS11_S12_SI_SN_EUlS11_E_NS1_11comp_targetILNS1_3genE3ELNS1_11target_archE908ELNS1_3gpuE7ELNS1_3repE0EEENS1_47radix_sort_onesweep_sort_config_static_selectorELNS0_4arch9wavefront6targetE0EEEvSI_.num_agpr, 0
	.set _ZN7rocprim17ROCPRIM_400000_NS6detail17trampoline_kernelINS0_14default_configENS1_35radix_sort_onesweep_config_selectorIiiEEZZNS1_29radix_sort_onesweep_iterationIS3_Lb0EN6thrust23THRUST_200600_302600_NS6detail15normal_iteratorINS8_10device_ptrIiEEEESD_SD_SD_jNS0_19identity_decomposerENS1_16block_id_wrapperIjLb1EEEEE10hipError_tT1_PNSt15iterator_traitsISI_E10value_typeET2_T3_PNSJ_ISO_E10value_typeET4_T5_PST_SU_PNS1_23onesweep_lookback_stateEbbT6_jjT7_P12ihipStream_tbENKUlT_T0_SI_SN_E_clISD_SD_SD_SD_EEDaS11_S12_SI_SN_EUlS11_E_NS1_11comp_targetILNS1_3genE3ELNS1_11target_archE908ELNS1_3gpuE7ELNS1_3repE0EEENS1_47radix_sort_onesweep_sort_config_static_selectorELNS0_4arch9wavefront6targetE0EEEvSI_.numbered_sgpr, 0
	.set _ZN7rocprim17ROCPRIM_400000_NS6detail17trampoline_kernelINS0_14default_configENS1_35radix_sort_onesweep_config_selectorIiiEEZZNS1_29radix_sort_onesweep_iterationIS3_Lb0EN6thrust23THRUST_200600_302600_NS6detail15normal_iteratorINS8_10device_ptrIiEEEESD_SD_SD_jNS0_19identity_decomposerENS1_16block_id_wrapperIjLb1EEEEE10hipError_tT1_PNSt15iterator_traitsISI_E10value_typeET2_T3_PNSJ_ISO_E10value_typeET4_T5_PST_SU_PNS1_23onesweep_lookback_stateEbbT6_jjT7_P12ihipStream_tbENKUlT_T0_SI_SN_E_clISD_SD_SD_SD_EEDaS11_S12_SI_SN_EUlS11_E_NS1_11comp_targetILNS1_3genE3ELNS1_11target_archE908ELNS1_3gpuE7ELNS1_3repE0EEENS1_47radix_sort_onesweep_sort_config_static_selectorELNS0_4arch9wavefront6targetE0EEEvSI_.num_named_barrier, 0
	.set _ZN7rocprim17ROCPRIM_400000_NS6detail17trampoline_kernelINS0_14default_configENS1_35radix_sort_onesweep_config_selectorIiiEEZZNS1_29radix_sort_onesweep_iterationIS3_Lb0EN6thrust23THRUST_200600_302600_NS6detail15normal_iteratorINS8_10device_ptrIiEEEESD_SD_SD_jNS0_19identity_decomposerENS1_16block_id_wrapperIjLb1EEEEE10hipError_tT1_PNSt15iterator_traitsISI_E10value_typeET2_T3_PNSJ_ISO_E10value_typeET4_T5_PST_SU_PNS1_23onesweep_lookback_stateEbbT6_jjT7_P12ihipStream_tbENKUlT_T0_SI_SN_E_clISD_SD_SD_SD_EEDaS11_S12_SI_SN_EUlS11_E_NS1_11comp_targetILNS1_3genE3ELNS1_11target_archE908ELNS1_3gpuE7ELNS1_3repE0EEENS1_47radix_sort_onesweep_sort_config_static_selectorELNS0_4arch9wavefront6targetE0EEEvSI_.private_seg_size, 0
	.set _ZN7rocprim17ROCPRIM_400000_NS6detail17trampoline_kernelINS0_14default_configENS1_35radix_sort_onesweep_config_selectorIiiEEZZNS1_29radix_sort_onesweep_iterationIS3_Lb0EN6thrust23THRUST_200600_302600_NS6detail15normal_iteratorINS8_10device_ptrIiEEEESD_SD_SD_jNS0_19identity_decomposerENS1_16block_id_wrapperIjLb1EEEEE10hipError_tT1_PNSt15iterator_traitsISI_E10value_typeET2_T3_PNSJ_ISO_E10value_typeET4_T5_PST_SU_PNS1_23onesweep_lookback_stateEbbT6_jjT7_P12ihipStream_tbENKUlT_T0_SI_SN_E_clISD_SD_SD_SD_EEDaS11_S12_SI_SN_EUlS11_E_NS1_11comp_targetILNS1_3genE3ELNS1_11target_archE908ELNS1_3gpuE7ELNS1_3repE0EEENS1_47radix_sort_onesweep_sort_config_static_selectorELNS0_4arch9wavefront6targetE0EEEvSI_.uses_vcc, 0
	.set _ZN7rocprim17ROCPRIM_400000_NS6detail17trampoline_kernelINS0_14default_configENS1_35radix_sort_onesweep_config_selectorIiiEEZZNS1_29radix_sort_onesweep_iterationIS3_Lb0EN6thrust23THRUST_200600_302600_NS6detail15normal_iteratorINS8_10device_ptrIiEEEESD_SD_SD_jNS0_19identity_decomposerENS1_16block_id_wrapperIjLb1EEEEE10hipError_tT1_PNSt15iterator_traitsISI_E10value_typeET2_T3_PNSJ_ISO_E10value_typeET4_T5_PST_SU_PNS1_23onesweep_lookback_stateEbbT6_jjT7_P12ihipStream_tbENKUlT_T0_SI_SN_E_clISD_SD_SD_SD_EEDaS11_S12_SI_SN_EUlS11_E_NS1_11comp_targetILNS1_3genE3ELNS1_11target_archE908ELNS1_3gpuE7ELNS1_3repE0EEENS1_47radix_sort_onesweep_sort_config_static_selectorELNS0_4arch9wavefront6targetE0EEEvSI_.uses_flat_scratch, 0
	.set _ZN7rocprim17ROCPRIM_400000_NS6detail17trampoline_kernelINS0_14default_configENS1_35radix_sort_onesweep_config_selectorIiiEEZZNS1_29radix_sort_onesweep_iterationIS3_Lb0EN6thrust23THRUST_200600_302600_NS6detail15normal_iteratorINS8_10device_ptrIiEEEESD_SD_SD_jNS0_19identity_decomposerENS1_16block_id_wrapperIjLb1EEEEE10hipError_tT1_PNSt15iterator_traitsISI_E10value_typeET2_T3_PNSJ_ISO_E10value_typeET4_T5_PST_SU_PNS1_23onesweep_lookback_stateEbbT6_jjT7_P12ihipStream_tbENKUlT_T0_SI_SN_E_clISD_SD_SD_SD_EEDaS11_S12_SI_SN_EUlS11_E_NS1_11comp_targetILNS1_3genE3ELNS1_11target_archE908ELNS1_3gpuE7ELNS1_3repE0EEENS1_47radix_sort_onesweep_sort_config_static_selectorELNS0_4arch9wavefront6targetE0EEEvSI_.has_dyn_sized_stack, 0
	.set _ZN7rocprim17ROCPRIM_400000_NS6detail17trampoline_kernelINS0_14default_configENS1_35radix_sort_onesweep_config_selectorIiiEEZZNS1_29radix_sort_onesweep_iterationIS3_Lb0EN6thrust23THRUST_200600_302600_NS6detail15normal_iteratorINS8_10device_ptrIiEEEESD_SD_SD_jNS0_19identity_decomposerENS1_16block_id_wrapperIjLb1EEEEE10hipError_tT1_PNSt15iterator_traitsISI_E10value_typeET2_T3_PNSJ_ISO_E10value_typeET4_T5_PST_SU_PNS1_23onesweep_lookback_stateEbbT6_jjT7_P12ihipStream_tbENKUlT_T0_SI_SN_E_clISD_SD_SD_SD_EEDaS11_S12_SI_SN_EUlS11_E_NS1_11comp_targetILNS1_3genE3ELNS1_11target_archE908ELNS1_3gpuE7ELNS1_3repE0EEENS1_47radix_sort_onesweep_sort_config_static_selectorELNS0_4arch9wavefront6targetE0EEEvSI_.has_recursion, 0
	.set _ZN7rocprim17ROCPRIM_400000_NS6detail17trampoline_kernelINS0_14default_configENS1_35radix_sort_onesweep_config_selectorIiiEEZZNS1_29radix_sort_onesweep_iterationIS3_Lb0EN6thrust23THRUST_200600_302600_NS6detail15normal_iteratorINS8_10device_ptrIiEEEESD_SD_SD_jNS0_19identity_decomposerENS1_16block_id_wrapperIjLb1EEEEE10hipError_tT1_PNSt15iterator_traitsISI_E10value_typeET2_T3_PNSJ_ISO_E10value_typeET4_T5_PST_SU_PNS1_23onesweep_lookback_stateEbbT6_jjT7_P12ihipStream_tbENKUlT_T0_SI_SN_E_clISD_SD_SD_SD_EEDaS11_S12_SI_SN_EUlS11_E_NS1_11comp_targetILNS1_3genE3ELNS1_11target_archE908ELNS1_3gpuE7ELNS1_3repE0EEENS1_47radix_sort_onesweep_sort_config_static_selectorELNS0_4arch9wavefront6targetE0EEEvSI_.has_indirect_call, 0
	.section	.AMDGPU.csdata,"",@progbits
; Kernel info:
; codeLenInByte = 0
; TotalNumSgprs: 0
; NumVgprs: 0
; ScratchSize: 0
; MemoryBound: 0
; FloatMode: 240
; IeeeMode: 1
; LDSByteSize: 0 bytes/workgroup (compile time only)
; SGPRBlocks: 0
; VGPRBlocks: 0
; NumSGPRsForWavesPerEU: 1
; NumVGPRsForWavesPerEU: 1
; Occupancy: 16
; WaveLimiterHint : 0
; COMPUTE_PGM_RSRC2:SCRATCH_EN: 0
; COMPUTE_PGM_RSRC2:USER_SGPR: 6
; COMPUTE_PGM_RSRC2:TRAP_HANDLER: 0
; COMPUTE_PGM_RSRC2:TGID_X_EN: 1
; COMPUTE_PGM_RSRC2:TGID_Y_EN: 0
; COMPUTE_PGM_RSRC2:TGID_Z_EN: 0
; COMPUTE_PGM_RSRC2:TIDIG_COMP_CNT: 0
	.section	.text._ZN7rocprim17ROCPRIM_400000_NS6detail17trampoline_kernelINS0_14default_configENS1_35radix_sort_onesweep_config_selectorIiiEEZZNS1_29radix_sort_onesweep_iterationIS3_Lb0EN6thrust23THRUST_200600_302600_NS6detail15normal_iteratorINS8_10device_ptrIiEEEESD_SD_SD_jNS0_19identity_decomposerENS1_16block_id_wrapperIjLb1EEEEE10hipError_tT1_PNSt15iterator_traitsISI_E10value_typeET2_T3_PNSJ_ISO_E10value_typeET4_T5_PST_SU_PNS1_23onesweep_lookback_stateEbbT6_jjT7_P12ihipStream_tbENKUlT_T0_SI_SN_E_clISD_SD_SD_SD_EEDaS11_S12_SI_SN_EUlS11_E_NS1_11comp_targetILNS1_3genE10ELNS1_11target_archE1201ELNS1_3gpuE5ELNS1_3repE0EEENS1_47radix_sort_onesweep_sort_config_static_selectorELNS0_4arch9wavefront6targetE0EEEvSI_,"axG",@progbits,_ZN7rocprim17ROCPRIM_400000_NS6detail17trampoline_kernelINS0_14default_configENS1_35radix_sort_onesweep_config_selectorIiiEEZZNS1_29radix_sort_onesweep_iterationIS3_Lb0EN6thrust23THRUST_200600_302600_NS6detail15normal_iteratorINS8_10device_ptrIiEEEESD_SD_SD_jNS0_19identity_decomposerENS1_16block_id_wrapperIjLb1EEEEE10hipError_tT1_PNSt15iterator_traitsISI_E10value_typeET2_T3_PNSJ_ISO_E10value_typeET4_T5_PST_SU_PNS1_23onesweep_lookback_stateEbbT6_jjT7_P12ihipStream_tbENKUlT_T0_SI_SN_E_clISD_SD_SD_SD_EEDaS11_S12_SI_SN_EUlS11_E_NS1_11comp_targetILNS1_3genE10ELNS1_11target_archE1201ELNS1_3gpuE5ELNS1_3repE0EEENS1_47radix_sort_onesweep_sort_config_static_selectorELNS0_4arch9wavefront6targetE0EEEvSI_,comdat
	.protected	_ZN7rocprim17ROCPRIM_400000_NS6detail17trampoline_kernelINS0_14default_configENS1_35radix_sort_onesweep_config_selectorIiiEEZZNS1_29radix_sort_onesweep_iterationIS3_Lb0EN6thrust23THRUST_200600_302600_NS6detail15normal_iteratorINS8_10device_ptrIiEEEESD_SD_SD_jNS0_19identity_decomposerENS1_16block_id_wrapperIjLb1EEEEE10hipError_tT1_PNSt15iterator_traitsISI_E10value_typeET2_T3_PNSJ_ISO_E10value_typeET4_T5_PST_SU_PNS1_23onesweep_lookback_stateEbbT6_jjT7_P12ihipStream_tbENKUlT_T0_SI_SN_E_clISD_SD_SD_SD_EEDaS11_S12_SI_SN_EUlS11_E_NS1_11comp_targetILNS1_3genE10ELNS1_11target_archE1201ELNS1_3gpuE5ELNS1_3repE0EEENS1_47radix_sort_onesweep_sort_config_static_selectorELNS0_4arch9wavefront6targetE0EEEvSI_ ; -- Begin function _ZN7rocprim17ROCPRIM_400000_NS6detail17trampoline_kernelINS0_14default_configENS1_35radix_sort_onesweep_config_selectorIiiEEZZNS1_29radix_sort_onesweep_iterationIS3_Lb0EN6thrust23THRUST_200600_302600_NS6detail15normal_iteratorINS8_10device_ptrIiEEEESD_SD_SD_jNS0_19identity_decomposerENS1_16block_id_wrapperIjLb1EEEEE10hipError_tT1_PNSt15iterator_traitsISI_E10value_typeET2_T3_PNSJ_ISO_E10value_typeET4_T5_PST_SU_PNS1_23onesweep_lookback_stateEbbT6_jjT7_P12ihipStream_tbENKUlT_T0_SI_SN_E_clISD_SD_SD_SD_EEDaS11_S12_SI_SN_EUlS11_E_NS1_11comp_targetILNS1_3genE10ELNS1_11target_archE1201ELNS1_3gpuE5ELNS1_3repE0EEENS1_47radix_sort_onesweep_sort_config_static_selectorELNS0_4arch9wavefront6targetE0EEEvSI_
	.globl	_ZN7rocprim17ROCPRIM_400000_NS6detail17trampoline_kernelINS0_14default_configENS1_35radix_sort_onesweep_config_selectorIiiEEZZNS1_29radix_sort_onesweep_iterationIS3_Lb0EN6thrust23THRUST_200600_302600_NS6detail15normal_iteratorINS8_10device_ptrIiEEEESD_SD_SD_jNS0_19identity_decomposerENS1_16block_id_wrapperIjLb1EEEEE10hipError_tT1_PNSt15iterator_traitsISI_E10value_typeET2_T3_PNSJ_ISO_E10value_typeET4_T5_PST_SU_PNS1_23onesweep_lookback_stateEbbT6_jjT7_P12ihipStream_tbENKUlT_T0_SI_SN_E_clISD_SD_SD_SD_EEDaS11_S12_SI_SN_EUlS11_E_NS1_11comp_targetILNS1_3genE10ELNS1_11target_archE1201ELNS1_3gpuE5ELNS1_3repE0EEENS1_47radix_sort_onesweep_sort_config_static_selectorELNS0_4arch9wavefront6targetE0EEEvSI_
	.p2align	8
	.type	_ZN7rocprim17ROCPRIM_400000_NS6detail17trampoline_kernelINS0_14default_configENS1_35radix_sort_onesweep_config_selectorIiiEEZZNS1_29radix_sort_onesweep_iterationIS3_Lb0EN6thrust23THRUST_200600_302600_NS6detail15normal_iteratorINS8_10device_ptrIiEEEESD_SD_SD_jNS0_19identity_decomposerENS1_16block_id_wrapperIjLb1EEEEE10hipError_tT1_PNSt15iterator_traitsISI_E10value_typeET2_T3_PNSJ_ISO_E10value_typeET4_T5_PST_SU_PNS1_23onesweep_lookback_stateEbbT6_jjT7_P12ihipStream_tbENKUlT_T0_SI_SN_E_clISD_SD_SD_SD_EEDaS11_S12_SI_SN_EUlS11_E_NS1_11comp_targetILNS1_3genE10ELNS1_11target_archE1201ELNS1_3gpuE5ELNS1_3repE0EEENS1_47radix_sort_onesweep_sort_config_static_selectorELNS0_4arch9wavefront6targetE0EEEvSI_,@function
_ZN7rocprim17ROCPRIM_400000_NS6detail17trampoline_kernelINS0_14default_configENS1_35radix_sort_onesweep_config_selectorIiiEEZZNS1_29radix_sort_onesweep_iterationIS3_Lb0EN6thrust23THRUST_200600_302600_NS6detail15normal_iteratorINS8_10device_ptrIiEEEESD_SD_SD_jNS0_19identity_decomposerENS1_16block_id_wrapperIjLb1EEEEE10hipError_tT1_PNSt15iterator_traitsISI_E10value_typeET2_T3_PNSJ_ISO_E10value_typeET4_T5_PST_SU_PNS1_23onesweep_lookback_stateEbbT6_jjT7_P12ihipStream_tbENKUlT_T0_SI_SN_E_clISD_SD_SD_SD_EEDaS11_S12_SI_SN_EUlS11_E_NS1_11comp_targetILNS1_3genE10ELNS1_11target_archE1201ELNS1_3gpuE5ELNS1_3repE0EEENS1_47radix_sort_onesweep_sort_config_static_selectorELNS0_4arch9wavefront6targetE0EEEvSI_: ; @_ZN7rocprim17ROCPRIM_400000_NS6detail17trampoline_kernelINS0_14default_configENS1_35radix_sort_onesweep_config_selectorIiiEEZZNS1_29radix_sort_onesweep_iterationIS3_Lb0EN6thrust23THRUST_200600_302600_NS6detail15normal_iteratorINS8_10device_ptrIiEEEESD_SD_SD_jNS0_19identity_decomposerENS1_16block_id_wrapperIjLb1EEEEE10hipError_tT1_PNSt15iterator_traitsISI_E10value_typeET2_T3_PNSJ_ISO_E10value_typeET4_T5_PST_SU_PNS1_23onesweep_lookback_stateEbbT6_jjT7_P12ihipStream_tbENKUlT_T0_SI_SN_E_clISD_SD_SD_SD_EEDaS11_S12_SI_SN_EUlS11_E_NS1_11comp_targetILNS1_3genE10ELNS1_11target_archE1201ELNS1_3gpuE5ELNS1_3repE0EEENS1_47radix_sort_onesweep_sort_config_static_selectorELNS0_4arch9wavefront6targetE0EEEvSI_
; %bb.0:
	.section	.rodata,"a",@progbits
	.p2align	6, 0x0
	.amdhsa_kernel _ZN7rocprim17ROCPRIM_400000_NS6detail17trampoline_kernelINS0_14default_configENS1_35radix_sort_onesweep_config_selectorIiiEEZZNS1_29radix_sort_onesweep_iterationIS3_Lb0EN6thrust23THRUST_200600_302600_NS6detail15normal_iteratorINS8_10device_ptrIiEEEESD_SD_SD_jNS0_19identity_decomposerENS1_16block_id_wrapperIjLb1EEEEE10hipError_tT1_PNSt15iterator_traitsISI_E10value_typeET2_T3_PNSJ_ISO_E10value_typeET4_T5_PST_SU_PNS1_23onesweep_lookback_stateEbbT6_jjT7_P12ihipStream_tbENKUlT_T0_SI_SN_E_clISD_SD_SD_SD_EEDaS11_S12_SI_SN_EUlS11_E_NS1_11comp_targetILNS1_3genE10ELNS1_11target_archE1201ELNS1_3gpuE5ELNS1_3repE0EEENS1_47radix_sort_onesweep_sort_config_static_selectorELNS0_4arch9wavefront6targetE0EEEvSI_
		.amdhsa_group_segment_fixed_size 0
		.amdhsa_private_segment_fixed_size 0
		.amdhsa_kernarg_size 88
		.amdhsa_user_sgpr_count 6
		.amdhsa_user_sgpr_private_segment_buffer 1
		.amdhsa_user_sgpr_dispatch_ptr 0
		.amdhsa_user_sgpr_queue_ptr 0
		.amdhsa_user_sgpr_kernarg_segment_ptr 1
		.amdhsa_user_sgpr_dispatch_id 0
		.amdhsa_user_sgpr_flat_scratch_init 0
		.amdhsa_user_sgpr_private_segment_size 0
		.amdhsa_wavefront_size32 1
		.amdhsa_uses_dynamic_stack 0
		.amdhsa_system_sgpr_private_segment_wavefront_offset 0
		.amdhsa_system_sgpr_workgroup_id_x 1
		.amdhsa_system_sgpr_workgroup_id_y 0
		.amdhsa_system_sgpr_workgroup_id_z 0
		.amdhsa_system_sgpr_workgroup_info 0
		.amdhsa_system_vgpr_workitem_id 0
		.amdhsa_next_free_vgpr 1
		.amdhsa_next_free_sgpr 1
		.amdhsa_reserve_vcc 0
		.amdhsa_reserve_flat_scratch 0
		.amdhsa_float_round_mode_32 0
		.amdhsa_float_round_mode_16_64 0
		.amdhsa_float_denorm_mode_32 3
		.amdhsa_float_denorm_mode_16_64 3
		.amdhsa_dx10_clamp 1
		.amdhsa_ieee_mode 1
		.amdhsa_fp16_overflow 0
		.amdhsa_workgroup_processor_mode 1
		.amdhsa_memory_ordered 1
		.amdhsa_forward_progress 1
		.amdhsa_shared_vgpr_count 0
		.amdhsa_exception_fp_ieee_invalid_op 0
		.amdhsa_exception_fp_denorm_src 0
		.amdhsa_exception_fp_ieee_div_zero 0
		.amdhsa_exception_fp_ieee_overflow 0
		.amdhsa_exception_fp_ieee_underflow 0
		.amdhsa_exception_fp_ieee_inexact 0
		.amdhsa_exception_int_div_zero 0
	.end_amdhsa_kernel
	.section	.text._ZN7rocprim17ROCPRIM_400000_NS6detail17trampoline_kernelINS0_14default_configENS1_35radix_sort_onesweep_config_selectorIiiEEZZNS1_29radix_sort_onesweep_iterationIS3_Lb0EN6thrust23THRUST_200600_302600_NS6detail15normal_iteratorINS8_10device_ptrIiEEEESD_SD_SD_jNS0_19identity_decomposerENS1_16block_id_wrapperIjLb1EEEEE10hipError_tT1_PNSt15iterator_traitsISI_E10value_typeET2_T3_PNSJ_ISO_E10value_typeET4_T5_PST_SU_PNS1_23onesweep_lookback_stateEbbT6_jjT7_P12ihipStream_tbENKUlT_T0_SI_SN_E_clISD_SD_SD_SD_EEDaS11_S12_SI_SN_EUlS11_E_NS1_11comp_targetILNS1_3genE10ELNS1_11target_archE1201ELNS1_3gpuE5ELNS1_3repE0EEENS1_47radix_sort_onesweep_sort_config_static_selectorELNS0_4arch9wavefront6targetE0EEEvSI_,"axG",@progbits,_ZN7rocprim17ROCPRIM_400000_NS6detail17trampoline_kernelINS0_14default_configENS1_35radix_sort_onesweep_config_selectorIiiEEZZNS1_29radix_sort_onesweep_iterationIS3_Lb0EN6thrust23THRUST_200600_302600_NS6detail15normal_iteratorINS8_10device_ptrIiEEEESD_SD_SD_jNS0_19identity_decomposerENS1_16block_id_wrapperIjLb1EEEEE10hipError_tT1_PNSt15iterator_traitsISI_E10value_typeET2_T3_PNSJ_ISO_E10value_typeET4_T5_PST_SU_PNS1_23onesweep_lookback_stateEbbT6_jjT7_P12ihipStream_tbENKUlT_T0_SI_SN_E_clISD_SD_SD_SD_EEDaS11_S12_SI_SN_EUlS11_E_NS1_11comp_targetILNS1_3genE10ELNS1_11target_archE1201ELNS1_3gpuE5ELNS1_3repE0EEENS1_47radix_sort_onesweep_sort_config_static_selectorELNS0_4arch9wavefront6targetE0EEEvSI_,comdat
.Lfunc_end828:
	.size	_ZN7rocprim17ROCPRIM_400000_NS6detail17trampoline_kernelINS0_14default_configENS1_35radix_sort_onesweep_config_selectorIiiEEZZNS1_29radix_sort_onesweep_iterationIS3_Lb0EN6thrust23THRUST_200600_302600_NS6detail15normal_iteratorINS8_10device_ptrIiEEEESD_SD_SD_jNS0_19identity_decomposerENS1_16block_id_wrapperIjLb1EEEEE10hipError_tT1_PNSt15iterator_traitsISI_E10value_typeET2_T3_PNSJ_ISO_E10value_typeET4_T5_PST_SU_PNS1_23onesweep_lookback_stateEbbT6_jjT7_P12ihipStream_tbENKUlT_T0_SI_SN_E_clISD_SD_SD_SD_EEDaS11_S12_SI_SN_EUlS11_E_NS1_11comp_targetILNS1_3genE10ELNS1_11target_archE1201ELNS1_3gpuE5ELNS1_3repE0EEENS1_47radix_sort_onesweep_sort_config_static_selectorELNS0_4arch9wavefront6targetE0EEEvSI_, .Lfunc_end828-_ZN7rocprim17ROCPRIM_400000_NS6detail17trampoline_kernelINS0_14default_configENS1_35radix_sort_onesweep_config_selectorIiiEEZZNS1_29radix_sort_onesweep_iterationIS3_Lb0EN6thrust23THRUST_200600_302600_NS6detail15normal_iteratorINS8_10device_ptrIiEEEESD_SD_SD_jNS0_19identity_decomposerENS1_16block_id_wrapperIjLb1EEEEE10hipError_tT1_PNSt15iterator_traitsISI_E10value_typeET2_T3_PNSJ_ISO_E10value_typeET4_T5_PST_SU_PNS1_23onesweep_lookback_stateEbbT6_jjT7_P12ihipStream_tbENKUlT_T0_SI_SN_E_clISD_SD_SD_SD_EEDaS11_S12_SI_SN_EUlS11_E_NS1_11comp_targetILNS1_3genE10ELNS1_11target_archE1201ELNS1_3gpuE5ELNS1_3repE0EEENS1_47radix_sort_onesweep_sort_config_static_selectorELNS0_4arch9wavefront6targetE0EEEvSI_
                                        ; -- End function
	.set _ZN7rocprim17ROCPRIM_400000_NS6detail17trampoline_kernelINS0_14default_configENS1_35radix_sort_onesweep_config_selectorIiiEEZZNS1_29radix_sort_onesweep_iterationIS3_Lb0EN6thrust23THRUST_200600_302600_NS6detail15normal_iteratorINS8_10device_ptrIiEEEESD_SD_SD_jNS0_19identity_decomposerENS1_16block_id_wrapperIjLb1EEEEE10hipError_tT1_PNSt15iterator_traitsISI_E10value_typeET2_T3_PNSJ_ISO_E10value_typeET4_T5_PST_SU_PNS1_23onesweep_lookback_stateEbbT6_jjT7_P12ihipStream_tbENKUlT_T0_SI_SN_E_clISD_SD_SD_SD_EEDaS11_S12_SI_SN_EUlS11_E_NS1_11comp_targetILNS1_3genE10ELNS1_11target_archE1201ELNS1_3gpuE5ELNS1_3repE0EEENS1_47radix_sort_onesweep_sort_config_static_selectorELNS0_4arch9wavefront6targetE0EEEvSI_.num_vgpr, 0
	.set _ZN7rocprim17ROCPRIM_400000_NS6detail17trampoline_kernelINS0_14default_configENS1_35radix_sort_onesweep_config_selectorIiiEEZZNS1_29radix_sort_onesweep_iterationIS3_Lb0EN6thrust23THRUST_200600_302600_NS6detail15normal_iteratorINS8_10device_ptrIiEEEESD_SD_SD_jNS0_19identity_decomposerENS1_16block_id_wrapperIjLb1EEEEE10hipError_tT1_PNSt15iterator_traitsISI_E10value_typeET2_T3_PNSJ_ISO_E10value_typeET4_T5_PST_SU_PNS1_23onesweep_lookback_stateEbbT6_jjT7_P12ihipStream_tbENKUlT_T0_SI_SN_E_clISD_SD_SD_SD_EEDaS11_S12_SI_SN_EUlS11_E_NS1_11comp_targetILNS1_3genE10ELNS1_11target_archE1201ELNS1_3gpuE5ELNS1_3repE0EEENS1_47radix_sort_onesweep_sort_config_static_selectorELNS0_4arch9wavefront6targetE0EEEvSI_.num_agpr, 0
	.set _ZN7rocprim17ROCPRIM_400000_NS6detail17trampoline_kernelINS0_14default_configENS1_35radix_sort_onesweep_config_selectorIiiEEZZNS1_29radix_sort_onesweep_iterationIS3_Lb0EN6thrust23THRUST_200600_302600_NS6detail15normal_iteratorINS8_10device_ptrIiEEEESD_SD_SD_jNS0_19identity_decomposerENS1_16block_id_wrapperIjLb1EEEEE10hipError_tT1_PNSt15iterator_traitsISI_E10value_typeET2_T3_PNSJ_ISO_E10value_typeET4_T5_PST_SU_PNS1_23onesweep_lookback_stateEbbT6_jjT7_P12ihipStream_tbENKUlT_T0_SI_SN_E_clISD_SD_SD_SD_EEDaS11_S12_SI_SN_EUlS11_E_NS1_11comp_targetILNS1_3genE10ELNS1_11target_archE1201ELNS1_3gpuE5ELNS1_3repE0EEENS1_47radix_sort_onesweep_sort_config_static_selectorELNS0_4arch9wavefront6targetE0EEEvSI_.numbered_sgpr, 0
	.set _ZN7rocprim17ROCPRIM_400000_NS6detail17trampoline_kernelINS0_14default_configENS1_35radix_sort_onesweep_config_selectorIiiEEZZNS1_29radix_sort_onesweep_iterationIS3_Lb0EN6thrust23THRUST_200600_302600_NS6detail15normal_iteratorINS8_10device_ptrIiEEEESD_SD_SD_jNS0_19identity_decomposerENS1_16block_id_wrapperIjLb1EEEEE10hipError_tT1_PNSt15iterator_traitsISI_E10value_typeET2_T3_PNSJ_ISO_E10value_typeET4_T5_PST_SU_PNS1_23onesweep_lookback_stateEbbT6_jjT7_P12ihipStream_tbENKUlT_T0_SI_SN_E_clISD_SD_SD_SD_EEDaS11_S12_SI_SN_EUlS11_E_NS1_11comp_targetILNS1_3genE10ELNS1_11target_archE1201ELNS1_3gpuE5ELNS1_3repE0EEENS1_47radix_sort_onesweep_sort_config_static_selectorELNS0_4arch9wavefront6targetE0EEEvSI_.num_named_barrier, 0
	.set _ZN7rocprim17ROCPRIM_400000_NS6detail17trampoline_kernelINS0_14default_configENS1_35radix_sort_onesweep_config_selectorIiiEEZZNS1_29radix_sort_onesweep_iterationIS3_Lb0EN6thrust23THRUST_200600_302600_NS6detail15normal_iteratorINS8_10device_ptrIiEEEESD_SD_SD_jNS0_19identity_decomposerENS1_16block_id_wrapperIjLb1EEEEE10hipError_tT1_PNSt15iterator_traitsISI_E10value_typeET2_T3_PNSJ_ISO_E10value_typeET4_T5_PST_SU_PNS1_23onesweep_lookback_stateEbbT6_jjT7_P12ihipStream_tbENKUlT_T0_SI_SN_E_clISD_SD_SD_SD_EEDaS11_S12_SI_SN_EUlS11_E_NS1_11comp_targetILNS1_3genE10ELNS1_11target_archE1201ELNS1_3gpuE5ELNS1_3repE0EEENS1_47radix_sort_onesweep_sort_config_static_selectorELNS0_4arch9wavefront6targetE0EEEvSI_.private_seg_size, 0
	.set _ZN7rocprim17ROCPRIM_400000_NS6detail17trampoline_kernelINS0_14default_configENS1_35radix_sort_onesweep_config_selectorIiiEEZZNS1_29radix_sort_onesweep_iterationIS3_Lb0EN6thrust23THRUST_200600_302600_NS6detail15normal_iteratorINS8_10device_ptrIiEEEESD_SD_SD_jNS0_19identity_decomposerENS1_16block_id_wrapperIjLb1EEEEE10hipError_tT1_PNSt15iterator_traitsISI_E10value_typeET2_T3_PNSJ_ISO_E10value_typeET4_T5_PST_SU_PNS1_23onesweep_lookback_stateEbbT6_jjT7_P12ihipStream_tbENKUlT_T0_SI_SN_E_clISD_SD_SD_SD_EEDaS11_S12_SI_SN_EUlS11_E_NS1_11comp_targetILNS1_3genE10ELNS1_11target_archE1201ELNS1_3gpuE5ELNS1_3repE0EEENS1_47radix_sort_onesweep_sort_config_static_selectorELNS0_4arch9wavefront6targetE0EEEvSI_.uses_vcc, 0
	.set _ZN7rocprim17ROCPRIM_400000_NS6detail17trampoline_kernelINS0_14default_configENS1_35radix_sort_onesweep_config_selectorIiiEEZZNS1_29radix_sort_onesweep_iterationIS3_Lb0EN6thrust23THRUST_200600_302600_NS6detail15normal_iteratorINS8_10device_ptrIiEEEESD_SD_SD_jNS0_19identity_decomposerENS1_16block_id_wrapperIjLb1EEEEE10hipError_tT1_PNSt15iterator_traitsISI_E10value_typeET2_T3_PNSJ_ISO_E10value_typeET4_T5_PST_SU_PNS1_23onesweep_lookback_stateEbbT6_jjT7_P12ihipStream_tbENKUlT_T0_SI_SN_E_clISD_SD_SD_SD_EEDaS11_S12_SI_SN_EUlS11_E_NS1_11comp_targetILNS1_3genE10ELNS1_11target_archE1201ELNS1_3gpuE5ELNS1_3repE0EEENS1_47radix_sort_onesweep_sort_config_static_selectorELNS0_4arch9wavefront6targetE0EEEvSI_.uses_flat_scratch, 0
	.set _ZN7rocprim17ROCPRIM_400000_NS6detail17trampoline_kernelINS0_14default_configENS1_35radix_sort_onesweep_config_selectorIiiEEZZNS1_29radix_sort_onesweep_iterationIS3_Lb0EN6thrust23THRUST_200600_302600_NS6detail15normal_iteratorINS8_10device_ptrIiEEEESD_SD_SD_jNS0_19identity_decomposerENS1_16block_id_wrapperIjLb1EEEEE10hipError_tT1_PNSt15iterator_traitsISI_E10value_typeET2_T3_PNSJ_ISO_E10value_typeET4_T5_PST_SU_PNS1_23onesweep_lookback_stateEbbT6_jjT7_P12ihipStream_tbENKUlT_T0_SI_SN_E_clISD_SD_SD_SD_EEDaS11_S12_SI_SN_EUlS11_E_NS1_11comp_targetILNS1_3genE10ELNS1_11target_archE1201ELNS1_3gpuE5ELNS1_3repE0EEENS1_47radix_sort_onesweep_sort_config_static_selectorELNS0_4arch9wavefront6targetE0EEEvSI_.has_dyn_sized_stack, 0
	.set _ZN7rocprim17ROCPRIM_400000_NS6detail17trampoline_kernelINS0_14default_configENS1_35radix_sort_onesweep_config_selectorIiiEEZZNS1_29radix_sort_onesweep_iterationIS3_Lb0EN6thrust23THRUST_200600_302600_NS6detail15normal_iteratorINS8_10device_ptrIiEEEESD_SD_SD_jNS0_19identity_decomposerENS1_16block_id_wrapperIjLb1EEEEE10hipError_tT1_PNSt15iterator_traitsISI_E10value_typeET2_T3_PNSJ_ISO_E10value_typeET4_T5_PST_SU_PNS1_23onesweep_lookback_stateEbbT6_jjT7_P12ihipStream_tbENKUlT_T0_SI_SN_E_clISD_SD_SD_SD_EEDaS11_S12_SI_SN_EUlS11_E_NS1_11comp_targetILNS1_3genE10ELNS1_11target_archE1201ELNS1_3gpuE5ELNS1_3repE0EEENS1_47radix_sort_onesweep_sort_config_static_selectorELNS0_4arch9wavefront6targetE0EEEvSI_.has_recursion, 0
	.set _ZN7rocprim17ROCPRIM_400000_NS6detail17trampoline_kernelINS0_14default_configENS1_35radix_sort_onesweep_config_selectorIiiEEZZNS1_29radix_sort_onesweep_iterationIS3_Lb0EN6thrust23THRUST_200600_302600_NS6detail15normal_iteratorINS8_10device_ptrIiEEEESD_SD_SD_jNS0_19identity_decomposerENS1_16block_id_wrapperIjLb1EEEEE10hipError_tT1_PNSt15iterator_traitsISI_E10value_typeET2_T3_PNSJ_ISO_E10value_typeET4_T5_PST_SU_PNS1_23onesweep_lookback_stateEbbT6_jjT7_P12ihipStream_tbENKUlT_T0_SI_SN_E_clISD_SD_SD_SD_EEDaS11_S12_SI_SN_EUlS11_E_NS1_11comp_targetILNS1_3genE10ELNS1_11target_archE1201ELNS1_3gpuE5ELNS1_3repE0EEENS1_47radix_sort_onesweep_sort_config_static_selectorELNS0_4arch9wavefront6targetE0EEEvSI_.has_indirect_call, 0
	.section	.AMDGPU.csdata,"",@progbits
; Kernel info:
; codeLenInByte = 0
; TotalNumSgprs: 0
; NumVgprs: 0
; ScratchSize: 0
; MemoryBound: 0
; FloatMode: 240
; IeeeMode: 1
; LDSByteSize: 0 bytes/workgroup (compile time only)
; SGPRBlocks: 0
; VGPRBlocks: 0
; NumSGPRsForWavesPerEU: 1
; NumVGPRsForWavesPerEU: 1
; Occupancy: 16
; WaveLimiterHint : 0
; COMPUTE_PGM_RSRC2:SCRATCH_EN: 0
; COMPUTE_PGM_RSRC2:USER_SGPR: 6
; COMPUTE_PGM_RSRC2:TRAP_HANDLER: 0
; COMPUTE_PGM_RSRC2:TGID_X_EN: 1
; COMPUTE_PGM_RSRC2:TGID_Y_EN: 0
; COMPUTE_PGM_RSRC2:TGID_Z_EN: 0
; COMPUTE_PGM_RSRC2:TIDIG_COMP_CNT: 0
	.section	.text._ZN7rocprim17ROCPRIM_400000_NS6detail17trampoline_kernelINS0_14default_configENS1_35radix_sort_onesweep_config_selectorIiiEEZZNS1_29radix_sort_onesweep_iterationIS3_Lb0EN6thrust23THRUST_200600_302600_NS6detail15normal_iteratorINS8_10device_ptrIiEEEESD_SD_SD_jNS0_19identity_decomposerENS1_16block_id_wrapperIjLb1EEEEE10hipError_tT1_PNSt15iterator_traitsISI_E10value_typeET2_T3_PNSJ_ISO_E10value_typeET4_T5_PST_SU_PNS1_23onesweep_lookback_stateEbbT6_jjT7_P12ihipStream_tbENKUlT_T0_SI_SN_E_clISD_SD_SD_SD_EEDaS11_S12_SI_SN_EUlS11_E_NS1_11comp_targetILNS1_3genE9ELNS1_11target_archE1100ELNS1_3gpuE3ELNS1_3repE0EEENS1_47radix_sort_onesweep_sort_config_static_selectorELNS0_4arch9wavefront6targetE0EEEvSI_,"axG",@progbits,_ZN7rocprim17ROCPRIM_400000_NS6detail17trampoline_kernelINS0_14default_configENS1_35radix_sort_onesweep_config_selectorIiiEEZZNS1_29radix_sort_onesweep_iterationIS3_Lb0EN6thrust23THRUST_200600_302600_NS6detail15normal_iteratorINS8_10device_ptrIiEEEESD_SD_SD_jNS0_19identity_decomposerENS1_16block_id_wrapperIjLb1EEEEE10hipError_tT1_PNSt15iterator_traitsISI_E10value_typeET2_T3_PNSJ_ISO_E10value_typeET4_T5_PST_SU_PNS1_23onesweep_lookback_stateEbbT6_jjT7_P12ihipStream_tbENKUlT_T0_SI_SN_E_clISD_SD_SD_SD_EEDaS11_S12_SI_SN_EUlS11_E_NS1_11comp_targetILNS1_3genE9ELNS1_11target_archE1100ELNS1_3gpuE3ELNS1_3repE0EEENS1_47radix_sort_onesweep_sort_config_static_selectorELNS0_4arch9wavefront6targetE0EEEvSI_,comdat
	.protected	_ZN7rocprim17ROCPRIM_400000_NS6detail17trampoline_kernelINS0_14default_configENS1_35radix_sort_onesweep_config_selectorIiiEEZZNS1_29radix_sort_onesweep_iterationIS3_Lb0EN6thrust23THRUST_200600_302600_NS6detail15normal_iteratorINS8_10device_ptrIiEEEESD_SD_SD_jNS0_19identity_decomposerENS1_16block_id_wrapperIjLb1EEEEE10hipError_tT1_PNSt15iterator_traitsISI_E10value_typeET2_T3_PNSJ_ISO_E10value_typeET4_T5_PST_SU_PNS1_23onesweep_lookback_stateEbbT6_jjT7_P12ihipStream_tbENKUlT_T0_SI_SN_E_clISD_SD_SD_SD_EEDaS11_S12_SI_SN_EUlS11_E_NS1_11comp_targetILNS1_3genE9ELNS1_11target_archE1100ELNS1_3gpuE3ELNS1_3repE0EEENS1_47radix_sort_onesweep_sort_config_static_selectorELNS0_4arch9wavefront6targetE0EEEvSI_ ; -- Begin function _ZN7rocprim17ROCPRIM_400000_NS6detail17trampoline_kernelINS0_14default_configENS1_35radix_sort_onesweep_config_selectorIiiEEZZNS1_29radix_sort_onesweep_iterationIS3_Lb0EN6thrust23THRUST_200600_302600_NS6detail15normal_iteratorINS8_10device_ptrIiEEEESD_SD_SD_jNS0_19identity_decomposerENS1_16block_id_wrapperIjLb1EEEEE10hipError_tT1_PNSt15iterator_traitsISI_E10value_typeET2_T3_PNSJ_ISO_E10value_typeET4_T5_PST_SU_PNS1_23onesweep_lookback_stateEbbT6_jjT7_P12ihipStream_tbENKUlT_T0_SI_SN_E_clISD_SD_SD_SD_EEDaS11_S12_SI_SN_EUlS11_E_NS1_11comp_targetILNS1_3genE9ELNS1_11target_archE1100ELNS1_3gpuE3ELNS1_3repE0EEENS1_47radix_sort_onesweep_sort_config_static_selectorELNS0_4arch9wavefront6targetE0EEEvSI_
	.globl	_ZN7rocprim17ROCPRIM_400000_NS6detail17trampoline_kernelINS0_14default_configENS1_35radix_sort_onesweep_config_selectorIiiEEZZNS1_29radix_sort_onesweep_iterationIS3_Lb0EN6thrust23THRUST_200600_302600_NS6detail15normal_iteratorINS8_10device_ptrIiEEEESD_SD_SD_jNS0_19identity_decomposerENS1_16block_id_wrapperIjLb1EEEEE10hipError_tT1_PNSt15iterator_traitsISI_E10value_typeET2_T3_PNSJ_ISO_E10value_typeET4_T5_PST_SU_PNS1_23onesweep_lookback_stateEbbT6_jjT7_P12ihipStream_tbENKUlT_T0_SI_SN_E_clISD_SD_SD_SD_EEDaS11_S12_SI_SN_EUlS11_E_NS1_11comp_targetILNS1_3genE9ELNS1_11target_archE1100ELNS1_3gpuE3ELNS1_3repE0EEENS1_47radix_sort_onesweep_sort_config_static_selectorELNS0_4arch9wavefront6targetE0EEEvSI_
	.p2align	8
	.type	_ZN7rocprim17ROCPRIM_400000_NS6detail17trampoline_kernelINS0_14default_configENS1_35radix_sort_onesweep_config_selectorIiiEEZZNS1_29radix_sort_onesweep_iterationIS3_Lb0EN6thrust23THRUST_200600_302600_NS6detail15normal_iteratorINS8_10device_ptrIiEEEESD_SD_SD_jNS0_19identity_decomposerENS1_16block_id_wrapperIjLb1EEEEE10hipError_tT1_PNSt15iterator_traitsISI_E10value_typeET2_T3_PNSJ_ISO_E10value_typeET4_T5_PST_SU_PNS1_23onesweep_lookback_stateEbbT6_jjT7_P12ihipStream_tbENKUlT_T0_SI_SN_E_clISD_SD_SD_SD_EEDaS11_S12_SI_SN_EUlS11_E_NS1_11comp_targetILNS1_3genE9ELNS1_11target_archE1100ELNS1_3gpuE3ELNS1_3repE0EEENS1_47radix_sort_onesweep_sort_config_static_selectorELNS0_4arch9wavefront6targetE0EEEvSI_,@function
_ZN7rocprim17ROCPRIM_400000_NS6detail17trampoline_kernelINS0_14default_configENS1_35radix_sort_onesweep_config_selectorIiiEEZZNS1_29radix_sort_onesweep_iterationIS3_Lb0EN6thrust23THRUST_200600_302600_NS6detail15normal_iteratorINS8_10device_ptrIiEEEESD_SD_SD_jNS0_19identity_decomposerENS1_16block_id_wrapperIjLb1EEEEE10hipError_tT1_PNSt15iterator_traitsISI_E10value_typeET2_T3_PNSJ_ISO_E10value_typeET4_T5_PST_SU_PNS1_23onesweep_lookback_stateEbbT6_jjT7_P12ihipStream_tbENKUlT_T0_SI_SN_E_clISD_SD_SD_SD_EEDaS11_S12_SI_SN_EUlS11_E_NS1_11comp_targetILNS1_3genE9ELNS1_11target_archE1100ELNS1_3gpuE3ELNS1_3repE0EEENS1_47radix_sort_onesweep_sort_config_static_selectorELNS0_4arch9wavefront6targetE0EEEvSI_: ; @_ZN7rocprim17ROCPRIM_400000_NS6detail17trampoline_kernelINS0_14default_configENS1_35radix_sort_onesweep_config_selectorIiiEEZZNS1_29radix_sort_onesweep_iterationIS3_Lb0EN6thrust23THRUST_200600_302600_NS6detail15normal_iteratorINS8_10device_ptrIiEEEESD_SD_SD_jNS0_19identity_decomposerENS1_16block_id_wrapperIjLb1EEEEE10hipError_tT1_PNSt15iterator_traitsISI_E10value_typeET2_T3_PNSJ_ISO_E10value_typeET4_T5_PST_SU_PNS1_23onesweep_lookback_stateEbbT6_jjT7_P12ihipStream_tbENKUlT_T0_SI_SN_E_clISD_SD_SD_SD_EEDaS11_S12_SI_SN_EUlS11_E_NS1_11comp_targetILNS1_3genE9ELNS1_11target_archE1100ELNS1_3gpuE3ELNS1_3repE0EEENS1_47radix_sort_onesweep_sort_config_static_selectorELNS0_4arch9wavefront6targetE0EEEvSI_
; %bb.0:
	.section	.rodata,"a",@progbits
	.p2align	6, 0x0
	.amdhsa_kernel _ZN7rocprim17ROCPRIM_400000_NS6detail17trampoline_kernelINS0_14default_configENS1_35radix_sort_onesweep_config_selectorIiiEEZZNS1_29radix_sort_onesweep_iterationIS3_Lb0EN6thrust23THRUST_200600_302600_NS6detail15normal_iteratorINS8_10device_ptrIiEEEESD_SD_SD_jNS0_19identity_decomposerENS1_16block_id_wrapperIjLb1EEEEE10hipError_tT1_PNSt15iterator_traitsISI_E10value_typeET2_T3_PNSJ_ISO_E10value_typeET4_T5_PST_SU_PNS1_23onesweep_lookback_stateEbbT6_jjT7_P12ihipStream_tbENKUlT_T0_SI_SN_E_clISD_SD_SD_SD_EEDaS11_S12_SI_SN_EUlS11_E_NS1_11comp_targetILNS1_3genE9ELNS1_11target_archE1100ELNS1_3gpuE3ELNS1_3repE0EEENS1_47radix_sort_onesweep_sort_config_static_selectorELNS0_4arch9wavefront6targetE0EEEvSI_
		.amdhsa_group_segment_fixed_size 0
		.amdhsa_private_segment_fixed_size 0
		.amdhsa_kernarg_size 88
		.amdhsa_user_sgpr_count 6
		.amdhsa_user_sgpr_private_segment_buffer 1
		.amdhsa_user_sgpr_dispatch_ptr 0
		.amdhsa_user_sgpr_queue_ptr 0
		.amdhsa_user_sgpr_kernarg_segment_ptr 1
		.amdhsa_user_sgpr_dispatch_id 0
		.amdhsa_user_sgpr_flat_scratch_init 0
		.amdhsa_user_sgpr_private_segment_size 0
		.amdhsa_wavefront_size32 1
		.amdhsa_uses_dynamic_stack 0
		.amdhsa_system_sgpr_private_segment_wavefront_offset 0
		.amdhsa_system_sgpr_workgroup_id_x 1
		.amdhsa_system_sgpr_workgroup_id_y 0
		.amdhsa_system_sgpr_workgroup_id_z 0
		.amdhsa_system_sgpr_workgroup_info 0
		.amdhsa_system_vgpr_workitem_id 0
		.amdhsa_next_free_vgpr 1
		.amdhsa_next_free_sgpr 1
		.amdhsa_reserve_vcc 0
		.amdhsa_reserve_flat_scratch 0
		.amdhsa_float_round_mode_32 0
		.amdhsa_float_round_mode_16_64 0
		.amdhsa_float_denorm_mode_32 3
		.amdhsa_float_denorm_mode_16_64 3
		.amdhsa_dx10_clamp 1
		.amdhsa_ieee_mode 1
		.amdhsa_fp16_overflow 0
		.amdhsa_workgroup_processor_mode 1
		.amdhsa_memory_ordered 1
		.amdhsa_forward_progress 1
		.amdhsa_shared_vgpr_count 0
		.amdhsa_exception_fp_ieee_invalid_op 0
		.amdhsa_exception_fp_denorm_src 0
		.amdhsa_exception_fp_ieee_div_zero 0
		.amdhsa_exception_fp_ieee_overflow 0
		.amdhsa_exception_fp_ieee_underflow 0
		.amdhsa_exception_fp_ieee_inexact 0
		.amdhsa_exception_int_div_zero 0
	.end_amdhsa_kernel
	.section	.text._ZN7rocprim17ROCPRIM_400000_NS6detail17trampoline_kernelINS0_14default_configENS1_35radix_sort_onesweep_config_selectorIiiEEZZNS1_29radix_sort_onesweep_iterationIS3_Lb0EN6thrust23THRUST_200600_302600_NS6detail15normal_iteratorINS8_10device_ptrIiEEEESD_SD_SD_jNS0_19identity_decomposerENS1_16block_id_wrapperIjLb1EEEEE10hipError_tT1_PNSt15iterator_traitsISI_E10value_typeET2_T3_PNSJ_ISO_E10value_typeET4_T5_PST_SU_PNS1_23onesweep_lookback_stateEbbT6_jjT7_P12ihipStream_tbENKUlT_T0_SI_SN_E_clISD_SD_SD_SD_EEDaS11_S12_SI_SN_EUlS11_E_NS1_11comp_targetILNS1_3genE9ELNS1_11target_archE1100ELNS1_3gpuE3ELNS1_3repE0EEENS1_47radix_sort_onesweep_sort_config_static_selectorELNS0_4arch9wavefront6targetE0EEEvSI_,"axG",@progbits,_ZN7rocprim17ROCPRIM_400000_NS6detail17trampoline_kernelINS0_14default_configENS1_35radix_sort_onesweep_config_selectorIiiEEZZNS1_29radix_sort_onesweep_iterationIS3_Lb0EN6thrust23THRUST_200600_302600_NS6detail15normal_iteratorINS8_10device_ptrIiEEEESD_SD_SD_jNS0_19identity_decomposerENS1_16block_id_wrapperIjLb1EEEEE10hipError_tT1_PNSt15iterator_traitsISI_E10value_typeET2_T3_PNSJ_ISO_E10value_typeET4_T5_PST_SU_PNS1_23onesweep_lookback_stateEbbT6_jjT7_P12ihipStream_tbENKUlT_T0_SI_SN_E_clISD_SD_SD_SD_EEDaS11_S12_SI_SN_EUlS11_E_NS1_11comp_targetILNS1_3genE9ELNS1_11target_archE1100ELNS1_3gpuE3ELNS1_3repE0EEENS1_47radix_sort_onesweep_sort_config_static_selectorELNS0_4arch9wavefront6targetE0EEEvSI_,comdat
.Lfunc_end829:
	.size	_ZN7rocprim17ROCPRIM_400000_NS6detail17trampoline_kernelINS0_14default_configENS1_35radix_sort_onesweep_config_selectorIiiEEZZNS1_29radix_sort_onesweep_iterationIS3_Lb0EN6thrust23THRUST_200600_302600_NS6detail15normal_iteratorINS8_10device_ptrIiEEEESD_SD_SD_jNS0_19identity_decomposerENS1_16block_id_wrapperIjLb1EEEEE10hipError_tT1_PNSt15iterator_traitsISI_E10value_typeET2_T3_PNSJ_ISO_E10value_typeET4_T5_PST_SU_PNS1_23onesweep_lookback_stateEbbT6_jjT7_P12ihipStream_tbENKUlT_T0_SI_SN_E_clISD_SD_SD_SD_EEDaS11_S12_SI_SN_EUlS11_E_NS1_11comp_targetILNS1_3genE9ELNS1_11target_archE1100ELNS1_3gpuE3ELNS1_3repE0EEENS1_47radix_sort_onesweep_sort_config_static_selectorELNS0_4arch9wavefront6targetE0EEEvSI_, .Lfunc_end829-_ZN7rocprim17ROCPRIM_400000_NS6detail17trampoline_kernelINS0_14default_configENS1_35radix_sort_onesweep_config_selectorIiiEEZZNS1_29radix_sort_onesweep_iterationIS3_Lb0EN6thrust23THRUST_200600_302600_NS6detail15normal_iteratorINS8_10device_ptrIiEEEESD_SD_SD_jNS0_19identity_decomposerENS1_16block_id_wrapperIjLb1EEEEE10hipError_tT1_PNSt15iterator_traitsISI_E10value_typeET2_T3_PNSJ_ISO_E10value_typeET4_T5_PST_SU_PNS1_23onesweep_lookback_stateEbbT6_jjT7_P12ihipStream_tbENKUlT_T0_SI_SN_E_clISD_SD_SD_SD_EEDaS11_S12_SI_SN_EUlS11_E_NS1_11comp_targetILNS1_3genE9ELNS1_11target_archE1100ELNS1_3gpuE3ELNS1_3repE0EEENS1_47radix_sort_onesweep_sort_config_static_selectorELNS0_4arch9wavefront6targetE0EEEvSI_
                                        ; -- End function
	.set _ZN7rocprim17ROCPRIM_400000_NS6detail17trampoline_kernelINS0_14default_configENS1_35radix_sort_onesweep_config_selectorIiiEEZZNS1_29radix_sort_onesweep_iterationIS3_Lb0EN6thrust23THRUST_200600_302600_NS6detail15normal_iteratorINS8_10device_ptrIiEEEESD_SD_SD_jNS0_19identity_decomposerENS1_16block_id_wrapperIjLb1EEEEE10hipError_tT1_PNSt15iterator_traitsISI_E10value_typeET2_T3_PNSJ_ISO_E10value_typeET4_T5_PST_SU_PNS1_23onesweep_lookback_stateEbbT6_jjT7_P12ihipStream_tbENKUlT_T0_SI_SN_E_clISD_SD_SD_SD_EEDaS11_S12_SI_SN_EUlS11_E_NS1_11comp_targetILNS1_3genE9ELNS1_11target_archE1100ELNS1_3gpuE3ELNS1_3repE0EEENS1_47radix_sort_onesweep_sort_config_static_selectorELNS0_4arch9wavefront6targetE0EEEvSI_.num_vgpr, 0
	.set _ZN7rocprim17ROCPRIM_400000_NS6detail17trampoline_kernelINS0_14default_configENS1_35radix_sort_onesweep_config_selectorIiiEEZZNS1_29radix_sort_onesweep_iterationIS3_Lb0EN6thrust23THRUST_200600_302600_NS6detail15normal_iteratorINS8_10device_ptrIiEEEESD_SD_SD_jNS0_19identity_decomposerENS1_16block_id_wrapperIjLb1EEEEE10hipError_tT1_PNSt15iterator_traitsISI_E10value_typeET2_T3_PNSJ_ISO_E10value_typeET4_T5_PST_SU_PNS1_23onesweep_lookback_stateEbbT6_jjT7_P12ihipStream_tbENKUlT_T0_SI_SN_E_clISD_SD_SD_SD_EEDaS11_S12_SI_SN_EUlS11_E_NS1_11comp_targetILNS1_3genE9ELNS1_11target_archE1100ELNS1_3gpuE3ELNS1_3repE0EEENS1_47radix_sort_onesweep_sort_config_static_selectorELNS0_4arch9wavefront6targetE0EEEvSI_.num_agpr, 0
	.set _ZN7rocprim17ROCPRIM_400000_NS6detail17trampoline_kernelINS0_14default_configENS1_35radix_sort_onesweep_config_selectorIiiEEZZNS1_29radix_sort_onesweep_iterationIS3_Lb0EN6thrust23THRUST_200600_302600_NS6detail15normal_iteratorINS8_10device_ptrIiEEEESD_SD_SD_jNS0_19identity_decomposerENS1_16block_id_wrapperIjLb1EEEEE10hipError_tT1_PNSt15iterator_traitsISI_E10value_typeET2_T3_PNSJ_ISO_E10value_typeET4_T5_PST_SU_PNS1_23onesweep_lookback_stateEbbT6_jjT7_P12ihipStream_tbENKUlT_T0_SI_SN_E_clISD_SD_SD_SD_EEDaS11_S12_SI_SN_EUlS11_E_NS1_11comp_targetILNS1_3genE9ELNS1_11target_archE1100ELNS1_3gpuE3ELNS1_3repE0EEENS1_47radix_sort_onesweep_sort_config_static_selectorELNS0_4arch9wavefront6targetE0EEEvSI_.numbered_sgpr, 0
	.set _ZN7rocprim17ROCPRIM_400000_NS6detail17trampoline_kernelINS0_14default_configENS1_35radix_sort_onesweep_config_selectorIiiEEZZNS1_29radix_sort_onesweep_iterationIS3_Lb0EN6thrust23THRUST_200600_302600_NS6detail15normal_iteratorINS8_10device_ptrIiEEEESD_SD_SD_jNS0_19identity_decomposerENS1_16block_id_wrapperIjLb1EEEEE10hipError_tT1_PNSt15iterator_traitsISI_E10value_typeET2_T3_PNSJ_ISO_E10value_typeET4_T5_PST_SU_PNS1_23onesweep_lookback_stateEbbT6_jjT7_P12ihipStream_tbENKUlT_T0_SI_SN_E_clISD_SD_SD_SD_EEDaS11_S12_SI_SN_EUlS11_E_NS1_11comp_targetILNS1_3genE9ELNS1_11target_archE1100ELNS1_3gpuE3ELNS1_3repE0EEENS1_47radix_sort_onesweep_sort_config_static_selectorELNS0_4arch9wavefront6targetE0EEEvSI_.num_named_barrier, 0
	.set _ZN7rocprim17ROCPRIM_400000_NS6detail17trampoline_kernelINS0_14default_configENS1_35radix_sort_onesweep_config_selectorIiiEEZZNS1_29radix_sort_onesweep_iterationIS3_Lb0EN6thrust23THRUST_200600_302600_NS6detail15normal_iteratorINS8_10device_ptrIiEEEESD_SD_SD_jNS0_19identity_decomposerENS1_16block_id_wrapperIjLb1EEEEE10hipError_tT1_PNSt15iterator_traitsISI_E10value_typeET2_T3_PNSJ_ISO_E10value_typeET4_T5_PST_SU_PNS1_23onesweep_lookback_stateEbbT6_jjT7_P12ihipStream_tbENKUlT_T0_SI_SN_E_clISD_SD_SD_SD_EEDaS11_S12_SI_SN_EUlS11_E_NS1_11comp_targetILNS1_3genE9ELNS1_11target_archE1100ELNS1_3gpuE3ELNS1_3repE0EEENS1_47radix_sort_onesweep_sort_config_static_selectorELNS0_4arch9wavefront6targetE0EEEvSI_.private_seg_size, 0
	.set _ZN7rocprim17ROCPRIM_400000_NS6detail17trampoline_kernelINS0_14default_configENS1_35radix_sort_onesweep_config_selectorIiiEEZZNS1_29radix_sort_onesweep_iterationIS3_Lb0EN6thrust23THRUST_200600_302600_NS6detail15normal_iteratorINS8_10device_ptrIiEEEESD_SD_SD_jNS0_19identity_decomposerENS1_16block_id_wrapperIjLb1EEEEE10hipError_tT1_PNSt15iterator_traitsISI_E10value_typeET2_T3_PNSJ_ISO_E10value_typeET4_T5_PST_SU_PNS1_23onesweep_lookback_stateEbbT6_jjT7_P12ihipStream_tbENKUlT_T0_SI_SN_E_clISD_SD_SD_SD_EEDaS11_S12_SI_SN_EUlS11_E_NS1_11comp_targetILNS1_3genE9ELNS1_11target_archE1100ELNS1_3gpuE3ELNS1_3repE0EEENS1_47radix_sort_onesweep_sort_config_static_selectorELNS0_4arch9wavefront6targetE0EEEvSI_.uses_vcc, 0
	.set _ZN7rocprim17ROCPRIM_400000_NS6detail17trampoline_kernelINS0_14default_configENS1_35radix_sort_onesweep_config_selectorIiiEEZZNS1_29radix_sort_onesweep_iterationIS3_Lb0EN6thrust23THRUST_200600_302600_NS6detail15normal_iteratorINS8_10device_ptrIiEEEESD_SD_SD_jNS0_19identity_decomposerENS1_16block_id_wrapperIjLb1EEEEE10hipError_tT1_PNSt15iterator_traitsISI_E10value_typeET2_T3_PNSJ_ISO_E10value_typeET4_T5_PST_SU_PNS1_23onesweep_lookback_stateEbbT6_jjT7_P12ihipStream_tbENKUlT_T0_SI_SN_E_clISD_SD_SD_SD_EEDaS11_S12_SI_SN_EUlS11_E_NS1_11comp_targetILNS1_3genE9ELNS1_11target_archE1100ELNS1_3gpuE3ELNS1_3repE0EEENS1_47radix_sort_onesweep_sort_config_static_selectorELNS0_4arch9wavefront6targetE0EEEvSI_.uses_flat_scratch, 0
	.set _ZN7rocprim17ROCPRIM_400000_NS6detail17trampoline_kernelINS0_14default_configENS1_35radix_sort_onesweep_config_selectorIiiEEZZNS1_29radix_sort_onesweep_iterationIS3_Lb0EN6thrust23THRUST_200600_302600_NS6detail15normal_iteratorINS8_10device_ptrIiEEEESD_SD_SD_jNS0_19identity_decomposerENS1_16block_id_wrapperIjLb1EEEEE10hipError_tT1_PNSt15iterator_traitsISI_E10value_typeET2_T3_PNSJ_ISO_E10value_typeET4_T5_PST_SU_PNS1_23onesweep_lookback_stateEbbT6_jjT7_P12ihipStream_tbENKUlT_T0_SI_SN_E_clISD_SD_SD_SD_EEDaS11_S12_SI_SN_EUlS11_E_NS1_11comp_targetILNS1_3genE9ELNS1_11target_archE1100ELNS1_3gpuE3ELNS1_3repE0EEENS1_47radix_sort_onesweep_sort_config_static_selectorELNS0_4arch9wavefront6targetE0EEEvSI_.has_dyn_sized_stack, 0
	.set _ZN7rocprim17ROCPRIM_400000_NS6detail17trampoline_kernelINS0_14default_configENS1_35radix_sort_onesweep_config_selectorIiiEEZZNS1_29radix_sort_onesweep_iterationIS3_Lb0EN6thrust23THRUST_200600_302600_NS6detail15normal_iteratorINS8_10device_ptrIiEEEESD_SD_SD_jNS0_19identity_decomposerENS1_16block_id_wrapperIjLb1EEEEE10hipError_tT1_PNSt15iterator_traitsISI_E10value_typeET2_T3_PNSJ_ISO_E10value_typeET4_T5_PST_SU_PNS1_23onesweep_lookback_stateEbbT6_jjT7_P12ihipStream_tbENKUlT_T0_SI_SN_E_clISD_SD_SD_SD_EEDaS11_S12_SI_SN_EUlS11_E_NS1_11comp_targetILNS1_3genE9ELNS1_11target_archE1100ELNS1_3gpuE3ELNS1_3repE0EEENS1_47radix_sort_onesweep_sort_config_static_selectorELNS0_4arch9wavefront6targetE0EEEvSI_.has_recursion, 0
	.set _ZN7rocprim17ROCPRIM_400000_NS6detail17trampoline_kernelINS0_14default_configENS1_35radix_sort_onesweep_config_selectorIiiEEZZNS1_29radix_sort_onesweep_iterationIS3_Lb0EN6thrust23THRUST_200600_302600_NS6detail15normal_iteratorINS8_10device_ptrIiEEEESD_SD_SD_jNS0_19identity_decomposerENS1_16block_id_wrapperIjLb1EEEEE10hipError_tT1_PNSt15iterator_traitsISI_E10value_typeET2_T3_PNSJ_ISO_E10value_typeET4_T5_PST_SU_PNS1_23onesweep_lookback_stateEbbT6_jjT7_P12ihipStream_tbENKUlT_T0_SI_SN_E_clISD_SD_SD_SD_EEDaS11_S12_SI_SN_EUlS11_E_NS1_11comp_targetILNS1_3genE9ELNS1_11target_archE1100ELNS1_3gpuE3ELNS1_3repE0EEENS1_47radix_sort_onesweep_sort_config_static_selectorELNS0_4arch9wavefront6targetE0EEEvSI_.has_indirect_call, 0
	.section	.AMDGPU.csdata,"",@progbits
; Kernel info:
; codeLenInByte = 0
; TotalNumSgprs: 0
; NumVgprs: 0
; ScratchSize: 0
; MemoryBound: 0
; FloatMode: 240
; IeeeMode: 1
; LDSByteSize: 0 bytes/workgroup (compile time only)
; SGPRBlocks: 0
; VGPRBlocks: 0
; NumSGPRsForWavesPerEU: 1
; NumVGPRsForWavesPerEU: 1
; Occupancy: 16
; WaveLimiterHint : 0
; COMPUTE_PGM_RSRC2:SCRATCH_EN: 0
; COMPUTE_PGM_RSRC2:USER_SGPR: 6
; COMPUTE_PGM_RSRC2:TRAP_HANDLER: 0
; COMPUTE_PGM_RSRC2:TGID_X_EN: 1
; COMPUTE_PGM_RSRC2:TGID_Y_EN: 0
; COMPUTE_PGM_RSRC2:TGID_Z_EN: 0
; COMPUTE_PGM_RSRC2:TIDIG_COMP_CNT: 0
	.section	.text._ZN7rocprim17ROCPRIM_400000_NS6detail17trampoline_kernelINS0_14default_configENS1_35radix_sort_onesweep_config_selectorIiiEEZZNS1_29radix_sort_onesweep_iterationIS3_Lb0EN6thrust23THRUST_200600_302600_NS6detail15normal_iteratorINS8_10device_ptrIiEEEESD_SD_SD_jNS0_19identity_decomposerENS1_16block_id_wrapperIjLb1EEEEE10hipError_tT1_PNSt15iterator_traitsISI_E10value_typeET2_T3_PNSJ_ISO_E10value_typeET4_T5_PST_SU_PNS1_23onesweep_lookback_stateEbbT6_jjT7_P12ihipStream_tbENKUlT_T0_SI_SN_E_clISD_SD_SD_SD_EEDaS11_S12_SI_SN_EUlS11_E_NS1_11comp_targetILNS1_3genE8ELNS1_11target_archE1030ELNS1_3gpuE2ELNS1_3repE0EEENS1_47radix_sort_onesweep_sort_config_static_selectorELNS0_4arch9wavefront6targetE0EEEvSI_,"axG",@progbits,_ZN7rocprim17ROCPRIM_400000_NS6detail17trampoline_kernelINS0_14default_configENS1_35radix_sort_onesweep_config_selectorIiiEEZZNS1_29radix_sort_onesweep_iterationIS3_Lb0EN6thrust23THRUST_200600_302600_NS6detail15normal_iteratorINS8_10device_ptrIiEEEESD_SD_SD_jNS0_19identity_decomposerENS1_16block_id_wrapperIjLb1EEEEE10hipError_tT1_PNSt15iterator_traitsISI_E10value_typeET2_T3_PNSJ_ISO_E10value_typeET4_T5_PST_SU_PNS1_23onesweep_lookback_stateEbbT6_jjT7_P12ihipStream_tbENKUlT_T0_SI_SN_E_clISD_SD_SD_SD_EEDaS11_S12_SI_SN_EUlS11_E_NS1_11comp_targetILNS1_3genE8ELNS1_11target_archE1030ELNS1_3gpuE2ELNS1_3repE0EEENS1_47radix_sort_onesweep_sort_config_static_selectorELNS0_4arch9wavefront6targetE0EEEvSI_,comdat
	.protected	_ZN7rocprim17ROCPRIM_400000_NS6detail17trampoline_kernelINS0_14default_configENS1_35radix_sort_onesweep_config_selectorIiiEEZZNS1_29radix_sort_onesweep_iterationIS3_Lb0EN6thrust23THRUST_200600_302600_NS6detail15normal_iteratorINS8_10device_ptrIiEEEESD_SD_SD_jNS0_19identity_decomposerENS1_16block_id_wrapperIjLb1EEEEE10hipError_tT1_PNSt15iterator_traitsISI_E10value_typeET2_T3_PNSJ_ISO_E10value_typeET4_T5_PST_SU_PNS1_23onesweep_lookback_stateEbbT6_jjT7_P12ihipStream_tbENKUlT_T0_SI_SN_E_clISD_SD_SD_SD_EEDaS11_S12_SI_SN_EUlS11_E_NS1_11comp_targetILNS1_3genE8ELNS1_11target_archE1030ELNS1_3gpuE2ELNS1_3repE0EEENS1_47radix_sort_onesweep_sort_config_static_selectorELNS0_4arch9wavefront6targetE0EEEvSI_ ; -- Begin function _ZN7rocprim17ROCPRIM_400000_NS6detail17trampoline_kernelINS0_14default_configENS1_35radix_sort_onesweep_config_selectorIiiEEZZNS1_29radix_sort_onesweep_iterationIS3_Lb0EN6thrust23THRUST_200600_302600_NS6detail15normal_iteratorINS8_10device_ptrIiEEEESD_SD_SD_jNS0_19identity_decomposerENS1_16block_id_wrapperIjLb1EEEEE10hipError_tT1_PNSt15iterator_traitsISI_E10value_typeET2_T3_PNSJ_ISO_E10value_typeET4_T5_PST_SU_PNS1_23onesweep_lookback_stateEbbT6_jjT7_P12ihipStream_tbENKUlT_T0_SI_SN_E_clISD_SD_SD_SD_EEDaS11_S12_SI_SN_EUlS11_E_NS1_11comp_targetILNS1_3genE8ELNS1_11target_archE1030ELNS1_3gpuE2ELNS1_3repE0EEENS1_47radix_sort_onesweep_sort_config_static_selectorELNS0_4arch9wavefront6targetE0EEEvSI_
	.globl	_ZN7rocprim17ROCPRIM_400000_NS6detail17trampoline_kernelINS0_14default_configENS1_35radix_sort_onesweep_config_selectorIiiEEZZNS1_29radix_sort_onesweep_iterationIS3_Lb0EN6thrust23THRUST_200600_302600_NS6detail15normal_iteratorINS8_10device_ptrIiEEEESD_SD_SD_jNS0_19identity_decomposerENS1_16block_id_wrapperIjLb1EEEEE10hipError_tT1_PNSt15iterator_traitsISI_E10value_typeET2_T3_PNSJ_ISO_E10value_typeET4_T5_PST_SU_PNS1_23onesweep_lookback_stateEbbT6_jjT7_P12ihipStream_tbENKUlT_T0_SI_SN_E_clISD_SD_SD_SD_EEDaS11_S12_SI_SN_EUlS11_E_NS1_11comp_targetILNS1_3genE8ELNS1_11target_archE1030ELNS1_3gpuE2ELNS1_3repE0EEENS1_47radix_sort_onesweep_sort_config_static_selectorELNS0_4arch9wavefront6targetE0EEEvSI_
	.p2align	8
	.type	_ZN7rocprim17ROCPRIM_400000_NS6detail17trampoline_kernelINS0_14default_configENS1_35radix_sort_onesweep_config_selectorIiiEEZZNS1_29radix_sort_onesweep_iterationIS3_Lb0EN6thrust23THRUST_200600_302600_NS6detail15normal_iteratorINS8_10device_ptrIiEEEESD_SD_SD_jNS0_19identity_decomposerENS1_16block_id_wrapperIjLb1EEEEE10hipError_tT1_PNSt15iterator_traitsISI_E10value_typeET2_T3_PNSJ_ISO_E10value_typeET4_T5_PST_SU_PNS1_23onesweep_lookback_stateEbbT6_jjT7_P12ihipStream_tbENKUlT_T0_SI_SN_E_clISD_SD_SD_SD_EEDaS11_S12_SI_SN_EUlS11_E_NS1_11comp_targetILNS1_3genE8ELNS1_11target_archE1030ELNS1_3gpuE2ELNS1_3repE0EEENS1_47radix_sort_onesweep_sort_config_static_selectorELNS0_4arch9wavefront6targetE0EEEvSI_,@function
_ZN7rocprim17ROCPRIM_400000_NS6detail17trampoline_kernelINS0_14default_configENS1_35radix_sort_onesweep_config_selectorIiiEEZZNS1_29radix_sort_onesweep_iterationIS3_Lb0EN6thrust23THRUST_200600_302600_NS6detail15normal_iteratorINS8_10device_ptrIiEEEESD_SD_SD_jNS0_19identity_decomposerENS1_16block_id_wrapperIjLb1EEEEE10hipError_tT1_PNSt15iterator_traitsISI_E10value_typeET2_T3_PNSJ_ISO_E10value_typeET4_T5_PST_SU_PNS1_23onesweep_lookback_stateEbbT6_jjT7_P12ihipStream_tbENKUlT_T0_SI_SN_E_clISD_SD_SD_SD_EEDaS11_S12_SI_SN_EUlS11_E_NS1_11comp_targetILNS1_3genE8ELNS1_11target_archE1030ELNS1_3gpuE2ELNS1_3repE0EEENS1_47radix_sort_onesweep_sort_config_static_selectorELNS0_4arch9wavefront6targetE0EEEvSI_: ; @_ZN7rocprim17ROCPRIM_400000_NS6detail17trampoline_kernelINS0_14default_configENS1_35radix_sort_onesweep_config_selectorIiiEEZZNS1_29radix_sort_onesweep_iterationIS3_Lb0EN6thrust23THRUST_200600_302600_NS6detail15normal_iteratorINS8_10device_ptrIiEEEESD_SD_SD_jNS0_19identity_decomposerENS1_16block_id_wrapperIjLb1EEEEE10hipError_tT1_PNSt15iterator_traitsISI_E10value_typeET2_T3_PNSJ_ISO_E10value_typeET4_T5_PST_SU_PNS1_23onesweep_lookback_stateEbbT6_jjT7_P12ihipStream_tbENKUlT_T0_SI_SN_E_clISD_SD_SD_SD_EEDaS11_S12_SI_SN_EUlS11_E_NS1_11comp_targetILNS1_3genE8ELNS1_11target_archE1030ELNS1_3gpuE2ELNS1_3repE0EEENS1_47radix_sort_onesweep_sort_config_static_selectorELNS0_4arch9wavefront6targetE0EEEvSI_
; %bb.0:
	s_clause 0x2
	s_load_dwordx4 s[28:31], s[4:5], 0x28
	s_load_dwordx2 s[26:27], s[4:5], 0x38
	s_load_dwordx4 s[44:47], s[4:5], 0x44
	s_add_u32 s0, s0, s7
	v_cmp_eq_u32_e64 s7, 0, v0
	s_addc_u32 s1, s1, 0
	s_and_saveexec_b32 s8, s7
	s_cbranch_execz .LBB830_4
; %bb.1:
	s_mov_b32 s10, exec_lo
	s_mov_b32 s9, exec_lo
	v_mbcnt_lo_u32_b32 v3, s10, 0
                                        ; implicit-def: $vgpr4
	v_cmpx_eq_u32_e32 0, v3
	s_cbranch_execz .LBB830_3
; %bb.2:
	s_load_dwordx2 s[12:13], s[4:5], 0x50
	s_bcnt1_i32_b32 s10, s10
	v_mov_b32_e32 v4, 0
	v_mov_b32_e32 v5, s10
	s_waitcnt lgkmcnt(0)
	global_atomic_add v4, v4, v5, s[12:13] glc
.LBB830_3:
	s_or_b32 exec_lo, exec_lo, s9
	s_waitcnt vmcnt(0)
	v_readfirstlane_b32 s9, v4
	v_mov_b32_e32 v4, 0
	v_add_nc_u32_e32 v3, s9, v3
	ds_write_b32 v4, v3 offset:36992
.LBB830_4:
	s_or_b32 exec_lo, exec_lo, s8
	v_mov_b32_e32 v3, 0
	s_clause 0x1
	s_load_dwordx8 s[36:43], s[4:5], 0x0
	s_load_dword s8, s[4:5], 0x20
	s_waitcnt lgkmcnt(0)
	s_barrier
	buffer_gl0_inv
	ds_read_b32 v3, v3 offset:36992
	v_mbcnt_lo_u32_b32 v11, -1, 0
	v_and_b32_e32 v12, 0x3e0, v0
	s_mov_b32 s9, -1
	s_waitcnt lgkmcnt(0)
	s_barrier
	buffer_gl0_inv
	v_readfirstlane_b32 s33, v3
	v_cmp_le_u32_e32 vcc_lo, s46, v3
	s_mul_i32 s34, s33, 0x3000
	s_cbranch_vccz .LBB830_136
; %bb.5:
	s_mov_b32 s35, 0
	s_mul_i32 s48, s46, 0xffffd000
	v_mul_u32_u24_e32 v3, 12, v12
	v_lshlrev_b32_e32 v13, 2, v11
	s_lshl_b64 s[46:47], s[34:35], 2
	s_add_i32 s48, s48, s8
	s_add_u32 s8, s36, s46
	s_addc_u32 s9, s37, s47
	v_lshlrev_b32_e32 v14, 2, v3
	v_add_co_u32 v4, s8, s8, v13
	v_add_co_ci_u32_e64 v6, null, s9, 0, s8
	v_or_b32_e32 v5, v11, v3
	v_add_co_u32 v3, vcc_lo, v4, v14
	v_mov_b32_e32 v15, -1
	v_add_co_ci_u32_e64 v4, null, 0, v6, vcc_lo
	v_cmp_gt_u32_e64 s8, s48, v5
	v_mov_b32_e32 v16, -1
	s_and_saveexec_b32 s9, s8
	s_cbranch_execz .LBB830_7
; %bb.6:
	global_load_dword v6, v[3:4], off
	s_waitcnt vmcnt(0)
	v_xor_b32_e32 v16, 0x80000000, v6
.LBB830_7:
	s_or_b32 exec_lo, exec_lo, s9
	v_or_b32_e32 v6, 32, v5
	v_cmp_gt_u32_e64 s9, s48, v6
	s_and_saveexec_b32 s10, s9
	s_cbranch_execz .LBB830_9
; %bb.8:
	global_load_dword v6, v[3:4], off offset:128
	s_waitcnt vmcnt(0)
	v_xor_b32_e32 v15, 0x80000000, v6
.LBB830_9:
	s_or_b32 exec_lo, exec_lo, s10
	v_or_b32_e32 v6, 64, v5
	v_mov_b32_e32 v17, -1
	v_mov_b32_e32 v18, -1
	v_cmp_gt_u32_e64 s10, s48, v6
	s_and_saveexec_b32 s11, s10
	s_cbranch_execz .LBB830_11
; %bb.10:
	global_load_dword v6, v[3:4], off offset:256
	s_waitcnt vmcnt(0)
	v_xor_b32_e32 v18, 0x80000000, v6
.LBB830_11:
	s_or_b32 exec_lo, exec_lo, s11
	v_or_b32_e32 v6, 0x60, v5
	v_cmp_gt_u32_e64 s11, s48, v6
	s_and_saveexec_b32 s12, s11
	s_cbranch_execz .LBB830_13
; %bb.12:
	global_load_dword v6, v[3:4], off offset:384
	s_waitcnt vmcnt(0)
	v_xor_b32_e32 v17, 0x80000000, v6
.LBB830_13:
	s_or_b32 exec_lo, exec_lo, s12
	v_add_nc_u32_e32 v6, 0x80, v5
	v_mov_b32_e32 v19, -1
	v_mov_b32_e32 v20, -1
	v_cmp_gt_u32_e64 s12, s48, v6
	s_and_saveexec_b32 s13, s12
	s_cbranch_execz .LBB830_15
; %bb.14:
	global_load_dword v6, v[3:4], off offset:512
	s_waitcnt vmcnt(0)
	v_xor_b32_e32 v20, 0x80000000, v6
.LBB830_15:
	s_or_b32 exec_lo, exec_lo, s13
	v_add_nc_u32_e32 v6, 0xa0, v5
	v_cmp_gt_u32_e64 s13, s48, v6
	s_and_saveexec_b32 s14, s13
	s_cbranch_execz .LBB830_17
; %bb.16:
	global_load_dword v6, v[3:4], off offset:640
	s_waitcnt vmcnt(0)
	v_xor_b32_e32 v19, 0x80000000, v6
.LBB830_17:
	s_or_b32 exec_lo, exec_lo, s14
	v_add_nc_u32_e32 v6, 0xc0, v5
	v_mov_b32_e32 v21, -1
	v_mov_b32_e32 v22, -1
	v_cmp_gt_u32_e64 s14, s48, v6
	s_and_saveexec_b32 s15, s14
	s_cbranch_execz .LBB830_19
; %bb.18:
	global_load_dword v6, v[3:4], off offset:768
	s_waitcnt vmcnt(0)
	v_xor_b32_e32 v22, 0x80000000, v6
.LBB830_19:
	s_or_b32 exec_lo, exec_lo, s15
	v_add_nc_u32_e32 v6, 0xe0, v5
	;; [unrolled: 22-line block ×4, first 2 shown]
	v_cmp_gt_u32_e64 s19, s48, v5
	s_and_saveexec_b32 s20, s19
	s_cbranch_execz .LBB830_29
; %bb.28:
	global_load_dword v3, v[3:4], off offset:1408
	s_waitcnt vmcnt(0)
	v_xor_b32_e32 v25, 0x80000000, v3
.LBB830_29:
	s_or_b32 exec_lo, exec_lo, s20
	s_clause 0x1
	s_load_dword s20, s[4:5], 0x64
	s_load_dword s35, s[4:5], 0x58
	s_add_u32 s21, s4, 0x58
	s_addc_u32 s22, s5, 0
	v_mov_b32_e32 v5, 0
	v_lshrrev_b32_e32 v4, s44, v16
	s_waitcnt lgkmcnt(0)
	s_lshr_b32 s23, s20, 16
	s_cmp_lt_u32 s6, s35
	s_cselect_b32 s20, 12, 18
	s_add_u32 s20, s21, s20
	s_addc_u32 s21, s22, 0
	global_load_ushort v3, v5, s[20:21]
	s_lshl_b32 s20, -1, s45
	s_not_b32 s49, s20
	v_and_b32_e32 v6, s49, v4
	v_and_b32_e32 v4, 1, v6
	v_lshlrev_b32_e32 v7, 30, v6
	v_lshlrev_b32_e32 v8, 29, v6
	v_lshlrev_b32_e32 v9, 28, v6
	v_lshlrev_b32_e32 v27, 27, v6
	v_add_co_u32 v4, s20, v4, -1
	v_cndmask_b32_e64 v10, 0, 1, s20
	v_not_b32_e32 v30, v7
	v_cmp_gt_i32_e64 s20, 0, v7
	v_not_b32_e32 v7, v8
	v_lshlrev_b32_e32 v28, 26, v6
	v_cmp_ne_u32_e32 vcc_lo, 0, v10
	v_ashrrev_i32_e32 v30, 31, v30
	v_lshlrev_b32_e32 v29, 25, v6
	v_ashrrev_i32_e32 v7, 31, v7
	v_lshlrev_b32_e32 v10, 24, v6
	v_xor_b32_e32 v4, vcc_lo, v4
	v_cmp_gt_i32_e32 vcc_lo, 0, v8
	v_not_b32_e32 v8, v9
	v_xor_b32_e32 v30, s20, v30
	v_cmp_gt_i32_e64 s20, 0, v9
	v_and_b32_e32 v4, exec_lo, v4
	v_not_b32_e32 v9, v27
	v_ashrrev_i32_e32 v8, 31, v8
	v_xor_b32_e32 v7, vcc_lo, v7
	v_cmp_gt_i32_e32 vcc_lo, 0, v27
	v_and_b32_e32 v4, v4, v30
	v_not_b32_e32 v27, v28
	v_ashrrev_i32_e32 v9, 31, v9
	v_xor_b32_e32 v8, s20, v8
	v_cmp_gt_i32_e64 s20, 0, v28
	v_and_b32_e32 v4, v4, v7
	v_not_b32_e32 v7, v29
	v_ashrrev_i32_e32 v27, 31, v27
	v_xor_b32_e32 v9, vcc_lo, v9
	v_cmp_gt_i32_e32 vcc_lo, 0, v29
	v_and_b32_e32 v4, v4, v8
	v_not_b32_e32 v8, v10
	v_ashrrev_i32_e32 v7, 31, v7
	v_xor_b32_e32 v27, s20, v27
	v_cmp_gt_i32_e64 s20, 0, v10
	v_and_b32_e32 v4, v4, v9
	v_ashrrev_i32_e32 v8, 31, v8
	v_xor_b32_e32 v7, vcc_lo, v7
	v_mad_u32_u24 v9, v2, s23, v1
	v_mul_lo_u32 v6, 0x84, v6
	v_and_b32_e32 v4, v4, v27
	v_xor_b32_e32 v8, s20, v8
	v_mul_u32_u24_e32 v30, 36, v0
	ds_write2_b32 v30, v5, v5 offset0:32 offset1:33
	ds_write2_b32 v30, v5, v5 offset0:34 offset1:35
	;; [unrolled: 1-line block ×3, first 2 shown]
	v_and_b32_e32 v7, v4, v7
	ds_write2_b32 v30, v5, v5 offset0:38 offset1:39
	ds_write_b32 v30, v5 offset:160
	s_waitcnt vmcnt(0) lgkmcnt(0)
	s_barrier
	buffer_gl0_inv
	; wave barrier
	v_mad_u64_u32 v[3:4], null, v9, v3, v[0:1]
	v_and_b32_e32 v4, v7, v8
	v_mbcnt_lo_u32_b32 v27, v4, 0
	v_lshrrev_b32_e32 v3, 5, v3
	v_cmp_ne_u32_e64 s20, 0, v4
	v_cmp_eq_u32_e32 vcc_lo, 0, v27
	v_lshl_add_u32 v31, v3, 2, v6
	s_and_b32 s21, s20, vcc_lo
	s_and_saveexec_b32 s20, s21
; %bb.30:
	v_bcnt_u32_b32 v4, v4, 0
	ds_write_b32 v31, v4 offset:128
; %bb.31:
	s_or_b32 exec_lo, exec_lo, s20
	v_lshrrev_b32_e32 v4, s44, v15
	; wave barrier
	v_and_b32_e32 v4, s49, v4
	v_and_b32_e32 v6, 1, v4
	v_lshlrev_b32_e32 v7, 30, v4
	v_lshlrev_b32_e32 v8, 29, v4
	;; [unrolled: 1-line block ×4, first 2 shown]
	v_add_co_u32 v6, s20, v6, -1
	v_cndmask_b32_e64 v10, 0, 1, s20
	v_not_b32_e32 v33, v7
	v_cmp_gt_i32_e64 s20, 0, v7
	v_not_b32_e32 v7, v8
	v_lshlrev_b32_e32 v29, 26, v4
	v_cmp_ne_u32_e32 vcc_lo, 0, v10
	v_ashrrev_i32_e32 v10, 31, v33
	v_lshlrev_b32_e32 v32, 25, v4
	v_ashrrev_i32_e32 v7, 31, v7
	v_mul_lo_u32 v5, 0x84, v4
	v_xor_b32_e32 v6, vcc_lo, v6
	v_cmp_gt_i32_e32 vcc_lo, 0, v8
	v_not_b32_e32 v8, v9
	v_xor_b32_e32 v10, s20, v10
	v_cmp_gt_i32_e64 s20, 0, v9
	v_and_b32_e32 v6, exec_lo, v6
	v_not_b32_e32 v9, v28
	v_ashrrev_i32_e32 v8, 31, v8
	v_xor_b32_e32 v7, vcc_lo, v7
	v_cmp_gt_i32_e32 vcc_lo, 0, v28
	v_and_b32_e32 v6, v6, v10
	v_not_b32_e32 v10, v29
	v_ashrrev_i32_e32 v9, 31, v9
	v_xor_b32_e32 v8, s20, v8
	v_lshlrev_b32_e32 v4, 24, v4
	v_and_b32_e32 v6, v6, v7
	v_cmp_gt_i32_e64 s20, 0, v29
	v_not_b32_e32 v7, v32
	v_ashrrev_i32_e32 v10, 31, v10
	v_xor_b32_e32 v9, vcc_lo, v9
	v_and_b32_e32 v6, v6, v8
	v_cmp_gt_i32_e32 vcc_lo, 0, v32
	v_not_b32_e32 v8, v4
	v_ashrrev_i32_e32 v7, 31, v7
	v_xor_b32_e32 v10, s20, v10
	v_and_b32_e32 v6, v6, v9
	v_cmp_gt_i32_e64 s20, 0, v4
	v_ashrrev_i32_e32 v4, 31, v8
	v_xor_b32_e32 v7, vcc_lo, v7
	v_lshl_add_u32 v34, v3, 2, v5
	v_and_b32_e32 v6, v6, v10
	v_xor_b32_e32 v4, s20, v4
	ds_read_b32 v28, v34 offset:128
	v_and_b32_e32 v5, v6, v7
	; wave barrier
	v_and_b32_e32 v4, v5, v4
	v_mbcnt_lo_u32_b32 v29, v4, 0
	v_cmp_ne_u32_e64 s20, 0, v4
	v_cmp_eq_u32_e32 vcc_lo, 0, v29
	s_and_b32 s21, s20, vcc_lo
	s_and_saveexec_b32 s20, s21
	s_cbranch_execz .LBB830_33
; %bb.32:
	s_waitcnt lgkmcnt(0)
	v_bcnt_u32_b32 v4, v4, v28
	ds_write_b32 v34, v4 offset:128
.LBB830_33:
	s_or_b32 exec_lo, exec_lo, s20
	v_lshrrev_b32_e32 v4, s44, v18
	; wave barrier
	v_and_b32_e32 v4, s49, v4
	v_and_b32_e32 v6, 1, v4
	v_lshlrev_b32_e32 v7, 30, v4
	v_lshlrev_b32_e32 v8, 29, v4
	v_lshlrev_b32_e32 v9, 28, v4
	v_lshlrev_b32_e32 v32, 27, v4
	v_add_co_u32 v6, s20, v6, -1
	v_cndmask_b32_e64 v10, 0, 1, s20
	v_not_b32_e32 v36, v7
	v_cmp_gt_i32_e64 s20, 0, v7
	v_not_b32_e32 v7, v8
	v_lshlrev_b32_e32 v33, 26, v4
	v_cmp_ne_u32_e32 vcc_lo, 0, v10
	v_ashrrev_i32_e32 v10, 31, v36
	v_lshlrev_b32_e32 v35, 25, v4
	v_ashrrev_i32_e32 v7, 31, v7
	v_mul_lo_u32 v5, 0x84, v4
	v_xor_b32_e32 v6, vcc_lo, v6
	v_cmp_gt_i32_e32 vcc_lo, 0, v8
	v_not_b32_e32 v8, v9
	v_xor_b32_e32 v10, s20, v10
	v_cmp_gt_i32_e64 s20, 0, v9
	v_and_b32_e32 v6, exec_lo, v6
	v_not_b32_e32 v9, v32
	v_ashrrev_i32_e32 v8, 31, v8
	v_xor_b32_e32 v7, vcc_lo, v7
	v_cmp_gt_i32_e32 vcc_lo, 0, v32
	v_and_b32_e32 v6, v6, v10
	v_not_b32_e32 v10, v33
	v_ashrrev_i32_e32 v9, 31, v9
	v_xor_b32_e32 v8, s20, v8
	v_lshlrev_b32_e32 v4, 24, v4
	v_and_b32_e32 v6, v6, v7
	v_cmp_gt_i32_e64 s20, 0, v33
	v_not_b32_e32 v7, v35
	v_ashrrev_i32_e32 v10, 31, v10
	v_xor_b32_e32 v9, vcc_lo, v9
	v_and_b32_e32 v6, v6, v8
	v_cmp_gt_i32_e32 vcc_lo, 0, v35
	v_not_b32_e32 v8, v4
	v_ashrrev_i32_e32 v7, 31, v7
	v_xor_b32_e32 v10, s20, v10
	v_and_b32_e32 v6, v6, v9
	v_cmp_gt_i32_e64 s20, 0, v4
	v_ashrrev_i32_e32 v4, 31, v8
	v_xor_b32_e32 v7, vcc_lo, v7
	v_lshl_add_u32 v37, v3, 2, v5
	v_and_b32_e32 v6, v6, v10
	v_xor_b32_e32 v4, s20, v4
	ds_read_b32 v32, v37 offset:128
	v_and_b32_e32 v5, v6, v7
	; wave barrier
	v_and_b32_e32 v4, v5, v4
	v_mbcnt_lo_u32_b32 v33, v4, 0
	v_cmp_ne_u32_e64 s20, 0, v4
	v_cmp_eq_u32_e32 vcc_lo, 0, v33
	s_and_b32 s21, s20, vcc_lo
	s_and_saveexec_b32 s20, s21
	s_cbranch_execz .LBB830_35
; %bb.34:
	s_waitcnt lgkmcnt(0)
	v_bcnt_u32_b32 v4, v4, v32
	ds_write_b32 v37, v4 offset:128
.LBB830_35:
	s_or_b32 exec_lo, exec_lo, s20
	v_lshrrev_b32_e32 v4, s44, v17
	; wave barrier
	v_and_b32_e32 v4, s49, v4
	v_and_b32_e32 v6, 1, v4
	v_lshlrev_b32_e32 v7, 30, v4
	v_lshlrev_b32_e32 v8, 29, v4
	;; [unrolled: 1-line block ×4, first 2 shown]
	v_add_co_u32 v6, s20, v6, -1
	v_cndmask_b32_e64 v10, 0, 1, s20
	v_not_b32_e32 v39, v7
	v_cmp_gt_i32_e64 s20, 0, v7
	v_not_b32_e32 v7, v8
	v_lshlrev_b32_e32 v36, 26, v4
	v_cmp_ne_u32_e32 vcc_lo, 0, v10
	v_ashrrev_i32_e32 v10, 31, v39
	v_lshlrev_b32_e32 v38, 25, v4
	v_ashrrev_i32_e32 v7, 31, v7
	v_mul_lo_u32 v5, 0x84, v4
	v_xor_b32_e32 v6, vcc_lo, v6
	v_cmp_gt_i32_e32 vcc_lo, 0, v8
	v_not_b32_e32 v8, v9
	v_xor_b32_e32 v10, s20, v10
	v_cmp_gt_i32_e64 s20, 0, v9
	v_and_b32_e32 v6, exec_lo, v6
	v_not_b32_e32 v9, v35
	v_ashrrev_i32_e32 v8, 31, v8
	v_xor_b32_e32 v7, vcc_lo, v7
	v_cmp_gt_i32_e32 vcc_lo, 0, v35
	v_and_b32_e32 v6, v6, v10
	v_not_b32_e32 v10, v36
	v_ashrrev_i32_e32 v9, 31, v9
	v_xor_b32_e32 v8, s20, v8
	v_lshlrev_b32_e32 v4, 24, v4
	v_and_b32_e32 v6, v6, v7
	v_cmp_gt_i32_e64 s20, 0, v36
	v_not_b32_e32 v7, v38
	v_ashrrev_i32_e32 v10, 31, v10
	v_xor_b32_e32 v9, vcc_lo, v9
	v_and_b32_e32 v6, v6, v8
	v_cmp_gt_i32_e32 vcc_lo, 0, v38
	v_not_b32_e32 v8, v4
	v_ashrrev_i32_e32 v7, 31, v7
	v_xor_b32_e32 v10, s20, v10
	v_and_b32_e32 v6, v6, v9
	v_cmp_gt_i32_e64 s20, 0, v4
	v_ashrrev_i32_e32 v4, 31, v8
	v_xor_b32_e32 v7, vcc_lo, v7
	v_lshl_add_u32 v40, v3, 2, v5
	v_and_b32_e32 v6, v6, v10
	v_xor_b32_e32 v4, s20, v4
	ds_read_b32 v35, v40 offset:128
	v_and_b32_e32 v5, v6, v7
	; wave barrier
	v_and_b32_e32 v4, v5, v4
	v_mbcnt_lo_u32_b32 v36, v4, 0
	v_cmp_ne_u32_e64 s20, 0, v4
	v_cmp_eq_u32_e32 vcc_lo, 0, v36
	s_and_b32 s21, s20, vcc_lo
	s_and_saveexec_b32 s20, s21
	s_cbranch_execz .LBB830_37
; %bb.36:
	s_waitcnt lgkmcnt(0)
	v_bcnt_u32_b32 v4, v4, v35
	ds_write_b32 v40, v4 offset:128
.LBB830_37:
	s_or_b32 exec_lo, exec_lo, s20
	v_lshrrev_b32_e32 v4, s44, v20
	; wave barrier
	v_and_b32_e32 v4, s49, v4
	v_and_b32_e32 v6, 1, v4
	v_lshlrev_b32_e32 v7, 30, v4
	v_lshlrev_b32_e32 v8, 29, v4
	;; [unrolled: 1-line block ×4, first 2 shown]
	v_add_co_u32 v6, s20, v6, -1
	v_cndmask_b32_e64 v10, 0, 1, s20
	v_not_b32_e32 v42, v7
	v_cmp_gt_i32_e64 s20, 0, v7
	v_not_b32_e32 v7, v8
	v_lshlrev_b32_e32 v39, 26, v4
	v_cmp_ne_u32_e32 vcc_lo, 0, v10
	v_ashrrev_i32_e32 v10, 31, v42
	v_lshlrev_b32_e32 v41, 25, v4
	v_ashrrev_i32_e32 v7, 31, v7
	v_mul_lo_u32 v5, 0x84, v4
	v_xor_b32_e32 v6, vcc_lo, v6
	v_cmp_gt_i32_e32 vcc_lo, 0, v8
	v_not_b32_e32 v8, v9
	v_xor_b32_e32 v10, s20, v10
	v_cmp_gt_i32_e64 s20, 0, v9
	v_and_b32_e32 v6, exec_lo, v6
	v_not_b32_e32 v9, v38
	v_ashrrev_i32_e32 v8, 31, v8
	v_xor_b32_e32 v7, vcc_lo, v7
	v_cmp_gt_i32_e32 vcc_lo, 0, v38
	v_and_b32_e32 v6, v6, v10
	v_not_b32_e32 v10, v39
	v_ashrrev_i32_e32 v9, 31, v9
	v_xor_b32_e32 v8, s20, v8
	v_lshlrev_b32_e32 v4, 24, v4
	v_and_b32_e32 v6, v6, v7
	v_cmp_gt_i32_e64 s20, 0, v39
	v_not_b32_e32 v7, v41
	v_ashrrev_i32_e32 v10, 31, v10
	v_xor_b32_e32 v9, vcc_lo, v9
	v_and_b32_e32 v6, v6, v8
	v_cmp_gt_i32_e32 vcc_lo, 0, v41
	v_not_b32_e32 v8, v4
	v_ashrrev_i32_e32 v7, 31, v7
	v_xor_b32_e32 v10, s20, v10
	v_and_b32_e32 v6, v6, v9
	v_cmp_gt_i32_e64 s20, 0, v4
	v_ashrrev_i32_e32 v4, 31, v8
	v_xor_b32_e32 v7, vcc_lo, v7
	v_lshl_add_u32 v43, v3, 2, v5
	v_and_b32_e32 v6, v6, v10
	v_xor_b32_e32 v4, s20, v4
	ds_read_b32 v38, v43 offset:128
	v_and_b32_e32 v5, v6, v7
	; wave barrier
	v_and_b32_e32 v4, v5, v4
	v_mbcnt_lo_u32_b32 v39, v4, 0
	v_cmp_ne_u32_e64 s20, 0, v4
	v_cmp_eq_u32_e32 vcc_lo, 0, v39
	s_and_b32 s21, s20, vcc_lo
	s_and_saveexec_b32 s20, s21
	s_cbranch_execz .LBB830_39
; %bb.38:
	s_waitcnt lgkmcnt(0)
	v_bcnt_u32_b32 v4, v4, v38
	ds_write_b32 v43, v4 offset:128
.LBB830_39:
	s_or_b32 exec_lo, exec_lo, s20
	v_lshrrev_b32_e32 v4, s44, v19
	; wave barrier
	v_and_b32_e32 v4, s49, v4
	v_and_b32_e32 v6, 1, v4
	v_lshlrev_b32_e32 v7, 30, v4
	v_lshlrev_b32_e32 v8, 29, v4
	;; [unrolled: 1-line block ×4, first 2 shown]
	v_add_co_u32 v6, s20, v6, -1
	v_cndmask_b32_e64 v10, 0, 1, s20
	v_not_b32_e32 v45, v7
	v_cmp_gt_i32_e64 s20, 0, v7
	v_not_b32_e32 v7, v8
	v_lshlrev_b32_e32 v42, 26, v4
	v_cmp_ne_u32_e32 vcc_lo, 0, v10
	v_ashrrev_i32_e32 v10, 31, v45
	v_lshlrev_b32_e32 v44, 25, v4
	v_ashrrev_i32_e32 v7, 31, v7
	v_mul_lo_u32 v5, 0x84, v4
	v_xor_b32_e32 v6, vcc_lo, v6
	v_cmp_gt_i32_e32 vcc_lo, 0, v8
	v_not_b32_e32 v8, v9
	v_xor_b32_e32 v10, s20, v10
	v_cmp_gt_i32_e64 s20, 0, v9
	v_and_b32_e32 v6, exec_lo, v6
	v_not_b32_e32 v9, v41
	v_ashrrev_i32_e32 v8, 31, v8
	v_xor_b32_e32 v7, vcc_lo, v7
	v_cmp_gt_i32_e32 vcc_lo, 0, v41
	v_and_b32_e32 v6, v6, v10
	v_not_b32_e32 v10, v42
	v_ashrrev_i32_e32 v9, 31, v9
	v_xor_b32_e32 v8, s20, v8
	v_lshlrev_b32_e32 v4, 24, v4
	v_and_b32_e32 v6, v6, v7
	v_cmp_gt_i32_e64 s20, 0, v42
	v_not_b32_e32 v7, v44
	v_ashrrev_i32_e32 v10, 31, v10
	v_xor_b32_e32 v9, vcc_lo, v9
	v_and_b32_e32 v6, v6, v8
	v_cmp_gt_i32_e32 vcc_lo, 0, v44
	v_not_b32_e32 v8, v4
	v_ashrrev_i32_e32 v7, 31, v7
	v_xor_b32_e32 v10, s20, v10
	v_and_b32_e32 v6, v6, v9
	v_cmp_gt_i32_e64 s20, 0, v4
	v_ashrrev_i32_e32 v4, 31, v8
	v_xor_b32_e32 v7, vcc_lo, v7
	v_lshl_add_u32 v46, v3, 2, v5
	v_and_b32_e32 v6, v6, v10
	v_xor_b32_e32 v4, s20, v4
	ds_read_b32 v41, v46 offset:128
	v_and_b32_e32 v5, v6, v7
	; wave barrier
	v_and_b32_e32 v4, v5, v4
	v_mbcnt_lo_u32_b32 v42, v4, 0
	v_cmp_ne_u32_e64 s20, 0, v4
	v_cmp_eq_u32_e32 vcc_lo, 0, v42
	s_and_b32 s21, s20, vcc_lo
	s_and_saveexec_b32 s20, s21
	s_cbranch_execz .LBB830_41
; %bb.40:
	s_waitcnt lgkmcnt(0)
	v_bcnt_u32_b32 v4, v4, v41
	ds_write_b32 v46, v4 offset:128
.LBB830_41:
	s_or_b32 exec_lo, exec_lo, s20
	v_lshrrev_b32_e32 v4, s44, v22
	; wave barrier
	v_and_b32_e32 v4, s49, v4
	v_and_b32_e32 v6, 1, v4
	v_lshlrev_b32_e32 v7, 30, v4
	v_lshlrev_b32_e32 v8, 29, v4
	;; [unrolled: 1-line block ×4, first 2 shown]
	v_add_co_u32 v6, s20, v6, -1
	v_cndmask_b32_e64 v10, 0, 1, s20
	v_not_b32_e32 v48, v7
	v_cmp_gt_i32_e64 s20, 0, v7
	v_not_b32_e32 v7, v8
	v_lshlrev_b32_e32 v45, 26, v4
	v_cmp_ne_u32_e32 vcc_lo, 0, v10
	v_ashrrev_i32_e32 v10, 31, v48
	v_lshlrev_b32_e32 v47, 25, v4
	v_ashrrev_i32_e32 v7, 31, v7
	v_mul_lo_u32 v5, 0x84, v4
	v_xor_b32_e32 v6, vcc_lo, v6
	v_cmp_gt_i32_e32 vcc_lo, 0, v8
	v_not_b32_e32 v8, v9
	v_xor_b32_e32 v10, s20, v10
	v_cmp_gt_i32_e64 s20, 0, v9
	v_and_b32_e32 v6, exec_lo, v6
	v_not_b32_e32 v9, v44
	v_ashrrev_i32_e32 v8, 31, v8
	v_xor_b32_e32 v7, vcc_lo, v7
	v_cmp_gt_i32_e32 vcc_lo, 0, v44
	v_and_b32_e32 v6, v6, v10
	v_not_b32_e32 v10, v45
	v_ashrrev_i32_e32 v9, 31, v9
	v_xor_b32_e32 v8, s20, v8
	v_lshlrev_b32_e32 v4, 24, v4
	v_and_b32_e32 v6, v6, v7
	v_cmp_gt_i32_e64 s20, 0, v45
	v_not_b32_e32 v7, v47
	v_ashrrev_i32_e32 v10, 31, v10
	v_xor_b32_e32 v9, vcc_lo, v9
	v_and_b32_e32 v6, v6, v8
	v_cmp_gt_i32_e32 vcc_lo, 0, v47
	v_not_b32_e32 v8, v4
	v_ashrrev_i32_e32 v7, 31, v7
	v_xor_b32_e32 v10, s20, v10
	v_and_b32_e32 v6, v6, v9
	v_cmp_gt_i32_e64 s20, 0, v4
	v_ashrrev_i32_e32 v4, 31, v8
	v_xor_b32_e32 v7, vcc_lo, v7
	v_lshl_add_u32 v49, v3, 2, v5
	v_and_b32_e32 v6, v6, v10
	v_xor_b32_e32 v4, s20, v4
	ds_read_b32 v44, v49 offset:128
	v_and_b32_e32 v5, v6, v7
	; wave barrier
	v_and_b32_e32 v4, v5, v4
	v_mbcnt_lo_u32_b32 v45, v4, 0
	v_cmp_ne_u32_e64 s20, 0, v4
	v_cmp_eq_u32_e32 vcc_lo, 0, v45
	s_and_b32 s21, s20, vcc_lo
	s_and_saveexec_b32 s20, s21
	s_cbranch_execz .LBB830_43
; %bb.42:
	s_waitcnt lgkmcnt(0)
	v_bcnt_u32_b32 v4, v4, v44
	ds_write_b32 v49, v4 offset:128
.LBB830_43:
	s_or_b32 exec_lo, exec_lo, s20
	v_lshrrev_b32_e32 v4, s44, v21
	; wave barrier
	v_and_b32_e32 v4, s49, v4
	v_and_b32_e32 v6, 1, v4
	v_lshlrev_b32_e32 v7, 30, v4
	v_lshlrev_b32_e32 v8, 29, v4
	;; [unrolled: 1-line block ×4, first 2 shown]
	v_add_co_u32 v6, s20, v6, -1
	v_cndmask_b32_e64 v10, 0, 1, s20
	v_not_b32_e32 v51, v7
	v_cmp_gt_i32_e64 s20, 0, v7
	v_not_b32_e32 v7, v8
	v_lshlrev_b32_e32 v48, 26, v4
	v_cmp_ne_u32_e32 vcc_lo, 0, v10
	v_ashrrev_i32_e32 v10, 31, v51
	v_lshlrev_b32_e32 v50, 25, v4
	v_ashrrev_i32_e32 v7, 31, v7
	v_mul_lo_u32 v5, 0x84, v4
	v_xor_b32_e32 v6, vcc_lo, v6
	v_cmp_gt_i32_e32 vcc_lo, 0, v8
	v_not_b32_e32 v8, v9
	v_xor_b32_e32 v10, s20, v10
	v_cmp_gt_i32_e64 s20, 0, v9
	v_and_b32_e32 v6, exec_lo, v6
	v_not_b32_e32 v9, v47
	v_ashrrev_i32_e32 v8, 31, v8
	v_xor_b32_e32 v7, vcc_lo, v7
	v_cmp_gt_i32_e32 vcc_lo, 0, v47
	v_and_b32_e32 v6, v6, v10
	v_not_b32_e32 v10, v48
	v_ashrrev_i32_e32 v9, 31, v9
	v_xor_b32_e32 v8, s20, v8
	v_lshlrev_b32_e32 v4, 24, v4
	v_and_b32_e32 v6, v6, v7
	v_cmp_gt_i32_e64 s20, 0, v48
	v_not_b32_e32 v7, v50
	v_ashrrev_i32_e32 v10, 31, v10
	v_xor_b32_e32 v9, vcc_lo, v9
	v_and_b32_e32 v6, v6, v8
	v_cmp_gt_i32_e32 vcc_lo, 0, v50
	v_not_b32_e32 v8, v4
	v_ashrrev_i32_e32 v7, 31, v7
	v_xor_b32_e32 v10, s20, v10
	v_and_b32_e32 v6, v6, v9
	v_cmp_gt_i32_e64 s20, 0, v4
	v_ashrrev_i32_e32 v4, 31, v8
	v_xor_b32_e32 v7, vcc_lo, v7
	v_lshl_add_u32 v52, v3, 2, v5
	v_and_b32_e32 v6, v6, v10
	v_xor_b32_e32 v4, s20, v4
	ds_read_b32 v47, v52 offset:128
	v_and_b32_e32 v5, v6, v7
	; wave barrier
	v_and_b32_e32 v4, v5, v4
	v_mbcnt_lo_u32_b32 v48, v4, 0
	v_cmp_ne_u32_e64 s20, 0, v4
	v_cmp_eq_u32_e32 vcc_lo, 0, v48
	s_and_b32 s21, s20, vcc_lo
	s_and_saveexec_b32 s20, s21
	s_cbranch_execz .LBB830_45
; %bb.44:
	s_waitcnt lgkmcnt(0)
	v_bcnt_u32_b32 v4, v4, v47
	ds_write_b32 v52, v4 offset:128
.LBB830_45:
	s_or_b32 exec_lo, exec_lo, s20
	v_lshrrev_b32_e32 v4, s44, v24
	; wave barrier
	v_and_b32_e32 v4, s49, v4
	v_and_b32_e32 v6, 1, v4
	v_lshlrev_b32_e32 v7, 30, v4
	v_lshlrev_b32_e32 v8, 29, v4
	;; [unrolled: 1-line block ×4, first 2 shown]
	v_add_co_u32 v6, s20, v6, -1
	v_cndmask_b32_e64 v10, 0, 1, s20
	v_not_b32_e32 v54, v7
	v_cmp_gt_i32_e64 s20, 0, v7
	v_not_b32_e32 v7, v8
	v_lshlrev_b32_e32 v51, 26, v4
	v_cmp_ne_u32_e32 vcc_lo, 0, v10
	v_ashrrev_i32_e32 v10, 31, v54
	v_lshlrev_b32_e32 v53, 25, v4
	v_ashrrev_i32_e32 v7, 31, v7
	v_mul_lo_u32 v5, 0x84, v4
	v_xor_b32_e32 v6, vcc_lo, v6
	v_cmp_gt_i32_e32 vcc_lo, 0, v8
	v_not_b32_e32 v8, v9
	v_xor_b32_e32 v10, s20, v10
	v_cmp_gt_i32_e64 s20, 0, v9
	v_and_b32_e32 v6, exec_lo, v6
	v_not_b32_e32 v9, v50
	v_ashrrev_i32_e32 v8, 31, v8
	v_xor_b32_e32 v7, vcc_lo, v7
	v_cmp_gt_i32_e32 vcc_lo, 0, v50
	v_and_b32_e32 v6, v6, v10
	v_not_b32_e32 v10, v51
	v_ashrrev_i32_e32 v9, 31, v9
	v_xor_b32_e32 v8, s20, v8
	v_lshlrev_b32_e32 v4, 24, v4
	v_and_b32_e32 v6, v6, v7
	v_cmp_gt_i32_e64 s20, 0, v51
	v_not_b32_e32 v7, v53
	v_ashrrev_i32_e32 v10, 31, v10
	v_xor_b32_e32 v9, vcc_lo, v9
	v_and_b32_e32 v6, v6, v8
	v_cmp_gt_i32_e32 vcc_lo, 0, v53
	v_not_b32_e32 v8, v4
	v_ashrrev_i32_e32 v7, 31, v7
	v_xor_b32_e32 v10, s20, v10
	v_and_b32_e32 v6, v6, v9
	v_cmp_gt_i32_e64 s20, 0, v4
	v_ashrrev_i32_e32 v4, 31, v8
	v_xor_b32_e32 v7, vcc_lo, v7
	v_lshl_add_u32 v55, v3, 2, v5
	v_and_b32_e32 v6, v6, v10
	v_xor_b32_e32 v4, s20, v4
	ds_read_b32 v50, v55 offset:128
	v_and_b32_e32 v5, v6, v7
	; wave barrier
	v_and_b32_e32 v4, v5, v4
	v_mbcnt_lo_u32_b32 v51, v4, 0
	v_cmp_ne_u32_e64 s20, 0, v4
	v_cmp_eq_u32_e32 vcc_lo, 0, v51
	s_and_b32 s21, s20, vcc_lo
	s_and_saveexec_b32 s20, s21
	s_cbranch_execz .LBB830_47
; %bb.46:
	s_waitcnt lgkmcnt(0)
	v_bcnt_u32_b32 v4, v4, v50
	ds_write_b32 v55, v4 offset:128
.LBB830_47:
	s_or_b32 exec_lo, exec_lo, s20
	v_lshrrev_b32_e32 v4, s44, v23
	; wave barrier
	v_and_b32_e32 v4, s49, v4
	v_and_b32_e32 v6, 1, v4
	v_lshlrev_b32_e32 v7, 30, v4
	v_lshlrev_b32_e32 v8, 29, v4
	;; [unrolled: 1-line block ×4, first 2 shown]
	v_add_co_u32 v6, s20, v6, -1
	v_cndmask_b32_e64 v10, 0, 1, s20
	v_not_b32_e32 v57, v7
	v_cmp_gt_i32_e64 s20, 0, v7
	v_not_b32_e32 v7, v8
	v_lshlrev_b32_e32 v54, 26, v4
	v_cmp_ne_u32_e32 vcc_lo, 0, v10
	v_ashrrev_i32_e32 v10, 31, v57
	v_lshlrev_b32_e32 v56, 25, v4
	v_ashrrev_i32_e32 v7, 31, v7
	v_mul_lo_u32 v5, 0x84, v4
	v_xor_b32_e32 v6, vcc_lo, v6
	v_cmp_gt_i32_e32 vcc_lo, 0, v8
	v_not_b32_e32 v8, v9
	v_xor_b32_e32 v10, s20, v10
	v_cmp_gt_i32_e64 s20, 0, v9
	v_and_b32_e32 v6, exec_lo, v6
	v_not_b32_e32 v9, v53
	v_ashrrev_i32_e32 v8, 31, v8
	v_xor_b32_e32 v7, vcc_lo, v7
	v_cmp_gt_i32_e32 vcc_lo, 0, v53
	v_and_b32_e32 v6, v6, v10
	v_not_b32_e32 v10, v54
	v_ashrrev_i32_e32 v9, 31, v9
	v_xor_b32_e32 v8, s20, v8
	v_lshlrev_b32_e32 v4, 24, v4
	v_and_b32_e32 v6, v6, v7
	v_cmp_gt_i32_e64 s20, 0, v54
	v_not_b32_e32 v7, v56
	v_ashrrev_i32_e32 v10, 31, v10
	v_xor_b32_e32 v9, vcc_lo, v9
	v_and_b32_e32 v6, v6, v8
	v_cmp_gt_i32_e32 vcc_lo, 0, v56
	v_not_b32_e32 v8, v4
	v_ashrrev_i32_e32 v7, 31, v7
	v_xor_b32_e32 v10, s20, v10
	v_and_b32_e32 v6, v6, v9
	v_cmp_gt_i32_e64 s20, 0, v4
	v_ashrrev_i32_e32 v4, 31, v8
	v_xor_b32_e32 v7, vcc_lo, v7
	v_lshl_add_u32 v58, v3, 2, v5
	v_and_b32_e32 v6, v6, v10
	v_xor_b32_e32 v4, s20, v4
	ds_read_b32 v53, v58 offset:128
	v_and_b32_e32 v5, v6, v7
	; wave barrier
	v_and_b32_e32 v4, v5, v4
	v_mbcnt_lo_u32_b32 v54, v4, 0
	v_cmp_ne_u32_e64 s20, 0, v4
	v_cmp_eq_u32_e32 vcc_lo, 0, v54
	s_and_b32 s21, s20, vcc_lo
	s_and_saveexec_b32 s20, s21
	s_cbranch_execz .LBB830_49
; %bb.48:
	s_waitcnt lgkmcnt(0)
	v_bcnt_u32_b32 v4, v4, v53
	ds_write_b32 v58, v4 offset:128
.LBB830_49:
	s_or_b32 exec_lo, exec_lo, s20
	v_lshrrev_b32_e32 v4, s44, v26
	; wave barrier
	v_and_b32_e32 v4, s49, v4
	v_and_b32_e32 v6, 1, v4
	v_lshlrev_b32_e32 v7, 30, v4
	v_lshlrev_b32_e32 v8, 29, v4
	;; [unrolled: 1-line block ×4, first 2 shown]
	v_add_co_u32 v6, s20, v6, -1
	v_cndmask_b32_e64 v10, 0, 1, s20
	v_not_b32_e32 v60, v7
	v_cmp_gt_i32_e64 s20, 0, v7
	v_not_b32_e32 v7, v8
	v_lshlrev_b32_e32 v57, 26, v4
	v_cmp_ne_u32_e32 vcc_lo, 0, v10
	v_ashrrev_i32_e32 v10, 31, v60
	v_lshlrev_b32_e32 v59, 25, v4
	v_ashrrev_i32_e32 v7, 31, v7
	v_mul_lo_u32 v5, 0x84, v4
	v_xor_b32_e32 v6, vcc_lo, v6
	v_cmp_gt_i32_e32 vcc_lo, 0, v8
	v_not_b32_e32 v8, v9
	v_xor_b32_e32 v10, s20, v10
	v_cmp_gt_i32_e64 s20, 0, v9
	v_and_b32_e32 v6, exec_lo, v6
	v_not_b32_e32 v9, v56
	v_ashrrev_i32_e32 v8, 31, v8
	v_xor_b32_e32 v7, vcc_lo, v7
	v_cmp_gt_i32_e32 vcc_lo, 0, v56
	v_and_b32_e32 v6, v6, v10
	v_not_b32_e32 v10, v57
	v_ashrrev_i32_e32 v9, 31, v9
	v_xor_b32_e32 v8, s20, v8
	v_lshlrev_b32_e32 v4, 24, v4
	v_and_b32_e32 v6, v6, v7
	v_cmp_gt_i32_e64 s20, 0, v57
	v_not_b32_e32 v7, v59
	v_ashrrev_i32_e32 v10, 31, v10
	v_xor_b32_e32 v9, vcc_lo, v9
	v_and_b32_e32 v6, v6, v8
	v_cmp_gt_i32_e32 vcc_lo, 0, v59
	v_not_b32_e32 v8, v4
	v_ashrrev_i32_e32 v7, 31, v7
	v_xor_b32_e32 v10, s20, v10
	v_and_b32_e32 v6, v6, v9
	v_cmp_gt_i32_e64 s20, 0, v4
	v_ashrrev_i32_e32 v4, 31, v8
	v_xor_b32_e32 v7, vcc_lo, v7
	v_lshl_add_u32 v61, v3, 2, v5
	v_and_b32_e32 v6, v6, v10
	v_xor_b32_e32 v4, s20, v4
	ds_read_b32 v56, v61 offset:128
	v_and_b32_e32 v5, v6, v7
	; wave barrier
	v_and_b32_e32 v4, v5, v4
	v_mbcnt_lo_u32_b32 v57, v4, 0
	v_cmp_ne_u32_e64 s20, 0, v4
	v_cmp_eq_u32_e32 vcc_lo, 0, v57
	s_and_b32 s21, s20, vcc_lo
	s_and_saveexec_b32 s20, s21
	s_cbranch_execz .LBB830_51
; %bb.50:
	s_waitcnt lgkmcnt(0)
	v_bcnt_u32_b32 v4, v4, v56
	ds_write_b32 v61, v4 offset:128
.LBB830_51:
	s_or_b32 exec_lo, exec_lo, s20
	v_lshrrev_b32_e32 v4, s44, v25
	; wave barrier
	v_and_b32_e32 v4, s49, v4
	v_and_b32_e32 v6, 1, v4
	v_lshlrev_b32_e32 v7, 30, v4
	v_lshlrev_b32_e32 v8, 29, v4
	;; [unrolled: 1-line block ×4, first 2 shown]
	v_add_co_u32 v6, s20, v6, -1
	v_cndmask_b32_e64 v10, 0, 1, s20
	v_not_b32_e32 v63, v7
	v_cmp_gt_i32_e64 s20, 0, v7
	v_not_b32_e32 v7, v8
	v_lshlrev_b32_e32 v60, 26, v4
	v_cmp_ne_u32_e32 vcc_lo, 0, v10
	v_ashrrev_i32_e32 v10, 31, v63
	v_lshlrev_b32_e32 v62, 25, v4
	v_ashrrev_i32_e32 v7, 31, v7
	v_mul_lo_u32 v5, 0x84, v4
	v_xor_b32_e32 v6, vcc_lo, v6
	v_cmp_gt_i32_e32 vcc_lo, 0, v8
	v_not_b32_e32 v8, v9
	v_xor_b32_e32 v10, s20, v10
	v_cmp_gt_i32_e64 s20, 0, v9
	v_and_b32_e32 v6, exec_lo, v6
	v_not_b32_e32 v9, v59
	v_ashrrev_i32_e32 v8, 31, v8
	v_xor_b32_e32 v7, vcc_lo, v7
	v_cmp_gt_i32_e32 vcc_lo, 0, v59
	v_and_b32_e32 v6, v6, v10
	v_not_b32_e32 v10, v60
	v_ashrrev_i32_e32 v9, 31, v9
	v_xor_b32_e32 v8, s20, v8
	v_lshlrev_b32_e32 v4, 24, v4
	v_and_b32_e32 v6, v6, v7
	v_cmp_gt_i32_e64 s20, 0, v60
	v_not_b32_e32 v7, v62
	v_ashrrev_i32_e32 v10, 31, v10
	v_xor_b32_e32 v9, vcc_lo, v9
	v_and_b32_e32 v6, v6, v8
	v_cmp_gt_i32_e32 vcc_lo, 0, v62
	v_not_b32_e32 v8, v4
	v_ashrrev_i32_e32 v7, 31, v7
	v_xor_b32_e32 v10, s20, v10
	v_and_b32_e32 v6, v6, v9
	v_cmp_gt_i32_e64 s20, 0, v4
	v_ashrrev_i32_e32 v4, 31, v8
	v_xor_b32_e32 v7, vcc_lo, v7
	v_lshl_add_u32 v62, v3, 2, v5
	v_and_b32_e32 v6, v6, v10
	v_xor_b32_e32 v3, s20, v4
	ds_read_b32 v59, v62 offset:128
	v_and_b32_e32 v4, v6, v7
	; wave barrier
	v_and_b32_e32 v3, v4, v3
	v_mbcnt_lo_u32_b32 v60, v3, 0
	v_cmp_ne_u32_e64 s20, 0, v3
	v_cmp_eq_u32_e32 vcc_lo, 0, v60
	s_and_b32 s21, s20, vcc_lo
	s_and_saveexec_b32 s20, s21
	s_cbranch_execz .LBB830_53
; %bb.52:
	s_waitcnt lgkmcnt(0)
	v_bcnt_u32_b32 v3, v3, v59
	ds_write_b32 v62, v3 offset:128
.LBB830_53:
	s_or_b32 exec_lo, exec_lo, s20
	; wave barrier
	s_waitcnt lgkmcnt(0)
	s_barrier
	buffer_gl0_inv
	ds_read2_b32 v[9:10], v30 offset0:32 offset1:33
	ds_read2_b32 v[7:8], v30 offset0:34 offset1:35
	;; [unrolled: 1-line block ×4, first 2 shown]
	ds_read_b32 v63, v30 offset:160
	v_and_b32_e32 v66, 16, v11
	v_and_b32_e32 v67, 31, v0
	s_mov_b32 s25, exec_lo
	v_cmp_eq_u32_e64 s23, 0, v66
	s_waitcnt lgkmcnt(3)
	v_add3_u32 v64, v10, v9, v7
	s_waitcnt lgkmcnt(2)
	v_add3_u32 v64, v64, v8, v5
	;; [unrolled: 2-line block ×4, first 2 shown]
	v_and_b32_e32 v64, 15, v11
	v_mov_b32_dpp v65, v63 row_shr:1 row_mask:0xf bank_mask:0xf
	v_cmp_eq_u32_e32 vcc_lo, 0, v64
	v_cmp_lt_u32_e64 s20, 1, v64
	v_cmp_lt_u32_e64 s21, 3, v64
	;; [unrolled: 1-line block ×3, first 2 shown]
	v_cndmask_b32_e64 v65, v65, 0, vcc_lo
	v_add_nc_u32_e32 v63, v65, v63
	v_mov_b32_dpp v65, v63 row_shr:2 row_mask:0xf bank_mask:0xf
	v_cndmask_b32_e64 v65, 0, v65, s20
	v_add_nc_u32_e32 v63, v63, v65
	v_mov_b32_dpp v65, v63 row_shr:4 row_mask:0xf bank_mask:0xf
	v_cndmask_b32_e64 v65, 0, v65, s21
	;; [unrolled: 3-line block ×3, first 2 shown]
	v_bfe_i32 v65, v11, 4, 1
	v_add_nc_u32_e32 v63, v63, v64
	ds_swizzle_b32 v64, v63 offset:swizzle(BROADCAST,32,15)
	s_waitcnt lgkmcnt(0)
	v_and_b32_e32 v65, v65, v64
	v_lshrrev_b32_e32 v64, 5, v0
	v_add_nc_u32_e32 v63, v63, v65
	v_cmpx_eq_u32_e32 31, v67
; %bb.54:
	v_lshlrev_b32_e32 v65, 2, v64
	ds_write_b32 v65, v63
; %bb.55:
	s_or_b32 exec_lo, exec_lo, s25
	v_cmp_lt_u32_e64 s24, 31, v0
	s_mov_b32 s50, exec_lo
	s_waitcnt lgkmcnt(0)
	s_barrier
	buffer_gl0_inv
	v_cmpx_gt_u32_e32 32, v0
	s_cbranch_execz .LBB830_57
; %bb.56:
	v_lshlrev_b32_e32 v65, 2, v0
	ds_read_b32 v66, v65
	s_waitcnt lgkmcnt(0)
	v_mov_b32_dpp v67, v66 row_shr:1 row_mask:0xf bank_mask:0xf
	v_cndmask_b32_e64 v67, v67, 0, vcc_lo
	v_add_nc_u32_e32 v66, v67, v66
	v_mov_b32_dpp v67, v66 row_shr:2 row_mask:0xf bank_mask:0xf
	v_cndmask_b32_e64 v67, 0, v67, s20
	v_add_nc_u32_e32 v66, v66, v67
	v_mov_b32_dpp v67, v66 row_shr:4 row_mask:0xf bank_mask:0xf
	v_cndmask_b32_e64 v67, 0, v67, s21
	;; [unrolled: 3-line block ×3, first 2 shown]
	v_add_nc_u32_e32 v66, v66, v67
	ds_swizzle_b32 v67, v66 offset:swizzle(BROADCAST,32,15)
	s_waitcnt lgkmcnt(0)
	v_cndmask_b32_e64 v67, v67, 0, s23
	v_add_nc_u32_e32 v66, v66, v67
	ds_write_b32 v65, v66
.LBB830_57:
	s_or_b32 exec_lo, exec_lo, s50
	v_mov_b32_e32 v65, 0
	s_waitcnt lgkmcnt(0)
	s_barrier
	buffer_gl0_inv
	s_and_saveexec_b32 s20, s24
; %bb.58:
	v_lshl_add_u32 v64, v64, 2, -4
	ds_read_b32 v65, v64
; %bb.59:
	s_or_b32 exec_lo, exec_lo, s20
	v_sub_co_u32 v64, vcc_lo, v11, 1
	s_waitcnt lgkmcnt(0)
	v_add_nc_u32_e32 v63, v65, v63
	v_cmp_gt_i32_e64 s20, 0, v64
	v_cndmask_b32_e64 v64, v64, v11, s20
	v_cmp_lt_u32_e64 s20, 0xff, v0
	v_lshlrev_b32_e32 v64, 2, v64
	ds_bpermute_b32 v63, v64, v63
	s_waitcnt lgkmcnt(0)
	v_cndmask_b32_e32 v63, v63, v65, vcc_lo
	v_cmp_gt_u32_e32 vcc_lo, 0x100, v0
	v_cndmask_b32_e64 v63, v63, 0, s7
	v_add_nc_u32_e32 v9, v63, v9
	v_add_nc_u32_e32 v10, v9, v10
	;; [unrolled: 1-line block ×8, first 2 shown]
	ds_write2_b32 v30, v63, v9 offset0:32 offset1:33
	ds_write2_b32 v30, v10, v7 offset0:34 offset1:35
	;; [unrolled: 1-line block ×4, first 2 shown]
	ds_write_b32 v30, v4 offset:160
	s_waitcnt lgkmcnt(0)
	s_barrier
	buffer_gl0_inv
	ds_read_b32 v31, v31 offset:128
	ds_read_b32 v34, v34 offset:128
	;; [unrolled: 1-line block ×12, first 2 shown]
                                        ; implicit-def: $vgpr9
                                        ; implicit-def: $vgpr10
	s_and_saveexec_b32 s22, vcc_lo
	s_cbranch_execz .LBB830_63
; %bb.60:
	v_mul_u32_u24_e32 v3, 0x84, v0
	v_add_nc_u32_e32 v4, 1, v0
	s_mov_b32 s23, exec_lo
	ds_read_b32 v9, v3 offset:128
	v_mov_b32_e32 v3, 0x3000
	v_cmpx_ne_u32_e32 0x100, v4
; %bb.61:
	v_mul_u32_u24_e32 v3, 0x84, v4
	ds_read_b32 v3, v3 offset:128
; %bb.62:
	s_or_b32 exec_lo, exec_lo, s23
	s_waitcnt lgkmcnt(0)
	v_sub_nc_u32_e32 v10, v3, v9
.LBB830_63:
	s_or_b32 exec_lo, exec_lo, s22
	v_mov_b32_e32 v4, 0
	v_lshlrev_b32_e32 v30, 2, v0
	s_waitcnt lgkmcnt(0)
	s_barrier
	buffer_gl0_inv
	s_and_saveexec_b32 s21, vcc_lo
	s_cbranch_execz .LBB830_73
; %bb.64:
	v_lshl_add_u32 v3, s33, 8, v0
	v_mov_b32_e32 v63, 0
	s_mov_b32 s22, 0
	s_mov_b32 s23, s33
                                        ; implicit-def: $sgpr24
	v_lshlrev_b64 v[5:6], 2, v[3:4]
	v_or_b32_e32 v3, 2.0, v10
	v_add_co_u32 v5, vcc_lo, s26, v5
	v_add_co_ci_u32_e64 v6, null, s27, v6, vcc_lo
	global_store_dword v[5:6], v3, off
	s_branch .LBB830_67
	.p2align	6
.LBB830_65:                             ;   in Loop: Header=BB830_67 Depth=1
	s_or_b32 exec_lo, exec_lo, s25
.LBB830_66:                             ;   in Loop: Header=BB830_67 Depth=1
	s_or_b32 exec_lo, exec_lo, s24
	v_and_b32_e32 v7, 0x3fffffff, v3
	v_cmp_gt_i32_e64 s24, -2.0, v3
	v_add_nc_u32_e32 v63, v7, v63
	s_and_b32 s25, exec_lo, s24
	s_or_b32 s22, s25, s22
	s_andn2_b32 exec_lo, exec_lo, s22
	s_cbranch_execz .LBB830_72
.LBB830_67:                             ; =>This Loop Header: Depth=1
                                        ;     Child Loop BB830_70 Depth 2
	s_or_b32 s24, s24, exec_lo
	s_cmp_eq_u32 s23, 0
	s_cbranch_scc1 .LBB830_71
; %bb.68:                               ;   in Loop: Header=BB830_67 Depth=1
	s_add_i32 s23, s23, -1
	s_mov_b32 s24, exec_lo
	v_lshl_or_b32 v3, s23, 8, v0
	v_lshlrev_b64 v[7:8], 2, v[3:4]
	v_add_co_u32 v7, vcc_lo, s26, v7
	v_add_co_ci_u32_e64 v8, null, s27, v8, vcc_lo
	global_load_dword v3, v[7:8], off glc dlc
	s_waitcnt vmcnt(0)
	v_cmpx_gt_u32_e32 2.0, v3
	s_cbranch_execz .LBB830_66
; %bb.69:                               ;   in Loop: Header=BB830_67 Depth=1
	s_mov_b32 s25, 0
.LBB830_70:                             ;   Parent Loop BB830_67 Depth=1
                                        ; =>  This Inner Loop Header: Depth=2
	global_load_dword v3, v[7:8], off glc dlc
	s_waitcnt vmcnt(0)
	v_cmp_lt_u32_e32 vcc_lo, 0x3fffffff, v3
	s_or_b32 s25, vcc_lo, s25
	s_andn2_b32 exec_lo, exec_lo, s25
	s_cbranch_execnz .LBB830_70
	s_branch .LBB830_65
.LBB830_71:                             ;   in Loop: Header=BB830_67 Depth=1
                                        ; implicit-def: $sgpr23
	s_and_b32 s25, exec_lo, s24
	s_or_b32 s22, s25, s22
	s_andn2_b32 exec_lo, exec_lo, s22
	s_cbranch_execnz .LBB830_67
.LBB830_72:
	s_or_b32 exec_lo, exec_lo, s22
	v_add_nc_u32_e32 v3, v63, v10
	v_sub_nc_u32_e32 v4, v63, v9
	v_or_b32_e32 v3, 0x80000000, v3
	global_store_dword v[5:6], v3, off
	global_load_dword v3, v30, s[28:29]
	s_waitcnt vmcnt(0)
	v_add_nc_u32_e32 v3, v4, v3
	ds_write_b32 v30, v3
.LBB830_73:
	s_or_b32 exec_lo, exec_lo, s21
	v_add_nc_u32_e32 v5, v31, v27
	v_add3_u32 v6, v29, v28, v34
	v_add3_u32 v7, v33, v32, v37
	;; [unrolled: 1-line block ×11, first 2 shown]
	v_mov_b32_e32 v4, 0
	v_mov_b32_e32 v36, v5
	v_mov_b32_e32 v37, v6
	v_mov_b32_e32 v38, v7
	v_mov_b32_e32 v39, v8
	v_mov_b32_e32 v40, v27
	v_mov_b32_e32 v41, v28
	v_mov_b32_e32 v42, v29
	v_mov_b32_e32 v43, v31
	v_mov_b32_e32 v44, v32
	v_mov_b32_e32 v45, v33
	v_mov_b32_e32 v46, v34
	v_mov_b32_e32 v47, v35
	v_mov_b32_e32 v48, v0
	s_mov_b32 s21, 32
	s_mov_b32 s23, 0
	s_mov_b32 s22, -1
	s_branch .LBB830_75
.LBB830_74:                             ;   in Loop: Header=BB830_75 Depth=1
	s_or_b32 exec_lo, exec_lo, s24
	v_add_nc_u32_e32 v48, 0x2000, v48
	v_add_nc_u32_e32 v47, 0xffffe000, v47
	v_add_nc_u32_e32 v46, 0xffffe000, v46
	v_add_nc_u32_e32 v45, 0xffffe000, v45
	v_add_nc_u32_e32 v44, 0xffffe000, v44
	v_add_nc_u32_e32 v43, 0xffffe000, v43
	v_add_nc_u32_e32 v42, 0xffffe000, v42
	v_add_nc_u32_e32 v41, 0xffffe000, v41
	v_add_nc_u32_e32 v40, 0xffffe000, v40
	v_add_nc_u32_e32 v39, 0xffffe000, v39
	v_add_nc_u32_e32 v38, 0xffffe000, v38
	v_add_nc_u32_e32 v37, 0xffffe000, v37
	v_add_nc_u32_e32 v36, 0xffffe000, v36
	s_xor_b32 s23, s22, -1
	s_mov_b32 s22, 0
	s_and_b32 vcc_lo, exec_lo, s23
	s_mov_b32 s23, s21
	s_waitcnt_vscnt null, 0x0
	s_barrier
	buffer_gl0_inv
	s_cbranch_vccnz .LBB830_91
.LBB830_75:                             ; =>This Inner Loop Header: Depth=1
	v_min_u32_e32 v3, 0x2000, v36
	v_min_u32_e32 v49, 0x2000, v37
	;; [unrolled: 1-line block ×5, first 2 shown]
	v_lshlrev_b32_e32 v3, 2, v3
	v_lshlrev_b32_e32 v49, 2, v49
	v_min_u32_e32 v53, 0x2000, v41
	v_lshlrev_b32_e32 v50, 2, v50
	s_mov_b32 s24, exec_lo
	ds_write_b32 v3, v16 offset:1024
	ds_write_b32 v49, v15 offset:1024
	v_min_u32_e32 v3, 0x2000, v42
	v_lshlrev_b32_e32 v49, 2, v51
	v_lshlrev_b32_e32 v51, 2, v52
	v_lshlrev_b32_e32 v52, 2, v53
	ds_write_b32 v50, v18 offset:1024
	v_lshlrev_b32_e32 v3, 2, v3
	ds_write_b32 v49, v17 offset:1024
	ds_write_b32 v51, v20 offset:1024
	ds_write_b32 v52, v19 offset:1024
	v_min_u32_e32 v49, 0x2000, v43
	v_min_u32_e32 v50, 0x2000, v45
	v_min_u32_e32 v51, 0x2000, v46
	ds_write_b32 v3, v22 offset:1024
	v_min_u32_e32 v3, 0x2000, v44
	v_lshlrev_b32_e32 v49, 2, v49
	v_min_u32_e32 v52, 0x2000, v47
	v_lshlrev_b32_e32 v50, 2, v50
	v_lshlrev_b32_e32 v51, 2, v51
	;; [unrolled: 1-line block ×3, first 2 shown]
	ds_write_b32 v49, v21 offset:1024
	v_lshlrev_b32_e32 v49, 2, v52
	ds_write_b32 v3, v24 offset:1024
	ds_write_b32 v50, v23 offset:1024
	;; [unrolled: 1-line block ×4, first 2 shown]
	s_waitcnt lgkmcnt(0)
	s_waitcnt_vscnt null, 0x0
	s_barrier
	buffer_gl0_inv
	v_cmpx_gt_u32_e64 s48, v48
	s_cbranch_execz .LBB830_77
; %bb.76:                               ;   in Loop: Header=BB830_75 Depth=1
	ds_read_b32 v51, v30 offset:1024
	s_waitcnt lgkmcnt(0)
	v_lshrrev_b32_e32 v3, s44, v51
	v_and_b32_e32 v52, s49, v3
	v_lshlrev_b32_e32 v3, 2, v52
	ds_read_b32 v3, v3
	s_waitcnt lgkmcnt(0)
	v_add_nc_u32_e32 v3, v48, v3
	v_lshlrev_b64 v[49:50], 2, v[3:4]
	v_xor_b32_e32 v3, 0x80000000, v51
	v_mov_b32_e32 v51, s23
	v_add_co_u32 v49, vcc_lo, s38, v49
	v_add_co_ci_u32_e64 v50, null, s39, v50, vcc_lo
	buffer_store_dword v52, v51, s[0:3], 0 offen
	global_store_dword v[49:50], v3, off
.LBB830_77:                             ;   in Loop: Header=BB830_75 Depth=1
	s_or_b32 exec_lo, exec_lo, s24
	v_add_nc_u32_e32 v3, 0x400, v48
	s_mov_b32 s24, exec_lo
	v_cmpx_gt_u32_e64 s48, v3
	s_cbranch_execz .LBB830_79
; %bb.78:                               ;   in Loop: Header=BB830_75 Depth=1
	ds_read_b32 v51, v30 offset:5120
	s_waitcnt lgkmcnt(0)
	v_lshrrev_b32_e32 v3, s44, v51
	v_and_b32_e32 v52, s49, v3
	v_lshlrev_b32_e32 v3, 2, v52
	ds_read_b32 v3, v3
	s_waitcnt lgkmcnt(0)
	v_add3_u32 v3, v48, v3, 0x400
	v_lshlrev_b64 v[49:50], 2, v[3:4]
	v_xor_b32_e32 v3, 0x80000000, v51
	v_mov_b32_e32 v51, s23
	v_add_co_u32 v49, vcc_lo, s38, v49
	v_add_co_ci_u32_e64 v50, null, s39, v50, vcc_lo
	buffer_store_dword v52, v51, s[0:3], 0 offen offset:4
	global_store_dword v[49:50], v3, off
.LBB830_79:                             ;   in Loop: Header=BB830_75 Depth=1
	s_or_b32 exec_lo, exec_lo, s24
	v_add_nc_u32_e32 v3, 0x800, v48
	s_mov_b32 s24, exec_lo
	v_cmpx_gt_u32_e64 s48, v3
	s_cbranch_execz .LBB830_81
; %bb.80:                               ;   in Loop: Header=BB830_75 Depth=1
	ds_read_b32 v51, v30 offset:9216
	s_waitcnt lgkmcnt(0)
	v_lshrrev_b32_e32 v3, s44, v51
	v_and_b32_e32 v52, s49, v3
	v_lshlrev_b32_e32 v3, 2, v52
	ds_read_b32 v3, v3
	s_waitcnt lgkmcnt(0)
	v_add3_u32 v3, v48, v3, 0x800
	v_lshlrev_b64 v[49:50], 2, v[3:4]
	v_xor_b32_e32 v3, 0x80000000, v51
	v_mov_b32_e32 v51, s23
	v_add_co_u32 v49, vcc_lo, s38, v49
	v_add_co_ci_u32_e64 v50, null, s39, v50, vcc_lo
	buffer_store_dword v52, v51, s[0:3], 0 offen offset:8
	global_store_dword v[49:50], v3, off
.LBB830_81:                             ;   in Loop: Header=BB830_75 Depth=1
	;; [unrolled: 22-line block ×6, first 2 shown]
	s_or_b32 exec_lo, exec_lo, s24
	v_add_nc_u32_e32 v3, 0x1c00, v48
	s_mov_b32 s24, exec_lo
	v_cmpx_gt_u32_e64 s48, v3
	s_cbranch_execz .LBB830_74
; %bb.90:                               ;   in Loop: Header=BB830_75 Depth=1
	ds_read_b32 v51, v30 offset:29696
	s_waitcnt lgkmcnt(0)
	v_lshrrev_b32_e32 v3, s44, v51
	v_and_b32_e32 v52, s49, v3
	v_lshlrev_b32_e32 v3, 2, v52
	ds_read_b32 v3, v3
	s_waitcnt lgkmcnt(0)
	v_add3_u32 v3, v48, v3, 0x1c00
	v_lshlrev_b64 v[49:50], 2, v[3:4]
	v_xor_b32_e32 v3, 0x80000000, v51
	v_mov_b32_e32 v51, s23
	v_add_co_u32 v49, vcc_lo, s38, v49
	v_add_co_ci_u32_e64 v50, null, s39, v50, vcc_lo
	buffer_store_dword v52, v51, s[0:3], 0 offen offset:28
	global_store_dword v[49:50], v3, off
	s_branch .LBB830_74
.LBB830_91:
	s_add_u32 s22, s40, s46
	s_addc_u32 s23, s41, s47
	v_add_co_u32 v3, s22, s22, v13
	v_add_co_ci_u32_e64 v4, null, s23, 0, s22
                                        ; implicit-def: $vgpr13
	v_add_co_u32 v3, vcc_lo, v3, v14
	v_add_co_ci_u32_e64 v4, null, 0, v4, vcc_lo
	s_and_saveexec_b32 s22, s8
	s_cbranch_execz .LBB830_103
; %bb.92:
	global_load_dword v13, v[3:4], off
	s_or_b32 exec_lo, exec_lo, s22
                                        ; implicit-def: $vgpr14
	s_and_saveexec_b32 s8, s9
	s_cbranch_execnz .LBB830_104
.LBB830_93:
	s_or_b32 exec_lo, exec_lo, s8
                                        ; implicit-def: $vgpr15
	s_and_saveexec_b32 s8, s10
	s_cbranch_execz .LBB830_105
.LBB830_94:
	global_load_dword v15, v[3:4], off offset:256
	s_or_b32 exec_lo, exec_lo, s8
                                        ; implicit-def: $vgpr16
	s_and_saveexec_b32 s8, s11
	s_cbranch_execnz .LBB830_106
.LBB830_95:
	s_or_b32 exec_lo, exec_lo, s8
                                        ; implicit-def: $vgpr17
	s_and_saveexec_b32 s8, s12
	s_cbranch_execz .LBB830_107
.LBB830_96:
	global_load_dword v17, v[3:4], off offset:512
	s_or_b32 exec_lo, exec_lo, s8
                                        ; implicit-def: $vgpr18
	s_and_saveexec_b32 s8, s13
	s_cbranch_execnz .LBB830_108
.LBB830_97:
	s_or_b32 exec_lo, exec_lo, s8
                                        ; implicit-def: $vgpr19
	s_and_saveexec_b32 s8, s14
	s_cbranch_execz .LBB830_109
.LBB830_98:
	global_load_dword v19, v[3:4], off offset:768
	s_or_b32 exec_lo, exec_lo, s8
                                        ; implicit-def: $vgpr20
	s_and_saveexec_b32 s8, s15
	s_cbranch_execnz .LBB830_110
.LBB830_99:
	s_or_b32 exec_lo, exec_lo, s8
                                        ; implicit-def: $vgpr21
	s_and_saveexec_b32 s8, s16
	s_cbranch_execz .LBB830_111
.LBB830_100:
	global_load_dword v21, v[3:4], off offset:1024
	s_or_b32 exec_lo, exec_lo, s8
                                        ; implicit-def: $vgpr22
	s_and_saveexec_b32 s8, s17
	s_cbranch_execnz .LBB830_112
.LBB830_101:
	s_or_b32 exec_lo, exec_lo, s8
                                        ; implicit-def: $vgpr23
	s_and_saveexec_b32 s8, s18
	s_cbranch_execz .LBB830_113
.LBB830_102:
	global_load_dword v23, v[3:4], off offset:1280
	s_or_b32 exec_lo, exec_lo, s8
                                        ; implicit-def: $vgpr24
	s_and_saveexec_b32 s8, s19
	s_cbranch_execnz .LBB830_114
	s_branch .LBB830_115
.LBB830_103:
	s_or_b32 exec_lo, exec_lo, s22
                                        ; implicit-def: $vgpr14
	s_and_saveexec_b32 s8, s9
	s_cbranch_execz .LBB830_93
.LBB830_104:
	global_load_dword v14, v[3:4], off offset:128
	s_or_b32 exec_lo, exec_lo, s8
                                        ; implicit-def: $vgpr15
	s_and_saveexec_b32 s8, s10
	s_cbranch_execnz .LBB830_94
.LBB830_105:
	s_or_b32 exec_lo, exec_lo, s8
                                        ; implicit-def: $vgpr16
	s_and_saveexec_b32 s8, s11
	s_cbranch_execz .LBB830_95
.LBB830_106:
	global_load_dword v16, v[3:4], off offset:384
	s_or_b32 exec_lo, exec_lo, s8
                                        ; implicit-def: $vgpr17
	s_and_saveexec_b32 s8, s12
	s_cbranch_execnz .LBB830_96
.LBB830_107:
	s_or_b32 exec_lo, exec_lo, s8
                                        ; implicit-def: $vgpr18
	s_and_saveexec_b32 s8, s13
	s_cbranch_execz .LBB830_97
.LBB830_108:
	global_load_dword v18, v[3:4], off offset:640
	s_or_b32 exec_lo, exec_lo, s8
                                        ; implicit-def: $vgpr19
	s_and_saveexec_b32 s8, s14
	s_cbranch_execnz .LBB830_98
.LBB830_109:
	s_or_b32 exec_lo, exec_lo, s8
                                        ; implicit-def: $vgpr20
	s_and_saveexec_b32 s8, s15
	s_cbranch_execz .LBB830_99
.LBB830_110:
	global_load_dword v20, v[3:4], off offset:896
	s_or_b32 exec_lo, exec_lo, s8
                                        ; implicit-def: $vgpr21
	s_and_saveexec_b32 s8, s16
	s_cbranch_execnz .LBB830_100
.LBB830_111:
	s_or_b32 exec_lo, exec_lo, s8
                                        ; implicit-def: $vgpr22
	s_and_saveexec_b32 s8, s17
	s_cbranch_execz .LBB830_101
.LBB830_112:
	global_load_dword v22, v[3:4], off offset:1152
	s_or_b32 exec_lo, exec_lo, s8
                                        ; implicit-def: $vgpr23
	s_and_saveexec_b32 s8, s18
	s_cbranch_execnz .LBB830_102
.LBB830_113:
	s_or_b32 exec_lo, exec_lo, s8
                                        ; implicit-def: $vgpr24
	s_and_saveexec_b32 s8, s19
	s_cbranch_execz .LBB830_115
.LBB830_114:
	global_load_dword v24, v[3:4], off offset:1408
.LBB830_115:
	s_or_b32 exec_lo, exec_lo, s8
	v_mov_b32_e32 v4, 0
	v_mov_b32_e32 v25, v0
	s_mov_b32 s9, 0
	s_mov_b32 s8, -1
	s_branch .LBB830_117
.LBB830_116:                            ;   in Loop: Header=BB830_117 Depth=1
	s_or_b32 exec_lo, exec_lo, s10
	v_add_nc_u32_e32 v25, 0x2000, v25
	v_add_nc_u32_e32 v35, 0xffffe000, v35
	;; [unrolled: 1-line block ×13, first 2 shown]
	s_xor_b32 s9, s8, -1
	s_mov_b32 s8, 0
	s_and_b32 vcc_lo, exec_lo, s9
	s_mov_b32 s9, s21
	s_waitcnt_vscnt null, 0x0
	s_barrier
	buffer_gl0_inv
	s_cbranch_vccnz .LBB830_133
.LBB830_117:                            ; =>This Inner Loop Header: Depth=1
	v_min_u32_e32 v3, 0x2000, v5
	v_min_u32_e32 v26, 0x2000, v6
	;; [unrolled: 1-line block ×5, first 2 shown]
	v_lshlrev_b32_e32 v3, 2, v3
	v_lshlrev_b32_e32 v26, 2, v26
	v_min_u32_e32 v39, 0x2000, v28
	v_lshlrev_b32_e32 v36, 2, v36
	s_mov_b32 s10, exec_lo
	s_waitcnt vmcnt(0)
	ds_write_b32 v3, v13 offset:1024
	ds_write_b32 v26, v14 offset:1024
	v_min_u32_e32 v3, 0x2000, v29
	v_lshlrev_b32_e32 v26, 2, v37
	v_lshlrev_b32_e32 v37, 2, v38
	;; [unrolled: 1-line block ×3, first 2 shown]
	ds_write_b32 v36, v15 offset:1024
	v_lshlrev_b32_e32 v3, 2, v3
	ds_write_b32 v26, v16 offset:1024
	ds_write_b32 v37, v17 offset:1024
	;; [unrolled: 1-line block ×3, first 2 shown]
	v_min_u32_e32 v26, 0x2000, v31
	v_min_u32_e32 v36, 0x2000, v33
	;; [unrolled: 1-line block ×3, first 2 shown]
	ds_write_b32 v3, v19 offset:1024
	v_min_u32_e32 v3, 0x2000, v32
	v_lshlrev_b32_e32 v26, 2, v26
	v_min_u32_e32 v38, 0x2000, v35
	v_lshlrev_b32_e32 v36, 2, v36
	v_lshlrev_b32_e32 v37, 2, v37
	;; [unrolled: 1-line block ×3, first 2 shown]
	ds_write_b32 v26, v20 offset:1024
	v_lshlrev_b32_e32 v26, 2, v38
	ds_write_b32 v3, v21 offset:1024
	ds_write_b32 v36, v22 offset:1024
	;; [unrolled: 1-line block ×4, first 2 shown]
	s_waitcnt lgkmcnt(0)
	s_barrier
	buffer_gl0_inv
	v_cmpx_gt_u32_e64 s48, v25
	s_cbranch_execz .LBB830_119
; %bb.118:                              ;   in Loop: Header=BB830_117 Depth=1
	v_mov_b32_e32 v3, s9
	buffer_load_dword v3, v3, s[0:3], 0 offen
	s_waitcnt vmcnt(0)
	v_lshlrev_b32_e32 v3, 2, v3
	ds_read_b32 v3, v3
	ds_read_b32 v26, v30 offset:1024
	s_waitcnt lgkmcnt(1)
	v_add_nc_u32_e32 v3, v25, v3
	v_lshlrev_b64 v[36:37], 2, v[3:4]
	v_add_co_u32 v36, vcc_lo, s42, v36
	v_add_co_ci_u32_e64 v37, null, s43, v37, vcc_lo
	s_waitcnt lgkmcnt(0)
	global_store_dword v[36:37], v26, off
.LBB830_119:                            ;   in Loop: Header=BB830_117 Depth=1
	s_or_b32 exec_lo, exec_lo, s10
	v_add_nc_u32_e32 v3, 0x400, v25
	s_mov_b32 s10, exec_lo
	v_cmpx_gt_u32_e64 s48, v3
	s_cbranch_execz .LBB830_121
; %bb.120:                              ;   in Loop: Header=BB830_117 Depth=1
	v_mov_b32_e32 v3, s9
	buffer_load_dword v3, v3, s[0:3], 0 offen offset:4
	s_waitcnt vmcnt(0)
	v_lshlrev_b32_e32 v3, 2, v3
	ds_read_b32 v3, v3
	ds_read_b32 v26, v30 offset:5120
	s_waitcnt lgkmcnt(1)
	v_add3_u32 v3, v25, v3, 0x400
	v_lshlrev_b64 v[36:37], 2, v[3:4]
	v_add_co_u32 v36, vcc_lo, s42, v36
	v_add_co_ci_u32_e64 v37, null, s43, v37, vcc_lo
	s_waitcnt lgkmcnt(0)
	global_store_dword v[36:37], v26, off
.LBB830_121:                            ;   in Loop: Header=BB830_117 Depth=1
	s_or_b32 exec_lo, exec_lo, s10
	v_add_nc_u32_e32 v3, 0x800, v25
	s_mov_b32 s10, exec_lo
	v_cmpx_gt_u32_e64 s48, v3
	s_cbranch_execz .LBB830_123
; %bb.122:                              ;   in Loop: Header=BB830_117 Depth=1
	v_mov_b32_e32 v3, s9
	buffer_load_dword v3, v3, s[0:3], 0 offen offset:8
	s_waitcnt vmcnt(0)
	v_lshlrev_b32_e32 v3, 2, v3
	ds_read_b32 v3, v3
	ds_read_b32 v26, v30 offset:9216
	s_waitcnt lgkmcnt(1)
	v_add3_u32 v3, v25, v3, 0x800
	v_lshlrev_b64 v[36:37], 2, v[3:4]
	v_add_co_u32 v36, vcc_lo, s42, v36
	v_add_co_ci_u32_e64 v37, null, s43, v37, vcc_lo
	s_waitcnt lgkmcnt(0)
	global_store_dword v[36:37], v26, off
.LBB830_123:                            ;   in Loop: Header=BB830_117 Depth=1
	s_or_b32 exec_lo, exec_lo, s10
	v_add_nc_u32_e32 v3, 0xc00, v25
	s_mov_b32 s10, exec_lo
	v_cmpx_gt_u32_e64 s48, v3
	s_cbranch_execz .LBB830_125
; %bb.124:                              ;   in Loop: Header=BB830_117 Depth=1
	v_mov_b32_e32 v3, s9
	buffer_load_dword v3, v3, s[0:3], 0 offen offset:12
	s_waitcnt vmcnt(0)
	v_lshlrev_b32_e32 v3, 2, v3
	ds_read_b32 v3, v3
	ds_read_b32 v26, v30 offset:13312
	s_waitcnt lgkmcnt(1)
	v_add3_u32 v3, v25, v3, 0xc00
	v_lshlrev_b64 v[36:37], 2, v[3:4]
	v_add_co_u32 v36, vcc_lo, s42, v36
	v_add_co_ci_u32_e64 v37, null, s43, v37, vcc_lo
	s_waitcnt lgkmcnt(0)
	global_store_dword v[36:37], v26, off
.LBB830_125:                            ;   in Loop: Header=BB830_117 Depth=1
	s_or_b32 exec_lo, exec_lo, s10
	v_add_nc_u32_e32 v3, 0x1000, v25
	s_mov_b32 s10, exec_lo
	v_cmpx_gt_u32_e64 s48, v3
	s_cbranch_execz .LBB830_127
; %bb.126:                              ;   in Loop: Header=BB830_117 Depth=1
	v_mov_b32_e32 v3, s9
	buffer_load_dword v3, v3, s[0:3], 0 offen offset:16
	s_waitcnt vmcnt(0)
	v_lshlrev_b32_e32 v3, 2, v3
	ds_read_b32 v3, v3
	ds_read_b32 v26, v30 offset:17408
	s_waitcnt lgkmcnt(1)
	v_add3_u32 v3, v25, v3, 0x1000
	v_lshlrev_b64 v[36:37], 2, v[3:4]
	v_add_co_u32 v36, vcc_lo, s42, v36
	v_add_co_ci_u32_e64 v37, null, s43, v37, vcc_lo
	s_waitcnt lgkmcnt(0)
	global_store_dword v[36:37], v26, off
.LBB830_127:                            ;   in Loop: Header=BB830_117 Depth=1
	s_or_b32 exec_lo, exec_lo, s10
	v_add_nc_u32_e32 v3, 0x1400, v25
	s_mov_b32 s10, exec_lo
	v_cmpx_gt_u32_e64 s48, v3
	s_cbranch_execz .LBB830_129
; %bb.128:                              ;   in Loop: Header=BB830_117 Depth=1
	v_mov_b32_e32 v3, s9
	buffer_load_dword v3, v3, s[0:3], 0 offen offset:20
	s_waitcnt vmcnt(0)
	v_lshlrev_b32_e32 v3, 2, v3
	ds_read_b32 v3, v3
	ds_read_b32 v26, v30 offset:21504
	s_waitcnt lgkmcnt(1)
	v_add3_u32 v3, v25, v3, 0x1400
	v_lshlrev_b64 v[36:37], 2, v[3:4]
	v_add_co_u32 v36, vcc_lo, s42, v36
	v_add_co_ci_u32_e64 v37, null, s43, v37, vcc_lo
	s_waitcnt lgkmcnt(0)
	global_store_dword v[36:37], v26, off
.LBB830_129:                            ;   in Loop: Header=BB830_117 Depth=1
	s_or_b32 exec_lo, exec_lo, s10
	v_add_nc_u32_e32 v3, 0x1800, v25
	s_mov_b32 s10, exec_lo
	v_cmpx_gt_u32_e64 s48, v3
	s_cbranch_execz .LBB830_131
; %bb.130:                              ;   in Loop: Header=BB830_117 Depth=1
	v_mov_b32_e32 v3, s9
	buffer_load_dword v3, v3, s[0:3], 0 offen offset:24
	s_waitcnt vmcnt(0)
	v_lshlrev_b32_e32 v3, 2, v3
	ds_read_b32 v3, v3
	ds_read_b32 v26, v30 offset:25600
	s_waitcnt lgkmcnt(1)
	v_add3_u32 v3, v25, v3, 0x1800
	v_lshlrev_b64 v[36:37], 2, v[3:4]
	v_add_co_u32 v36, vcc_lo, s42, v36
	v_add_co_ci_u32_e64 v37, null, s43, v37, vcc_lo
	s_waitcnt lgkmcnt(0)
	global_store_dword v[36:37], v26, off
.LBB830_131:                            ;   in Loop: Header=BB830_117 Depth=1
	s_or_b32 exec_lo, exec_lo, s10
	v_add_nc_u32_e32 v3, 0x1c00, v25
	s_mov_b32 s10, exec_lo
	v_cmpx_gt_u32_e64 s48, v3
	s_cbranch_execz .LBB830_116
; %bb.132:                              ;   in Loop: Header=BB830_117 Depth=1
	v_mov_b32_e32 v3, s9
	buffer_load_dword v3, v3, s[0:3], 0 offen offset:28
	s_waitcnt vmcnt(0)
	v_lshlrev_b32_e32 v3, 2, v3
	ds_read_b32 v3, v3
	ds_read_b32 v26, v30 offset:29696
	s_waitcnt lgkmcnt(1)
	v_add3_u32 v3, v25, v3, 0x1c00
	v_lshlrev_b64 v[36:37], 2, v[3:4]
	v_add_co_u32 v36, vcc_lo, s42, v36
	v_add_co_ci_u32_e64 v37, null, s43, v37, vcc_lo
	s_waitcnt lgkmcnt(0)
	global_store_dword v[36:37], v26, off
	s_branch .LBB830_116
.LBB830_133:
	s_add_i32 s35, s35, -1
	s_cmp_eq_u32 s33, s35
	s_cselect_b32 s8, -1, 0
	s_xor_b32 s9, s20, -1
	s_and_b32 s9, s9, s8
	s_and_saveexec_b32 s8, s9
	s_cbranch_execz .LBB830_135
; %bb.134:
	ds_read_b32 v3, v30
	s_waitcnt lgkmcnt(0)
	v_add3_u32 v3, v9, v10, v3
	global_store_dword v30, v3, s[30:31]
.LBB830_135:
	s_or_b32 exec_lo, exec_lo, s8
	s_mov_b32 s9, 0
.LBB830_136:
	s_and_b32 vcc_lo, exec_lo, s9
	s_cbranch_vccz .LBB830_203
; %bb.137:
	s_mov_b32 s35, 0
	v_mul_u32_u24_e32 v3, 12, v12
	v_lshlrev_b32_e32 v9, 2, v11
	s_lshl_b64 s[12:13], s[34:35], 2
	v_mov_b32_e32 v22, 0
	s_add_u32 s8, s36, s12
	s_addc_u32 s9, s37, s13
	v_lshlrev_b32_e32 v10, 2, v3
	v_add_co_u32 v3, s8, s8, v9
	v_add_co_ci_u32_e64 v4, null, s9, 0, s8
	v_add_co_u32 v18, vcc_lo, v3, v10
	v_add_co_ci_u32_e64 v19, null, 0, v4, vcc_lo
	global_load_dword v12, v[18:19], off
	s_clause 0x1
	s_load_dword s8, s[4:5], 0x64
	s_load_dword s11, s[4:5], 0x58
	s_add_u32 s4, s4, 0x58
	s_addc_u32 s5, s5, 0
	s_waitcnt lgkmcnt(0)
	s_lshr_b32 s8, s8, 16
	s_cmp_lt_u32 s6, s11
	v_mad_u32_u24 v1, v2, s8, v1
	s_cselect_b32 s6, 12, 18
	s_add_u32 s4, s4, s6
	s_addc_u32 s5, s5, 0
	global_load_ushort v16, v22, s[4:5]
	s_clause 0xa
	global_load_dword v13, v[18:19], off offset:128
	global_load_dword v14, v[18:19], off offset:256
	global_load_dword v15, v[18:19], off offset:384
	global_load_dword v17, v[18:19], off offset:512
	global_load_dword v20, v[18:19], off offset:640
	global_load_dword v8, v[18:19], off offset:768
	global_load_dword v7, v[18:19], off offset:896
	global_load_dword v6, v[18:19], off offset:1024
	global_load_dword v5, v[18:19], off offset:1152
	global_load_dword v4, v[18:19], off offset:1280
	global_load_dword v3, v[18:19], off offset:1408
	s_lshl_b32 s4, -1, s45
	s_not_b32 s14, s4
	s_waitcnt vmcnt(12)
	v_xor_b32_e32 v12, 0x80000000, v12
	v_lshrrev_b32_e32 v18, s44, v12
	v_and_b32_e32 v18, s14, v18
	v_and_b32_e32 v19, 1, v18
	v_lshlrev_b32_e32 v21, 30, v18
	v_lshlrev_b32_e32 v23, 29, v18
	;; [unrolled: 1-line block ×4, first 2 shown]
	v_add_co_u32 v19, s4, v19, -1
	v_cndmask_b32_e64 v25, 0, 1, s4
	v_not_b32_e32 v29, v21
	v_cmp_gt_i32_e64 s4, 0, v21
	v_not_b32_e32 v21, v23
	v_lshlrev_b32_e32 v27, 26, v18
	v_cmp_ne_u32_e32 vcc_lo, 0, v25
	v_ashrrev_i32_e32 v29, 31, v29
	v_lshlrev_b32_e32 v28, 25, v18
	v_ashrrev_i32_e32 v21, 31, v21
	v_lshlrev_b32_e32 v25, 24, v18
	v_xor_b32_e32 v19, vcc_lo, v19
	v_cmp_gt_i32_e32 vcc_lo, 0, v23
	v_not_b32_e32 v23, v24
	v_xor_b32_e32 v29, s4, v29
	v_cmp_gt_i32_e64 s4, 0, v24
	v_and_b32_e32 v19, exec_lo, v19
	v_not_b32_e32 v24, v26
	v_ashrrev_i32_e32 v23, 31, v23
	v_xor_b32_e32 v21, vcc_lo, v21
	v_cmp_gt_i32_e32 vcc_lo, 0, v26
	v_and_b32_e32 v19, v19, v29
	v_not_b32_e32 v26, v27
	v_ashrrev_i32_e32 v24, 31, v24
	v_xor_b32_e32 v23, s4, v23
	v_cmp_gt_i32_e64 s4, 0, v27
	v_and_b32_e32 v19, v19, v21
	v_not_b32_e32 v21, v28
	v_ashrrev_i32_e32 v26, 31, v26
	v_xor_b32_e32 v24, vcc_lo, v24
	v_cmp_gt_i32_e32 vcc_lo, 0, v28
	v_and_b32_e32 v19, v19, v23
	v_not_b32_e32 v23, v25
	v_ashrrev_i32_e32 v21, 31, v21
	v_xor_b32_e32 v26, s4, v26
	v_cmp_gt_i32_e64 s4, 0, v25
	v_and_b32_e32 v19, v19, v24
	v_ashrrev_i32_e32 v23, 31, v23
	v_xor_b32_e32 v21, vcc_lo, v21
	s_waitcnt vmcnt(11)
	v_mad_u64_u32 v[1:2], null, v1, v16, v[0:1]
	v_and_b32_e32 v19, v19, v26
	v_xor_b32_e32 v23, s4, v23
	v_mul_lo_u32 v18, 0x84, v18
	v_and_b32_e32 v19, v19, v21
	v_mul_u32_u24_e32 v21, 36, v0
	v_lshrrev_b32_e32 v1, 5, v1
	ds_write2_b32 v21, v22, v22 offset0:32 offset1:33
	ds_write2_b32 v21, v22, v22 offset0:34 offset1:35
	;; [unrolled: 1-line block ×3, first 2 shown]
	v_and_b32_e32 v2, v19, v23
	ds_write2_b32 v21, v22, v22 offset0:38 offset1:39
	ds_write_b32 v21, v22 offset:160
	v_lshl_add_u32 v22, v1, 2, v18
	s_waitcnt vmcnt(0) lgkmcnt(0)
	s_waitcnt_vscnt null, 0x0
	s_barrier
	v_mbcnt_lo_u32_b32 v16, v2, 0
	v_cmp_ne_u32_e64 s4, 0, v2
	buffer_gl0_inv
	; wave barrier
	v_cmp_eq_u32_e32 vcc_lo, 0, v16
	s_and_b32 s5, s4, vcc_lo
	s_and_saveexec_b32 s4, s5
; %bb.138:
	v_bcnt_u32_b32 v2, v2, 0
	ds_write_b32 v22, v2 offset:128
; %bb.139:
	s_or_b32 exec_lo, exec_lo, s4
	v_xor_b32_e32 v13, 0x80000000, v13
	; wave barrier
	v_lshrrev_b32_e32 v2, s44, v13
	v_and_b32_e32 v2, s14, v2
	v_and_b32_e32 v19, 1, v2
	v_lshlrev_b32_e32 v23, 30, v2
	v_lshlrev_b32_e32 v24, 29, v2
	;; [unrolled: 1-line block ×4, first 2 shown]
	v_add_co_u32 v19, s4, v19, -1
	v_cndmask_b32_e64 v26, 0, 1, s4
	v_not_b32_e32 v30, v23
	v_cmp_gt_i32_e64 s4, 0, v23
	v_not_b32_e32 v23, v24
	v_lshlrev_b32_e32 v28, 26, v2
	v_cmp_ne_u32_e32 vcc_lo, 0, v26
	v_ashrrev_i32_e32 v26, 31, v30
	v_lshlrev_b32_e32 v29, 25, v2
	v_ashrrev_i32_e32 v23, 31, v23
	v_mul_lo_u32 v18, 0x84, v2
	v_xor_b32_e32 v19, vcc_lo, v19
	v_cmp_gt_i32_e32 vcc_lo, 0, v24
	v_not_b32_e32 v24, v25
	v_xor_b32_e32 v26, s4, v26
	v_cmp_gt_i32_e64 s4, 0, v25
	v_and_b32_e32 v19, exec_lo, v19
	v_not_b32_e32 v25, v27
	v_ashrrev_i32_e32 v24, 31, v24
	v_xor_b32_e32 v23, vcc_lo, v23
	v_cmp_gt_i32_e32 vcc_lo, 0, v27
	v_and_b32_e32 v19, v19, v26
	v_not_b32_e32 v26, v28
	v_ashrrev_i32_e32 v25, 31, v25
	v_xor_b32_e32 v24, s4, v24
	v_lshlrev_b32_e32 v2, 24, v2
	v_and_b32_e32 v19, v19, v23
	v_cmp_gt_i32_e64 s4, 0, v28
	v_not_b32_e32 v23, v29
	v_ashrrev_i32_e32 v26, 31, v26
	v_xor_b32_e32 v25, vcc_lo, v25
	v_and_b32_e32 v19, v19, v24
	v_cmp_gt_i32_e32 vcc_lo, 0, v29
	v_not_b32_e32 v24, v2
	v_ashrrev_i32_e32 v23, 31, v23
	v_xor_b32_e32 v26, s4, v26
	v_and_b32_e32 v19, v19, v25
	v_cmp_gt_i32_e64 s4, 0, v2
	v_ashrrev_i32_e32 v2, 31, v24
	v_xor_b32_e32 v23, vcc_lo, v23
	v_and_b32_e32 v19, v19, v26
	v_lshl_add_u32 v26, v1, 2, v18
	v_xor_b32_e32 v2, s4, v2
	v_and_b32_e32 v19, v19, v23
	ds_read_b32 v18, v26 offset:128
	; wave barrier
	v_and_b32_e32 v2, v19, v2
	v_mbcnt_lo_u32_b32 v19, v2, 0
	v_cmp_ne_u32_e64 s4, 0, v2
	v_cmp_eq_u32_e32 vcc_lo, 0, v19
	s_and_b32 s5, s4, vcc_lo
	s_and_saveexec_b32 s4, s5
	s_cbranch_execz .LBB830_141
; %bb.140:
	s_waitcnt lgkmcnt(0)
	v_bcnt_u32_b32 v2, v2, v18
	ds_write_b32 v26, v2 offset:128
.LBB830_141:
	s_or_b32 exec_lo, exec_lo, s4
	v_xor_b32_e32 v14, 0x80000000, v14
	; wave barrier
	v_lshrrev_b32_e32 v2, s44, v14
	v_and_b32_e32 v2, s14, v2
	v_and_b32_e32 v24, 1, v2
	v_lshlrev_b32_e32 v25, 30, v2
	v_lshlrev_b32_e32 v27, 29, v2
	;; [unrolled: 1-line block ×4, first 2 shown]
	v_add_co_u32 v24, s4, v24, -1
	v_cndmask_b32_e64 v29, 0, 1, s4
	v_not_b32_e32 v33, v25
	v_cmp_gt_i32_e64 s4, 0, v25
	v_not_b32_e32 v25, v27
	v_lshlrev_b32_e32 v31, 26, v2
	v_cmp_ne_u32_e32 vcc_lo, 0, v29
	v_ashrrev_i32_e32 v29, 31, v33
	v_lshlrev_b32_e32 v32, 25, v2
	v_ashrrev_i32_e32 v25, 31, v25
	v_mul_lo_u32 v23, 0x84, v2
	v_xor_b32_e32 v24, vcc_lo, v24
	v_cmp_gt_i32_e32 vcc_lo, 0, v27
	v_not_b32_e32 v27, v28
	v_xor_b32_e32 v29, s4, v29
	v_cmp_gt_i32_e64 s4, 0, v28
	v_and_b32_e32 v24, exec_lo, v24
	v_not_b32_e32 v28, v30
	v_ashrrev_i32_e32 v27, 31, v27
	v_xor_b32_e32 v25, vcc_lo, v25
	v_cmp_gt_i32_e32 vcc_lo, 0, v30
	v_and_b32_e32 v24, v24, v29
	v_not_b32_e32 v29, v31
	v_ashrrev_i32_e32 v28, 31, v28
	v_xor_b32_e32 v27, s4, v27
	v_lshlrev_b32_e32 v2, 24, v2
	v_and_b32_e32 v24, v24, v25
	v_cmp_gt_i32_e64 s4, 0, v31
	v_not_b32_e32 v25, v32
	v_ashrrev_i32_e32 v29, 31, v29
	v_xor_b32_e32 v28, vcc_lo, v28
	v_and_b32_e32 v24, v24, v27
	v_cmp_gt_i32_e32 vcc_lo, 0, v32
	v_not_b32_e32 v27, v2
	v_ashrrev_i32_e32 v25, 31, v25
	v_xor_b32_e32 v29, s4, v29
	v_and_b32_e32 v24, v24, v28
	v_cmp_gt_i32_e64 s4, 0, v2
	v_ashrrev_i32_e32 v2, 31, v27
	v_xor_b32_e32 v25, vcc_lo, v25
	v_lshl_add_u32 v30, v1, 2, v23
	v_and_b32_e32 v24, v24, v29
	v_xor_b32_e32 v2, s4, v2
	ds_read_b32 v23, v30 offset:128
	v_and_b32_e32 v24, v24, v25
	; wave barrier
	v_and_b32_e32 v2, v24, v2
	v_mbcnt_lo_u32_b32 v24, v2, 0
	v_cmp_ne_u32_e64 s4, 0, v2
	v_cmp_eq_u32_e32 vcc_lo, 0, v24
	s_and_b32 s5, s4, vcc_lo
	s_and_saveexec_b32 s4, s5
	s_cbranch_execz .LBB830_143
; %bb.142:
	s_waitcnt lgkmcnt(0)
	v_bcnt_u32_b32 v2, v2, v23
	ds_write_b32 v30, v2 offset:128
.LBB830_143:
	s_or_b32 exec_lo, exec_lo, s4
	v_xor_b32_e32 v15, 0x80000000, v15
	; wave barrier
	v_lshrrev_b32_e32 v2, s44, v15
	v_and_b32_e32 v2, s14, v2
	v_and_b32_e32 v27, 1, v2
	v_lshlrev_b32_e32 v28, 30, v2
	v_lshlrev_b32_e32 v29, 29, v2
	;; [unrolled: 1-line block ×4, first 2 shown]
	v_add_co_u32 v27, s4, v27, -1
	v_cndmask_b32_e64 v32, 0, 1, s4
	v_not_b32_e32 v36, v28
	v_cmp_gt_i32_e64 s4, 0, v28
	v_not_b32_e32 v28, v29
	v_lshlrev_b32_e32 v34, 26, v2
	v_cmp_ne_u32_e32 vcc_lo, 0, v32
	v_ashrrev_i32_e32 v32, 31, v36
	v_lshlrev_b32_e32 v35, 25, v2
	v_ashrrev_i32_e32 v28, 31, v28
	v_mul_lo_u32 v25, 0x84, v2
	v_xor_b32_e32 v27, vcc_lo, v27
	v_cmp_gt_i32_e32 vcc_lo, 0, v29
	v_not_b32_e32 v29, v31
	v_xor_b32_e32 v32, s4, v32
	v_cmp_gt_i32_e64 s4, 0, v31
	v_and_b32_e32 v27, exec_lo, v27
	v_not_b32_e32 v31, v33
	v_ashrrev_i32_e32 v29, 31, v29
	v_xor_b32_e32 v28, vcc_lo, v28
	v_cmp_gt_i32_e32 vcc_lo, 0, v33
	v_and_b32_e32 v27, v27, v32
	v_not_b32_e32 v32, v34
	v_ashrrev_i32_e32 v31, 31, v31
	v_xor_b32_e32 v29, s4, v29
	v_lshlrev_b32_e32 v2, 24, v2
	v_and_b32_e32 v27, v27, v28
	v_cmp_gt_i32_e64 s4, 0, v34
	v_not_b32_e32 v28, v35
	v_ashrrev_i32_e32 v32, 31, v32
	v_xor_b32_e32 v31, vcc_lo, v31
	v_and_b32_e32 v27, v27, v29
	v_cmp_gt_i32_e32 vcc_lo, 0, v35
	v_not_b32_e32 v29, v2
	v_ashrrev_i32_e32 v28, 31, v28
	v_xor_b32_e32 v32, s4, v32
	v_and_b32_e32 v27, v27, v31
	v_cmp_gt_i32_e64 s4, 0, v2
	v_ashrrev_i32_e32 v2, 31, v29
	v_xor_b32_e32 v28, vcc_lo, v28
	v_lshl_add_u32 v34, v1, 2, v25
	v_and_b32_e32 v27, v27, v32
	v_xor_b32_e32 v2, s4, v2
	v_and_b32_e32 v25, v27, v28
	ds_read_b32 v27, v34 offset:128
	; wave barrier
	v_and_b32_e32 v2, v25, v2
	v_mbcnt_lo_u32_b32 v28, v2, 0
	v_cmp_ne_u32_e64 s4, 0, v2
	v_cmp_eq_u32_e32 vcc_lo, 0, v28
	s_and_b32 s5, s4, vcc_lo
	s_and_saveexec_b32 s4, s5
	s_cbranch_execz .LBB830_145
; %bb.144:
	s_waitcnt lgkmcnt(0)
	v_bcnt_u32_b32 v2, v2, v27
	ds_write_b32 v34, v2 offset:128
.LBB830_145:
	s_or_b32 exec_lo, exec_lo, s4
	v_xor_b32_e32 v17, 0x80000000, v17
	; wave barrier
	v_lshrrev_b32_e32 v2, s44, v17
	v_and_b32_e32 v2, s14, v2
	v_and_b32_e32 v29, 1, v2
	v_lshlrev_b32_e32 v31, 30, v2
	v_lshlrev_b32_e32 v32, 29, v2
	v_lshlrev_b32_e32 v33, 28, v2
	v_lshlrev_b32_e32 v36, 27, v2
	v_add_co_u32 v29, s4, v29, -1
	v_cndmask_b32_e64 v35, 0, 1, s4
	v_not_b32_e32 v39, v31
	v_cmp_gt_i32_e64 s4, 0, v31
	v_not_b32_e32 v31, v32
	v_lshlrev_b32_e32 v37, 26, v2
	v_cmp_ne_u32_e32 vcc_lo, 0, v35
	v_ashrrev_i32_e32 v35, 31, v39
	v_lshlrev_b32_e32 v38, 25, v2
	v_ashrrev_i32_e32 v31, 31, v31
	v_mul_lo_u32 v25, 0x84, v2
	v_xor_b32_e32 v29, vcc_lo, v29
	v_cmp_gt_i32_e32 vcc_lo, 0, v32
	v_not_b32_e32 v32, v33
	v_xor_b32_e32 v35, s4, v35
	v_cmp_gt_i32_e64 s4, 0, v33
	v_and_b32_e32 v29, exec_lo, v29
	v_not_b32_e32 v33, v36
	v_ashrrev_i32_e32 v32, 31, v32
	v_xor_b32_e32 v31, vcc_lo, v31
	v_cmp_gt_i32_e32 vcc_lo, 0, v36
	v_and_b32_e32 v29, v29, v35
	v_not_b32_e32 v35, v37
	v_ashrrev_i32_e32 v33, 31, v33
	v_xor_b32_e32 v32, s4, v32
	v_lshlrev_b32_e32 v2, 24, v2
	v_and_b32_e32 v29, v29, v31
	v_cmp_gt_i32_e64 s4, 0, v37
	v_not_b32_e32 v31, v38
	v_ashrrev_i32_e32 v35, 31, v35
	v_xor_b32_e32 v33, vcc_lo, v33
	v_and_b32_e32 v29, v29, v32
	v_cmp_gt_i32_e32 vcc_lo, 0, v38
	v_not_b32_e32 v32, v2
	v_ashrrev_i32_e32 v31, 31, v31
	v_xor_b32_e32 v35, s4, v35
	v_and_b32_e32 v29, v29, v33
	v_cmp_gt_i32_e64 s4, 0, v2
	v_ashrrev_i32_e32 v2, 31, v32
	v_xor_b32_e32 v31, vcc_lo, v31
	v_lshl_add_u32 v38, v1, 2, v25
	v_and_b32_e32 v29, v29, v35
	v_xor_b32_e32 v2, s4, v2
	v_and_b32_e32 v25, v29, v31
	ds_read_b32 v31, v38 offset:128
	; wave barrier
	v_and_b32_e32 v2, v25, v2
	v_mbcnt_lo_u32_b32 v32, v2, 0
	v_cmp_ne_u32_e64 s4, 0, v2
	v_cmp_eq_u32_e32 vcc_lo, 0, v32
	s_and_b32 s5, s4, vcc_lo
	s_and_saveexec_b32 s4, s5
	s_cbranch_execz .LBB830_147
; %bb.146:
	s_waitcnt lgkmcnt(0)
	v_bcnt_u32_b32 v2, v2, v31
	ds_write_b32 v38, v2 offset:128
.LBB830_147:
	s_or_b32 exec_lo, exec_lo, s4
	v_xor_b32_e32 v20, 0x80000000, v20
	; wave barrier
	v_lshrrev_b32_e32 v2, s44, v20
	v_and_b32_e32 v2, s14, v2
	v_and_b32_e32 v29, 1, v2
	v_lshlrev_b32_e32 v33, 30, v2
	v_lshlrev_b32_e32 v35, 29, v2
	;; [unrolled: 1-line block ×4, first 2 shown]
	v_add_co_u32 v29, s4, v29, -1
	v_cndmask_b32_e64 v37, 0, 1, s4
	v_not_b32_e32 v42, v33
	v_cmp_gt_i32_e64 s4, 0, v33
	v_not_b32_e32 v33, v35
	v_lshlrev_b32_e32 v40, 26, v2
	v_cmp_ne_u32_e32 vcc_lo, 0, v37
	v_ashrrev_i32_e32 v37, 31, v42
	v_lshlrev_b32_e32 v41, 25, v2
	v_ashrrev_i32_e32 v33, 31, v33
	v_mul_lo_u32 v25, 0x84, v2
	v_xor_b32_e32 v29, vcc_lo, v29
	v_cmp_gt_i32_e32 vcc_lo, 0, v35
	v_not_b32_e32 v35, v36
	v_xor_b32_e32 v37, s4, v37
	v_cmp_gt_i32_e64 s4, 0, v36
	v_and_b32_e32 v29, exec_lo, v29
	v_not_b32_e32 v36, v39
	v_ashrrev_i32_e32 v35, 31, v35
	v_xor_b32_e32 v33, vcc_lo, v33
	v_cmp_gt_i32_e32 vcc_lo, 0, v39
	v_and_b32_e32 v29, v29, v37
	v_not_b32_e32 v37, v40
	v_ashrrev_i32_e32 v36, 31, v36
	v_xor_b32_e32 v35, s4, v35
	v_lshlrev_b32_e32 v2, 24, v2
	v_and_b32_e32 v29, v29, v33
	v_cmp_gt_i32_e64 s4, 0, v40
	v_not_b32_e32 v33, v41
	v_ashrrev_i32_e32 v37, 31, v37
	v_xor_b32_e32 v36, vcc_lo, v36
	v_and_b32_e32 v29, v29, v35
	v_cmp_gt_i32_e32 vcc_lo, 0, v41
	v_not_b32_e32 v35, v2
	v_ashrrev_i32_e32 v33, 31, v33
	v_xor_b32_e32 v37, s4, v37
	v_and_b32_e32 v29, v29, v36
	v_cmp_gt_i32_e64 s4, 0, v2
	v_ashrrev_i32_e32 v2, 31, v35
	v_xor_b32_e32 v33, vcc_lo, v33
	v_lshl_add_u32 v43, v1, 2, v25
	v_and_b32_e32 v29, v29, v37
	v_xor_b32_e32 v2, s4, v2
	ds_read_b32 v35, v43 offset:128
	v_and_b32_e32 v25, v29, v33
	; wave barrier
	v_and_b32_e32 v2, v25, v2
	v_mbcnt_lo_u32_b32 v36, v2, 0
	v_cmp_ne_u32_e64 s4, 0, v2
	v_cmp_eq_u32_e32 vcc_lo, 0, v36
	s_and_b32 s5, s4, vcc_lo
	s_and_saveexec_b32 s4, s5
	s_cbranch_execz .LBB830_149
; %bb.148:
	s_waitcnt lgkmcnt(0)
	v_bcnt_u32_b32 v2, v2, v35
	ds_write_b32 v43, v2 offset:128
.LBB830_149:
	s_or_b32 exec_lo, exec_lo, s4
	v_xor_b32_e32 v25, 0x80000000, v8
	; wave barrier
	v_lshrrev_b32_e32 v2, s44, v25
	v_and_b32_e32 v2, s14, v2
	v_and_b32_e32 v29, 1, v2
	v_lshlrev_b32_e32 v33, 30, v2
	v_lshlrev_b32_e32 v37, 29, v2
	;; [unrolled: 1-line block ×4, first 2 shown]
	v_add_co_u32 v29, s4, v29, -1
	v_cndmask_b32_e64 v40, 0, 1, s4
	v_not_b32_e32 v45, v33
	v_cmp_gt_i32_e64 s4, 0, v33
	v_not_b32_e32 v33, v37
	v_lshlrev_b32_e32 v42, 26, v2
	v_cmp_ne_u32_e32 vcc_lo, 0, v40
	v_ashrrev_i32_e32 v40, 31, v45
	v_lshlrev_b32_e32 v44, 25, v2
	v_ashrrev_i32_e32 v33, 31, v33
	v_mul_lo_u32 v8, 0x84, v2
	v_xor_b32_e32 v29, vcc_lo, v29
	v_cmp_gt_i32_e32 vcc_lo, 0, v37
	v_not_b32_e32 v37, v39
	v_xor_b32_e32 v40, s4, v40
	v_cmp_gt_i32_e64 s4, 0, v39
	v_and_b32_e32 v29, exec_lo, v29
	v_not_b32_e32 v39, v41
	v_ashrrev_i32_e32 v37, 31, v37
	v_xor_b32_e32 v33, vcc_lo, v33
	v_cmp_gt_i32_e32 vcc_lo, 0, v41
	v_and_b32_e32 v29, v29, v40
	v_not_b32_e32 v40, v42
	v_ashrrev_i32_e32 v39, 31, v39
	v_xor_b32_e32 v37, s4, v37
	v_lshlrev_b32_e32 v2, 24, v2
	v_and_b32_e32 v29, v29, v33
	v_cmp_gt_i32_e64 s4, 0, v42
	v_not_b32_e32 v33, v44
	v_ashrrev_i32_e32 v40, 31, v40
	v_xor_b32_e32 v39, vcc_lo, v39
	v_and_b32_e32 v29, v29, v37
	v_cmp_gt_i32_e32 vcc_lo, 0, v44
	v_not_b32_e32 v37, v2
	v_ashrrev_i32_e32 v33, 31, v33
	v_xor_b32_e32 v40, s4, v40
	v_and_b32_e32 v29, v29, v39
	v_cmp_gt_i32_e64 s4, 0, v2
	v_ashrrev_i32_e32 v2, 31, v37
	v_xor_b32_e32 v33, vcc_lo, v33
	v_lshl_add_u32 v47, v1, 2, v8
	v_and_b32_e32 v29, v29, v40
	v_xor_b32_e32 v2, s4, v2
	ds_read_b32 v39, v47 offset:128
	v_and_b32_e32 v8, v29, v33
	; wave barrier
	v_and_b32_e32 v2, v8, v2
	v_mbcnt_lo_u32_b32 v41, v2, 0
	v_cmp_ne_u32_e64 s4, 0, v2
	v_cmp_eq_u32_e32 vcc_lo, 0, v41
	s_and_b32 s5, s4, vcc_lo
	s_and_saveexec_b32 s4, s5
	s_cbranch_execz .LBB830_151
; %bb.150:
	s_waitcnt lgkmcnt(0)
	v_bcnt_u32_b32 v2, v2, v39
	ds_write_b32 v47, v2 offset:128
.LBB830_151:
	s_or_b32 exec_lo, exec_lo, s4
	v_xor_b32_e32 v29, 0x80000000, v7
	; wave barrier
	v_lshrrev_b32_e32 v2, s44, v29
	v_and_b32_e32 v2, s14, v2
	v_and_b32_e32 v8, 1, v2
	v_lshlrev_b32_e32 v33, 30, v2
	v_lshlrev_b32_e32 v37, 29, v2
	;; [unrolled: 1-line block ×4, first 2 shown]
	v_add_co_u32 v8, s4, v8, -1
	v_cndmask_b32_e64 v42, 0, 1, s4
	v_not_b32_e32 v48, v33
	v_cmp_gt_i32_e64 s4, 0, v33
	v_not_b32_e32 v33, v37
	v_lshlrev_b32_e32 v45, 26, v2
	v_cmp_ne_u32_e32 vcc_lo, 0, v42
	v_ashrrev_i32_e32 v42, 31, v48
	v_lshlrev_b32_e32 v46, 25, v2
	v_ashrrev_i32_e32 v33, 31, v33
	v_mul_lo_u32 v7, 0x84, v2
	v_xor_b32_e32 v8, vcc_lo, v8
	v_cmp_gt_i32_e32 vcc_lo, 0, v37
	v_not_b32_e32 v37, v40
	v_xor_b32_e32 v42, s4, v42
	v_cmp_gt_i32_e64 s4, 0, v40
	v_and_b32_e32 v8, exec_lo, v8
	v_not_b32_e32 v40, v44
	v_ashrrev_i32_e32 v37, 31, v37
	v_xor_b32_e32 v33, vcc_lo, v33
	v_cmp_gt_i32_e32 vcc_lo, 0, v44
	v_and_b32_e32 v8, v8, v42
	v_not_b32_e32 v42, v45
	v_ashrrev_i32_e32 v40, 31, v40
	v_xor_b32_e32 v37, s4, v37
	v_lshlrev_b32_e32 v2, 24, v2
	v_and_b32_e32 v8, v8, v33
	v_cmp_gt_i32_e64 s4, 0, v45
	v_not_b32_e32 v33, v46
	v_ashrrev_i32_e32 v42, 31, v42
	v_xor_b32_e32 v40, vcc_lo, v40
	v_and_b32_e32 v8, v8, v37
	v_cmp_gt_i32_e32 vcc_lo, 0, v46
	v_not_b32_e32 v37, v2
	v_ashrrev_i32_e32 v33, 31, v33
	v_xor_b32_e32 v42, s4, v42
	v_and_b32_e32 v8, v8, v40
	v_cmp_gt_i32_e64 s4, 0, v2
	v_ashrrev_i32_e32 v2, 31, v37
	v_xor_b32_e32 v33, vcc_lo, v33
	v_lshl_add_u32 v50, v1, 2, v7
	v_and_b32_e32 v8, v8, v42
	v_xor_b32_e32 v2, s4, v2
	ds_read_b32 v44, v50 offset:128
	v_and_b32_e32 v7, v8, v33
	; wave barrier
	v_and_b32_e32 v2, v7, v2
	v_mbcnt_lo_u32_b32 v45, v2, 0
	v_cmp_ne_u32_e64 s4, 0, v2
	v_cmp_eq_u32_e32 vcc_lo, 0, v45
	s_and_b32 s5, s4, vcc_lo
	s_and_saveexec_b32 s4, s5
	s_cbranch_execz .LBB830_153
; %bb.152:
	s_waitcnt lgkmcnt(0)
	v_bcnt_u32_b32 v2, v2, v44
	ds_write_b32 v50, v2 offset:128
.LBB830_153:
	s_or_b32 exec_lo, exec_lo, s4
	v_xor_b32_e32 v33, 0x80000000, v6
	; wave barrier
	v_lshrrev_b32_e32 v2, s44, v33
	v_and_b32_e32 v2, s14, v2
	v_and_b32_e32 v7, 1, v2
	v_lshlrev_b32_e32 v8, 30, v2
	v_lshlrev_b32_e32 v37, 29, v2
	;; [unrolled: 1-line block ×4, first 2 shown]
	v_add_co_u32 v7, s4, v7, -1
	v_cndmask_b32_e64 v42, 0, 1, s4
	v_not_b32_e32 v51, v8
	v_cmp_gt_i32_e64 s4, 0, v8
	v_not_b32_e32 v8, v37
	v_lshlrev_b32_e32 v48, 26, v2
	v_cmp_ne_u32_e32 vcc_lo, 0, v42
	v_ashrrev_i32_e32 v42, 31, v51
	v_lshlrev_b32_e32 v49, 25, v2
	v_ashrrev_i32_e32 v8, 31, v8
	v_mul_lo_u32 v6, 0x84, v2
	v_xor_b32_e32 v7, vcc_lo, v7
	v_cmp_gt_i32_e32 vcc_lo, 0, v37
	v_not_b32_e32 v37, v40
	v_xor_b32_e32 v42, s4, v42
	v_cmp_gt_i32_e64 s4, 0, v40
	v_and_b32_e32 v7, exec_lo, v7
	v_not_b32_e32 v40, v46
	v_ashrrev_i32_e32 v37, 31, v37
	v_xor_b32_e32 v8, vcc_lo, v8
	v_cmp_gt_i32_e32 vcc_lo, 0, v46
	v_and_b32_e32 v7, v7, v42
	v_not_b32_e32 v42, v48
	v_ashrrev_i32_e32 v40, 31, v40
	v_xor_b32_e32 v37, s4, v37
	v_lshlrev_b32_e32 v2, 24, v2
	v_and_b32_e32 v7, v7, v8
	v_cmp_gt_i32_e64 s4, 0, v48
	v_not_b32_e32 v8, v49
	v_ashrrev_i32_e32 v42, 31, v42
	v_xor_b32_e32 v40, vcc_lo, v40
	v_and_b32_e32 v7, v7, v37
	v_cmp_gt_i32_e32 vcc_lo, 0, v49
	v_not_b32_e32 v37, v2
	v_ashrrev_i32_e32 v8, 31, v8
	v_xor_b32_e32 v42, s4, v42
	v_and_b32_e32 v7, v7, v40
	v_cmp_gt_i32_e64 s4, 0, v2
	v_ashrrev_i32_e32 v2, 31, v37
	v_xor_b32_e32 v8, vcc_lo, v8
	v_lshl_add_u32 v53, v1, 2, v6
	v_and_b32_e32 v7, v7, v42
	v_xor_b32_e32 v2, s4, v2
	ds_read_b32 v48, v53 offset:128
	v_and_b32_e32 v6, v7, v8
	; wave barrier
	v_and_b32_e32 v2, v6, v2
	v_mbcnt_lo_u32_b32 v49, v2, 0
	v_cmp_ne_u32_e64 s4, 0, v2
	v_cmp_eq_u32_e32 vcc_lo, 0, v49
	s_and_b32 s5, s4, vcc_lo
	s_and_saveexec_b32 s4, s5
	s_cbranch_execz .LBB830_155
; %bb.154:
	s_waitcnt lgkmcnt(0)
	v_bcnt_u32_b32 v2, v2, v48
	ds_write_b32 v53, v2 offset:128
.LBB830_155:
	s_or_b32 exec_lo, exec_lo, s4
	v_xor_b32_e32 v37, 0x80000000, v5
	; wave barrier
	v_lshrrev_b32_e32 v2, s44, v37
	v_and_b32_e32 v2, s14, v2
	v_and_b32_e32 v6, 1, v2
	v_lshlrev_b32_e32 v7, 30, v2
	v_lshlrev_b32_e32 v8, 29, v2
	;; [unrolled: 1-line block ×4, first 2 shown]
	v_add_co_u32 v6, s4, v6, -1
	v_cndmask_b32_e64 v42, 0, 1, s4
	v_not_b32_e32 v54, v7
	v_cmp_gt_i32_e64 s4, 0, v7
	v_not_b32_e32 v7, v8
	v_lshlrev_b32_e32 v51, 26, v2
	v_cmp_ne_u32_e32 vcc_lo, 0, v42
	v_ashrrev_i32_e32 v42, 31, v54
	v_lshlrev_b32_e32 v52, 25, v2
	v_ashrrev_i32_e32 v7, 31, v7
	v_mul_lo_u32 v5, 0x84, v2
	v_xor_b32_e32 v6, vcc_lo, v6
	v_cmp_gt_i32_e32 vcc_lo, 0, v8
	v_not_b32_e32 v8, v40
	v_xor_b32_e32 v42, s4, v42
	v_cmp_gt_i32_e64 s4, 0, v40
	v_and_b32_e32 v6, exec_lo, v6
	v_not_b32_e32 v40, v46
	v_ashrrev_i32_e32 v8, 31, v8
	v_xor_b32_e32 v7, vcc_lo, v7
	v_cmp_gt_i32_e32 vcc_lo, 0, v46
	v_and_b32_e32 v6, v6, v42
	v_not_b32_e32 v42, v51
	v_ashrrev_i32_e32 v40, 31, v40
	v_xor_b32_e32 v8, s4, v8
	v_lshlrev_b32_e32 v2, 24, v2
	v_and_b32_e32 v6, v6, v7
	v_cmp_gt_i32_e64 s4, 0, v51
	v_not_b32_e32 v7, v52
	v_ashrrev_i32_e32 v42, 31, v42
	v_xor_b32_e32 v40, vcc_lo, v40
	v_and_b32_e32 v6, v6, v8
	v_cmp_gt_i32_e32 vcc_lo, 0, v52
	v_not_b32_e32 v8, v2
	v_ashrrev_i32_e32 v7, 31, v7
	v_xor_b32_e32 v42, s4, v42
	v_and_b32_e32 v6, v6, v40
	v_cmp_gt_i32_e64 s4, 0, v2
	v_ashrrev_i32_e32 v2, 31, v8
	v_xor_b32_e32 v7, vcc_lo, v7
	v_lshl_add_u32 v56, v1, 2, v5
	v_and_b32_e32 v6, v6, v42
	v_xor_b32_e32 v2, s4, v2
	ds_read_b32 v51, v56 offset:128
	v_and_b32_e32 v5, v6, v7
	; wave barrier
	v_and_b32_e32 v2, v5, v2
	v_mbcnt_lo_u32_b32 v52, v2, 0
	v_cmp_ne_u32_e64 s4, 0, v2
	v_cmp_eq_u32_e32 vcc_lo, 0, v52
	s_and_b32 s5, s4, vcc_lo
	s_and_saveexec_b32 s4, s5
	s_cbranch_execz .LBB830_157
; %bb.156:
	s_waitcnt lgkmcnt(0)
	v_bcnt_u32_b32 v2, v2, v51
	ds_write_b32 v56, v2 offset:128
.LBB830_157:
	s_or_b32 exec_lo, exec_lo, s4
	v_xor_b32_e32 v42, 0x80000000, v4
	; wave barrier
	v_lshrrev_b32_e32 v2, s44, v42
	v_and_b32_e32 v2, s14, v2
	v_and_b32_e32 v5, 1, v2
	v_lshlrev_b32_e32 v6, 30, v2
	v_lshlrev_b32_e32 v7, 29, v2
	;; [unrolled: 1-line block ×4, first 2 shown]
	v_add_co_u32 v5, s4, v5, -1
	v_cndmask_b32_e64 v40, 0, 1, s4
	v_not_b32_e32 v57, v6
	v_cmp_gt_i32_e64 s4, 0, v6
	v_not_b32_e32 v6, v7
	v_lshlrev_b32_e32 v54, 26, v2
	v_cmp_ne_u32_e32 vcc_lo, 0, v40
	v_ashrrev_i32_e32 v40, 31, v57
	v_lshlrev_b32_e32 v55, 25, v2
	v_ashrrev_i32_e32 v6, 31, v6
	v_mul_lo_u32 v4, 0x84, v2
	v_xor_b32_e32 v5, vcc_lo, v5
	v_cmp_gt_i32_e32 vcc_lo, 0, v7
	v_not_b32_e32 v7, v8
	v_xor_b32_e32 v40, s4, v40
	v_cmp_gt_i32_e64 s4, 0, v8
	v_and_b32_e32 v5, exec_lo, v5
	v_not_b32_e32 v8, v46
	v_ashrrev_i32_e32 v7, 31, v7
	v_xor_b32_e32 v6, vcc_lo, v6
	v_cmp_gt_i32_e32 vcc_lo, 0, v46
	v_and_b32_e32 v5, v5, v40
	v_not_b32_e32 v40, v54
	v_ashrrev_i32_e32 v8, 31, v8
	v_xor_b32_e32 v7, s4, v7
	v_lshlrev_b32_e32 v2, 24, v2
	v_and_b32_e32 v5, v5, v6
	v_cmp_gt_i32_e64 s4, 0, v54
	v_not_b32_e32 v6, v55
	v_ashrrev_i32_e32 v40, 31, v40
	v_xor_b32_e32 v8, vcc_lo, v8
	v_and_b32_e32 v5, v5, v7
	v_cmp_gt_i32_e32 vcc_lo, 0, v55
	v_not_b32_e32 v7, v2
	v_ashrrev_i32_e32 v6, 31, v6
	v_xor_b32_e32 v40, s4, v40
	v_and_b32_e32 v5, v5, v8
	v_cmp_gt_i32_e64 s4, 0, v2
	v_ashrrev_i32_e32 v2, 31, v7
	v_xor_b32_e32 v6, vcc_lo, v6
	v_lshl_add_u32 v59, v1, 2, v4
	v_and_b32_e32 v5, v5, v40
	v_xor_b32_e32 v2, s4, v2
	ds_read_b32 v54, v59 offset:128
	v_and_b32_e32 v4, v5, v6
	; wave barrier
	v_and_b32_e32 v2, v4, v2
	v_mbcnt_lo_u32_b32 v55, v2, 0
	v_cmp_ne_u32_e64 s4, 0, v2
	v_cmp_eq_u32_e32 vcc_lo, 0, v55
	s_and_b32 s5, s4, vcc_lo
	s_and_saveexec_b32 s4, s5
	s_cbranch_execz .LBB830_159
; %bb.158:
	s_waitcnt lgkmcnt(0)
	v_bcnt_u32_b32 v2, v2, v54
	ds_write_b32 v59, v2 offset:128
.LBB830_159:
	s_or_b32 exec_lo, exec_lo, s4
	v_xor_b32_e32 v46, 0x80000000, v3
	; wave barrier
	v_lshrrev_b32_e32 v2, s44, v46
	v_and_b32_e32 v2, s14, v2
	v_and_b32_e32 v4, 1, v2
	v_lshlrev_b32_e32 v5, 30, v2
	v_lshlrev_b32_e32 v6, 29, v2
	;; [unrolled: 1-line block ×4, first 2 shown]
	v_add_co_u32 v4, s4, v4, -1
	v_cndmask_b32_e64 v8, 0, 1, s4
	v_not_b32_e32 v60, v5
	v_cmp_gt_i32_e64 s4, 0, v5
	v_not_b32_e32 v5, v6
	v_lshlrev_b32_e32 v57, 26, v2
	v_cmp_ne_u32_e32 vcc_lo, 0, v8
	v_ashrrev_i32_e32 v8, 31, v60
	v_lshlrev_b32_e32 v58, 25, v2
	v_ashrrev_i32_e32 v5, 31, v5
	v_mul_lo_u32 v3, 0x84, v2
	v_xor_b32_e32 v4, vcc_lo, v4
	v_cmp_gt_i32_e32 vcc_lo, 0, v6
	v_not_b32_e32 v6, v7
	v_xor_b32_e32 v8, s4, v8
	v_cmp_gt_i32_e64 s4, 0, v7
	v_and_b32_e32 v4, exec_lo, v4
	v_not_b32_e32 v7, v40
	v_ashrrev_i32_e32 v6, 31, v6
	v_xor_b32_e32 v5, vcc_lo, v5
	v_cmp_gt_i32_e32 vcc_lo, 0, v40
	v_and_b32_e32 v4, v4, v8
	v_not_b32_e32 v8, v57
	v_ashrrev_i32_e32 v7, 31, v7
	v_xor_b32_e32 v6, s4, v6
	v_lshlrev_b32_e32 v2, 24, v2
	v_and_b32_e32 v4, v4, v5
	v_cmp_gt_i32_e64 s4, 0, v57
	v_not_b32_e32 v5, v58
	v_ashrrev_i32_e32 v8, 31, v8
	v_xor_b32_e32 v7, vcc_lo, v7
	v_and_b32_e32 v4, v4, v6
	v_cmp_gt_i32_e32 vcc_lo, 0, v58
	v_not_b32_e32 v6, v2
	v_ashrrev_i32_e32 v5, 31, v5
	v_xor_b32_e32 v8, s4, v8
	v_and_b32_e32 v4, v4, v7
	v_cmp_gt_i32_e64 s4, 0, v2
	v_ashrrev_i32_e32 v2, 31, v6
	v_xor_b32_e32 v5, vcc_lo, v5
	v_lshl_add_u32 v60, v1, 2, v3
	v_and_b32_e32 v4, v4, v8
	v_xor_b32_e32 v1, s4, v2
	ds_read_b32 v57, v60 offset:128
	v_and_b32_e32 v2, v4, v5
	; wave barrier
	v_and_b32_e32 v1, v2, v1
	v_mbcnt_lo_u32_b32 v58, v1, 0
	v_cmp_ne_u32_e64 s4, 0, v1
	v_cmp_eq_u32_e32 vcc_lo, 0, v58
	s_and_b32 s5, s4, vcc_lo
	s_and_saveexec_b32 s4, s5
	s_cbranch_execz .LBB830_161
; %bb.160:
	s_waitcnt lgkmcnt(0)
	v_bcnt_u32_b32 v1, v1, v57
	ds_write_b32 v60, v1 offset:128
.LBB830_161:
	s_or_b32 exec_lo, exec_lo, s4
	; wave barrier
	s_waitcnt lgkmcnt(0)
	s_barrier
	buffer_gl0_inv
	ds_read2_b32 v[7:8], v21 offset0:32 offset1:33
	ds_read2_b32 v[5:6], v21 offset0:34 offset1:35
	;; [unrolled: 1-line block ×4, first 2 shown]
	ds_read_b32 v40, v21 offset:160
	v_and_b32_e32 v63, 16, v11
	v_and_b32_e32 v64, 31, v0
	s_mov_b32 s10, exec_lo
	v_cmp_eq_u32_e64 s8, 0, v63
	s_waitcnt lgkmcnt(3)
	v_add3_u32 v61, v8, v7, v5
	s_waitcnt lgkmcnt(2)
	v_add3_u32 v61, v61, v6, v3
	;; [unrolled: 2-line block ×4, first 2 shown]
	v_and_b32_e32 v61, 15, v11
	v_mov_b32_dpp v62, v40 row_shr:1 row_mask:0xf bank_mask:0xf
	v_cmp_eq_u32_e32 vcc_lo, 0, v61
	v_cmp_lt_u32_e64 s4, 1, v61
	v_cmp_lt_u32_e64 s5, 3, v61
	;; [unrolled: 1-line block ×3, first 2 shown]
	v_cndmask_b32_e64 v62, v62, 0, vcc_lo
	v_add_nc_u32_e32 v40, v62, v40
	v_mov_b32_dpp v62, v40 row_shr:2 row_mask:0xf bank_mask:0xf
	v_cndmask_b32_e64 v62, 0, v62, s4
	v_add_nc_u32_e32 v40, v40, v62
	v_mov_b32_dpp v62, v40 row_shr:4 row_mask:0xf bank_mask:0xf
	v_cndmask_b32_e64 v62, 0, v62, s5
	;; [unrolled: 3-line block ×3, first 2 shown]
	v_bfe_i32 v62, v11, 4, 1
	v_add_nc_u32_e32 v40, v40, v61
	ds_swizzle_b32 v61, v40 offset:swizzle(BROADCAST,32,15)
	s_waitcnt lgkmcnt(0)
	v_and_b32_e32 v61, v62, v61
	v_lshrrev_b32_e32 v62, 5, v0
	v_add_nc_u32_e32 v61, v40, v61
	v_cmpx_eq_u32_e32 31, v64
; %bb.162:
	v_lshlrev_b32_e32 v40, 2, v62
	ds_write_b32 v40, v61
; %bb.163:
	s_or_b32 exec_lo, exec_lo, s10
	v_cmp_lt_u32_e64 s9, 31, v0
	v_lshlrev_b32_e32 v40, 2, v0
	s_mov_b32 s15, exec_lo
	s_waitcnt lgkmcnt(0)
	s_barrier
	buffer_gl0_inv
	v_cmpx_gt_u32_e32 32, v0
	s_cbranch_execz .LBB830_165
; %bb.164:
	ds_read_b32 v63, v40
	s_waitcnt lgkmcnt(0)
	v_mov_b32_dpp v64, v63 row_shr:1 row_mask:0xf bank_mask:0xf
	v_cndmask_b32_e64 v64, v64, 0, vcc_lo
	v_add_nc_u32_e32 v63, v64, v63
	v_mov_b32_dpp v64, v63 row_shr:2 row_mask:0xf bank_mask:0xf
	v_cndmask_b32_e64 v64, 0, v64, s4
	v_add_nc_u32_e32 v63, v63, v64
	v_mov_b32_dpp v64, v63 row_shr:4 row_mask:0xf bank_mask:0xf
	v_cndmask_b32_e64 v64, 0, v64, s5
	;; [unrolled: 3-line block ×3, first 2 shown]
	v_add_nc_u32_e32 v63, v63, v64
	ds_swizzle_b32 v64, v63 offset:swizzle(BROADCAST,32,15)
	s_waitcnt lgkmcnt(0)
	v_cndmask_b32_e64 v64, v64, 0, s8
	v_add_nc_u32_e32 v63, v63, v64
	ds_write_b32 v40, v63
.LBB830_165:
	s_or_b32 exec_lo, exec_lo, s15
	v_mov_b32_e32 v63, 0
	s_waitcnt lgkmcnt(0)
	s_barrier
	buffer_gl0_inv
	s_and_saveexec_b32 s4, s9
; %bb.166:
	v_lshl_add_u32 v62, v62, 2, -4
	ds_read_b32 v63, v62
; %bb.167:
	s_or_b32 exec_lo, exec_lo, s4
	v_sub_co_u32 v62, vcc_lo, v11, 1
	s_waitcnt lgkmcnt(0)
	v_add_nc_u32_e32 v61, v63, v61
	v_cmp_gt_i32_e64 s4, 0, v62
	v_cndmask_b32_e64 v11, v62, v11, s4
	v_cmp_lt_u32_e64 s4, 0xff, v0
	v_lshlrev_b32_e32 v11, 2, v11
	ds_bpermute_b32 v11, v11, v61
	s_waitcnt lgkmcnt(0)
	v_cndmask_b32_e32 v11, v11, v63, vcc_lo
	v_cmp_gt_u32_e32 vcc_lo, 0x100, v0
	v_cndmask_b32_e64 v11, v11, 0, s7
	v_add_nc_u32_e32 v7, v11, v7
	v_add_nc_u32_e32 v8, v7, v8
	;; [unrolled: 1-line block ×8, first 2 shown]
	ds_write2_b32 v21, v11, v7 offset0:32 offset1:33
	ds_write2_b32 v21, v8, v5 offset0:34 offset1:35
	;; [unrolled: 1-line block ×4, first 2 shown]
	ds_write_b32 v21, v2 offset:160
	s_waitcnt lgkmcnt(0)
	s_barrier
	buffer_gl0_inv
	ds_read_b32 v11, v22 offset:128
	ds_read_b32 v21, v26 offset:128
	;; [unrolled: 1-line block ×12, first 2 shown]
                                        ; implicit-def: $vgpr7
                                        ; implicit-def: $vgpr8
	s_and_saveexec_b32 s6, vcc_lo
	s_cbranch_execz .LBB830_171
; %bb.168:
	v_mul_u32_u24_e32 v1, 0x84, v0
	v_add_nc_u32_e32 v2, 1, v0
	s_mov_b32 s7, exec_lo
	ds_read_b32 v7, v1 offset:128
	v_mov_b32_e32 v1, 0x3000
	v_cmpx_ne_u32_e32 0x100, v2
; %bb.169:
	v_mul_u32_u24_e32 v1, 0x84, v2
	ds_read_b32 v1, v1 offset:128
; %bb.170:
	s_or_b32 exec_lo, exec_lo, s7
	s_waitcnt lgkmcnt(0)
	v_sub_nc_u32_e32 v8, v1, v7
.LBB830_171:
	s_or_b32 exec_lo, exec_lo, s6
	v_mov_b32_e32 v2, 0
	s_waitcnt lgkmcnt(0)
	s_barrier
	buffer_gl0_inv
	s_and_saveexec_b32 s5, vcc_lo
	s_cbranch_execz .LBB830_181
; %bb.172:
	v_lshl_add_u32 v1, s33, 8, v0
	v_mov_b32_e32 v59, 0
	s_mov_b32 s6, 0
	s_mov_b32 s7, s33
                                        ; implicit-def: $sgpr8
	v_lshlrev_b64 v[3:4], 2, v[1:2]
	v_or_b32_e32 v1, 2.0, v8
	v_add_co_u32 v3, vcc_lo, s26, v3
	v_add_co_ci_u32_e64 v4, null, s27, v4, vcc_lo
	global_store_dword v[3:4], v1, off
	s_branch .LBB830_175
	.p2align	6
.LBB830_173:                            ;   in Loop: Header=BB830_175 Depth=1
	s_or_b32 exec_lo, exec_lo, s9
.LBB830_174:                            ;   in Loop: Header=BB830_175 Depth=1
	s_or_b32 exec_lo, exec_lo, s8
	v_and_b32_e32 v5, 0x3fffffff, v1
	v_cmp_gt_i32_e64 s8, -2.0, v1
	v_add_nc_u32_e32 v59, v5, v59
	s_and_b32 s9, exec_lo, s8
	s_or_b32 s6, s9, s6
	s_andn2_b32 exec_lo, exec_lo, s6
	s_cbranch_execz .LBB830_180
.LBB830_175:                            ; =>This Loop Header: Depth=1
                                        ;     Child Loop BB830_178 Depth 2
	s_or_b32 s8, s8, exec_lo
	s_cmp_eq_u32 s7, 0
	s_cbranch_scc1 .LBB830_179
; %bb.176:                              ;   in Loop: Header=BB830_175 Depth=1
	s_add_i32 s7, s7, -1
	s_mov_b32 s8, exec_lo
	v_lshl_or_b32 v1, s7, 8, v0
	v_lshlrev_b64 v[5:6], 2, v[1:2]
	v_add_co_u32 v5, vcc_lo, s26, v5
	v_add_co_ci_u32_e64 v6, null, s27, v6, vcc_lo
	global_load_dword v1, v[5:6], off glc dlc
	s_waitcnt vmcnt(0)
	v_cmpx_gt_u32_e32 2.0, v1
	s_cbranch_execz .LBB830_174
; %bb.177:                              ;   in Loop: Header=BB830_175 Depth=1
	s_mov_b32 s9, 0
.LBB830_178:                            ;   Parent Loop BB830_175 Depth=1
                                        ; =>  This Inner Loop Header: Depth=2
	global_load_dword v1, v[5:6], off glc dlc
	s_waitcnt vmcnt(0)
	v_cmp_lt_u32_e32 vcc_lo, 0x3fffffff, v1
	s_or_b32 s9, vcc_lo, s9
	s_andn2_b32 exec_lo, exec_lo, s9
	s_cbranch_execnz .LBB830_178
	s_branch .LBB830_173
.LBB830_179:                            ;   in Loop: Header=BB830_175 Depth=1
                                        ; implicit-def: $sgpr7
	s_and_b32 s9, exec_lo, s8
	s_or_b32 s6, s9, s6
	s_andn2_b32 exec_lo, exec_lo, s6
	s_cbranch_execnz .LBB830_175
.LBB830_180:
	s_or_b32 exec_lo, exec_lo, s6
	v_add_nc_u32_e32 v1, v59, v8
	v_sub_nc_u32_e32 v2, v59, v7
	v_or_b32_e32 v1, 0x80000000, v1
	global_store_dword v[3:4], v1, off
	global_load_dword v1, v40, s[28:29]
	s_waitcnt vmcnt(0)
	v_add_nc_u32_e32 v1, v2, v1
	ds_write_b32 v40, v1
.LBB830_181:
	s_or_b32 exec_lo, exec_lo, s5
	v_add_nc_u32_e32 v3, v11, v16
	v_add3_u32 v4, v19, v18, v21
	v_add3_u32 v5, v24, v23, v22
	;; [unrolled: 1-line block ×11, first 2 shown]
	v_mov_b32_e32 v2, 0
	v_mov_b32_e32 v26, v3
	;; [unrolled: 1-line block ×13, first 2 shown]
	s_mov_b32 s5, 32
	s_mov_b32 s8, 0
	;; [unrolled: 1-line block ×3, first 2 shown]
	s_mov_b32 s7, -1
	s_branch .LBB830_183
.LBB830_182:                            ;   in Loop: Header=BB830_183 Depth=1
	v_add_nc_u32_e32 v41, 0xffffe000, v41
	v_add_nc_u32_e32 v39, 0xffffe000, v39
	;; [unrolled: 1-line block ×12, first 2 shown]
	s_xor_b32 s8, s7, -1
	s_addk_i32 s6, 0x2000
	s_mov_b32 s7, 0
	s_and_b32 vcc_lo, exec_lo, s8
	s_mov_b32 s8, s5
	s_waitcnt_vscnt null, 0x0
	s_barrier
	buffer_gl0_inv
	s_cbranch_vccnz .LBB830_191
.LBB830_183:                            ; =>This Inner Loop Header: Depth=1
	v_min_u32_e32 v1, 0x2000, v26
	v_min_u32_e32 v43, 0x2000, v27
	;; [unrolled: 1-line block ×5, first 2 shown]
	v_lshlrev_b32_e32 v1, 2, v1
	v_lshlrev_b32_e32 v43, 2, v43
	v_min_u32_e32 v48, 0x2000, v32
	v_min_u32_e32 v49, 0x2000, v34
	v_mov_b32_e32 v57, s8
	ds_write_b32 v1, v12 offset:1024
	ds_write_b32 v43, v13 offset:1024
	v_lshlrev_b32_e32 v1, 2, v44
	v_lshlrev_b32_e32 v43, 2, v45
	;; [unrolled: 1-line block ×5, first 2 shown]
	ds_write_b32 v1, v14 offset:1024
	ds_write_b32 v43, v15 offset:1024
	;; [unrolled: 1-line block ×5, first 2 shown]
	v_min_u32_e32 v1, 0x2000, v35
	v_min_u32_e32 v43, 0x2000, v36
	;; [unrolled: 1-line block ×5, first 2 shown]
	v_lshlrev_b32_e32 v1, 2, v1
	v_lshlrev_b32_e32 v43, 2, v43
	;; [unrolled: 1-line block ×5, first 2 shown]
	ds_write_b32 v1, v29 offset:1024
	ds_write_b32 v43, v33 offset:1024
	;; [unrolled: 1-line block ×5, first 2 shown]
	s_waitcnt lgkmcnt(0)
	s_waitcnt_vscnt null, 0x0
	s_barrier
	buffer_gl0_inv
	ds_read2st64_b32 v[44:45], v40 offset0:4 offset1:20
	ds_read2st64_b32 v[47:48], v40 offset0:36 offset1:52
	s_add_i32 s9, s6, 0x1000
	s_cmpk_lt_u32 s9, 0x3000
	s_waitcnt lgkmcnt(1)
	v_lshrrev_b32_e32 v1, s44, v44
	v_xor_b32_e32 v58, 0x80000000, v44
	v_xor_b32_e32 v59, 0x80000000, v45
	s_waitcnt lgkmcnt(0)
	v_xor_b32_e32 v60, 0x80000000, v47
	v_xor_b32_e32 v61, 0x80000000, v48
	v_and_b32_e32 v49, s14, v1
	v_lshrrev_b32_e32 v1, s44, v45
	v_lshlrev_b32_e32 v43, 2, v49
	v_and_b32_e32 v50, s14, v1
	v_lshrrev_b32_e32 v1, s44, v47
	ds_read_b32 v51, v43
	v_and_b32_e32 v53, s14, v1
	v_lshrrev_b32_e32 v1, s44, v48
	v_and_b32_e32 v54, s14, v1
	v_lshlrev_b32_e32 v1, 2, v54
	ds_read_b32 v56, v1
	v_lshlrev_b32_e32 v43, 2, v50
	ds_read_b32 v52, v43
	;; [unrolled: 2-line block ×3, first 2 shown]
	v_add_nc_u32_e32 v43, s6, v0
	buffer_store_dword v49, v57, s[0:3], 0 offen
	buffer_store_dword v50, v57, s[0:3], 0 offen offset:4
	buffer_store_dword v53, v57, s[0:3], 0 offen offset:8
	s_waitcnt lgkmcnt(3)
	v_add_nc_u32_e32 v1, v43, v51
	v_lshlrev_b64 v[44:45], 2, v[1:2]
	s_waitcnt lgkmcnt(1)
	v_add3_u32 v1, v43, v52, 0x400
	v_add_co_u32 v44, vcc_lo, s38, v44
	v_lshlrev_b64 v[47:48], 2, v[1:2]
	s_waitcnt lgkmcnt(0)
	v_add3_u32 v1, v43, v55, 0x800
	v_add_co_ci_u32_e64 v45, null, s39, v45, vcc_lo
	v_lshlrev_b64 v[49:50], 2, v[1:2]
	v_add3_u32 v1, v43, v56, 0xc00
	v_add_co_u32 v47, vcc_lo, s38, v47
	v_add_co_ci_u32_e64 v48, null, s39, v48, vcc_lo
	v_lshlrev_b64 v[51:52], 2, v[1:2]
	v_add_co_u32 v49, vcc_lo, s38, v49
	v_add_co_ci_u32_e64 v50, null, s39, v50, vcc_lo
	v_add_co_u32 v51, vcc_lo, s38, v51
	v_add_co_ci_u32_e64 v52, null, s39, v52, vcc_lo
	global_store_dword v[44:45], v58, off
	global_store_dword v[47:48], v59, off
	;; [unrolled: 1-line block ×4, first 2 shown]
	buffer_store_dword v54, v57, s[0:3], 0 offen offset:12
	s_cbranch_scc0 .LBB830_187
; %bb.184:                              ;   in Loop: Header=BB830_183 Depth=1
	ds_read_b32 v47, v40 offset:17408
	s_waitcnt lgkmcnt(0)
	v_lshrrev_b32_e32 v1, s44, v47
	v_and_b32_e32 v48, s14, v1
	v_lshlrev_b32_e32 v1, 2, v48
	ds_read_b32 v1, v1
	s_waitcnt lgkmcnt(0)
	v_add3_u32 v1, v43, v1, 0x1000
	v_lshlrev_b64 v[44:45], 2, v[1:2]
	v_xor_b32_e32 v1, 0x80000000, v47
	v_mov_b32_e32 v47, s8
	v_add_co_u32 v44, vcc_lo, s38, v44
	v_add_co_ci_u32_e64 v45, null, s39, v45, vcc_lo
	buffer_store_dword v48, v47, s[0:3], 0 offen offset:16
	global_store_dword v[44:45], v1, off
	s_add_i32 s9, s6, 0x1400
	s_cmpk_gt_u32 s9, 0x2fff
	s_cbranch_scc0 .LBB830_188
.LBB830_185:                            ;   in Loop: Header=BB830_183 Depth=1
	s_add_i32 s9, s6, 0x1800
	s_cmpk_gt_u32 s9, 0x2fff
	s_cbranch_scc1 .LBB830_189
.LBB830_186:                            ;   in Loop: Header=BB830_183 Depth=1
	ds_read_b32 v47, v40 offset:25600
	s_waitcnt lgkmcnt(0)
	v_lshrrev_b32_e32 v1, s44, v47
	v_and_b32_e32 v48, s14, v1
	v_lshlrev_b32_e32 v1, 2, v48
	ds_read_b32 v1, v1
	s_waitcnt lgkmcnt(0)
	v_add3_u32 v1, v43, v1, 0x1800
	v_lshlrev_b64 v[44:45], 2, v[1:2]
	v_xor_b32_e32 v1, 0x80000000, v47
	v_mov_b32_e32 v47, s8
	v_add_co_u32 v44, vcc_lo, s38, v44
	v_add_co_ci_u32_e64 v45, null, s39, v45, vcc_lo
	buffer_store_dword v48, v47, s[0:3], 0 offen offset:24
	global_store_dword v[44:45], v1, off
	s_add_i32 s9, s6, 0x1c00
	s_cmpk_gt_u32 s9, 0x2fff
	s_cbranch_scc1 .LBB830_182
	s_branch .LBB830_190
.LBB830_187:                            ;   in Loop: Header=BB830_183 Depth=1
	s_add_i32 s9, s6, 0x1400
	s_cmpk_gt_u32 s9, 0x2fff
	s_cbranch_scc1 .LBB830_185
.LBB830_188:                            ;   in Loop: Header=BB830_183 Depth=1
	ds_read_b32 v47, v40 offset:21504
	s_waitcnt lgkmcnt(0)
	v_lshrrev_b32_e32 v1, s44, v47
	v_and_b32_e32 v48, s14, v1
	v_lshlrev_b32_e32 v1, 2, v48
	ds_read_b32 v1, v1
	s_waitcnt lgkmcnt(0)
	v_add3_u32 v1, v43, v1, 0x1400
	v_lshlrev_b64 v[44:45], 2, v[1:2]
	v_xor_b32_e32 v1, 0x80000000, v47
	v_mov_b32_e32 v47, s8
	v_add_co_u32 v44, vcc_lo, s38, v44
	v_add_co_ci_u32_e64 v45, null, s39, v45, vcc_lo
	buffer_store_dword v48, v47, s[0:3], 0 offen offset:20
	global_store_dword v[44:45], v1, off
	s_add_i32 s9, s6, 0x1800
	s_cmpk_gt_u32 s9, 0x2fff
	s_cbranch_scc0 .LBB830_186
.LBB830_189:                            ;   in Loop: Header=BB830_183 Depth=1
	s_add_i32 s9, s6, 0x1c00
	s_cmpk_gt_u32 s9, 0x2fff
	s_cbranch_scc1 .LBB830_182
.LBB830_190:                            ;   in Loop: Header=BB830_183 Depth=1
	ds_read_b32 v45, v40 offset:29696
	s_waitcnt lgkmcnt(0)
	v_lshrrev_b32_e32 v1, s44, v45
	v_and_b32_e32 v47, s14, v1
	v_lshlrev_b32_e32 v1, 2, v47
	ds_read_b32 v1, v1
	s_waitcnt lgkmcnt(0)
	v_add3_u32 v1, v43, v1, 0x1c00
	v_lshlrev_b64 v[43:44], 2, v[1:2]
	v_xor_b32_e32 v1, 0x80000000, v45
	v_mov_b32_e32 v45, s8
	v_add_co_u32 v43, vcc_lo, s38, v43
	v_add_co_ci_u32_e64 v44, null, s39, v44, vcc_lo
	buffer_store_dword v47, v45, s[0:3], 0 offen offset:28
	global_store_dword v[43:44], v1, off
	s_branch .LBB830_182
.LBB830_191:
	s_add_u32 s6, s40, s12
	s_addc_u32 s7, s41, s13
	v_add_co_u32 v1, s6, s6, v9
	v_add_co_ci_u32_e64 v2, null, s7, 0, s6
	s_mov_b32 s8, 0
	v_add_co_u32 v1, vcc_lo, v1, v10
	v_add_co_ci_u32_e64 v2, null, 0, v2, vcc_lo
	s_mov_b32 s7, -1
	s_mov_b32 s6, 0
	s_clause 0xb
	global_load_dword v9, v[1:2], off
	global_load_dword v10, v[1:2], off offset:128
	global_load_dword v12, v[1:2], off offset:256
	;; [unrolled: 1-line block ×11, first 2 shown]
	v_mov_b32_e32 v2, 0
	s_branch .LBB830_193
.LBB830_192:                            ;   in Loop: Header=BB830_193 Depth=1
	v_add_nc_u32_e32 v24, 0xffffe000, v24
	v_add_nc_u32_e32 v23, 0xffffe000, v23
	;; [unrolled: 1-line block ×12, first 2 shown]
	s_xor_b32 s8, s7, -1
	s_addk_i32 s6, 0x2000
	s_mov_b32 s7, 0
	s_and_b32 vcc_lo, exec_lo, s8
	s_mov_b32 s8, s5
	s_waitcnt_vscnt null, 0x0
	s_barrier
	buffer_gl0_inv
	s_cbranch_vccnz .LBB830_201
.LBB830_193:                            ; =>This Inner Loop Header: Depth=1
	v_min_u32_e32 v1, 0x2000, v3
	v_min_u32_e32 v29, 0x2000, v4
	;; [unrolled: 1-line block ×5, first 2 shown]
	v_lshlrev_b32_e32 v1, 2, v1
	v_lshlrev_b32_e32 v29, 2, v29
	v_min_u32_e32 v33, 0x2000, v16
	v_lshlrev_b32_e32 v30, 2, v30
	s_add_i32 s9, s6, 0x1000
	s_waitcnt vmcnt(11)
	ds_write_b32 v1, v9 offset:1024
	s_waitcnt vmcnt(10)
	ds_write_b32 v29, v10 offset:1024
	v_min_u32_e32 v1, 0x2000, v18
	v_lshlrev_b32_e32 v29, 2, v31
	v_lshlrev_b32_e32 v31, 2, v32
	;; [unrolled: 1-line block ×3, first 2 shown]
	s_waitcnt vmcnt(9)
	ds_write_b32 v30, v12 offset:1024
	v_lshlrev_b32_e32 v1, 2, v1
	s_waitcnt vmcnt(8)
	ds_write_b32 v29, v13 offset:1024
	s_waitcnt vmcnt(7)
	ds_write_b32 v31, v14 offset:1024
	;; [unrolled: 2-line block ×3, first 2 shown]
	v_min_u32_e32 v29, 0x2000, v19
	v_min_u32_e32 v30, 0x2000, v22
	;; [unrolled: 1-line block ×3, first 2 shown]
	s_waitcnt vmcnt(5)
	ds_write_b32 v1, v17 offset:1024
	v_min_u32_e32 v1, 0x2000, v21
	v_lshlrev_b32_e32 v29, 2, v29
	v_min_u32_e32 v32, 0x2000, v24
	v_lshlrev_b32_e32 v30, 2, v30
	v_lshlrev_b32_e32 v31, 2, v31
	;; [unrolled: 1-line block ×3, first 2 shown]
	s_waitcnt vmcnt(4)
	ds_write_b32 v29, v20 offset:1024
	v_lshlrev_b32_e32 v29, 2, v32
	s_waitcnt vmcnt(3)
	ds_write_b32 v1, v25 offset:1024
	s_waitcnt vmcnt(2)
	ds_write_b32 v30, v26 offset:1024
	;; [unrolled: 2-line block ×3, first 2 shown]
	v_mov_b32_e32 v1, s8
	s_waitcnt vmcnt(0)
	ds_write_b32 v29, v28 offset:1024
	s_waitcnt lgkmcnt(0)
	s_barrier
	buffer_gl0_inv
	s_clause 0x3
	buffer_load_dword v29, v1, s[0:3], 0 offen
	buffer_load_dword v30, v1, s[0:3], 0 offen offset:4
	buffer_load_dword v31, v1, s[0:3], 0 offen offset:8
	;; [unrolled: 1-line block ×3, first 2 shown]
	s_cmpk_lt_u32 s9, 0x3000
	s_waitcnt vmcnt(3)
	v_lshlrev_b32_e32 v29, 2, v29
	s_waitcnt vmcnt(0)
	v_lshlrev_b32_e32 v1, 2, v1
	ds_read_b32 v32, v29
	ds_read_b32 v41, v1
	v_lshlrev_b32_e32 v29, 2, v30
	ds_read_b32 v34, v29
	v_lshlrev_b32_e32 v29, 2, v31
	ds_read2st64_b32 v[30:31], v40 offset0:4 offset1:20
	ds_read_b32 v36, v29
	v_add_nc_u32_e32 v29, s6, v0
	s_waitcnt lgkmcnt(4)
	v_add_nc_u32_e32 v1, v29, v32
	v_lshlrev_b64 v[32:33], 2, v[1:2]
	s_waitcnt lgkmcnt(2)
	v_add3_u32 v1, v29, v34, 0x400
	v_add_co_u32 v32, vcc_lo, s42, v32
	v_lshlrev_b64 v[34:35], 2, v[1:2]
	s_waitcnt lgkmcnt(0)
	v_add3_u32 v1, v29, v36, 0x800
	ds_read2st64_b32 v[36:37], v40 offset0:36 offset1:52
	v_add_co_ci_u32_e64 v33, null, s43, v33, vcc_lo
	v_lshlrev_b64 v[38:39], 2, v[1:2]
	v_add3_u32 v1, v29, v41, 0xc00
	global_store_dword v[32:33], v30, off
	v_add_co_u32 v32, vcc_lo, s42, v34
	v_add_co_ci_u32_e64 v33, null, s43, v35, vcc_lo
	v_lshlrev_b64 v[34:35], 2, v[1:2]
	v_add_co_u32 v38, vcc_lo, s42, v38
	v_add_co_ci_u32_e64 v39, null, s43, v39, vcc_lo
	global_store_dword v[32:33], v31, off
	v_add_co_u32 v34, vcc_lo, s42, v34
	v_add_co_ci_u32_e64 v35, null, s43, v35, vcc_lo
	s_waitcnt lgkmcnt(0)
	global_store_dword v[38:39], v36, off
	global_store_dword v[34:35], v37, off
	s_cbranch_scc0 .LBB830_197
; %bb.194:                              ;   in Loop: Header=BB830_193 Depth=1
	v_mov_b32_e32 v1, s8
	buffer_load_dword v1, v1, s[0:3], 0 offen offset:16
	s_waitcnt vmcnt(0)
	v_lshlrev_b32_e32 v1, 2, v1
	ds_read_b32 v1, v1
	ds_read_b32 v32, v40 offset:17408
	s_waitcnt lgkmcnt(1)
	v_add3_u32 v1, v29, v1, 0x1000
	v_lshlrev_b64 v[30:31], 2, v[1:2]
	v_add_co_u32 v30, vcc_lo, s42, v30
	v_add_co_ci_u32_e64 v31, null, s43, v31, vcc_lo
	s_waitcnt lgkmcnt(0)
	global_store_dword v[30:31], v32, off
	s_add_i32 s9, s6, 0x1400
	s_cmpk_gt_u32 s9, 0x2fff
	s_cbranch_scc0 .LBB830_198
.LBB830_195:                            ;   in Loop: Header=BB830_193 Depth=1
	s_add_i32 s9, s6, 0x1800
	s_cmpk_gt_u32 s9, 0x2fff
	s_cbranch_scc1 .LBB830_199
.LBB830_196:                            ;   in Loop: Header=BB830_193 Depth=1
	v_mov_b32_e32 v1, s8
	buffer_load_dword v1, v1, s[0:3], 0 offen offset:24
	s_waitcnt vmcnt(0)
	v_lshlrev_b32_e32 v1, 2, v1
	ds_read_b32 v1, v1
	ds_read_b32 v32, v40 offset:25600
	s_waitcnt lgkmcnt(1)
	v_add3_u32 v1, v29, v1, 0x1800
	v_lshlrev_b64 v[30:31], 2, v[1:2]
	v_add_co_u32 v30, vcc_lo, s42, v30
	v_add_co_ci_u32_e64 v31, null, s43, v31, vcc_lo
	s_waitcnt lgkmcnt(0)
	global_store_dword v[30:31], v32, off
	s_add_i32 s9, s6, 0x1c00
	s_cmpk_gt_u32 s9, 0x2fff
	s_cbranch_scc1 .LBB830_192
	s_branch .LBB830_200
.LBB830_197:                            ;   in Loop: Header=BB830_193 Depth=1
	s_add_i32 s9, s6, 0x1400
	s_cmpk_gt_u32 s9, 0x2fff
	s_cbranch_scc1 .LBB830_195
.LBB830_198:                            ;   in Loop: Header=BB830_193 Depth=1
	v_mov_b32_e32 v1, s8
	buffer_load_dword v1, v1, s[0:3], 0 offen offset:20
	s_waitcnt vmcnt(0)
	v_lshlrev_b32_e32 v1, 2, v1
	ds_read_b32 v1, v1
	ds_read_b32 v32, v40 offset:21504
	s_waitcnt lgkmcnt(1)
	v_add3_u32 v1, v29, v1, 0x1400
	v_lshlrev_b64 v[30:31], 2, v[1:2]
	v_add_co_u32 v30, vcc_lo, s42, v30
	v_add_co_ci_u32_e64 v31, null, s43, v31, vcc_lo
	s_waitcnt lgkmcnt(0)
	global_store_dword v[30:31], v32, off
	s_add_i32 s9, s6, 0x1800
	s_cmpk_gt_u32 s9, 0x2fff
	s_cbranch_scc0 .LBB830_196
.LBB830_199:                            ;   in Loop: Header=BB830_193 Depth=1
	s_add_i32 s9, s6, 0x1c00
	s_cmpk_gt_u32 s9, 0x2fff
	s_cbranch_scc1 .LBB830_192
.LBB830_200:                            ;   in Loop: Header=BB830_193 Depth=1
	v_mov_b32_e32 v1, s8
	buffer_load_dword v1, v1, s[0:3], 0 offen offset:28
	s_waitcnt vmcnt(0)
	v_lshlrev_b32_e32 v1, 2, v1
	ds_read_b32 v1, v1
	ds_read_b32 v31, v40 offset:29696
	s_waitcnt lgkmcnt(1)
	v_add3_u32 v1, v29, v1, 0x1c00
	v_lshlrev_b64 v[29:30], 2, v[1:2]
	v_add_co_u32 v29, vcc_lo, s42, v29
	v_add_co_ci_u32_e64 v30, null, s43, v30, vcc_lo
	s_waitcnt lgkmcnt(0)
	global_store_dword v[29:30], v31, off
	s_branch .LBB830_192
.LBB830_201:
	s_add_i32 s11, s11, -1
	s_cmp_eq_u32 s33, s11
	s_cselect_b32 s5, -1, 0
	s_xor_b32 s4, s4, -1
	s_and_b32 s4, s4, s5
	s_and_saveexec_b32 s5, s4
	s_cbranch_execz .LBB830_203
; %bb.202:
	ds_read_b32 v0, v40
	s_waitcnt lgkmcnt(0)
	v_add3_u32 v0, v7, v8, v0
	global_store_dword v40, v0, s[30:31]
.LBB830_203:
	s_endpgm
	.section	.rodata,"a",@progbits
	.p2align	6, 0x0
	.amdhsa_kernel _ZN7rocprim17ROCPRIM_400000_NS6detail17trampoline_kernelINS0_14default_configENS1_35radix_sort_onesweep_config_selectorIiiEEZZNS1_29radix_sort_onesweep_iterationIS3_Lb0EN6thrust23THRUST_200600_302600_NS6detail15normal_iteratorINS8_10device_ptrIiEEEESD_SD_SD_jNS0_19identity_decomposerENS1_16block_id_wrapperIjLb1EEEEE10hipError_tT1_PNSt15iterator_traitsISI_E10value_typeET2_T3_PNSJ_ISO_E10value_typeET4_T5_PST_SU_PNS1_23onesweep_lookback_stateEbbT6_jjT7_P12ihipStream_tbENKUlT_T0_SI_SN_E_clISD_SD_SD_SD_EEDaS11_S12_SI_SN_EUlS11_E_NS1_11comp_targetILNS1_3genE8ELNS1_11target_archE1030ELNS1_3gpuE2ELNS1_3repE0EEENS1_47radix_sort_onesweep_sort_config_static_selectorELNS0_4arch9wavefront6targetE0EEEvSI_
		.amdhsa_group_segment_fixed_size 37000
		.amdhsa_private_segment_fixed_size 64
		.amdhsa_kernarg_size 344
		.amdhsa_user_sgpr_count 6
		.amdhsa_user_sgpr_private_segment_buffer 1
		.amdhsa_user_sgpr_dispatch_ptr 0
		.amdhsa_user_sgpr_queue_ptr 0
		.amdhsa_user_sgpr_kernarg_segment_ptr 1
		.amdhsa_user_sgpr_dispatch_id 0
		.amdhsa_user_sgpr_flat_scratch_init 0
		.amdhsa_user_sgpr_private_segment_size 0
		.amdhsa_wavefront_size32 1
		.amdhsa_uses_dynamic_stack 0
		.amdhsa_system_sgpr_private_segment_wavefront_offset 1
		.amdhsa_system_sgpr_workgroup_id_x 1
		.amdhsa_system_sgpr_workgroup_id_y 0
		.amdhsa_system_sgpr_workgroup_id_z 0
		.amdhsa_system_sgpr_workgroup_info 0
		.amdhsa_system_vgpr_workitem_id 2
		.amdhsa_next_free_vgpr 68
		.amdhsa_next_free_sgpr 51
		.amdhsa_reserve_vcc 1
		.amdhsa_reserve_flat_scratch 0
		.amdhsa_float_round_mode_32 0
		.amdhsa_float_round_mode_16_64 0
		.amdhsa_float_denorm_mode_32 3
		.amdhsa_float_denorm_mode_16_64 3
		.amdhsa_dx10_clamp 1
		.amdhsa_ieee_mode 1
		.amdhsa_fp16_overflow 0
		.amdhsa_workgroup_processor_mode 1
		.amdhsa_memory_ordered 1
		.amdhsa_forward_progress 1
		.amdhsa_shared_vgpr_count 0
		.amdhsa_exception_fp_ieee_invalid_op 0
		.amdhsa_exception_fp_denorm_src 0
		.amdhsa_exception_fp_ieee_div_zero 0
		.amdhsa_exception_fp_ieee_overflow 0
		.amdhsa_exception_fp_ieee_underflow 0
		.amdhsa_exception_fp_ieee_inexact 0
		.amdhsa_exception_int_div_zero 0
	.end_amdhsa_kernel
	.section	.text._ZN7rocprim17ROCPRIM_400000_NS6detail17trampoline_kernelINS0_14default_configENS1_35radix_sort_onesweep_config_selectorIiiEEZZNS1_29radix_sort_onesweep_iterationIS3_Lb0EN6thrust23THRUST_200600_302600_NS6detail15normal_iteratorINS8_10device_ptrIiEEEESD_SD_SD_jNS0_19identity_decomposerENS1_16block_id_wrapperIjLb1EEEEE10hipError_tT1_PNSt15iterator_traitsISI_E10value_typeET2_T3_PNSJ_ISO_E10value_typeET4_T5_PST_SU_PNS1_23onesweep_lookback_stateEbbT6_jjT7_P12ihipStream_tbENKUlT_T0_SI_SN_E_clISD_SD_SD_SD_EEDaS11_S12_SI_SN_EUlS11_E_NS1_11comp_targetILNS1_3genE8ELNS1_11target_archE1030ELNS1_3gpuE2ELNS1_3repE0EEENS1_47radix_sort_onesweep_sort_config_static_selectorELNS0_4arch9wavefront6targetE0EEEvSI_,"axG",@progbits,_ZN7rocprim17ROCPRIM_400000_NS6detail17trampoline_kernelINS0_14default_configENS1_35radix_sort_onesweep_config_selectorIiiEEZZNS1_29radix_sort_onesweep_iterationIS3_Lb0EN6thrust23THRUST_200600_302600_NS6detail15normal_iteratorINS8_10device_ptrIiEEEESD_SD_SD_jNS0_19identity_decomposerENS1_16block_id_wrapperIjLb1EEEEE10hipError_tT1_PNSt15iterator_traitsISI_E10value_typeET2_T3_PNSJ_ISO_E10value_typeET4_T5_PST_SU_PNS1_23onesweep_lookback_stateEbbT6_jjT7_P12ihipStream_tbENKUlT_T0_SI_SN_E_clISD_SD_SD_SD_EEDaS11_S12_SI_SN_EUlS11_E_NS1_11comp_targetILNS1_3genE8ELNS1_11target_archE1030ELNS1_3gpuE2ELNS1_3repE0EEENS1_47radix_sort_onesweep_sort_config_static_selectorELNS0_4arch9wavefront6targetE0EEEvSI_,comdat
.Lfunc_end830:
	.size	_ZN7rocprim17ROCPRIM_400000_NS6detail17trampoline_kernelINS0_14default_configENS1_35radix_sort_onesweep_config_selectorIiiEEZZNS1_29radix_sort_onesweep_iterationIS3_Lb0EN6thrust23THRUST_200600_302600_NS6detail15normal_iteratorINS8_10device_ptrIiEEEESD_SD_SD_jNS0_19identity_decomposerENS1_16block_id_wrapperIjLb1EEEEE10hipError_tT1_PNSt15iterator_traitsISI_E10value_typeET2_T3_PNSJ_ISO_E10value_typeET4_T5_PST_SU_PNS1_23onesweep_lookback_stateEbbT6_jjT7_P12ihipStream_tbENKUlT_T0_SI_SN_E_clISD_SD_SD_SD_EEDaS11_S12_SI_SN_EUlS11_E_NS1_11comp_targetILNS1_3genE8ELNS1_11target_archE1030ELNS1_3gpuE2ELNS1_3repE0EEENS1_47radix_sort_onesweep_sort_config_static_selectorELNS0_4arch9wavefront6targetE0EEEvSI_, .Lfunc_end830-_ZN7rocprim17ROCPRIM_400000_NS6detail17trampoline_kernelINS0_14default_configENS1_35radix_sort_onesweep_config_selectorIiiEEZZNS1_29radix_sort_onesweep_iterationIS3_Lb0EN6thrust23THRUST_200600_302600_NS6detail15normal_iteratorINS8_10device_ptrIiEEEESD_SD_SD_jNS0_19identity_decomposerENS1_16block_id_wrapperIjLb1EEEEE10hipError_tT1_PNSt15iterator_traitsISI_E10value_typeET2_T3_PNSJ_ISO_E10value_typeET4_T5_PST_SU_PNS1_23onesweep_lookback_stateEbbT6_jjT7_P12ihipStream_tbENKUlT_T0_SI_SN_E_clISD_SD_SD_SD_EEDaS11_S12_SI_SN_EUlS11_E_NS1_11comp_targetILNS1_3genE8ELNS1_11target_archE1030ELNS1_3gpuE2ELNS1_3repE0EEENS1_47radix_sort_onesweep_sort_config_static_selectorELNS0_4arch9wavefront6targetE0EEEvSI_
                                        ; -- End function
	.set _ZN7rocprim17ROCPRIM_400000_NS6detail17trampoline_kernelINS0_14default_configENS1_35radix_sort_onesweep_config_selectorIiiEEZZNS1_29radix_sort_onesweep_iterationIS3_Lb0EN6thrust23THRUST_200600_302600_NS6detail15normal_iteratorINS8_10device_ptrIiEEEESD_SD_SD_jNS0_19identity_decomposerENS1_16block_id_wrapperIjLb1EEEEE10hipError_tT1_PNSt15iterator_traitsISI_E10value_typeET2_T3_PNSJ_ISO_E10value_typeET4_T5_PST_SU_PNS1_23onesweep_lookback_stateEbbT6_jjT7_P12ihipStream_tbENKUlT_T0_SI_SN_E_clISD_SD_SD_SD_EEDaS11_S12_SI_SN_EUlS11_E_NS1_11comp_targetILNS1_3genE8ELNS1_11target_archE1030ELNS1_3gpuE2ELNS1_3repE0EEENS1_47radix_sort_onesweep_sort_config_static_selectorELNS0_4arch9wavefront6targetE0EEEvSI_.num_vgpr, 68
	.set _ZN7rocprim17ROCPRIM_400000_NS6detail17trampoline_kernelINS0_14default_configENS1_35radix_sort_onesweep_config_selectorIiiEEZZNS1_29radix_sort_onesweep_iterationIS3_Lb0EN6thrust23THRUST_200600_302600_NS6detail15normal_iteratorINS8_10device_ptrIiEEEESD_SD_SD_jNS0_19identity_decomposerENS1_16block_id_wrapperIjLb1EEEEE10hipError_tT1_PNSt15iterator_traitsISI_E10value_typeET2_T3_PNSJ_ISO_E10value_typeET4_T5_PST_SU_PNS1_23onesweep_lookback_stateEbbT6_jjT7_P12ihipStream_tbENKUlT_T0_SI_SN_E_clISD_SD_SD_SD_EEDaS11_S12_SI_SN_EUlS11_E_NS1_11comp_targetILNS1_3genE8ELNS1_11target_archE1030ELNS1_3gpuE2ELNS1_3repE0EEENS1_47radix_sort_onesweep_sort_config_static_selectorELNS0_4arch9wavefront6targetE0EEEvSI_.num_agpr, 0
	.set _ZN7rocprim17ROCPRIM_400000_NS6detail17trampoline_kernelINS0_14default_configENS1_35radix_sort_onesweep_config_selectorIiiEEZZNS1_29radix_sort_onesweep_iterationIS3_Lb0EN6thrust23THRUST_200600_302600_NS6detail15normal_iteratorINS8_10device_ptrIiEEEESD_SD_SD_jNS0_19identity_decomposerENS1_16block_id_wrapperIjLb1EEEEE10hipError_tT1_PNSt15iterator_traitsISI_E10value_typeET2_T3_PNSJ_ISO_E10value_typeET4_T5_PST_SU_PNS1_23onesweep_lookback_stateEbbT6_jjT7_P12ihipStream_tbENKUlT_T0_SI_SN_E_clISD_SD_SD_SD_EEDaS11_S12_SI_SN_EUlS11_E_NS1_11comp_targetILNS1_3genE8ELNS1_11target_archE1030ELNS1_3gpuE2ELNS1_3repE0EEENS1_47radix_sort_onesweep_sort_config_static_selectorELNS0_4arch9wavefront6targetE0EEEvSI_.numbered_sgpr, 51
	.set _ZN7rocprim17ROCPRIM_400000_NS6detail17trampoline_kernelINS0_14default_configENS1_35radix_sort_onesweep_config_selectorIiiEEZZNS1_29radix_sort_onesweep_iterationIS3_Lb0EN6thrust23THRUST_200600_302600_NS6detail15normal_iteratorINS8_10device_ptrIiEEEESD_SD_SD_jNS0_19identity_decomposerENS1_16block_id_wrapperIjLb1EEEEE10hipError_tT1_PNSt15iterator_traitsISI_E10value_typeET2_T3_PNSJ_ISO_E10value_typeET4_T5_PST_SU_PNS1_23onesweep_lookback_stateEbbT6_jjT7_P12ihipStream_tbENKUlT_T0_SI_SN_E_clISD_SD_SD_SD_EEDaS11_S12_SI_SN_EUlS11_E_NS1_11comp_targetILNS1_3genE8ELNS1_11target_archE1030ELNS1_3gpuE2ELNS1_3repE0EEENS1_47radix_sort_onesweep_sort_config_static_selectorELNS0_4arch9wavefront6targetE0EEEvSI_.num_named_barrier, 0
	.set _ZN7rocprim17ROCPRIM_400000_NS6detail17trampoline_kernelINS0_14default_configENS1_35radix_sort_onesweep_config_selectorIiiEEZZNS1_29radix_sort_onesweep_iterationIS3_Lb0EN6thrust23THRUST_200600_302600_NS6detail15normal_iteratorINS8_10device_ptrIiEEEESD_SD_SD_jNS0_19identity_decomposerENS1_16block_id_wrapperIjLb1EEEEE10hipError_tT1_PNSt15iterator_traitsISI_E10value_typeET2_T3_PNSJ_ISO_E10value_typeET4_T5_PST_SU_PNS1_23onesweep_lookback_stateEbbT6_jjT7_P12ihipStream_tbENKUlT_T0_SI_SN_E_clISD_SD_SD_SD_EEDaS11_S12_SI_SN_EUlS11_E_NS1_11comp_targetILNS1_3genE8ELNS1_11target_archE1030ELNS1_3gpuE2ELNS1_3repE0EEENS1_47radix_sort_onesweep_sort_config_static_selectorELNS0_4arch9wavefront6targetE0EEEvSI_.private_seg_size, 64
	.set _ZN7rocprim17ROCPRIM_400000_NS6detail17trampoline_kernelINS0_14default_configENS1_35radix_sort_onesweep_config_selectorIiiEEZZNS1_29radix_sort_onesweep_iterationIS3_Lb0EN6thrust23THRUST_200600_302600_NS6detail15normal_iteratorINS8_10device_ptrIiEEEESD_SD_SD_jNS0_19identity_decomposerENS1_16block_id_wrapperIjLb1EEEEE10hipError_tT1_PNSt15iterator_traitsISI_E10value_typeET2_T3_PNSJ_ISO_E10value_typeET4_T5_PST_SU_PNS1_23onesweep_lookback_stateEbbT6_jjT7_P12ihipStream_tbENKUlT_T0_SI_SN_E_clISD_SD_SD_SD_EEDaS11_S12_SI_SN_EUlS11_E_NS1_11comp_targetILNS1_3genE8ELNS1_11target_archE1030ELNS1_3gpuE2ELNS1_3repE0EEENS1_47radix_sort_onesweep_sort_config_static_selectorELNS0_4arch9wavefront6targetE0EEEvSI_.uses_vcc, 1
	.set _ZN7rocprim17ROCPRIM_400000_NS6detail17trampoline_kernelINS0_14default_configENS1_35radix_sort_onesweep_config_selectorIiiEEZZNS1_29radix_sort_onesweep_iterationIS3_Lb0EN6thrust23THRUST_200600_302600_NS6detail15normal_iteratorINS8_10device_ptrIiEEEESD_SD_SD_jNS0_19identity_decomposerENS1_16block_id_wrapperIjLb1EEEEE10hipError_tT1_PNSt15iterator_traitsISI_E10value_typeET2_T3_PNSJ_ISO_E10value_typeET4_T5_PST_SU_PNS1_23onesweep_lookback_stateEbbT6_jjT7_P12ihipStream_tbENKUlT_T0_SI_SN_E_clISD_SD_SD_SD_EEDaS11_S12_SI_SN_EUlS11_E_NS1_11comp_targetILNS1_3genE8ELNS1_11target_archE1030ELNS1_3gpuE2ELNS1_3repE0EEENS1_47radix_sort_onesweep_sort_config_static_selectorELNS0_4arch9wavefront6targetE0EEEvSI_.uses_flat_scratch, 0
	.set _ZN7rocprim17ROCPRIM_400000_NS6detail17trampoline_kernelINS0_14default_configENS1_35radix_sort_onesweep_config_selectorIiiEEZZNS1_29radix_sort_onesweep_iterationIS3_Lb0EN6thrust23THRUST_200600_302600_NS6detail15normal_iteratorINS8_10device_ptrIiEEEESD_SD_SD_jNS0_19identity_decomposerENS1_16block_id_wrapperIjLb1EEEEE10hipError_tT1_PNSt15iterator_traitsISI_E10value_typeET2_T3_PNSJ_ISO_E10value_typeET4_T5_PST_SU_PNS1_23onesweep_lookback_stateEbbT6_jjT7_P12ihipStream_tbENKUlT_T0_SI_SN_E_clISD_SD_SD_SD_EEDaS11_S12_SI_SN_EUlS11_E_NS1_11comp_targetILNS1_3genE8ELNS1_11target_archE1030ELNS1_3gpuE2ELNS1_3repE0EEENS1_47radix_sort_onesweep_sort_config_static_selectorELNS0_4arch9wavefront6targetE0EEEvSI_.has_dyn_sized_stack, 0
	.set _ZN7rocprim17ROCPRIM_400000_NS6detail17trampoline_kernelINS0_14default_configENS1_35radix_sort_onesweep_config_selectorIiiEEZZNS1_29radix_sort_onesweep_iterationIS3_Lb0EN6thrust23THRUST_200600_302600_NS6detail15normal_iteratorINS8_10device_ptrIiEEEESD_SD_SD_jNS0_19identity_decomposerENS1_16block_id_wrapperIjLb1EEEEE10hipError_tT1_PNSt15iterator_traitsISI_E10value_typeET2_T3_PNSJ_ISO_E10value_typeET4_T5_PST_SU_PNS1_23onesweep_lookback_stateEbbT6_jjT7_P12ihipStream_tbENKUlT_T0_SI_SN_E_clISD_SD_SD_SD_EEDaS11_S12_SI_SN_EUlS11_E_NS1_11comp_targetILNS1_3genE8ELNS1_11target_archE1030ELNS1_3gpuE2ELNS1_3repE0EEENS1_47radix_sort_onesweep_sort_config_static_selectorELNS0_4arch9wavefront6targetE0EEEvSI_.has_recursion, 0
	.set _ZN7rocprim17ROCPRIM_400000_NS6detail17trampoline_kernelINS0_14default_configENS1_35radix_sort_onesweep_config_selectorIiiEEZZNS1_29radix_sort_onesweep_iterationIS3_Lb0EN6thrust23THRUST_200600_302600_NS6detail15normal_iteratorINS8_10device_ptrIiEEEESD_SD_SD_jNS0_19identity_decomposerENS1_16block_id_wrapperIjLb1EEEEE10hipError_tT1_PNSt15iterator_traitsISI_E10value_typeET2_T3_PNSJ_ISO_E10value_typeET4_T5_PST_SU_PNS1_23onesweep_lookback_stateEbbT6_jjT7_P12ihipStream_tbENKUlT_T0_SI_SN_E_clISD_SD_SD_SD_EEDaS11_S12_SI_SN_EUlS11_E_NS1_11comp_targetILNS1_3genE8ELNS1_11target_archE1030ELNS1_3gpuE2ELNS1_3repE0EEENS1_47radix_sort_onesweep_sort_config_static_selectorELNS0_4arch9wavefront6targetE0EEEvSI_.has_indirect_call, 0
	.section	.AMDGPU.csdata,"",@progbits
; Kernel info:
; codeLenInByte = 17560
; TotalNumSgprs: 53
; NumVgprs: 68
; ScratchSize: 64
; MemoryBound: 0
; FloatMode: 240
; IeeeMode: 1
; LDSByteSize: 37000 bytes/workgroup (compile time only)
; SGPRBlocks: 0
; VGPRBlocks: 8
; NumSGPRsForWavesPerEU: 53
; NumVGPRsForWavesPerEU: 68
; Occupancy: 12
; WaveLimiterHint : 1
; COMPUTE_PGM_RSRC2:SCRATCH_EN: 1
; COMPUTE_PGM_RSRC2:USER_SGPR: 6
; COMPUTE_PGM_RSRC2:TRAP_HANDLER: 0
; COMPUTE_PGM_RSRC2:TGID_X_EN: 1
; COMPUTE_PGM_RSRC2:TGID_Y_EN: 0
; COMPUTE_PGM_RSRC2:TGID_Z_EN: 0
; COMPUTE_PGM_RSRC2:TIDIG_COMP_CNT: 2
	.section	.text._ZN7rocprim17ROCPRIM_400000_NS6detail17trampoline_kernelINS0_14default_configENS1_35radix_sort_onesweep_config_selectorIiiEEZZNS1_29radix_sort_onesweep_iterationIS3_Lb0EN6thrust23THRUST_200600_302600_NS6detail15normal_iteratorINS8_10device_ptrIiEEEESD_SD_SD_jNS0_19identity_decomposerENS1_16block_id_wrapperIjLb1EEEEE10hipError_tT1_PNSt15iterator_traitsISI_E10value_typeET2_T3_PNSJ_ISO_E10value_typeET4_T5_PST_SU_PNS1_23onesweep_lookback_stateEbbT6_jjT7_P12ihipStream_tbENKUlT_T0_SI_SN_E_clISD_PiSD_S15_EEDaS11_S12_SI_SN_EUlS11_E_NS1_11comp_targetILNS1_3genE0ELNS1_11target_archE4294967295ELNS1_3gpuE0ELNS1_3repE0EEENS1_47radix_sort_onesweep_sort_config_static_selectorELNS0_4arch9wavefront6targetE0EEEvSI_,"axG",@progbits,_ZN7rocprim17ROCPRIM_400000_NS6detail17trampoline_kernelINS0_14default_configENS1_35radix_sort_onesweep_config_selectorIiiEEZZNS1_29radix_sort_onesweep_iterationIS3_Lb0EN6thrust23THRUST_200600_302600_NS6detail15normal_iteratorINS8_10device_ptrIiEEEESD_SD_SD_jNS0_19identity_decomposerENS1_16block_id_wrapperIjLb1EEEEE10hipError_tT1_PNSt15iterator_traitsISI_E10value_typeET2_T3_PNSJ_ISO_E10value_typeET4_T5_PST_SU_PNS1_23onesweep_lookback_stateEbbT6_jjT7_P12ihipStream_tbENKUlT_T0_SI_SN_E_clISD_PiSD_S15_EEDaS11_S12_SI_SN_EUlS11_E_NS1_11comp_targetILNS1_3genE0ELNS1_11target_archE4294967295ELNS1_3gpuE0ELNS1_3repE0EEENS1_47radix_sort_onesweep_sort_config_static_selectorELNS0_4arch9wavefront6targetE0EEEvSI_,comdat
	.protected	_ZN7rocprim17ROCPRIM_400000_NS6detail17trampoline_kernelINS0_14default_configENS1_35radix_sort_onesweep_config_selectorIiiEEZZNS1_29radix_sort_onesweep_iterationIS3_Lb0EN6thrust23THRUST_200600_302600_NS6detail15normal_iteratorINS8_10device_ptrIiEEEESD_SD_SD_jNS0_19identity_decomposerENS1_16block_id_wrapperIjLb1EEEEE10hipError_tT1_PNSt15iterator_traitsISI_E10value_typeET2_T3_PNSJ_ISO_E10value_typeET4_T5_PST_SU_PNS1_23onesweep_lookback_stateEbbT6_jjT7_P12ihipStream_tbENKUlT_T0_SI_SN_E_clISD_PiSD_S15_EEDaS11_S12_SI_SN_EUlS11_E_NS1_11comp_targetILNS1_3genE0ELNS1_11target_archE4294967295ELNS1_3gpuE0ELNS1_3repE0EEENS1_47radix_sort_onesweep_sort_config_static_selectorELNS0_4arch9wavefront6targetE0EEEvSI_ ; -- Begin function _ZN7rocprim17ROCPRIM_400000_NS6detail17trampoline_kernelINS0_14default_configENS1_35radix_sort_onesweep_config_selectorIiiEEZZNS1_29radix_sort_onesweep_iterationIS3_Lb0EN6thrust23THRUST_200600_302600_NS6detail15normal_iteratorINS8_10device_ptrIiEEEESD_SD_SD_jNS0_19identity_decomposerENS1_16block_id_wrapperIjLb1EEEEE10hipError_tT1_PNSt15iterator_traitsISI_E10value_typeET2_T3_PNSJ_ISO_E10value_typeET4_T5_PST_SU_PNS1_23onesweep_lookback_stateEbbT6_jjT7_P12ihipStream_tbENKUlT_T0_SI_SN_E_clISD_PiSD_S15_EEDaS11_S12_SI_SN_EUlS11_E_NS1_11comp_targetILNS1_3genE0ELNS1_11target_archE4294967295ELNS1_3gpuE0ELNS1_3repE0EEENS1_47radix_sort_onesweep_sort_config_static_selectorELNS0_4arch9wavefront6targetE0EEEvSI_
	.globl	_ZN7rocprim17ROCPRIM_400000_NS6detail17trampoline_kernelINS0_14default_configENS1_35radix_sort_onesweep_config_selectorIiiEEZZNS1_29radix_sort_onesweep_iterationIS3_Lb0EN6thrust23THRUST_200600_302600_NS6detail15normal_iteratorINS8_10device_ptrIiEEEESD_SD_SD_jNS0_19identity_decomposerENS1_16block_id_wrapperIjLb1EEEEE10hipError_tT1_PNSt15iterator_traitsISI_E10value_typeET2_T3_PNSJ_ISO_E10value_typeET4_T5_PST_SU_PNS1_23onesweep_lookback_stateEbbT6_jjT7_P12ihipStream_tbENKUlT_T0_SI_SN_E_clISD_PiSD_S15_EEDaS11_S12_SI_SN_EUlS11_E_NS1_11comp_targetILNS1_3genE0ELNS1_11target_archE4294967295ELNS1_3gpuE0ELNS1_3repE0EEENS1_47radix_sort_onesweep_sort_config_static_selectorELNS0_4arch9wavefront6targetE0EEEvSI_
	.p2align	8
	.type	_ZN7rocprim17ROCPRIM_400000_NS6detail17trampoline_kernelINS0_14default_configENS1_35radix_sort_onesweep_config_selectorIiiEEZZNS1_29radix_sort_onesweep_iterationIS3_Lb0EN6thrust23THRUST_200600_302600_NS6detail15normal_iteratorINS8_10device_ptrIiEEEESD_SD_SD_jNS0_19identity_decomposerENS1_16block_id_wrapperIjLb1EEEEE10hipError_tT1_PNSt15iterator_traitsISI_E10value_typeET2_T3_PNSJ_ISO_E10value_typeET4_T5_PST_SU_PNS1_23onesweep_lookback_stateEbbT6_jjT7_P12ihipStream_tbENKUlT_T0_SI_SN_E_clISD_PiSD_S15_EEDaS11_S12_SI_SN_EUlS11_E_NS1_11comp_targetILNS1_3genE0ELNS1_11target_archE4294967295ELNS1_3gpuE0ELNS1_3repE0EEENS1_47radix_sort_onesweep_sort_config_static_selectorELNS0_4arch9wavefront6targetE0EEEvSI_,@function
_ZN7rocprim17ROCPRIM_400000_NS6detail17trampoline_kernelINS0_14default_configENS1_35radix_sort_onesweep_config_selectorIiiEEZZNS1_29radix_sort_onesweep_iterationIS3_Lb0EN6thrust23THRUST_200600_302600_NS6detail15normal_iteratorINS8_10device_ptrIiEEEESD_SD_SD_jNS0_19identity_decomposerENS1_16block_id_wrapperIjLb1EEEEE10hipError_tT1_PNSt15iterator_traitsISI_E10value_typeET2_T3_PNSJ_ISO_E10value_typeET4_T5_PST_SU_PNS1_23onesweep_lookback_stateEbbT6_jjT7_P12ihipStream_tbENKUlT_T0_SI_SN_E_clISD_PiSD_S15_EEDaS11_S12_SI_SN_EUlS11_E_NS1_11comp_targetILNS1_3genE0ELNS1_11target_archE4294967295ELNS1_3gpuE0ELNS1_3repE0EEENS1_47radix_sort_onesweep_sort_config_static_selectorELNS0_4arch9wavefront6targetE0EEEvSI_: ; @_ZN7rocprim17ROCPRIM_400000_NS6detail17trampoline_kernelINS0_14default_configENS1_35radix_sort_onesweep_config_selectorIiiEEZZNS1_29radix_sort_onesweep_iterationIS3_Lb0EN6thrust23THRUST_200600_302600_NS6detail15normal_iteratorINS8_10device_ptrIiEEEESD_SD_SD_jNS0_19identity_decomposerENS1_16block_id_wrapperIjLb1EEEEE10hipError_tT1_PNSt15iterator_traitsISI_E10value_typeET2_T3_PNSJ_ISO_E10value_typeET4_T5_PST_SU_PNS1_23onesweep_lookback_stateEbbT6_jjT7_P12ihipStream_tbENKUlT_T0_SI_SN_E_clISD_PiSD_S15_EEDaS11_S12_SI_SN_EUlS11_E_NS1_11comp_targetILNS1_3genE0ELNS1_11target_archE4294967295ELNS1_3gpuE0ELNS1_3repE0EEENS1_47radix_sort_onesweep_sort_config_static_selectorELNS0_4arch9wavefront6targetE0EEEvSI_
; %bb.0:
	.section	.rodata,"a",@progbits
	.p2align	6, 0x0
	.amdhsa_kernel _ZN7rocprim17ROCPRIM_400000_NS6detail17trampoline_kernelINS0_14default_configENS1_35radix_sort_onesweep_config_selectorIiiEEZZNS1_29radix_sort_onesweep_iterationIS3_Lb0EN6thrust23THRUST_200600_302600_NS6detail15normal_iteratorINS8_10device_ptrIiEEEESD_SD_SD_jNS0_19identity_decomposerENS1_16block_id_wrapperIjLb1EEEEE10hipError_tT1_PNSt15iterator_traitsISI_E10value_typeET2_T3_PNSJ_ISO_E10value_typeET4_T5_PST_SU_PNS1_23onesweep_lookback_stateEbbT6_jjT7_P12ihipStream_tbENKUlT_T0_SI_SN_E_clISD_PiSD_S15_EEDaS11_S12_SI_SN_EUlS11_E_NS1_11comp_targetILNS1_3genE0ELNS1_11target_archE4294967295ELNS1_3gpuE0ELNS1_3repE0EEENS1_47radix_sort_onesweep_sort_config_static_selectorELNS0_4arch9wavefront6targetE0EEEvSI_
		.amdhsa_group_segment_fixed_size 0
		.amdhsa_private_segment_fixed_size 0
		.amdhsa_kernarg_size 88
		.amdhsa_user_sgpr_count 6
		.amdhsa_user_sgpr_private_segment_buffer 1
		.amdhsa_user_sgpr_dispatch_ptr 0
		.amdhsa_user_sgpr_queue_ptr 0
		.amdhsa_user_sgpr_kernarg_segment_ptr 1
		.amdhsa_user_sgpr_dispatch_id 0
		.amdhsa_user_sgpr_flat_scratch_init 0
		.amdhsa_user_sgpr_private_segment_size 0
		.amdhsa_wavefront_size32 1
		.amdhsa_uses_dynamic_stack 0
		.amdhsa_system_sgpr_private_segment_wavefront_offset 0
		.amdhsa_system_sgpr_workgroup_id_x 1
		.amdhsa_system_sgpr_workgroup_id_y 0
		.amdhsa_system_sgpr_workgroup_id_z 0
		.amdhsa_system_sgpr_workgroup_info 0
		.amdhsa_system_vgpr_workitem_id 0
		.amdhsa_next_free_vgpr 1
		.amdhsa_next_free_sgpr 1
		.amdhsa_reserve_vcc 0
		.amdhsa_reserve_flat_scratch 0
		.amdhsa_float_round_mode_32 0
		.amdhsa_float_round_mode_16_64 0
		.amdhsa_float_denorm_mode_32 3
		.amdhsa_float_denorm_mode_16_64 3
		.amdhsa_dx10_clamp 1
		.amdhsa_ieee_mode 1
		.amdhsa_fp16_overflow 0
		.amdhsa_workgroup_processor_mode 1
		.amdhsa_memory_ordered 1
		.amdhsa_forward_progress 1
		.amdhsa_shared_vgpr_count 0
		.amdhsa_exception_fp_ieee_invalid_op 0
		.amdhsa_exception_fp_denorm_src 0
		.amdhsa_exception_fp_ieee_div_zero 0
		.amdhsa_exception_fp_ieee_overflow 0
		.amdhsa_exception_fp_ieee_underflow 0
		.amdhsa_exception_fp_ieee_inexact 0
		.amdhsa_exception_int_div_zero 0
	.end_amdhsa_kernel
	.section	.text._ZN7rocprim17ROCPRIM_400000_NS6detail17trampoline_kernelINS0_14default_configENS1_35radix_sort_onesweep_config_selectorIiiEEZZNS1_29radix_sort_onesweep_iterationIS3_Lb0EN6thrust23THRUST_200600_302600_NS6detail15normal_iteratorINS8_10device_ptrIiEEEESD_SD_SD_jNS0_19identity_decomposerENS1_16block_id_wrapperIjLb1EEEEE10hipError_tT1_PNSt15iterator_traitsISI_E10value_typeET2_T3_PNSJ_ISO_E10value_typeET4_T5_PST_SU_PNS1_23onesweep_lookback_stateEbbT6_jjT7_P12ihipStream_tbENKUlT_T0_SI_SN_E_clISD_PiSD_S15_EEDaS11_S12_SI_SN_EUlS11_E_NS1_11comp_targetILNS1_3genE0ELNS1_11target_archE4294967295ELNS1_3gpuE0ELNS1_3repE0EEENS1_47radix_sort_onesweep_sort_config_static_selectorELNS0_4arch9wavefront6targetE0EEEvSI_,"axG",@progbits,_ZN7rocprim17ROCPRIM_400000_NS6detail17trampoline_kernelINS0_14default_configENS1_35radix_sort_onesweep_config_selectorIiiEEZZNS1_29radix_sort_onesweep_iterationIS3_Lb0EN6thrust23THRUST_200600_302600_NS6detail15normal_iteratorINS8_10device_ptrIiEEEESD_SD_SD_jNS0_19identity_decomposerENS1_16block_id_wrapperIjLb1EEEEE10hipError_tT1_PNSt15iterator_traitsISI_E10value_typeET2_T3_PNSJ_ISO_E10value_typeET4_T5_PST_SU_PNS1_23onesweep_lookback_stateEbbT6_jjT7_P12ihipStream_tbENKUlT_T0_SI_SN_E_clISD_PiSD_S15_EEDaS11_S12_SI_SN_EUlS11_E_NS1_11comp_targetILNS1_3genE0ELNS1_11target_archE4294967295ELNS1_3gpuE0ELNS1_3repE0EEENS1_47radix_sort_onesweep_sort_config_static_selectorELNS0_4arch9wavefront6targetE0EEEvSI_,comdat
.Lfunc_end831:
	.size	_ZN7rocprim17ROCPRIM_400000_NS6detail17trampoline_kernelINS0_14default_configENS1_35radix_sort_onesweep_config_selectorIiiEEZZNS1_29radix_sort_onesweep_iterationIS3_Lb0EN6thrust23THRUST_200600_302600_NS6detail15normal_iteratorINS8_10device_ptrIiEEEESD_SD_SD_jNS0_19identity_decomposerENS1_16block_id_wrapperIjLb1EEEEE10hipError_tT1_PNSt15iterator_traitsISI_E10value_typeET2_T3_PNSJ_ISO_E10value_typeET4_T5_PST_SU_PNS1_23onesweep_lookback_stateEbbT6_jjT7_P12ihipStream_tbENKUlT_T0_SI_SN_E_clISD_PiSD_S15_EEDaS11_S12_SI_SN_EUlS11_E_NS1_11comp_targetILNS1_3genE0ELNS1_11target_archE4294967295ELNS1_3gpuE0ELNS1_3repE0EEENS1_47radix_sort_onesweep_sort_config_static_selectorELNS0_4arch9wavefront6targetE0EEEvSI_, .Lfunc_end831-_ZN7rocprim17ROCPRIM_400000_NS6detail17trampoline_kernelINS0_14default_configENS1_35radix_sort_onesweep_config_selectorIiiEEZZNS1_29radix_sort_onesweep_iterationIS3_Lb0EN6thrust23THRUST_200600_302600_NS6detail15normal_iteratorINS8_10device_ptrIiEEEESD_SD_SD_jNS0_19identity_decomposerENS1_16block_id_wrapperIjLb1EEEEE10hipError_tT1_PNSt15iterator_traitsISI_E10value_typeET2_T3_PNSJ_ISO_E10value_typeET4_T5_PST_SU_PNS1_23onesweep_lookback_stateEbbT6_jjT7_P12ihipStream_tbENKUlT_T0_SI_SN_E_clISD_PiSD_S15_EEDaS11_S12_SI_SN_EUlS11_E_NS1_11comp_targetILNS1_3genE0ELNS1_11target_archE4294967295ELNS1_3gpuE0ELNS1_3repE0EEENS1_47radix_sort_onesweep_sort_config_static_selectorELNS0_4arch9wavefront6targetE0EEEvSI_
                                        ; -- End function
	.set _ZN7rocprim17ROCPRIM_400000_NS6detail17trampoline_kernelINS0_14default_configENS1_35radix_sort_onesweep_config_selectorIiiEEZZNS1_29radix_sort_onesweep_iterationIS3_Lb0EN6thrust23THRUST_200600_302600_NS6detail15normal_iteratorINS8_10device_ptrIiEEEESD_SD_SD_jNS0_19identity_decomposerENS1_16block_id_wrapperIjLb1EEEEE10hipError_tT1_PNSt15iterator_traitsISI_E10value_typeET2_T3_PNSJ_ISO_E10value_typeET4_T5_PST_SU_PNS1_23onesweep_lookback_stateEbbT6_jjT7_P12ihipStream_tbENKUlT_T0_SI_SN_E_clISD_PiSD_S15_EEDaS11_S12_SI_SN_EUlS11_E_NS1_11comp_targetILNS1_3genE0ELNS1_11target_archE4294967295ELNS1_3gpuE0ELNS1_3repE0EEENS1_47radix_sort_onesweep_sort_config_static_selectorELNS0_4arch9wavefront6targetE0EEEvSI_.num_vgpr, 0
	.set _ZN7rocprim17ROCPRIM_400000_NS6detail17trampoline_kernelINS0_14default_configENS1_35radix_sort_onesweep_config_selectorIiiEEZZNS1_29radix_sort_onesweep_iterationIS3_Lb0EN6thrust23THRUST_200600_302600_NS6detail15normal_iteratorINS8_10device_ptrIiEEEESD_SD_SD_jNS0_19identity_decomposerENS1_16block_id_wrapperIjLb1EEEEE10hipError_tT1_PNSt15iterator_traitsISI_E10value_typeET2_T3_PNSJ_ISO_E10value_typeET4_T5_PST_SU_PNS1_23onesweep_lookback_stateEbbT6_jjT7_P12ihipStream_tbENKUlT_T0_SI_SN_E_clISD_PiSD_S15_EEDaS11_S12_SI_SN_EUlS11_E_NS1_11comp_targetILNS1_3genE0ELNS1_11target_archE4294967295ELNS1_3gpuE0ELNS1_3repE0EEENS1_47radix_sort_onesweep_sort_config_static_selectorELNS0_4arch9wavefront6targetE0EEEvSI_.num_agpr, 0
	.set _ZN7rocprim17ROCPRIM_400000_NS6detail17trampoline_kernelINS0_14default_configENS1_35radix_sort_onesweep_config_selectorIiiEEZZNS1_29radix_sort_onesweep_iterationIS3_Lb0EN6thrust23THRUST_200600_302600_NS6detail15normal_iteratorINS8_10device_ptrIiEEEESD_SD_SD_jNS0_19identity_decomposerENS1_16block_id_wrapperIjLb1EEEEE10hipError_tT1_PNSt15iterator_traitsISI_E10value_typeET2_T3_PNSJ_ISO_E10value_typeET4_T5_PST_SU_PNS1_23onesweep_lookback_stateEbbT6_jjT7_P12ihipStream_tbENKUlT_T0_SI_SN_E_clISD_PiSD_S15_EEDaS11_S12_SI_SN_EUlS11_E_NS1_11comp_targetILNS1_3genE0ELNS1_11target_archE4294967295ELNS1_3gpuE0ELNS1_3repE0EEENS1_47radix_sort_onesweep_sort_config_static_selectorELNS0_4arch9wavefront6targetE0EEEvSI_.numbered_sgpr, 0
	.set _ZN7rocprim17ROCPRIM_400000_NS6detail17trampoline_kernelINS0_14default_configENS1_35radix_sort_onesweep_config_selectorIiiEEZZNS1_29radix_sort_onesweep_iterationIS3_Lb0EN6thrust23THRUST_200600_302600_NS6detail15normal_iteratorINS8_10device_ptrIiEEEESD_SD_SD_jNS0_19identity_decomposerENS1_16block_id_wrapperIjLb1EEEEE10hipError_tT1_PNSt15iterator_traitsISI_E10value_typeET2_T3_PNSJ_ISO_E10value_typeET4_T5_PST_SU_PNS1_23onesweep_lookback_stateEbbT6_jjT7_P12ihipStream_tbENKUlT_T0_SI_SN_E_clISD_PiSD_S15_EEDaS11_S12_SI_SN_EUlS11_E_NS1_11comp_targetILNS1_3genE0ELNS1_11target_archE4294967295ELNS1_3gpuE0ELNS1_3repE0EEENS1_47radix_sort_onesweep_sort_config_static_selectorELNS0_4arch9wavefront6targetE0EEEvSI_.num_named_barrier, 0
	.set _ZN7rocprim17ROCPRIM_400000_NS6detail17trampoline_kernelINS0_14default_configENS1_35radix_sort_onesweep_config_selectorIiiEEZZNS1_29radix_sort_onesweep_iterationIS3_Lb0EN6thrust23THRUST_200600_302600_NS6detail15normal_iteratorINS8_10device_ptrIiEEEESD_SD_SD_jNS0_19identity_decomposerENS1_16block_id_wrapperIjLb1EEEEE10hipError_tT1_PNSt15iterator_traitsISI_E10value_typeET2_T3_PNSJ_ISO_E10value_typeET4_T5_PST_SU_PNS1_23onesweep_lookback_stateEbbT6_jjT7_P12ihipStream_tbENKUlT_T0_SI_SN_E_clISD_PiSD_S15_EEDaS11_S12_SI_SN_EUlS11_E_NS1_11comp_targetILNS1_3genE0ELNS1_11target_archE4294967295ELNS1_3gpuE0ELNS1_3repE0EEENS1_47radix_sort_onesweep_sort_config_static_selectorELNS0_4arch9wavefront6targetE0EEEvSI_.private_seg_size, 0
	.set _ZN7rocprim17ROCPRIM_400000_NS6detail17trampoline_kernelINS0_14default_configENS1_35radix_sort_onesweep_config_selectorIiiEEZZNS1_29radix_sort_onesweep_iterationIS3_Lb0EN6thrust23THRUST_200600_302600_NS6detail15normal_iteratorINS8_10device_ptrIiEEEESD_SD_SD_jNS0_19identity_decomposerENS1_16block_id_wrapperIjLb1EEEEE10hipError_tT1_PNSt15iterator_traitsISI_E10value_typeET2_T3_PNSJ_ISO_E10value_typeET4_T5_PST_SU_PNS1_23onesweep_lookback_stateEbbT6_jjT7_P12ihipStream_tbENKUlT_T0_SI_SN_E_clISD_PiSD_S15_EEDaS11_S12_SI_SN_EUlS11_E_NS1_11comp_targetILNS1_3genE0ELNS1_11target_archE4294967295ELNS1_3gpuE0ELNS1_3repE0EEENS1_47radix_sort_onesweep_sort_config_static_selectorELNS0_4arch9wavefront6targetE0EEEvSI_.uses_vcc, 0
	.set _ZN7rocprim17ROCPRIM_400000_NS6detail17trampoline_kernelINS0_14default_configENS1_35radix_sort_onesweep_config_selectorIiiEEZZNS1_29radix_sort_onesweep_iterationIS3_Lb0EN6thrust23THRUST_200600_302600_NS6detail15normal_iteratorINS8_10device_ptrIiEEEESD_SD_SD_jNS0_19identity_decomposerENS1_16block_id_wrapperIjLb1EEEEE10hipError_tT1_PNSt15iterator_traitsISI_E10value_typeET2_T3_PNSJ_ISO_E10value_typeET4_T5_PST_SU_PNS1_23onesweep_lookback_stateEbbT6_jjT7_P12ihipStream_tbENKUlT_T0_SI_SN_E_clISD_PiSD_S15_EEDaS11_S12_SI_SN_EUlS11_E_NS1_11comp_targetILNS1_3genE0ELNS1_11target_archE4294967295ELNS1_3gpuE0ELNS1_3repE0EEENS1_47radix_sort_onesweep_sort_config_static_selectorELNS0_4arch9wavefront6targetE0EEEvSI_.uses_flat_scratch, 0
	.set _ZN7rocprim17ROCPRIM_400000_NS6detail17trampoline_kernelINS0_14default_configENS1_35radix_sort_onesweep_config_selectorIiiEEZZNS1_29radix_sort_onesweep_iterationIS3_Lb0EN6thrust23THRUST_200600_302600_NS6detail15normal_iteratorINS8_10device_ptrIiEEEESD_SD_SD_jNS0_19identity_decomposerENS1_16block_id_wrapperIjLb1EEEEE10hipError_tT1_PNSt15iterator_traitsISI_E10value_typeET2_T3_PNSJ_ISO_E10value_typeET4_T5_PST_SU_PNS1_23onesweep_lookback_stateEbbT6_jjT7_P12ihipStream_tbENKUlT_T0_SI_SN_E_clISD_PiSD_S15_EEDaS11_S12_SI_SN_EUlS11_E_NS1_11comp_targetILNS1_3genE0ELNS1_11target_archE4294967295ELNS1_3gpuE0ELNS1_3repE0EEENS1_47radix_sort_onesweep_sort_config_static_selectorELNS0_4arch9wavefront6targetE0EEEvSI_.has_dyn_sized_stack, 0
	.set _ZN7rocprim17ROCPRIM_400000_NS6detail17trampoline_kernelINS0_14default_configENS1_35radix_sort_onesweep_config_selectorIiiEEZZNS1_29radix_sort_onesweep_iterationIS3_Lb0EN6thrust23THRUST_200600_302600_NS6detail15normal_iteratorINS8_10device_ptrIiEEEESD_SD_SD_jNS0_19identity_decomposerENS1_16block_id_wrapperIjLb1EEEEE10hipError_tT1_PNSt15iterator_traitsISI_E10value_typeET2_T3_PNSJ_ISO_E10value_typeET4_T5_PST_SU_PNS1_23onesweep_lookback_stateEbbT6_jjT7_P12ihipStream_tbENKUlT_T0_SI_SN_E_clISD_PiSD_S15_EEDaS11_S12_SI_SN_EUlS11_E_NS1_11comp_targetILNS1_3genE0ELNS1_11target_archE4294967295ELNS1_3gpuE0ELNS1_3repE0EEENS1_47radix_sort_onesweep_sort_config_static_selectorELNS0_4arch9wavefront6targetE0EEEvSI_.has_recursion, 0
	.set _ZN7rocprim17ROCPRIM_400000_NS6detail17trampoline_kernelINS0_14default_configENS1_35radix_sort_onesweep_config_selectorIiiEEZZNS1_29radix_sort_onesweep_iterationIS3_Lb0EN6thrust23THRUST_200600_302600_NS6detail15normal_iteratorINS8_10device_ptrIiEEEESD_SD_SD_jNS0_19identity_decomposerENS1_16block_id_wrapperIjLb1EEEEE10hipError_tT1_PNSt15iterator_traitsISI_E10value_typeET2_T3_PNSJ_ISO_E10value_typeET4_T5_PST_SU_PNS1_23onesweep_lookback_stateEbbT6_jjT7_P12ihipStream_tbENKUlT_T0_SI_SN_E_clISD_PiSD_S15_EEDaS11_S12_SI_SN_EUlS11_E_NS1_11comp_targetILNS1_3genE0ELNS1_11target_archE4294967295ELNS1_3gpuE0ELNS1_3repE0EEENS1_47radix_sort_onesweep_sort_config_static_selectorELNS0_4arch9wavefront6targetE0EEEvSI_.has_indirect_call, 0
	.section	.AMDGPU.csdata,"",@progbits
; Kernel info:
; codeLenInByte = 0
; TotalNumSgprs: 0
; NumVgprs: 0
; ScratchSize: 0
; MemoryBound: 0
; FloatMode: 240
; IeeeMode: 1
; LDSByteSize: 0 bytes/workgroup (compile time only)
; SGPRBlocks: 0
; VGPRBlocks: 0
; NumSGPRsForWavesPerEU: 1
; NumVGPRsForWavesPerEU: 1
; Occupancy: 16
; WaveLimiterHint : 0
; COMPUTE_PGM_RSRC2:SCRATCH_EN: 0
; COMPUTE_PGM_RSRC2:USER_SGPR: 6
; COMPUTE_PGM_RSRC2:TRAP_HANDLER: 0
; COMPUTE_PGM_RSRC2:TGID_X_EN: 1
; COMPUTE_PGM_RSRC2:TGID_Y_EN: 0
; COMPUTE_PGM_RSRC2:TGID_Z_EN: 0
; COMPUTE_PGM_RSRC2:TIDIG_COMP_CNT: 0
	.section	.text._ZN7rocprim17ROCPRIM_400000_NS6detail17trampoline_kernelINS0_14default_configENS1_35radix_sort_onesweep_config_selectorIiiEEZZNS1_29radix_sort_onesweep_iterationIS3_Lb0EN6thrust23THRUST_200600_302600_NS6detail15normal_iteratorINS8_10device_ptrIiEEEESD_SD_SD_jNS0_19identity_decomposerENS1_16block_id_wrapperIjLb1EEEEE10hipError_tT1_PNSt15iterator_traitsISI_E10value_typeET2_T3_PNSJ_ISO_E10value_typeET4_T5_PST_SU_PNS1_23onesweep_lookback_stateEbbT6_jjT7_P12ihipStream_tbENKUlT_T0_SI_SN_E_clISD_PiSD_S15_EEDaS11_S12_SI_SN_EUlS11_E_NS1_11comp_targetILNS1_3genE6ELNS1_11target_archE950ELNS1_3gpuE13ELNS1_3repE0EEENS1_47radix_sort_onesweep_sort_config_static_selectorELNS0_4arch9wavefront6targetE0EEEvSI_,"axG",@progbits,_ZN7rocprim17ROCPRIM_400000_NS6detail17trampoline_kernelINS0_14default_configENS1_35radix_sort_onesweep_config_selectorIiiEEZZNS1_29radix_sort_onesweep_iterationIS3_Lb0EN6thrust23THRUST_200600_302600_NS6detail15normal_iteratorINS8_10device_ptrIiEEEESD_SD_SD_jNS0_19identity_decomposerENS1_16block_id_wrapperIjLb1EEEEE10hipError_tT1_PNSt15iterator_traitsISI_E10value_typeET2_T3_PNSJ_ISO_E10value_typeET4_T5_PST_SU_PNS1_23onesweep_lookback_stateEbbT6_jjT7_P12ihipStream_tbENKUlT_T0_SI_SN_E_clISD_PiSD_S15_EEDaS11_S12_SI_SN_EUlS11_E_NS1_11comp_targetILNS1_3genE6ELNS1_11target_archE950ELNS1_3gpuE13ELNS1_3repE0EEENS1_47radix_sort_onesweep_sort_config_static_selectorELNS0_4arch9wavefront6targetE0EEEvSI_,comdat
	.protected	_ZN7rocprim17ROCPRIM_400000_NS6detail17trampoline_kernelINS0_14default_configENS1_35radix_sort_onesweep_config_selectorIiiEEZZNS1_29radix_sort_onesweep_iterationIS3_Lb0EN6thrust23THRUST_200600_302600_NS6detail15normal_iteratorINS8_10device_ptrIiEEEESD_SD_SD_jNS0_19identity_decomposerENS1_16block_id_wrapperIjLb1EEEEE10hipError_tT1_PNSt15iterator_traitsISI_E10value_typeET2_T3_PNSJ_ISO_E10value_typeET4_T5_PST_SU_PNS1_23onesweep_lookback_stateEbbT6_jjT7_P12ihipStream_tbENKUlT_T0_SI_SN_E_clISD_PiSD_S15_EEDaS11_S12_SI_SN_EUlS11_E_NS1_11comp_targetILNS1_3genE6ELNS1_11target_archE950ELNS1_3gpuE13ELNS1_3repE0EEENS1_47radix_sort_onesweep_sort_config_static_selectorELNS0_4arch9wavefront6targetE0EEEvSI_ ; -- Begin function _ZN7rocprim17ROCPRIM_400000_NS6detail17trampoline_kernelINS0_14default_configENS1_35radix_sort_onesweep_config_selectorIiiEEZZNS1_29radix_sort_onesweep_iterationIS3_Lb0EN6thrust23THRUST_200600_302600_NS6detail15normal_iteratorINS8_10device_ptrIiEEEESD_SD_SD_jNS0_19identity_decomposerENS1_16block_id_wrapperIjLb1EEEEE10hipError_tT1_PNSt15iterator_traitsISI_E10value_typeET2_T3_PNSJ_ISO_E10value_typeET4_T5_PST_SU_PNS1_23onesweep_lookback_stateEbbT6_jjT7_P12ihipStream_tbENKUlT_T0_SI_SN_E_clISD_PiSD_S15_EEDaS11_S12_SI_SN_EUlS11_E_NS1_11comp_targetILNS1_3genE6ELNS1_11target_archE950ELNS1_3gpuE13ELNS1_3repE0EEENS1_47radix_sort_onesweep_sort_config_static_selectorELNS0_4arch9wavefront6targetE0EEEvSI_
	.globl	_ZN7rocprim17ROCPRIM_400000_NS6detail17trampoline_kernelINS0_14default_configENS1_35radix_sort_onesweep_config_selectorIiiEEZZNS1_29radix_sort_onesweep_iterationIS3_Lb0EN6thrust23THRUST_200600_302600_NS6detail15normal_iteratorINS8_10device_ptrIiEEEESD_SD_SD_jNS0_19identity_decomposerENS1_16block_id_wrapperIjLb1EEEEE10hipError_tT1_PNSt15iterator_traitsISI_E10value_typeET2_T3_PNSJ_ISO_E10value_typeET4_T5_PST_SU_PNS1_23onesweep_lookback_stateEbbT6_jjT7_P12ihipStream_tbENKUlT_T0_SI_SN_E_clISD_PiSD_S15_EEDaS11_S12_SI_SN_EUlS11_E_NS1_11comp_targetILNS1_3genE6ELNS1_11target_archE950ELNS1_3gpuE13ELNS1_3repE0EEENS1_47radix_sort_onesweep_sort_config_static_selectorELNS0_4arch9wavefront6targetE0EEEvSI_
	.p2align	8
	.type	_ZN7rocprim17ROCPRIM_400000_NS6detail17trampoline_kernelINS0_14default_configENS1_35radix_sort_onesweep_config_selectorIiiEEZZNS1_29radix_sort_onesweep_iterationIS3_Lb0EN6thrust23THRUST_200600_302600_NS6detail15normal_iteratorINS8_10device_ptrIiEEEESD_SD_SD_jNS0_19identity_decomposerENS1_16block_id_wrapperIjLb1EEEEE10hipError_tT1_PNSt15iterator_traitsISI_E10value_typeET2_T3_PNSJ_ISO_E10value_typeET4_T5_PST_SU_PNS1_23onesweep_lookback_stateEbbT6_jjT7_P12ihipStream_tbENKUlT_T0_SI_SN_E_clISD_PiSD_S15_EEDaS11_S12_SI_SN_EUlS11_E_NS1_11comp_targetILNS1_3genE6ELNS1_11target_archE950ELNS1_3gpuE13ELNS1_3repE0EEENS1_47radix_sort_onesweep_sort_config_static_selectorELNS0_4arch9wavefront6targetE0EEEvSI_,@function
_ZN7rocprim17ROCPRIM_400000_NS6detail17trampoline_kernelINS0_14default_configENS1_35radix_sort_onesweep_config_selectorIiiEEZZNS1_29radix_sort_onesweep_iterationIS3_Lb0EN6thrust23THRUST_200600_302600_NS6detail15normal_iteratorINS8_10device_ptrIiEEEESD_SD_SD_jNS0_19identity_decomposerENS1_16block_id_wrapperIjLb1EEEEE10hipError_tT1_PNSt15iterator_traitsISI_E10value_typeET2_T3_PNSJ_ISO_E10value_typeET4_T5_PST_SU_PNS1_23onesweep_lookback_stateEbbT6_jjT7_P12ihipStream_tbENKUlT_T0_SI_SN_E_clISD_PiSD_S15_EEDaS11_S12_SI_SN_EUlS11_E_NS1_11comp_targetILNS1_3genE6ELNS1_11target_archE950ELNS1_3gpuE13ELNS1_3repE0EEENS1_47radix_sort_onesweep_sort_config_static_selectorELNS0_4arch9wavefront6targetE0EEEvSI_: ; @_ZN7rocprim17ROCPRIM_400000_NS6detail17trampoline_kernelINS0_14default_configENS1_35radix_sort_onesweep_config_selectorIiiEEZZNS1_29radix_sort_onesweep_iterationIS3_Lb0EN6thrust23THRUST_200600_302600_NS6detail15normal_iteratorINS8_10device_ptrIiEEEESD_SD_SD_jNS0_19identity_decomposerENS1_16block_id_wrapperIjLb1EEEEE10hipError_tT1_PNSt15iterator_traitsISI_E10value_typeET2_T3_PNSJ_ISO_E10value_typeET4_T5_PST_SU_PNS1_23onesweep_lookback_stateEbbT6_jjT7_P12ihipStream_tbENKUlT_T0_SI_SN_E_clISD_PiSD_S15_EEDaS11_S12_SI_SN_EUlS11_E_NS1_11comp_targetILNS1_3genE6ELNS1_11target_archE950ELNS1_3gpuE13ELNS1_3repE0EEENS1_47radix_sort_onesweep_sort_config_static_selectorELNS0_4arch9wavefront6targetE0EEEvSI_
; %bb.0:
	.section	.rodata,"a",@progbits
	.p2align	6, 0x0
	.amdhsa_kernel _ZN7rocprim17ROCPRIM_400000_NS6detail17trampoline_kernelINS0_14default_configENS1_35radix_sort_onesweep_config_selectorIiiEEZZNS1_29radix_sort_onesweep_iterationIS3_Lb0EN6thrust23THRUST_200600_302600_NS6detail15normal_iteratorINS8_10device_ptrIiEEEESD_SD_SD_jNS0_19identity_decomposerENS1_16block_id_wrapperIjLb1EEEEE10hipError_tT1_PNSt15iterator_traitsISI_E10value_typeET2_T3_PNSJ_ISO_E10value_typeET4_T5_PST_SU_PNS1_23onesweep_lookback_stateEbbT6_jjT7_P12ihipStream_tbENKUlT_T0_SI_SN_E_clISD_PiSD_S15_EEDaS11_S12_SI_SN_EUlS11_E_NS1_11comp_targetILNS1_3genE6ELNS1_11target_archE950ELNS1_3gpuE13ELNS1_3repE0EEENS1_47radix_sort_onesweep_sort_config_static_selectorELNS0_4arch9wavefront6targetE0EEEvSI_
		.amdhsa_group_segment_fixed_size 0
		.amdhsa_private_segment_fixed_size 0
		.amdhsa_kernarg_size 88
		.amdhsa_user_sgpr_count 6
		.amdhsa_user_sgpr_private_segment_buffer 1
		.amdhsa_user_sgpr_dispatch_ptr 0
		.amdhsa_user_sgpr_queue_ptr 0
		.amdhsa_user_sgpr_kernarg_segment_ptr 1
		.amdhsa_user_sgpr_dispatch_id 0
		.amdhsa_user_sgpr_flat_scratch_init 0
		.amdhsa_user_sgpr_private_segment_size 0
		.amdhsa_wavefront_size32 1
		.amdhsa_uses_dynamic_stack 0
		.amdhsa_system_sgpr_private_segment_wavefront_offset 0
		.amdhsa_system_sgpr_workgroup_id_x 1
		.amdhsa_system_sgpr_workgroup_id_y 0
		.amdhsa_system_sgpr_workgroup_id_z 0
		.amdhsa_system_sgpr_workgroup_info 0
		.amdhsa_system_vgpr_workitem_id 0
		.amdhsa_next_free_vgpr 1
		.amdhsa_next_free_sgpr 1
		.amdhsa_reserve_vcc 0
		.amdhsa_reserve_flat_scratch 0
		.amdhsa_float_round_mode_32 0
		.amdhsa_float_round_mode_16_64 0
		.amdhsa_float_denorm_mode_32 3
		.amdhsa_float_denorm_mode_16_64 3
		.amdhsa_dx10_clamp 1
		.amdhsa_ieee_mode 1
		.amdhsa_fp16_overflow 0
		.amdhsa_workgroup_processor_mode 1
		.amdhsa_memory_ordered 1
		.amdhsa_forward_progress 1
		.amdhsa_shared_vgpr_count 0
		.amdhsa_exception_fp_ieee_invalid_op 0
		.amdhsa_exception_fp_denorm_src 0
		.amdhsa_exception_fp_ieee_div_zero 0
		.amdhsa_exception_fp_ieee_overflow 0
		.amdhsa_exception_fp_ieee_underflow 0
		.amdhsa_exception_fp_ieee_inexact 0
		.amdhsa_exception_int_div_zero 0
	.end_amdhsa_kernel
	.section	.text._ZN7rocprim17ROCPRIM_400000_NS6detail17trampoline_kernelINS0_14default_configENS1_35radix_sort_onesweep_config_selectorIiiEEZZNS1_29radix_sort_onesweep_iterationIS3_Lb0EN6thrust23THRUST_200600_302600_NS6detail15normal_iteratorINS8_10device_ptrIiEEEESD_SD_SD_jNS0_19identity_decomposerENS1_16block_id_wrapperIjLb1EEEEE10hipError_tT1_PNSt15iterator_traitsISI_E10value_typeET2_T3_PNSJ_ISO_E10value_typeET4_T5_PST_SU_PNS1_23onesweep_lookback_stateEbbT6_jjT7_P12ihipStream_tbENKUlT_T0_SI_SN_E_clISD_PiSD_S15_EEDaS11_S12_SI_SN_EUlS11_E_NS1_11comp_targetILNS1_3genE6ELNS1_11target_archE950ELNS1_3gpuE13ELNS1_3repE0EEENS1_47radix_sort_onesweep_sort_config_static_selectorELNS0_4arch9wavefront6targetE0EEEvSI_,"axG",@progbits,_ZN7rocprim17ROCPRIM_400000_NS6detail17trampoline_kernelINS0_14default_configENS1_35radix_sort_onesweep_config_selectorIiiEEZZNS1_29radix_sort_onesweep_iterationIS3_Lb0EN6thrust23THRUST_200600_302600_NS6detail15normal_iteratorINS8_10device_ptrIiEEEESD_SD_SD_jNS0_19identity_decomposerENS1_16block_id_wrapperIjLb1EEEEE10hipError_tT1_PNSt15iterator_traitsISI_E10value_typeET2_T3_PNSJ_ISO_E10value_typeET4_T5_PST_SU_PNS1_23onesweep_lookback_stateEbbT6_jjT7_P12ihipStream_tbENKUlT_T0_SI_SN_E_clISD_PiSD_S15_EEDaS11_S12_SI_SN_EUlS11_E_NS1_11comp_targetILNS1_3genE6ELNS1_11target_archE950ELNS1_3gpuE13ELNS1_3repE0EEENS1_47radix_sort_onesweep_sort_config_static_selectorELNS0_4arch9wavefront6targetE0EEEvSI_,comdat
.Lfunc_end832:
	.size	_ZN7rocprim17ROCPRIM_400000_NS6detail17trampoline_kernelINS0_14default_configENS1_35radix_sort_onesweep_config_selectorIiiEEZZNS1_29radix_sort_onesweep_iterationIS3_Lb0EN6thrust23THRUST_200600_302600_NS6detail15normal_iteratorINS8_10device_ptrIiEEEESD_SD_SD_jNS0_19identity_decomposerENS1_16block_id_wrapperIjLb1EEEEE10hipError_tT1_PNSt15iterator_traitsISI_E10value_typeET2_T3_PNSJ_ISO_E10value_typeET4_T5_PST_SU_PNS1_23onesweep_lookback_stateEbbT6_jjT7_P12ihipStream_tbENKUlT_T0_SI_SN_E_clISD_PiSD_S15_EEDaS11_S12_SI_SN_EUlS11_E_NS1_11comp_targetILNS1_3genE6ELNS1_11target_archE950ELNS1_3gpuE13ELNS1_3repE0EEENS1_47radix_sort_onesweep_sort_config_static_selectorELNS0_4arch9wavefront6targetE0EEEvSI_, .Lfunc_end832-_ZN7rocprim17ROCPRIM_400000_NS6detail17trampoline_kernelINS0_14default_configENS1_35radix_sort_onesweep_config_selectorIiiEEZZNS1_29radix_sort_onesweep_iterationIS3_Lb0EN6thrust23THRUST_200600_302600_NS6detail15normal_iteratorINS8_10device_ptrIiEEEESD_SD_SD_jNS0_19identity_decomposerENS1_16block_id_wrapperIjLb1EEEEE10hipError_tT1_PNSt15iterator_traitsISI_E10value_typeET2_T3_PNSJ_ISO_E10value_typeET4_T5_PST_SU_PNS1_23onesweep_lookback_stateEbbT6_jjT7_P12ihipStream_tbENKUlT_T0_SI_SN_E_clISD_PiSD_S15_EEDaS11_S12_SI_SN_EUlS11_E_NS1_11comp_targetILNS1_3genE6ELNS1_11target_archE950ELNS1_3gpuE13ELNS1_3repE0EEENS1_47radix_sort_onesweep_sort_config_static_selectorELNS0_4arch9wavefront6targetE0EEEvSI_
                                        ; -- End function
	.set _ZN7rocprim17ROCPRIM_400000_NS6detail17trampoline_kernelINS0_14default_configENS1_35radix_sort_onesweep_config_selectorIiiEEZZNS1_29radix_sort_onesweep_iterationIS3_Lb0EN6thrust23THRUST_200600_302600_NS6detail15normal_iteratorINS8_10device_ptrIiEEEESD_SD_SD_jNS0_19identity_decomposerENS1_16block_id_wrapperIjLb1EEEEE10hipError_tT1_PNSt15iterator_traitsISI_E10value_typeET2_T3_PNSJ_ISO_E10value_typeET4_T5_PST_SU_PNS1_23onesweep_lookback_stateEbbT6_jjT7_P12ihipStream_tbENKUlT_T0_SI_SN_E_clISD_PiSD_S15_EEDaS11_S12_SI_SN_EUlS11_E_NS1_11comp_targetILNS1_3genE6ELNS1_11target_archE950ELNS1_3gpuE13ELNS1_3repE0EEENS1_47radix_sort_onesweep_sort_config_static_selectorELNS0_4arch9wavefront6targetE0EEEvSI_.num_vgpr, 0
	.set _ZN7rocprim17ROCPRIM_400000_NS6detail17trampoline_kernelINS0_14default_configENS1_35radix_sort_onesweep_config_selectorIiiEEZZNS1_29radix_sort_onesweep_iterationIS3_Lb0EN6thrust23THRUST_200600_302600_NS6detail15normal_iteratorINS8_10device_ptrIiEEEESD_SD_SD_jNS0_19identity_decomposerENS1_16block_id_wrapperIjLb1EEEEE10hipError_tT1_PNSt15iterator_traitsISI_E10value_typeET2_T3_PNSJ_ISO_E10value_typeET4_T5_PST_SU_PNS1_23onesweep_lookback_stateEbbT6_jjT7_P12ihipStream_tbENKUlT_T0_SI_SN_E_clISD_PiSD_S15_EEDaS11_S12_SI_SN_EUlS11_E_NS1_11comp_targetILNS1_3genE6ELNS1_11target_archE950ELNS1_3gpuE13ELNS1_3repE0EEENS1_47radix_sort_onesweep_sort_config_static_selectorELNS0_4arch9wavefront6targetE0EEEvSI_.num_agpr, 0
	.set _ZN7rocprim17ROCPRIM_400000_NS6detail17trampoline_kernelINS0_14default_configENS1_35radix_sort_onesweep_config_selectorIiiEEZZNS1_29radix_sort_onesweep_iterationIS3_Lb0EN6thrust23THRUST_200600_302600_NS6detail15normal_iteratorINS8_10device_ptrIiEEEESD_SD_SD_jNS0_19identity_decomposerENS1_16block_id_wrapperIjLb1EEEEE10hipError_tT1_PNSt15iterator_traitsISI_E10value_typeET2_T3_PNSJ_ISO_E10value_typeET4_T5_PST_SU_PNS1_23onesweep_lookback_stateEbbT6_jjT7_P12ihipStream_tbENKUlT_T0_SI_SN_E_clISD_PiSD_S15_EEDaS11_S12_SI_SN_EUlS11_E_NS1_11comp_targetILNS1_3genE6ELNS1_11target_archE950ELNS1_3gpuE13ELNS1_3repE0EEENS1_47radix_sort_onesweep_sort_config_static_selectorELNS0_4arch9wavefront6targetE0EEEvSI_.numbered_sgpr, 0
	.set _ZN7rocprim17ROCPRIM_400000_NS6detail17trampoline_kernelINS0_14default_configENS1_35radix_sort_onesweep_config_selectorIiiEEZZNS1_29radix_sort_onesweep_iterationIS3_Lb0EN6thrust23THRUST_200600_302600_NS6detail15normal_iteratorINS8_10device_ptrIiEEEESD_SD_SD_jNS0_19identity_decomposerENS1_16block_id_wrapperIjLb1EEEEE10hipError_tT1_PNSt15iterator_traitsISI_E10value_typeET2_T3_PNSJ_ISO_E10value_typeET4_T5_PST_SU_PNS1_23onesweep_lookback_stateEbbT6_jjT7_P12ihipStream_tbENKUlT_T0_SI_SN_E_clISD_PiSD_S15_EEDaS11_S12_SI_SN_EUlS11_E_NS1_11comp_targetILNS1_3genE6ELNS1_11target_archE950ELNS1_3gpuE13ELNS1_3repE0EEENS1_47radix_sort_onesweep_sort_config_static_selectorELNS0_4arch9wavefront6targetE0EEEvSI_.num_named_barrier, 0
	.set _ZN7rocprim17ROCPRIM_400000_NS6detail17trampoline_kernelINS0_14default_configENS1_35radix_sort_onesweep_config_selectorIiiEEZZNS1_29radix_sort_onesweep_iterationIS3_Lb0EN6thrust23THRUST_200600_302600_NS6detail15normal_iteratorINS8_10device_ptrIiEEEESD_SD_SD_jNS0_19identity_decomposerENS1_16block_id_wrapperIjLb1EEEEE10hipError_tT1_PNSt15iterator_traitsISI_E10value_typeET2_T3_PNSJ_ISO_E10value_typeET4_T5_PST_SU_PNS1_23onesweep_lookback_stateEbbT6_jjT7_P12ihipStream_tbENKUlT_T0_SI_SN_E_clISD_PiSD_S15_EEDaS11_S12_SI_SN_EUlS11_E_NS1_11comp_targetILNS1_3genE6ELNS1_11target_archE950ELNS1_3gpuE13ELNS1_3repE0EEENS1_47radix_sort_onesweep_sort_config_static_selectorELNS0_4arch9wavefront6targetE0EEEvSI_.private_seg_size, 0
	.set _ZN7rocprim17ROCPRIM_400000_NS6detail17trampoline_kernelINS0_14default_configENS1_35radix_sort_onesweep_config_selectorIiiEEZZNS1_29radix_sort_onesweep_iterationIS3_Lb0EN6thrust23THRUST_200600_302600_NS6detail15normal_iteratorINS8_10device_ptrIiEEEESD_SD_SD_jNS0_19identity_decomposerENS1_16block_id_wrapperIjLb1EEEEE10hipError_tT1_PNSt15iterator_traitsISI_E10value_typeET2_T3_PNSJ_ISO_E10value_typeET4_T5_PST_SU_PNS1_23onesweep_lookback_stateEbbT6_jjT7_P12ihipStream_tbENKUlT_T0_SI_SN_E_clISD_PiSD_S15_EEDaS11_S12_SI_SN_EUlS11_E_NS1_11comp_targetILNS1_3genE6ELNS1_11target_archE950ELNS1_3gpuE13ELNS1_3repE0EEENS1_47radix_sort_onesweep_sort_config_static_selectorELNS0_4arch9wavefront6targetE0EEEvSI_.uses_vcc, 0
	.set _ZN7rocprim17ROCPRIM_400000_NS6detail17trampoline_kernelINS0_14default_configENS1_35radix_sort_onesweep_config_selectorIiiEEZZNS1_29radix_sort_onesweep_iterationIS3_Lb0EN6thrust23THRUST_200600_302600_NS6detail15normal_iteratorINS8_10device_ptrIiEEEESD_SD_SD_jNS0_19identity_decomposerENS1_16block_id_wrapperIjLb1EEEEE10hipError_tT1_PNSt15iterator_traitsISI_E10value_typeET2_T3_PNSJ_ISO_E10value_typeET4_T5_PST_SU_PNS1_23onesweep_lookback_stateEbbT6_jjT7_P12ihipStream_tbENKUlT_T0_SI_SN_E_clISD_PiSD_S15_EEDaS11_S12_SI_SN_EUlS11_E_NS1_11comp_targetILNS1_3genE6ELNS1_11target_archE950ELNS1_3gpuE13ELNS1_3repE0EEENS1_47radix_sort_onesweep_sort_config_static_selectorELNS0_4arch9wavefront6targetE0EEEvSI_.uses_flat_scratch, 0
	.set _ZN7rocprim17ROCPRIM_400000_NS6detail17trampoline_kernelINS0_14default_configENS1_35radix_sort_onesweep_config_selectorIiiEEZZNS1_29radix_sort_onesweep_iterationIS3_Lb0EN6thrust23THRUST_200600_302600_NS6detail15normal_iteratorINS8_10device_ptrIiEEEESD_SD_SD_jNS0_19identity_decomposerENS1_16block_id_wrapperIjLb1EEEEE10hipError_tT1_PNSt15iterator_traitsISI_E10value_typeET2_T3_PNSJ_ISO_E10value_typeET4_T5_PST_SU_PNS1_23onesweep_lookback_stateEbbT6_jjT7_P12ihipStream_tbENKUlT_T0_SI_SN_E_clISD_PiSD_S15_EEDaS11_S12_SI_SN_EUlS11_E_NS1_11comp_targetILNS1_3genE6ELNS1_11target_archE950ELNS1_3gpuE13ELNS1_3repE0EEENS1_47radix_sort_onesweep_sort_config_static_selectorELNS0_4arch9wavefront6targetE0EEEvSI_.has_dyn_sized_stack, 0
	.set _ZN7rocprim17ROCPRIM_400000_NS6detail17trampoline_kernelINS0_14default_configENS1_35radix_sort_onesweep_config_selectorIiiEEZZNS1_29radix_sort_onesweep_iterationIS3_Lb0EN6thrust23THRUST_200600_302600_NS6detail15normal_iteratorINS8_10device_ptrIiEEEESD_SD_SD_jNS0_19identity_decomposerENS1_16block_id_wrapperIjLb1EEEEE10hipError_tT1_PNSt15iterator_traitsISI_E10value_typeET2_T3_PNSJ_ISO_E10value_typeET4_T5_PST_SU_PNS1_23onesweep_lookback_stateEbbT6_jjT7_P12ihipStream_tbENKUlT_T0_SI_SN_E_clISD_PiSD_S15_EEDaS11_S12_SI_SN_EUlS11_E_NS1_11comp_targetILNS1_3genE6ELNS1_11target_archE950ELNS1_3gpuE13ELNS1_3repE0EEENS1_47radix_sort_onesweep_sort_config_static_selectorELNS0_4arch9wavefront6targetE0EEEvSI_.has_recursion, 0
	.set _ZN7rocprim17ROCPRIM_400000_NS6detail17trampoline_kernelINS0_14default_configENS1_35radix_sort_onesweep_config_selectorIiiEEZZNS1_29radix_sort_onesweep_iterationIS3_Lb0EN6thrust23THRUST_200600_302600_NS6detail15normal_iteratorINS8_10device_ptrIiEEEESD_SD_SD_jNS0_19identity_decomposerENS1_16block_id_wrapperIjLb1EEEEE10hipError_tT1_PNSt15iterator_traitsISI_E10value_typeET2_T3_PNSJ_ISO_E10value_typeET4_T5_PST_SU_PNS1_23onesweep_lookback_stateEbbT6_jjT7_P12ihipStream_tbENKUlT_T0_SI_SN_E_clISD_PiSD_S15_EEDaS11_S12_SI_SN_EUlS11_E_NS1_11comp_targetILNS1_3genE6ELNS1_11target_archE950ELNS1_3gpuE13ELNS1_3repE0EEENS1_47radix_sort_onesweep_sort_config_static_selectorELNS0_4arch9wavefront6targetE0EEEvSI_.has_indirect_call, 0
	.section	.AMDGPU.csdata,"",@progbits
; Kernel info:
; codeLenInByte = 0
; TotalNumSgprs: 0
; NumVgprs: 0
; ScratchSize: 0
; MemoryBound: 0
; FloatMode: 240
; IeeeMode: 1
; LDSByteSize: 0 bytes/workgroup (compile time only)
; SGPRBlocks: 0
; VGPRBlocks: 0
; NumSGPRsForWavesPerEU: 1
; NumVGPRsForWavesPerEU: 1
; Occupancy: 16
; WaveLimiterHint : 0
; COMPUTE_PGM_RSRC2:SCRATCH_EN: 0
; COMPUTE_PGM_RSRC2:USER_SGPR: 6
; COMPUTE_PGM_RSRC2:TRAP_HANDLER: 0
; COMPUTE_PGM_RSRC2:TGID_X_EN: 1
; COMPUTE_PGM_RSRC2:TGID_Y_EN: 0
; COMPUTE_PGM_RSRC2:TGID_Z_EN: 0
; COMPUTE_PGM_RSRC2:TIDIG_COMP_CNT: 0
	.section	.text._ZN7rocprim17ROCPRIM_400000_NS6detail17trampoline_kernelINS0_14default_configENS1_35radix_sort_onesweep_config_selectorIiiEEZZNS1_29radix_sort_onesweep_iterationIS3_Lb0EN6thrust23THRUST_200600_302600_NS6detail15normal_iteratorINS8_10device_ptrIiEEEESD_SD_SD_jNS0_19identity_decomposerENS1_16block_id_wrapperIjLb1EEEEE10hipError_tT1_PNSt15iterator_traitsISI_E10value_typeET2_T3_PNSJ_ISO_E10value_typeET4_T5_PST_SU_PNS1_23onesweep_lookback_stateEbbT6_jjT7_P12ihipStream_tbENKUlT_T0_SI_SN_E_clISD_PiSD_S15_EEDaS11_S12_SI_SN_EUlS11_E_NS1_11comp_targetILNS1_3genE5ELNS1_11target_archE942ELNS1_3gpuE9ELNS1_3repE0EEENS1_47radix_sort_onesweep_sort_config_static_selectorELNS0_4arch9wavefront6targetE0EEEvSI_,"axG",@progbits,_ZN7rocprim17ROCPRIM_400000_NS6detail17trampoline_kernelINS0_14default_configENS1_35radix_sort_onesweep_config_selectorIiiEEZZNS1_29radix_sort_onesweep_iterationIS3_Lb0EN6thrust23THRUST_200600_302600_NS6detail15normal_iteratorINS8_10device_ptrIiEEEESD_SD_SD_jNS0_19identity_decomposerENS1_16block_id_wrapperIjLb1EEEEE10hipError_tT1_PNSt15iterator_traitsISI_E10value_typeET2_T3_PNSJ_ISO_E10value_typeET4_T5_PST_SU_PNS1_23onesweep_lookback_stateEbbT6_jjT7_P12ihipStream_tbENKUlT_T0_SI_SN_E_clISD_PiSD_S15_EEDaS11_S12_SI_SN_EUlS11_E_NS1_11comp_targetILNS1_3genE5ELNS1_11target_archE942ELNS1_3gpuE9ELNS1_3repE0EEENS1_47radix_sort_onesweep_sort_config_static_selectorELNS0_4arch9wavefront6targetE0EEEvSI_,comdat
	.protected	_ZN7rocprim17ROCPRIM_400000_NS6detail17trampoline_kernelINS0_14default_configENS1_35radix_sort_onesweep_config_selectorIiiEEZZNS1_29radix_sort_onesweep_iterationIS3_Lb0EN6thrust23THRUST_200600_302600_NS6detail15normal_iteratorINS8_10device_ptrIiEEEESD_SD_SD_jNS0_19identity_decomposerENS1_16block_id_wrapperIjLb1EEEEE10hipError_tT1_PNSt15iterator_traitsISI_E10value_typeET2_T3_PNSJ_ISO_E10value_typeET4_T5_PST_SU_PNS1_23onesweep_lookback_stateEbbT6_jjT7_P12ihipStream_tbENKUlT_T0_SI_SN_E_clISD_PiSD_S15_EEDaS11_S12_SI_SN_EUlS11_E_NS1_11comp_targetILNS1_3genE5ELNS1_11target_archE942ELNS1_3gpuE9ELNS1_3repE0EEENS1_47radix_sort_onesweep_sort_config_static_selectorELNS0_4arch9wavefront6targetE0EEEvSI_ ; -- Begin function _ZN7rocprim17ROCPRIM_400000_NS6detail17trampoline_kernelINS0_14default_configENS1_35radix_sort_onesweep_config_selectorIiiEEZZNS1_29radix_sort_onesweep_iterationIS3_Lb0EN6thrust23THRUST_200600_302600_NS6detail15normal_iteratorINS8_10device_ptrIiEEEESD_SD_SD_jNS0_19identity_decomposerENS1_16block_id_wrapperIjLb1EEEEE10hipError_tT1_PNSt15iterator_traitsISI_E10value_typeET2_T3_PNSJ_ISO_E10value_typeET4_T5_PST_SU_PNS1_23onesweep_lookback_stateEbbT6_jjT7_P12ihipStream_tbENKUlT_T0_SI_SN_E_clISD_PiSD_S15_EEDaS11_S12_SI_SN_EUlS11_E_NS1_11comp_targetILNS1_3genE5ELNS1_11target_archE942ELNS1_3gpuE9ELNS1_3repE0EEENS1_47radix_sort_onesweep_sort_config_static_selectorELNS0_4arch9wavefront6targetE0EEEvSI_
	.globl	_ZN7rocprim17ROCPRIM_400000_NS6detail17trampoline_kernelINS0_14default_configENS1_35radix_sort_onesweep_config_selectorIiiEEZZNS1_29radix_sort_onesweep_iterationIS3_Lb0EN6thrust23THRUST_200600_302600_NS6detail15normal_iteratorINS8_10device_ptrIiEEEESD_SD_SD_jNS0_19identity_decomposerENS1_16block_id_wrapperIjLb1EEEEE10hipError_tT1_PNSt15iterator_traitsISI_E10value_typeET2_T3_PNSJ_ISO_E10value_typeET4_T5_PST_SU_PNS1_23onesweep_lookback_stateEbbT6_jjT7_P12ihipStream_tbENKUlT_T0_SI_SN_E_clISD_PiSD_S15_EEDaS11_S12_SI_SN_EUlS11_E_NS1_11comp_targetILNS1_3genE5ELNS1_11target_archE942ELNS1_3gpuE9ELNS1_3repE0EEENS1_47radix_sort_onesweep_sort_config_static_selectorELNS0_4arch9wavefront6targetE0EEEvSI_
	.p2align	8
	.type	_ZN7rocprim17ROCPRIM_400000_NS6detail17trampoline_kernelINS0_14default_configENS1_35radix_sort_onesweep_config_selectorIiiEEZZNS1_29radix_sort_onesweep_iterationIS3_Lb0EN6thrust23THRUST_200600_302600_NS6detail15normal_iteratorINS8_10device_ptrIiEEEESD_SD_SD_jNS0_19identity_decomposerENS1_16block_id_wrapperIjLb1EEEEE10hipError_tT1_PNSt15iterator_traitsISI_E10value_typeET2_T3_PNSJ_ISO_E10value_typeET4_T5_PST_SU_PNS1_23onesweep_lookback_stateEbbT6_jjT7_P12ihipStream_tbENKUlT_T0_SI_SN_E_clISD_PiSD_S15_EEDaS11_S12_SI_SN_EUlS11_E_NS1_11comp_targetILNS1_3genE5ELNS1_11target_archE942ELNS1_3gpuE9ELNS1_3repE0EEENS1_47radix_sort_onesweep_sort_config_static_selectorELNS0_4arch9wavefront6targetE0EEEvSI_,@function
_ZN7rocprim17ROCPRIM_400000_NS6detail17trampoline_kernelINS0_14default_configENS1_35radix_sort_onesweep_config_selectorIiiEEZZNS1_29radix_sort_onesweep_iterationIS3_Lb0EN6thrust23THRUST_200600_302600_NS6detail15normal_iteratorINS8_10device_ptrIiEEEESD_SD_SD_jNS0_19identity_decomposerENS1_16block_id_wrapperIjLb1EEEEE10hipError_tT1_PNSt15iterator_traitsISI_E10value_typeET2_T3_PNSJ_ISO_E10value_typeET4_T5_PST_SU_PNS1_23onesweep_lookback_stateEbbT6_jjT7_P12ihipStream_tbENKUlT_T0_SI_SN_E_clISD_PiSD_S15_EEDaS11_S12_SI_SN_EUlS11_E_NS1_11comp_targetILNS1_3genE5ELNS1_11target_archE942ELNS1_3gpuE9ELNS1_3repE0EEENS1_47radix_sort_onesweep_sort_config_static_selectorELNS0_4arch9wavefront6targetE0EEEvSI_: ; @_ZN7rocprim17ROCPRIM_400000_NS6detail17trampoline_kernelINS0_14default_configENS1_35radix_sort_onesweep_config_selectorIiiEEZZNS1_29radix_sort_onesweep_iterationIS3_Lb0EN6thrust23THRUST_200600_302600_NS6detail15normal_iteratorINS8_10device_ptrIiEEEESD_SD_SD_jNS0_19identity_decomposerENS1_16block_id_wrapperIjLb1EEEEE10hipError_tT1_PNSt15iterator_traitsISI_E10value_typeET2_T3_PNSJ_ISO_E10value_typeET4_T5_PST_SU_PNS1_23onesweep_lookback_stateEbbT6_jjT7_P12ihipStream_tbENKUlT_T0_SI_SN_E_clISD_PiSD_S15_EEDaS11_S12_SI_SN_EUlS11_E_NS1_11comp_targetILNS1_3genE5ELNS1_11target_archE942ELNS1_3gpuE9ELNS1_3repE0EEENS1_47radix_sort_onesweep_sort_config_static_selectorELNS0_4arch9wavefront6targetE0EEEvSI_
; %bb.0:
	.section	.rodata,"a",@progbits
	.p2align	6, 0x0
	.amdhsa_kernel _ZN7rocprim17ROCPRIM_400000_NS6detail17trampoline_kernelINS0_14default_configENS1_35radix_sort_onesweep_config_selectorIiiEEZZNS1_29radix_sort_onesweep_iterationIS3_Lb0EN6thrust23THRUST_200600_302600_NS6detail15normal_iteratorINS8_10device_ptrIiEEEESD_SD_SD_jNS0_19identity_decomposerENS1_16block_id_wrapperIjLb1EEEEE10hipError_tT1_PNSt15iterator_traitsISI_E10value_typeET2_T3_PNSJ_ISO_E10value_typeET4_T5_PST_SU_PNS1_23onesweep_lookback_stateEbbT6_jjT7_P12ihipStream_tbENKUlT_T0_SI_SN_E_clISD_PiSD_S15_EEDaS11_S12_SI_SN_EUlS11_E_NS1_11comp_targetILNS1_3genE5ELNS1_11target_archE942ELNS1_3gpuE9ELNS1_3repE0EEENS1_47radix_sort_onesweep_sort_config_static_selectorELNS0_4arch9wavefront6targetE0EEEvSI_
		.amdhsa_group_segment_fixed_size 0
		.amdhsa_private_segment_fixed_size 0
		.amdhsa_kernarg_size 88
		.amdhsa_user_sgpr_count 6
		.amdhsa_user_sgpr_private_segment_buffer 1
		.amdhsa_user_sgpr_dispatch_ptr 0
		.amdhsa_user_sgpr_queue_ptr 0
		.amdhsa_user_sgpr_kernarg_segment_ptr 1
		.amdhsa_user_sgpr_dispatch_id 0
		.amdhsa_user_sgpr_flat_scratch_init 0
		.amdhsa_user_sgpr_private_segment_size 0
		.amdhsa_wavefront_size32 1
		.amdhsa_uses_dynamic_stack 0
		.amdhsa_system_sgpr_private_segment_wavefront_offset 0
		.amdhsa_system_sgpr_workgroup_id_x 1
		.amdhsa_system_sgpr_workgroup_id_y 0
		.amdhsa_system_sgpr_workgroup_id_z 0
		.amdhsa_system_sgpr_workgroup_info 0
		.amdhsa_system_vgpr_workitem_id 0
		.amdhsa_next_free_vgpr 1
		.amdhsa_next_free_sgpr 1
		.amdhsa_reserve_vcc 0
		.amdhsa_reserve_flat_scratch 0
		.amdhsa_float_round_mode_32 0
		.amdhsa_float_round_mode_16_64 0
		.amdhsa_float_denorm_mode_32 3
		.amdhsa_float_denorm_mode_16_64 3
		.amdhsa_dx10_clamp 1
		.amdhsa_ieee_mode 1
		.amdhsa_fp16_overflow 0
		.amdhsa_workgroup_processor_mode 1
		.amdhsa_memory_ordered 1
		.amdhsa_forward_progress 1
		.amdhsa_shared_vgpr_count 0
		.amdhsa_exception_fp_ieee_invalid_op 0
		.amdhsa_exception_fp_denorm_src 0
		.amdhsa_exception_fp_ieee_div_zero 0
		.amdhsa_exception_fp_ieee_overflow 0
		.amdhsa_exception_fp_ieee_underflow 0
		.amdhsa_exception_fp_ieee_inexact 0
		.amdhsa_exception_int_div_zero 0
	.end_amdhsa_kernel
	.section	.text._ZN7rocprim17ROCPRIM_400000_NS6detail17trampoline_kernelINS0_14default_configENS1_35radix_sort_onesweep_config_selectorIiiEEZZNS1_29radix_sort_onesweep_iterationIS3_Lb0EN6thrust23THRUST_200600_302600_NS6detail15normal_iteratorINS8_10device_ptrIiEEEESD_SD_SD_jNS0_19identity_decomposerENS1_16block_id_wrapperIjLb1EEEEE10hipError_tT1_PNSt15iterator_traitsISI_E10value_typeET2_T3_PNSJ_ISO_E10value_typeET4_T5_PST_SU_PNS1_23onesweep_lookback_stateEbbT6_jjT7_P12ihipStream_tbENKUlT_T0_SI_SN_E_clISD_PiSD_S15_EEDaS11_S12_SI_SN_EUlS11_E_NS1_11comp_targetILNS1_3genE5ELNS1_11target_archE942ELNS1_3gpuE9ELNS1_3repE0EEENS1_47radix_sort_onesweep_sort_config_static_selectorELNS0_4arch9wavefront6targetE0EEEvSI_,"axG",@progbits,_ZN7rocprim17ROCPRIM_400000_NS6detail17trampoline_kernelINS0_14default_configENS1_35radix_sort_onesweep_config_selectorIiiEEZZNS1_29radix_sort_onesweep_iterationIS3_Lb0EN6thrust23THRUST_200600_302600_NS6detail15normal_iteratorINS8_10device_ptrIiEEEESD_SD_SD_jNS0_19identity_decomposerENS1_16block_id_wrapperIjLb1EEEEE10hipError_tT1_PNSt15iterator_traitsISI_E10value_typeET2_T3_PNSJ_ISO_E10value_typeET4_T5_PST_SU_PNS1_23onesweep_lookback_stateEbbT6_jjT7_P12ihipStream_tbENKUlT_T0_SI_SN_E_clISD_PiSD_S15_EEDaS11_S12_SI_SN_EUlS11_E_NS1_11comp_targetILNS1_3genE5ELNS1_11target_archE942ELNS1_3gpuE9ELNS1_3repE0EEENS1_47radix_sort_onesweep_sort_config_static_selectorELNS0_4arch9wavefront6targetE0EEEvSI_,comdat
.Lfunc_end833:
	.size	_ZN7rocprim17ROCPRIM_400000_NS6detail17trampoline_kernelINS0_14default_configENS1_35radix_sort_onesweep_config_selectorIiiEEZZNS1_29radix_sort_onesweep_iterationIS3_Lb0EN6thrust23THRUST_200600_302600_NS6detail15normal_iteratorINS8_10device_ptrIiEEEESD_SD_SD_jNS0_19identity_decomposerENS1_16block_id_wrapperIjLb1EEEEE10hipError_tT1_PNSt15iterator_traitsISI_E10value_typeET2_T3_PNSJ_ISO_E10value_typeET4_T5_PST_SU_PNS1_23onesweep_lookback_stateEbbT6_jjT7_P12ihipStream_tbENKUlT_T0_SI_SN_E_clISD_PiSD_S15_EEDaS11_S12_SI_SN_EUlS11_E_NS1_11comp_targetILNS1_3genE5ELNS1_11target_archE942ELNS1_3gpuE9ELNS1_3repE0EEENS1_47radix_sort_onesweep_sort_config_static_selectorELNS0_4arch9wavefront6targetE0EEEvSI_, .Lfunc_end833-_ZN7rocprim17ROCPRIM_400000_NS6detail17trampoline_kernelINS0_14default_configENS1_35radix_sort_onesweep_config_selectorIiiEEZZNS1_29radix_sort_onesweep_iterationIS3_Lb0EN6thrust23THRUST_200600_302600_NS6detail15normal_iteratorINS8_10device_ptrIiEEEESD_SD_SD_jNS0_19identity_decomposerENS1_16block_id_wrapperIjLb1EEEEE10hipError_tT1_PNSt15iterator_traitsISI_E10value_typeET2_T3_PNSJ_ISO_E10value_typeET4_T5_PST_SU_PNS1_23onesweep_lookback_stateEbbT6_jjT7_P12ihipStream_tbENKUlT_T0_SI_SN_E_clISD_PiSD_S15_EEDaS11_S12_SI_SN_EUlS11_E_NS1_11comp_targetILNS1_3genE5ELNS1_11target_archE942ELNS1_3gpuE9ELNS1_3repE0EEENS1_47radix_sort_onesweep_sort_config_static_selectorELNS0_4arch9wavefront6targetE0EEEvSI_
                                        ; -- End function
	.set _ZN7rocprim17ROCPRIM_400000_NS6detail17trampoline_kernelINS0_14default_configENS1_35radix_sort_onesweep_config_selectorIiiEEZZNS1_29radix_sort_onesweep_iterationIS3_Lb0EN6thrust23THRUST_200600_302600_NS6detail15normal_iteratorINS8_10device_ptrIiEEEESD_SD_SD_jNS0_19identity_decomposerENS1_16block_id_wrapperIjLb1EEEEE10hipError_tT1_PNSt15iterator_traitsISI_E10value_typeET2_T3_PNSJ_ISO_E10value_typeET4_T5_PST_SU_PNS1_23onesweep_lookback_stateEbbT6_jjT7_P12ihipStream_tbENKUlT_T0_SI_SN_E_clISD_PiSD_S15_EEDaS11_S12_SI_SN_EUlS11_E_NS1_11comp_targetILNS1_3genE5ELNS1_11target_archE942ELNS1_3gpuE9ELNS1_3repE0EEENS1_47radix_sort_onesweep_sort_config_static_selectorELNS0_4arch9wavefront6targetE0EEEvSI_.num_vgpr, 0
	.set _ZN7rocprim17ROCPRIM_400000_NS6detail17trampoline_kernelINS0_14default_configENS1_35radix_sort_onesweep_config_selectorIiiEEZZNS1_29radix_sort_onesweep_iterationIS3_Lb0EN6thrust23THRUST_200600_302600_NS6detail15normal_iteratorINS8_10device_ptrIiEEEESD_SD_SD_jNS0_19identity_decomposerENS1_16block_id_wrapperIjLb1EEEEE10hipError_tT1_PNSt15iterator_traitsISI_E10value_typeET2_T3_PNSJ_ISO_E10value_typeET4_T5_PST_SU_PNS1_23onesweep_lookback_stateEbbT6_jjT7_P12ihipStream_tbENKUlT_T0_SI_SN_E_clISD_PiSD_S15_EEDaS11_S12_SI_SN_EUlS11_E_NS1_11comp_targetILNS1_3genE5ELNS1_11target_archE942ELNS1_3gpuE9ELNS1_3repE0EEENS1_47radix_sort_onesweep_sort_config_static_selectorELNS0_4arch9wavefront6targetE0EEEvSI_.num_agpr, 0
	.set _ZN7rocprim17ROCPRIM_400000_NS6detail17trampoline_kernelINS0_14default_configENS1_35radix_sort_onesweep_config_selectorIiiEEZZNS1_29radix_sort_onesweep_iterationIS3_Lb0EN6thrust23THRUST_200600_302600_NS6detail15normal_iteratorINS8_10device_ptrIiEEEESD_SD_SD_jNS0_19identity_decomposerENS1_16block_id_wrapperIjLb1EEEEE10hipError_tT1_PNSt15iterator_traitsISI_E10value_typeET2_T3_PNSJ_ISO_E10value_typeET4_T5_PST_SU_PNS1_23onesweep_lookback_stateEbbT6_jjT7_P12ihipStream_tbENKUlT_T0_SI_SN_E_clISD_PiSD_S15_EEDaS11_S12_SI_SN_EUlS11_E_NS1_11comp_targetILNS1_3genE5ELNS1_11target_archE942ELNS1_3gpuE9ELNS1_3repE0EEENS1_47radix_sort_onesweep_sort_config_static_selectorELNS0_4arch9wavefront6targetE0EEEvSI_.numbered_sgpr, 0
	.set _ZN7rocprim17ROCPRIM_400000_NS6detail17trampoline_kernelINS0_14default_configENS1_35radix_sort_onesweep_config_selectorIiiEEZZNS1_29radix_sort_onesweep_iterationIS3_Lb0EN6thrust23THRUST_200600_302600_NS6detail15normal_iteratorINS8_10device_ptrIiEEEESD_SD_SD_jNS0_19identity_decomposerENS1_16block_id_wrapperIjLb1EEEEE10hipError_tT1_PNSt15iterator_traitsISI_E10value_typeET2_T3_PNSJ_ISO_E10value_typeET4_T5_PST_SU_PNS1_23onesweep_lookback_stateEbbT6_jjT7_P12ihipStream_tbENKUlT_T0_SI_SN_E_clISD_PiSD_S15_EEDaS11_S12_SI_SN_EUlS11_E_NS1_11comp_targetILNS1_3genE5ELNS1_11target_archE942ELNS1_3gpuE9ELNS1_3repE0EEENS1_47radix_sort_onesweep_sort_config_static_selectorELNS0_4arch9wavefront6targetE0EEEvSI_.num_named_barrier, 0
	.set _ZN7rocprim17ROCPRIM_400000_NS6detail17trampoline_kernelINS0_14default_configENS1_35radix_sort_onesweep_config_selectorIiiEEZZNS1_29radix_sort_onesweep_iterationIS3_Lb0EN6thrust23THRUST_200600_302600_NS6detail15normal_iteratorINS8_10device_ptrIiEEEESD_SD_SD_jNS0_19identity_decomposerENS1_16block_id_wrapperIjLb1EEEEE10hipError_tT1_PNSt15iterator_traitsISI_E10value_typeET2_T3_PNSJ_ISO_E10value_typeET4_T5_PST_SU_PNS1_23onesweep_lookback_stateEbbT6_jjT7_P12ihipStream_tbENKUlT_T0_SI_SN_E_clISD_PiSD_S15_EEDaS11_S12_SI_SN_EUlS11_E_NS1_11comp_targetILNS1_3genE5ELNS1_11target_archE942ELNS1_3gpuE9ELNS1_3repE0EEENS1_47radix_sort_onesweep_sort_config_static_selectorELNS0_4arch9wavefront6targetE0EEEvSI_.private_seg_size, 0
	.set _ZN7rocprim17ROCPRIM_400000_NS6detail17trampoline_kernelINS0_14default_configENS1_35radix_sort_onesweep_config_selectorIiiEEZZNS1_29radix_sort_onesweep_iterationIS3_Lb0EN6thrust23THRUST_200600_302600_NS6detail15normal_iteratorINS8_10device_ptrIiEEEESD_SD_SD_jNS0_19identity_decomposerENS1_16block_id_wrapperIjLb1EEEEE10hipError_tT1_PNSt15iterator_traitsISI_E10value_typeET2_T3_PNSJ_ISO_E10value_typeET4_T5_PST_SU_PNS1_23onesweep_lookback_stateEbbT6_jjT7_P12ihipStream_tbENKUlT_T0_SI_SN_E_clISD_PiSD_S15_EEDaS11_S12_SI_SN_EUlS11_E_NS1_11comp_targetILNS1_3genE5ELNS1_11target_archE942ELNS1_3gpuE9ELNS1_3repE0EEENS1_47radix_sort_onesweep_sort_config_static_selectorELNS0_4arch9wavefront6targetE0EEEvSI_.uses_vcc, 0
	.set _ZN7rocprim17ROCPRIM_400000_NS6detail17trampoline_kernelINS0_14default_configENS1_35radix_sort_onesweep_config_selectorIiiEEZZNS1_29radix_sort_onesweep_iterationIS3_Lb0EN6thrust23THRUST_200600_302600_NS6detail15normal_iteratorINS8_10device_ptrIiEEEESD_SD_SD_jNS0_19identity_decomposerENS1_16block_id_wrapperIjLb1EEEEE10hipError_tT1_PNSt15iterator_traitsISI_E10value_typeET2_T3_PNSJ_ISO_E10value_typeET4_T5_PST_SU_PNS1_23onesweep_lookback_stateEbbT6_jjT7_P12ihipStream_tbENKUlT_T0_SI_SN_E_clISD_PiSD_S15_EEDaS11_S12_SI_SN_EUlS11_E_NS1_11comp_targetILNS1_3genE5ELNS1_11target_archE942ELNS1_3gpuE9ELNS1_3repE0EEENS1_47radix_sort_onesweep_sort_config_static_selectorELNS0_4arch9wavefront6targetE0EEEvSI_.uses_flat_scratch, 0
	.set _ZN7rocprim17ROCPRIM_400000_NS6detail17trampoline_kernelINS0_14default_configENS1_35radix_sort_onesweep_config_selectorIiiEEZZNS1_29radix_sort_onesweep_iterationIS3_Lb0EN6thrust23THRUST_200600_302600_NS6detail15normal_iteratorINS8_10device_ptrIiEEEESD_SD_SD_jNS0_19identity_decomposerENS1_16block_id_wrapperIjLb1EEEEE10hipError_tT1_PNSt15iterator_traitsISI_E10value_typeET2_T3_PNSJ_ISO_E10value_typeET4_T5_PST_SU_PNS1_23onesweep_lookback_stateEbbT6_jjT7_P12ihipStream_tbENKUlT_T0_SI_SN_E_clISD_PiSD_S15_EEDaS11_S12_SI_SN_EUlS11_E_NS1_11comp_targetILNS1_3genE5ELNS1_11target_archE942ELNS1_3gpuE9ELNS1_3repE0EEENS1_47radix_sort_onesweep_sort_config_static_selectorELNS0_4arch9wavefront6targetE0EEEvSI_.has_dyn_sized_stack, 0
	.set _ZN7rocprim17ROCPRIM_400000_NS6detail17trampoline_kernelINS0_14default_configENS1_35radix_sort_onesweep_config_selectorIiiEEZZNS1_29radix_sort_onesweep_iterationIS3_Lb0EN6thrust23THRUST_200600_302600_NS6detail15normal_iteratorINS8_10device_ptrIiEEEESD_SD_SD_jNS0_19identity_decomposerENS1_16block_id_wrapperIjLb1EEEEE10hipError_tT1_PNSt15iterator_traitsISI_E10value_typeET2_T3_PNSJ_ISO_E10value_typeET4_T5_PST_SU_PNS1_23onesweep_lookback_stateEbbT6_jjT7_P12ihipStream_tbENKUlT_T0_SI_SN_E_clISD_PiSD_S15_EEDaS11_S12_SI_SN_EUlS11_E_NS1_11comp_targetILNS1_3genE5ELNS1_11target_archE942ELNS1_3gpuE9ELNS1_3repE0EEENS1_47radix_sort_onesweep_sort_config_static_selectorELNS0_4arch9wavefront6targetE0EEEvSI_.has_recursion, 0
	.set _ZN7rocprim17ROCPRIM_400000_NS6detail17trampoline_kernelINS0_14default_configENS1_35radix_sort_onesweep_config_selectorIiiEEZZNS1_29radix_sort_onesweep_iterationIS3_Lb0EN6thrust23THRUST_200600_302600_NS6detail15normal_iteratorINS8_10device_ptrIiEEEESD_SD_SD_jNS0_19identity_decomposerENS1_16block_id_wrapperIjLb1EEEEE10hipError_tT1_PNSt15iterator_traitsISI_E10value_typeET2_T3_PNSJ_ISO_E10value_typeET4_T5_PST_SU_PNS1_23onesweep_lookback_stateEbbT6_jjT7_P12ihipStream_tbENKUlT_T0_SI_SN_E_clISD_PiSD_S15_EEDaS11_S12_SI_SN_EUlS11_E_NS1_11comp_targetILNS1_3genE5ELNS1_11target_archE942ELNS1_3gpuE9ELNS1_3repE0EEENS1_47radix_sort_onesweep_sort_config_static_selectorELNS0_4arch9wavefront6targetE0EEEvSI_.has_indirect_call, 0
	.section	.AMDGPU.csdata,"",@progbits
; Kernel info:
; codeLenInByte = 0
; TotalNumSgprs: 0
; NumVgprs: 0
; ScratchSize: 0
; MemoryBound: 0
; FloatMode: 240
; IeeeMode: 1
; LDSByteSize: 0 bytes/workgroup (compile time only)
; SGPRBlocks: 0
; VGPRBlocks: 0
; NumSGPRsForWavesPerEU: 1
; NumVGPRsForWavesPerEU: 1
; Occupancy: 16
; WaveLimiterHint : 0
; COMPUTE_PGM_RSRC2:SCRATCH_EN: 0
; COMPUTE_PGM_RSRC2:USER_SGPR: 6
; COMPUTE_PGM_RSRC2:TRAP_HANDLER: 0
; COMPUTE_PGM_RSRC2:TGID_X_EN: 1
; COMPUTE_PGM_RSRC2:TGID_Y_EN: 0
; COMPUTE_PGM_RSRC2:TGID_Z_EN: 0
; COMPUTE_PGM_RSRC2:TIDIG_COMP_CNT: 0
	.section	.text._ZN7rocprim17ROCPRIM_400000_NS6detail17trampoline_kernelINS0_14default_configENS1_35radix_sort_onesweep_config_selectorIiiEEZZNS1_29radix_sort_onesweep_iterationIS3_Lb0EN6thrust23THRUST_200600_302600_NS6detail15normal_iteratorINS8_10device_ptrIiEEEESD_SD_SD_jNS0_19identity_decomposerENS1_16block_id_wrapperIjLb1EEEEE10hipError_tT1_PNSt15iterator_traitsISI_E10value_typeET2_T3_PNSJ_ISO_E10value_typeET4_T5_PST_SU_PNS1_23onesweep_lookback_stateEbbT6_jjT7_P12ihipStream_tbENKUlT_T0_SI_SN_E_clISD_PiSD_S15_EEDaS11_S12_SI_SN_EUlS11_E_NS1_11comp_targetILNS1_3genE2ELNS1_11target_archE906ELNS1_3gpuE6ELNS1_3repE0EEENS1_47radix_sort_onesweep_sort_config_static_selectorELNS0_4arch9wavefront6targetE0EEEvSI_,"axG",@progbits,_ZN7rocprim17ROCPRIM_400000_NS6detail17trampoline_kernelINS0_14default_configENS1_35radix_sort_onesweep_config_selectorIiiEEZZNS1_29radix_sort_onesweep_iterationIS3_Lb0EN6thrust23THRUST_200600_302600_NS6detail15normal_iteratorINS8_10device_ptrIiEEEESD_SD_SD_jNS0_19identity_decomposerENS1_16block_id_wrapperIjLb1EEEEE10hipError_tT1_PNSt15iterator_traitsISI_E10value_typeET2_T3_PNSJ_ISO_E10value_typeET4_T5_PST_SU_PNS1_23onesweep_lookback_stateEbbT6_jjT7_P12ihipStream_tbENKUlT_T0_SI_SN_E_clISD_PiSD_S15_EEDaS11_S12_SI_SN_EUlS11_E_NS1_11comp_targetILNS1_3genE2ELNS1_11target_archE906ELNS1_3gpuE6ELNS1_3repE0EEENS1_47radix_sort_onesweep_sort_config_static_selectorELNS0_4arch9wavefront6targetE0EEEvSI_,comdat
	.protected	_ZN7rocprim17ROCPRIM_400000_NS6detail17trampoline_kernelINS0_14default_configENS1_35radix_sort_onesweep_config_selectorIiiEEZZNS1_29radix_sort_onesweep_iterationIS3_Lb0EN6thrust23THRUST_200600_302600_NS6detail15normal_iteratorINS8_10device_ptrIiEEEESD_SD_SD_jNS0_19identity_decomposerENS1_16block_id_wrapperIjLb1EEEEE10hipError_tT1_PNSt15iterator_traitsISI_E10value_typeET2_T3_PNSJ_ISO_E10value_typeET4_T5_PST_SU_PNS1_23onesweep_lookback_stateEbbT6_jjT7_P12ihipStream_tbENKUlT_T0_SI_SN_E_clISD_PiSD_S15_EEDaS11_S12_SI_SN_EUlS11_E_NS1_11comp_targetILNS1_3genE2ELNS1_11target_archE906ELNS1_3gpuE6ELNS1_3repE0EEENS1_47radix_sort_onesweep_sort_config_static_selectorELNS0_4arch9wavefront6targetE0EEEvSI_ ; -- Begin function _ZN7rocprim17ROCPRIM_400000_NS6detail17trampoline_kernelINS0_14default_configENS1_35radix_sort_onesweep_config_selectorIiiEEZZNS1_29radix_sort_onesweep_iterationIS3_Lb0EN6thrust23THRUST_200600_302600_NS6detail15normal_iteratorINS8_10device_ptrIiEEEESD_SD_SD_jNS0_19identity_decomposerENS1_16block_id_wrapperIjLb1EEEEE10hipError_tT1_PNSt15iterator_traitsISI_E10value_typeET2_T3_PNSJ_ISO_E10value_typeET4_T5_PST_SU_PNS1_23onesweep_lookback_stateEbbT6_jjT7_P12ihipStream_tbENKUlT_T0_SI_SN_E_clISD_PiSD_S15_EEDaS11_S12_SI_SN_EUlS11_E_NS1_11comp_targetILNS1_3genE2ELNS1_11target_archE906ELNS1_3gpuE6ELNS1_3repE0EEENS1_47radix_sort_onesweep_sort_config_static_selectorELNS0_4arch9wavefront6targetE0EEEvSI_
	.globl	_ZN7rocprim17ROCPRIM_400000_NS6detail17trampoline_kernelINS0_14default_configENS1_35radix_sort_onesweep_config_selectorIiiEEZZNS1_29radix_sort_onesweep_iterationIS3_Lb0EN6thrust23THRUST_200600_302600_NS6detail15normal_iteratorINS8_10device_ptrIiEEEESD_SD_SD_jNS0_19identity_decomposerENS1_16block_id_wrapperIjLb1EEEEE10hipError_tT1_PNSt15iterator_traitsISI_E10value_typeET2_T3_PNSJ_ISO_E10value_typeET4_T5_PST_SU_PNS1_23onesweep_lookback_stateEbbT6_jjT7_P12ihipStream_tbENKUlT_T0_SI_SN_E_clISD_PiSD_S15_EEDaS11_S12_SI_SN_EUlS11_E_NS1_11comp_targetILNS1_3genE2ELNS1_11target_archE906ELNS1_3gpuE6ELNS1_3repE0EEENS1_47radix_sort_onesweep_sort_config_static_selectorELNS0_4arch9wavefront6targetE0EEEvSI_
	.p2align	8
	.type	_ZN7rocprim17ROCPRIM_400000_NS6detail17trampoline_kernelINS0_14default_configENS1_35radix_sort_onesweep_config_selectorIiiEEZZNS1_29radix_sort_onesweep_iterationIS3_Lb0EN6thrust23THRUST_200600_302600_NS6detail15normal_iteratorINS8_10device_ptrIiEEEESD_SD_SD_jNS0_19identity_decomposerENS1_16block_id_wrapperIjLb1EEEEE10hipError_tT1_PNSt15iterator_traitsISI_E10value_typeET2_T3_PNSJ_ISO_E10value_typeET4_T5_PST_SU_PNS1_23onesweep_lookback_stateEbbT6_jjT7_P12ihipStream_tbENKUlT_T0_SI_SN_E_clISD_PiSD_S15_EEDaS11_S12_SI_SN_EUlS11_E_NS1_11comp_targetILNS1_3genE2ELNS1_11target_archE906ELNS1_3gpuE6ELNS1_3repE0EEENS1_47radix_sort_onesweep_sort_config_static_selectorELNS0_4arch9wavefront6targetE0EEEvSI_,@function
_ZN7rocprim17ROCPRIM_400000_NS6detail17trampoline_kernelINS0_14default_configENS1_35radix_sort_onesweep_config_selectorIiiEEZZNS1_29radix_sort_onesweep_iterationIS3_Lb0EN6thrust23THRUST_200600_302600_NS6detail15normal_iteratorINS8_10device_ptrIiEEEESD_SD_SD_jNS0_19identity_decomposerENS1_16block_id_wrapperIjLb1EEEEE10hipError_tT1_PNSt15iterator_traitsISI_E10value_typeET2_T3_PNSJ_ISO_E10value_typeET4_T5_PST_SU_PNS1_23onesweep_lookback_stateEbbT6_jjT7_P12ihipStream_tbENKUlT_T0_SI_SN_E_clISD_PiSD_S15_EEDaS11_S12_SI_SN_EUlS11_E_NS1_11comp_targetILNS1_3genE2ELNS1_11target_archE906ELNS1_3gpuE6ELNS1_3repE0EEENS1_47radix_sort_onesweep_sort_config_static_selectorELNS0_4arch9wavefront6targetE0EEEvSI_: ; @_ZN7rocprim17ROCPRIM_400000_NS6detail17trampoline_kernelINS0_14default_configENS1_35radix_sort_onesweep_config_selectorIiiEEZZNS1_29radix_sort_onesweep_iterationIS3_Lb0EN6thrust23THRUST_200600_302600_NS6detail15normal_iteratorINS8_10device_ptrIiEEEESD_SD_SD_jNS0_19identity_decomposerENS1_16block_id_wrapperIjLb1EEEEE10hipError_tT1_PNSt15iterator_traitsISI_E10value_typeET2_T3_PNSJ_ISO_E10value_typeET4_T5_PST_SU_PNS1_23onesweep_lookback_stateEbbT6_jjT7_P12ihipStream_tbENKUlT_T0_SI_SN_E_clISD_PiSD_S15_EEDaS11_S12_SI_SN_EUlS11_E_NS1_11comp_targetILNS1_3genE2ELNS1_11target_archE906ELNS1_3gpuE6ELNS1_3repE0EEENS1_47radix_sort_onesweep_sort_config_static_selectorELNS0_4arch9wavefront6targetE0EEEvSI_
; %bb.0:
	.section	.rodata,"a",@progbits
	.p2align	6, 0x0
	.amdhsa_kernel _ZN7rocprim17ROCPRIM_400000_NS6detail17trampoline_kernelINS0_14default_configENS1_35radix_sort_onesweep_config_selectorIiiEEZZNS1_29radix_sort_onesweep_iterationIS3_Lb0EN6thrust23THRUST_200600_302600_NS6detail15normal_iteratorINS8_10device_ptrIiEEEESD_SD_SD_jNS0_19identity_decomposerENS1_16block_id_wrapperIjLb1EEEEE10hipError_tT1_PNSt15iterator_traitsISI_E10value_typeET2_T3_PNSJ_ISO_E10value_typeET4_T5_PST_SU_PNS1_23onesweep_lookback_stateEbbT6_jjT7_P12ihipStream_tbENKUlT_T0_SI_SN_E_clISD_PiSD_S15_EEDaS11_S12_SI_SN_EUlS11_E_NS1_11comp_targetILNS1_3genE2ELNS1_11target_archE906ELNS1_3gpuE6ELNS1_3repE0EEENS1_47radix_sort_onesweep_sort_config_static_selectorELNS0_4arch9wavefront6targetE0EEEvSI_
		.amdhsa_group_segment_fixed_size 0
		.amdhsa_private_segment_fixed_size 0
		.amdhsa_kernarg_size 88
		.amdhsa_user_sgpr_count 6
		.amdhsa_user_sgpr_private_segment_buffer 1
		.amdhsa_user_sgpr_dispatch_ptr 0
		.amdhsa_user_sgpr_queue_ptr 0
		.amdhsa_user_sgpr_kernarg_segment_ptr 1
		.amdhsa_user_sgpr_dispatch_id 0
		.amdhsa_user_sgpr_flat_scratch_init 0
		.amdhsa_user_sgpr_private_segment_size 0
		.amdhsa_wavefront_size32 1
		.amdhsa_uses_dynamic_stack 0
		.amdhsa_system_sgpr_private_segment_wavefront_offset 0
		.amdhsa_system_sgpr_workgroup_id_x 1
		.amdhsa_system_sgpr_workgroup_id_y 0
		.amdhsa_system_sgpr_workgroup_id_z 0
		.amdhsa_system_sgpr_workgroup_info 0
		.amdhsa_system_vgpr_workitem_id 0
		.amdhsa_next_free_vgpr 1
		.amdhsa_next_free_sgpr 1
		.amdhsa_reserve_vcc 0
		.amdhsa_reserve_flat_scratch 0
		.amdhsa_float_round_mode_32 0
		.amdhsa_float_round_mode_16_64 0
		.amdhsa_float_denorm_mode_32 3
		.amdhsa_float_denorm_mode_16_64 3
		.amdhsa_dx10_clamp 1
		.amdhsa_ieee_mode 1
		.amdhsa_fp16_overflow 0
		.amdhsa_workgroup_processor_mode 1
		.amdhsa_memory_ordered 1
		.amdhsa_forward_progress 1
		.amdhsa_shared_vgpr_count 0
		.amdhsa_exception_fp_ieee_invalid_op 0
		.amdhsa_exception_fp_denorm_src 0
		.amdhsa_exception_fp_ieee_div_zero 0
		.amdhsa_exception_fp_ieee_overflow 0
		.amdhsa_exception_fp_ieee_underflow 0
		.amdhsa_exception_fp_ieee_inexact 0
		.amdhsa_exception_int_div_zero 0
	.end_amdhsa_kernel
	.section	.text._ZN7rocprim17ROCPRIM_400000_NS6detail17trampoline_kernelINS0_14default_configENS1_35radix_sort_onesweep_config_selectorIiiEEZZNS1_29radix_sort_onesweep_iterationIS3_Lb0EN6thrust23THRUST_200600_302600_NS6detail15normal_iteratorINS8_10device_ptrIiEEEESD_SD_SD_jNS0_19identity_decomposerENS1_16block_id_wrapperIjLb1EEEEE10hipError_tT1_PNSt15iterator_traitsISI_E10value_typeET2_T3_PNSJ_ISO_E10value_typeET4_T5_PST_SU_PNS1_23onesweep_lookback_stateEbbT6_jjT7_P12ihipStream_tbENKUlT_T0_SI_SN_E_clISD_PiSD_S15_EEDaS11_S12_SI_SN_EUlS11_E_NS1_11comp_targetILNS1_3genE2ELNS1_11target_archE906ELNS1_3gpuE6ELNS1_3repE0EEENS1_47radix_sort_onesweep_sort_config_static_selectorELNS0_4arch9wavefront6targetE0EEEvSI_,"axG",@progbits,_ZN7rocprim17ROCPRIM_400000_NS6detail17trampoline_kernelINS0_14default_configENS1_35radix_sort_onesweep_config_selectorIiiEEZZNS1_29radix_sort_onesweep_iterationIS3_Lb0EN6thrust23THRUST_200600_302600_NS6detail15normal_iteratorINS8_10device_ptrIiEEEESD_SD_SD_jNS0_19identity_decomposerENS1_16block_id_wrapperIjLb1EEEEE10hipError_tT1_PNSt15iterator_traitsISI_E10value_typeET2_T3_PNSJ_ISO_E10value_typeET4_T5_PST_SU_PNS1_23onesweep_lookback_stateEbbT6_jjT7_P12ihipStream_tbENKUlT_T0_SI_SN_E_clISD_PiSD_S15_EEDaS11_S12_SI_SN_EUlS11_E_NS1_11comp_targetILNS1_3genE2ELNS1_11target_archE906ELNS1_3gpuE6ELNS1_3repE0EEENS1_47radix_sort_onesweep_sort_config_static_selectorELNS0_4arch9wavefront6targetE0EEEvSI_,comdat
.Lfunc_end834:
	.size	_ZN7rocprim17ROCPRIM_400000_NS6detail17trampoline_kernelINS0_14default_configENS1_35radix_sort_onesweep_config_selectorIiiEEZZNS1_29radix_sort_onesweep_iterationIS3_Lb0EN6thrust23THRUST_200600_302600_NS6detail15normal_iteratorINS8_10device_ptrIiEEEESD_SD_SD_jNS0_19identity_decomposerENS1_16block_id_wrapperIjLb1EEEEE10hipError_tT1_PNSt15iterator_traitsISI_E10value_typeET2_T3_PNSJ_ISO_E10value_typeET4_T5_PST_SU_PNS1_23onesweep_lookback_stateEbbT6_jjT7_P12ihipStream_tbENKUlT_T0_SI_SN_E_clISD_PiSD_S15_EEDaS11_S12_SI_SN_EUlS11_E_NS1_11comp_targetILNS1_3genE2ELNS1_11target_archE906ELNS1_3gpuE6ELNS1_3repE0EEENS1_47radix_sort_onesweep_sort_config_static_selectorELNS0_4arch9wavefront6targetE0EEEvSI_, .Lfunc_end834-_ZN7rocprim17ROCPRIM_400000_NS6detail17trampoline_kernelINS0_14default_configENS1_35radix_sort_onesweep_config_selectorIiiEEZZNS1_29radix_sort_onesweep_iterationIS3_Lb0EN6thrust23THRUST_200600_302600_NS6detail15normal_iteratorINS8_10device_ptrIiEEEESD_SD_SD_jNS0_19identity_decomposerENS1_16block_id_wrapperIjLb1EEEEE10hipError_tT1_PNSt15iterator_traitsISI_E10value_typeET2_T3_PNSJ_ISO_E10value_typeET4_T5_PST_SU_PNS1_23onesweep_lookback_stateEbbT6_jjT7_P12ihipStream_tbENKUlT_T0_SI_SN_E_clISD_PiSD_S15_EEDaS11_S12_SI_SN_EUlS11_E_NS1_11comp_targetILNS1_3genE2ELNS1_11target_archE906ELNS1_3gpuE6ELNS1_3repE0EEENS1_47radix_sort_onesweep_sort_config_static_selectorELNS0_4arch9wavefront6targetE0EEEvSI_
                                        ; -- End function
	.set _ZN7rocprim17ROCPRIM_400000_NS6detail17trampoline_kernelINS0_14default_configENS1_35radix_sort_onesweep_config_selectorIiiEEZZNS1_29radix_sort_onesweep_iterationIS3_Lb0EN6thrust23THRUST_200600_302600_NS6detail15normal_iteratorINS8_10device_ptrIiEEEESD_SD_SD_jNS0_19identity_decomposerENS1_16block_id_wrapperIjLb1EEEEE10hipError_tT1_PNSt15iterator_traitsISI_E10value_typeET2_T3_PNSJ_ISO_E10value_typeET4_T5_PST_SU_PNS1_23onesweep_lookback_stateEbbT6_jjT7_P12ihipStream_tbENKUlT_T0_SI_SN_E_clISD_PiSD_S15_EEDaS11_S12_SI_SN_EUlS11_E_NS1_11comp_targetILNS1_3genE2ELNS1_11target_archE906ELNS1_3gpuE6ELNS1_3repE0EEENS1_47radix_sort_onesweep_sort_config_static_selectorELNS0_4arch9wavefront6targetE0EEEvSI_.num_vgpr, 0
	.set _ZN7rocprim17ROCPRIM_400000_NS6detail17trampoline_kernelINS0_14default_configENS1_35radix_sort_onesweep_config_selectorIiiEEZZNS1_29radix_sort_onesweep_iterationIS3_Lb0EN6thrust23THRUST_200600_302600_NS6detail15normal_iteratorINS8_10device_ptrIiEEEESD_SD_SD_jNS0_19identity_decomposerENS1_16block_id_wrapperIjLb1EEEEE10hipError_tT1_PNSt15iterator_traitsISI_E10value_typeET2_T3_PNSJ_ISO_E10value_typeET4_T5_PST_SU_PNS1_23onesweep_lookback_stateEbbT6_jjT7_P12ihipStream_tbENKUlT_T0_SI_SN_E_clISD_PiSD_S15_EEDaS11_S12_SI_SN_EUlS11_E_NS1_11comp_targetILNS1_3genE2ELNS1_11target_archE906ELNS1_3gpuE6ELNS1_3repE0EEENS1_47radix_sort_onesweep_sort_config_static_selectorELNS0_4arch9wavefront6targetE0EEEvSI_.num_agpr, 0
	.set _ZN7rocprim17ROCPRIM_400000_NS6detail17trampoline_kernelINS0_14default_configENS1_35radix_sort_onesweep_config_selectorIiiEEZZNS1_29radix_sort_onesweep_iterationIS3_Lb0EN6thrust23THRUST_200600_302600_NS6detail15normal_iteratorINS8_10device_ptrIiEEEESD_SD_SD_jNS0_19identity_decomposerENS1_16block_id_wrapperIjLb1EEEEE10hipError_tT1_PNSt15iterator_traitsISI_E10value_typeET2_T3_PNSJ_ISO_E10value_typeET4_T5_PST_SU_PNS1_23onesweep_lookback_stateEbbT6_jjT7_P12ihipStream_tbENKUlT_T0_SI_SN_E_clISD_PiSD_S15_EEDaS11_S12_SI_SN_EUlS11_E_NS1_11comp_targetILNS1_3genE2ELNS1_11target_archE906ELNS1_3gpuE6ELNS1_3repE0EEENS1_47radix_sort_onesweep_sort_config_static_selectorELNS0_4arch9wavefront6targetE0EEEvSI_.numbered_sgpr, 0
	.set _ZN7rocprim17ROCPRIM_400000_NS6detail17trampoline_kernelINS0_14default_configENS1_35radix_sort_onesweep_config_selectorIiiEEZZNS1_29radix_sort_onesweep_iterationIS3_Lb0EN6thrust23THRUST_200600_302600_NS6detail15normal_iteratorINS8_10device_ptrIiEEEESD_SD_SD_jNS0_19identity_decomposerENS1_16block_id_wrapperIjLb1EEEEE10hipError_tT1_PNSt15iterator_traitsISI_E10value_typeET2_T3_PNSJ_ISO_E10value_typeET4_T5_PST_SU_PNS1_23onesweep_lookback_stateEbbT6_jjT7_P12ihipStream_tbENKUlT_T0_SI_SN_E_clISD_PiSD_S15_EEDaS11_S12_SI_SN_EUlS11_E_NS1_11comp_targetILNS1_3genE2ELNS1_11target_archE906ELNS1_3gpuE6ELNS1_3repE0EEENS1_47radix_sort_onesweep_sort_config_static_selectorELNS0_4arch9wavefront6targetE0EEEvSI_.num_named_barrier, 0
	.set _ZN7rocprim17ROCPRIM_400000_NS6detail17trampoline_kernelINS0_14default_configENS1_35radix_sort_onesweep_config_selectorIiiEEZZNS1_29radix_sort_onesweep_iterationIS3_Lb0EN6thrust23THRUST_200600_302600_NS6detail15normal_iteratorINS8_10device_ptrIiEEEESD_SD_SD_jNS0_19identity_decomposerENS1_16block_id_wrapperIjLb1EEEEE10hipError_tT1_PNSt15iterator_traitsISI_E10value_typeET2_T3_PNSJ_ISO_E10value_typeET4_T5_PST_SU_PNS1_23onesweep_lookback_stateEbbT6_jjT7_P12ihipStream_tbENKUlT_T0_SI_SN_E_clISD_PiSD_S15_EEDaS11_S12_SI_SN_EUlS11_E_NS1_11comp_targetILNS1_3genE2ELNS1_11target_archE906ELNS1_3gpuE6ELNS1_3repE0EEENS1_47radix_sort_onesweep_sort_config_static_selectorELNS0_4arch9wavefront6targetE0EEEvSI_.private_seg_size, 0
	.set _ZN7rocprim17ROCPRIM_400000_NS6detail17trampoline_kernelINS0_14default_configENS1_35radix_sort_onesweep_config_selectorIiiEEZZNS1_29radix_sort_onesweep_iterationIS3_Lb0EN6thrust23THRUST_200600_302600_NS6detail15normal_iteratorINS8_10device_ptrIiEEEESD_SD_SD_jNS0_19identity_decomposerENS1_16block_id_wrapperIjLb1EEEEE10hipError_tT1_PNSt15iterator_traitsISI_E10value_typeET2_T3_PNSJ_ISO_E10value_typeET4_T5_PST_SU_PNS1_23onesweep_lookback_stateEbbT6_jjT7_P12ihipStream_tbENKUlT_T0_SI_SN_E_clISD_PiSD_S15_EEDaS11_S12_SI_SN_EUlS11_E_NS1_11comp_targetILNS1_3genE2ELNS1_11target_archE906ELNS1_3gpuE6ELNS1_3repE0EEENS1_47radix_sort_onesweep_sort_config_static_selectorELNS0_4arch9wavefront6targetE0EEEvSI_.uses_vcc, 0
	.set _ZN7rocprim17ROCPRIM_400000_NS6detail17trampoline_kernelINS0_14default_configENS1_35radix_sort_onesweep_config_selectorIiiEEZZNS1_29radix_sort_onesweep_iterationIS3_Lb0EN6thrust23THRUST_200600_302600_NS6detail15normal_iteratorINS8_10device_ptrIiEEEESD_SD_SD_jNS0_19identity_decomposerENS1_16block_id_wrapperIjLb1EEEEE10hipError_tT1_PNSt15iterator_traitsISI_E10value_typeET2_T3_PNSJ_ISO_E10value_typeET4_T5_PST_SU_PNS1_23onesweep_lookback_stateEbbT6_jjT7_P12ihipStream_tbENKUlT_T0_SI_SN_E_clISD_PiSD_S15_EEDaS11_S12_SI_SN_EUlS11_E_NS1_11comp_targetILNS1_3genE2ELNS1_11target_archE906ELNS1_3gpuE6ELNS1_3repE0EEENS1_47radix_sort_onesweep_sort_config_static_selectorELNS0_4arch9wavefront6targetE0EEEvSI_.uses_flat_scratch, 0
	.set _ZN7rocprim17ROCPRIM_400000_NS6detail17trampoline_kernelINS0_14default_configENS1_35radix_sort_onesweep_config_selectorIiiEEZZNS1_29radix_sort_onesweep_iterationIS3_Lb0EN6thrust23THRUST_200600_302600_NS6detail15normal_iteratorINS8_10device_ptrIiEEEESD_SD_SD_jNS0_19identity_decomposerENS1_16block_id_wrapperIjLb1EEEEE10hipError_tT1_PNSt15iterator_traitsISI_E10value_typeET2_T3_PNSJ_ISO_E10value_typeET4_T5_PST_SU_PNS1_23onesweep_lookback_stateEbbT6_jjT7_P12ihipStream_tbENKUlT_T0_SI_SN_E_clISD_PiSD_S15_EEDaS11_S12_SI_SN_EUlS11_E_NS1_11comp_targetILNS1_3genE2ELNS1_11target_archE906ELNS1_3gpuE6ELNS1_3repE0EEENS1_47radix_sort_onesweep_sort_config_static_selectorELNS0_4arch9wavefront6targetE0EEEvSI_.has_dyn_sized_stack, 0
	.set _ZN7rocprim17ROCPRIM_400000_NS6detail17trampoline_kernelINS0_14default_configENS1_35radix_sort_onesweep_config_selectorIiiEEZZNS1_29radix_sort_onesweep_iterationIS3_Lb0EN6thrust23THRUST_200600_302600_NS6detail15normal_iteratorINS8_10device_ptrIiEEEESD_SD_SD_jNS0_19identity_decomposerENS1_16block_id_wrapperIjLb1EEEEE10hipError_tT1_PNSt15iterator_traitsISI_E10value_typeET2_T3_PNSJ_ISO_E10value_typeET4_T5_PST_SU_PNS1_23onesweep_lookback_stateEbbT6_jjT7_P12ihipStream_tbENKUlT_T0_SI_SN_E_clISD_PiSD_S15_EEDaS11_S12_SI_SN_EUlS11_E_NS1_11comp_targetILNS1_3genE2ELNS1_11target_archE906ELNS1_3gpuE6ELNS1_3repE0EEENS1_47radix_sort_onesweep_sort_config_static_selectorELNS0_4arch9wavefront6targetE0EEEvSI_.has_recursion, 0
	.set _ZN7rocprim17ROCPRIM_400000_NS6detail17trampoline_kernelINS0_14default_configENS1_35radix_sort_onesweep_config_selectorIiiEEZZNS1_29radix_sort_onesweep_iterationIS3_Lb0EN6thrust23THRUST_200600_302600_NS6detail15normal_iteratorINS8_10device_ptrIiEEEESD_SD_SD_jNS0_19identity_decomposerENS1_16block_id_wrapperIjLb1EEEEE10hipError_tT1_PNSt15iterator_traitsISI_E10value_typeET2_T3_PNSJ_ISO_E10value_typeET4_T5_PST_SU_PNS1_23onesweep_lookback_stateEbbT6_jjT7_P12ihipStream_tbENKUlT_T0_SI_SN_E_clISD_PiSD_S15_EEDaS11_S12_SI_SN_EUlS11_E_NS1_11comp_targetILNS1_3genE2ELNS1_11target_archE906ELNS1_3gpuE6ELNS1_3repE0EEENS1_47radix_sort_onesweep_sort_config_static_selectorELNS0_4arch9wavefront6targetE0EEEvSI_.has_indirect_call, 0
	.section	.AMDGPU.csdata,"",@progbits
; Kernel info:
; codeLenInByte = 0
; TotalNumSgprs: 0
; NumVgprs: 0
; ScratchSize: 0
; MemoryBound: 0
; FloatMode: 240
; IeeeMode: 1
; LDSByteSize: 0 bytes/workgroup (compile time only)
; SGPRBlocks: 0
; VGPRBlocks: 0
; NumSGPRsForWavesPerEU: 1
; NumVGPRsForWavesPerEU: 1
; Occupancy: 16
; WaveLimiterHint : 0
; COMPUTE_PGM_RSRC2:SCRATCH_EN: 0
; COMPUTE_PGM_RSRC2:USER_SGPR: 6
; COMPUTE_PGM_RSRC2:TRAP_HANDLER: 0
; COMPUTE_PGM_RSRC2:TGID_X_EN: 1
; COMPUTE_PGM_RSRC2:TGID_Y_EN: 0
; COMPUTE_PGM_RSRC2:TGID_Z_EN: 0
; COMPUTE_PGM_RSRC2:TIDIG_COMP_CNT: 0
	.section	.text._ZN7rocprim17ROCPRIM_400000_NS6detail17trampoline_kernelINS0_14default_configENS1_35radix_sort_onesweep_config_selectorIiiEEZZNS1_29radix_sort_onesweep_iterationIS3_Lb0EN6thrust23THRUST_200600_302600_NS6detail15normal_iteratorINS8_10device_ptrIiEEEESD_SD_SD_jNS0_19identity_decomposerENS1_16block_id_wrapperIjLb1EEEEE10hipError_tT1_PNSt15iterator_traitsISI_E10value_typeET2_T3_PNSJ_ISO_E10value_typeET4_T5_PST_SU_PNS1_23onesweep_lookback_stateEbbT6_jjT7_P12ihipStream_tbENKUlT_T0_SI_SN_E_clISD_PiSD_S15_EEDaS11_S12_SI_SN_EUlS11_E_NS1_11comp_targetILNS1_3genE4ELNS1_11target_archE910ELNS1_3gpuE8ELNS1_3repE0EEENS1_47radix_sort_onesweep_sort_config_static_selectorELNS0_4arch9wavefront6targetE0EEEvSI_,"axG",@progbits,_ZN7rocprim17ROCPRIM_400000_NS6detail17trampoline_kernelINS0_14default_configENS1_35radix_sort_onesweep_config_selectorIiiEEZZNS1_29radix_sort_onesweep_iterationIS3_Lb0EN6thrust23THRUST_200600_302600_NS6detail15normal_iteratorINS8_10device_ptrIiEEEESD_SD_SD_jNS0_19identity_decomposerENS1_16block_id_wrapperIjLb1EEEEE10hipError_tT1_PNSt15iterator_traitsISI_E10value_typeET2_T3_PNSJ_ISO_E10value_typeET4_T5_PST_SU_PNS1_23onesweep_lookback_stateEbbT6_jjT7_P12ihipStream_tbENKUlT_T0_SI_SN_E_clISD_PiSD_S15_EEDaS11_S12_SI_SN_EUlS11_E_NS1_11comp_targetILNS1_3genE4ELNS1_11target_archE910ELNS1_3gpuE8ELNS1_3repE0EEENS1_47radix_sort_onesweep_sort_config_static_selectorELNS0_4arch9wavefront6targetE0EEEvSI_,comdat
	.protected	_ZN7rocprim17ROCPRIM_400000_NS6detail17trampoline_kernelINS0_14default_configENS1_35radix_sort_onesweep_config_selectorIiiEEZZNS1_29radix_sort_onesweep_iterationIS3_Lb0EN6thrust23THRUST_200600_302600_NS6detail15normal_iteratorINS8_10device_ptrIiEEEESD_SD_SD_jNS0_19identity_decomposerENS1_16block_id_wrapperIjLb1EEEEE10hipError_tT1_PNSt15iterator_traitsISI_E10value_typeET2_T3_PNSJ_ISO_E10value_typeET4_T5_PST_SU_PNS1_23onesweep_lookback_stateEbbT6_jjT7_P12ihipStream_tbENKUlT_T0_SI_SN_E_clISD_PiSD_S15_EEDaS11_S12_SI_SN_EUlS11_E_NS1_11comp_targetILNS1_3genE4ELNS1_11target_archE910ELNS1_3gpuE8ELNS1_3repE0EEENS1_47radix_sort_onesweep_sort_config_static_selectorELNS0_4arch9wavefront6targetE0EEEvSI_ ; -- Begin function _ZN7rocprim17ROCPRIM_400000_NS6detail17trampoline_kernelINS0_14default_configENS1_35radix_sort_onesweep_config_selectorIiiEEZZNS1_29radix_sort_onesweep_iterationIS3_Lb0EN6thrust23THRUST_200600_302600_NS6detail15normal_iteratorINS8_10device_ptrIiEEEESD_SD_SD_jNS0_19identity_decomposerENS1_16block_id_wrapperIjLb1EEEEE10hipError_tT1_PNSt15iterator_traitsISI_E10value_typeET2_T3_PNSJ_ISO_E10value_typeET4_T5_PST_SU_PNS1_23onesweep_lookback_stateEbbT6_jjT7_P12ihipStream_tbENKUlT_T0_SI_SN_E_clISD_PiSD_S15_EEDaS11_S12_SI_SN_EUlS11_E_NS1_11comp_targetILNS1_3genE4ELNS1_11target_archE910ELNS1_3gpuE8ELNS1_3repE0EEENS1_47radix_sort_onesweep_sort_config_static_selectorELNS0_4arch9wavefront6targetE0EEEvSI_
	.globl	_ZN7rocprim17ROCPRIM_400000_NS6detail17trampoline_kernelINS0_14default_configENS1_35radix_sort_onesweep_config_selectorIiiEEZZNS1_29radix_sort_onesweep_iterationIS3_Lb0EN6thrust23THRUST_200600_302600_NS6detail15normal_iteratorINS8_10device_ptrIiEEEESD_SD_SD_jNS0_19identity_decomposerENS1_16block_id_wrapperIjLb1EEEEE10hipError_tT1_PNSt15iterator_traitsISI_E10value_typeET2_T3_PNSJ_ISO_E10value_typeET4_T5_PST_SU_PNS1_23onesweep_lookback_stateEbbT6_jjT7_P12ihipStream_tbENKUlT_T0_SI_SN_E_clISD_PiSD_S15_EEDaS11_S12_SI_SN_EUlS11_E_NS1_11comp_targetILNS1_3genE4ELNS1_11target_archE910ELNS1_3gpuE8ELNS1_3repE0EEENS1_47radix_sort_onesweep_sort_config_static_selectorELNS0_4arch9wavefront6targetE0EEEvSI_
	.p2align	8
	.type	_ZN7rocprim17ROCPRIM_400000_NS6detail17trampoline_kernelINS0_14default_configENS1_35radix_sort_onesweep_config_selectorIiiEEZZNS1_29radix_sort_onesweep_iterationIS3_Lb0EN6thrust23THRUST_200600_302600_NS6detail15normal_iteratorINS8_10device_ptrIiEEEESD_SD_SD_jNS0_19identity_decomposerENS1_16block_id_wrapperIjLb1EEEEE10hipError_tT1_PNSt15iterator_traitsISI_E10value_typeET2_T3_PNSJ_ISO_E10value_typeET4_T5_PST_SU_PNS1_23onesweep_lookback_stateEbbT6_jjT7_P12ihipStream_tbENKUlT_T0_SI_SN_E_clISD_PiSD_S15_EEDaS11_S12_SI_SN_EUlS11_E_NS1_11comp_targetILNS1_3genE4ELNS1_11target_archE910ELNS1_3gpuE8ELNS1_3repE0EEENS1_47radix_sort_onesweep_sort_config_static_selectorELNS0_4arch9wavefront6targetE0EEEvSI_,@function
_ZN7rocprim17ROCPRIM_400000_NS6detail17trampoline_kernelINS0_14default_configENS1_35radix_sort_onesweep_config_selectorIiiEEZZNS1_29radix_sort_onesweep_iterationIS3_Lb0EN6thrust23THRUST_200600_302600_NS6detail15normal_iteratorINS8_10device_ptrIiEEEESD_SD_SD_jNS0_19identity_decomposerENS1_16block_id_wrapperIjLb1EEEEE10hipError_tT1_PNSt15iterator_traitsISI_E10value_typeET2_T3_PNSJ_ISO_E10value_typeET4_T5_PST_SU_PNS1_23onesweep_lookback_stateEbbT6_jjT7_P12ihipStream_tbENKUlT_T0_SI_SN_E_clISD_PiSD_S15_EEDaS11_S12_SI_SN_EUlS11_E_NS1_11comp_targetILNS1_3genE4ELNS1_11target_archE910ELNS1_3gpuE8ELNS1_3repE0EEENS1_47radix_sort_onesweep_sort_config_static_selectorELNS0_4arch9wavefront6targetE0EEEvSI_: ; @_ZN7rocprim17ROCPRIM_400000_NS6detail17trampoline_kernelINS0_14default_configENS1_35radix_sort_onesweep_config_selectorIiiEEZZNS1_29radix_sort_onesweep_iterationIS3_Lb0EN6thrust23THRUST_200600_302600_NS6detail15normal_iteratorINS8_10device_ptrIiEEEESD_SD_SD_jNS0_19identity_decomposerENS1_16block_id_wrapperIjLb1EEEEE10hipError_tT1_PNSt15iterator_traitsISI_E10value_typeET2_T3_PNSJ_ISO_E10value_typeET4_T5_PST_SU_PNS1_23onesweep_lookback_stateEbbT6_jjT7_P12ihipStream_tbENKUlT_T0_SI_SN_E_clISD_PiSD_S15_EEDaS11_S12_SI_SN_EUlS11_E_NS1_11comp_targetILNS1_3genE4ELNS1_11target_archE910ELNS1_3gpuE8ELNS1_3repE0EEENS1_47radix_sort_onesweep_sort_config_static_selectorELNS0_4arch9wavefront6targetE0EEEvSI_
; %bb.0:
	.section	.rodata,"a",@progbits
	.p2align	6, 0x0
	.amdhsa_kernel _ZN7rocprim17ROCPRIM_400000_NS6detail17trampoline_kernelINS0_14default_configENS1_35radix_sort_onesweep_config_selectorIiiEEZZNS1_29radix_sort_onesweep_iterationIS3_Lb0EN6thrust23THRUST_200600_302600_NS6detail15normal_iteratorINS8_10device_ptrIiEEEESD_SD_SD_jNS0_19identity_decomposerENS1_16block_id_wrapperIjLb1EEEEE10hipError_tT1_PNSt15iterator_traitsISI_E10value_typeET2_T3_PNSJ_ISO_E10value_typeET4_T5_PST_SU_PNS1_23onesweep_lookback_stateEbbT6_jjT7_P12ihipStream_tbENKUlT_T0_SI_SN_E_clISD_PiSD_S15_EEDaS11_S12_SI_SN_EUlS11_E_NS1_11comp_targetILNS1_3genE4ELNS1_11target_archE910ELNS1_3gpuE8ELNS1_3repE0EEENS1_47radix_sort_onesweep_sort_config_static_selectorELNS0_4arch9wavefront6targetE0EEEvSI_
		.amdhsa_group_segment_fixed_size 0
		.amdhsa_private_segment_fixed_size 0
		.amdhsa_kernarg_size 88
		.amdhsa_user_sgpr_count 6
		.amdhsa_user_sgpr_private_segment_buffer 1
		.amdhsa_user_sgpr_dispatch_ptr 0
		.amdhsa_user_sgpr_queue_ptr 0
		.amdhsa_user_sgpr_kernarg_segment_ptr 1
		.amdhsa_user_sgpr_dispatch_id 0
		.amdhsa_user_sgpr_flat_scratch_init 0
		.amdhsa_user_sgpr_private_segment_size 0
		.amdhsa_wavefront_size32 1
		.amdhsa_uses_dynamic_stack 0
		.amdhsa_system_sgpr_private_segment_wavefront_offset 0
		.amdhsa_system_sgpr_workgroup_id_x 1
		.amdhsa_system_sgpr_workgroup_id_y 0
		.amdhsa_system_sgpr_workgroup_id_z 0
		.amdhsa_system_sgpr_workgroup_info 0
		.amdhsa_system_vgpr_workitem_id 0
		.amdhsa_next_free_vgpr 1
		.amdhsa_next_free_sgpr 1
		.amdhsa_reserve_vcc 0
		.amdhsa_reserve_flat_scratch 0
		.amdhsa_float_round_mode_32 0
		.amdhsa_float_round_mode_16_64 0
		.amdhsa_float_denorm_mode_32 3
		.amdhsa_float_denorm_mode_16_64 3
		.amdhsa_dx10_clamp 1
		.amdhsa_ieee_mode 1
		.amdhsa_fp16_overflow 0
		.amdhsa_workgroup_processor_mode 1
		.amdhsa_memory_ordered 1
		.amdhsa_forward_progress 1
		.amdhsa_shared_vgpr_count 0
		.amdhsa_exception_fp_ieee_invalid_op 0
		.amdhsa_exception_fp_denorm_src 0
		.amdhsa_exception_fp_ieee_div_zero 0
		.amdhsa_exception_fp_ieee_overflow 0
		.amdhsa_exception_fp_ieee_underflow 0
		.amdhsa_exception_fp_ieee_inexact 0
		.amdhsa_exception_int_div_zero 0
	.end_amdhsa_kernel
	.section	.text._ZN7rocprim17ROCPRIM_400000_NS6detail17trampoline_kernelINS0_14default_configENS1_35radix_sort_onesweep_config_selectorIiiEEZZNS1_29radix_sort_onesweep_iterationIS3_Lb0EN6thrust23THRUST_200600_302600_NS6detail15normal_iteratorINS8_10device_ptrIiEEEESD_SD_SD_jNS0_19identity_decomposerENS1_16block_id_wrapperIjLb1EEEEE10hipError_tT1_PNSt15iterator_traitsISI_E10value_typeET2_T3_PNSJ_ISO_E10value_typeET4_T5_PST_SU_PNS1_23onesweep_lookback_stateEbbT6_jjT7_P12ihipStream_tbENKUlT_T0_SI_SN_E_clISD_PiSD_S15_EEDaS11_S12_SI_SN_EUlS11_E_NS1_11comp_targetILNS1_3genE4ELNS1_11target_archE910ELNS1_3gpuE8ELNS1_3repE0EEENS1_47radix_sort_onesweep_sort_config_static_selectorELNS0_4arch9wavefront6targetE0EEEvSI_,"axG",@progbits,_ZN7rocprim17ROCPRIM_400000_NS6detail17trampoline_kernelINS0_14default_configENS1_35radix_sort_onesweep_config_selectorIiiEEZZNS1_29radix_sort_onesweep_iterationIS3_Lb0EN6thrust23THRUST_200600_302600_NS6detail15normal_iteratorINS8_10device_ptrIiEEEESD_SD_SD_jNS0_19identity_decomposerENS1_16block_id_wrapperIjLb1EEEEE10hipError_tT1_PNSt15iterator_traitsISI_E10value_typeET2_T3_PNSJ_ISO_E10value_typeET4_T5_PST_SU_PNS1_23onesweep_lookback_stateEbbT6_jjT7_P12ihipStream_tbENKUlT_T0_SI_SN_E_clISD_PiSD_S15_EEDaS11_S12_SI_SN_EUlS11_E_NS1_11comp_targetILNS1_3genE4ELNS1_11target_archE910ELNS1_3gpuE8ELNS1_3repE0EEENS1_47radix_sort_onesweep_sort_config_static_selectorELNS0_4arch9wavefront6targetE0EEEvSI_,comdat
.Lfunc_end835:
	.size	_ZN7rocprim17ROCPRIM_400000_NS6detail17trampoline_kernelINS0_14default_configENS1_35radix_sort_onesweep_config_selectorIiiEEZZNS1_29radix_sort_onesweep_iterationIS3_Lb0EN6thrust23THRUST_200600_302600_NS6detail15normal_iteratorINS8_10device_ptrIiEEEESD_SD_SD_jNS0_19identity_decomposerENS1_16block_id_wrapperIjLb1EEEEE10hipError_tT1_PNSt15iterator_traitsISI_E10value_typeET2_T3_PNSJ_ISO_E10value_typeET4_T5_PST_SU_PNS1_23onesweep_lookback_stateEbbT6_jjT7_P12ihipStream_tbENKUlT_T0_SI_SN_E_clISD_PiSD_S15_EEDaS11_S12_SI_SN_EUlS11_E_NS1_11comp_targetILNS1_3genE4ELNS1_11target_archE910ELNS1_3gpuE8ELNS1_3repE0EEENS1_47radix_sort_onesweep_sort_config_static_selectorELNS0_4arch9wavefront6targetE0EEEvSI_, .Lfunc_end835-_ZN7rocprim17ROCPRIM_400000_NS6detail17trampoline_kernelINS0_14default_configENS1_35radix_sort_onesweep_config_selectorIiiEEZZNS1_29radix_sort_onesweep_iterationIS3_Lb0EN6thrust23THRUST_200600_302600_NS6detail15normal_iteratorINS8_10device_ptrIiEEEESD_SD_SD_jNS0_19identity_decomposerENS1_16block_id_wrapperIjLb1EEEEE10hipError_tT1_PNSt15iterator_traitsISI_E10value_typeET2_T3_PNSJ_ISO_E10value_typeET4_T5_PST_SU_PNS1_23onesweep_lookback_stateEbbT6_jjT7_P12ihipStream_tbENKUlT_T0_SI_SN_E_clISD_PiSD_S15_EEDaS11_S12_SI_SN_EUlS11_E_NS1_11comp_targetILNS1_3genE4ELNS1_11target_archE910ELNS1_3gpuE8ELNS1_3repE0EEENS1_47radix_sort_onesweep_sort_config_static_selectorELNS0_4arch9wavefront6targetE0EEEvSI_
                                        ; -- End function
	.set _ZN7rocprim17ROCPRIM_400000_NS6detail17trampoline_kernelINS0_14default_configENS1_35radix_sort_onesweep_config_selectorIiiEEZZNS1_29radix_sort_onesweep_iterationIS3_Lb0EN6thrust23THRUST_200600_302600_NS6detail15normal_iteratorINS8_10device_ptrIiEEEESD_SD_SD_jNS0_19identity_decomposerENS1_16block_id_wrapperIjLb1EEEEE10hipError_tT1_PNSt15iterator_traitsISI_E10value_typeET2_T3_PNSJ_ISO_E10value_typeET4_T5_PST_SU_PNS1_23onesweep_lookback_stateEbbT6_jjT7_P12ihipStream_tbENKUlT_T0_SI_SN_E_clISD_PiSD_S15_EEDaS11_S12_SI_SN_EUlS11_E_NS1_11comp_targetILNS1_3genE4ELNS1_11target_archE910ELNS1_3gpuE8ELNS1_3repE0EEENS1_47radix_sort_onesweep_sort_config_static_selectorELNS0_4arch9wavefront6targetE0EEEvSI_.num_vgpr, 0
	.set _ZN7rocprim17ROCPRIM_400000_NS6detail17trampoline_kernelINS0_14default_configENS1_35radix_sort_onesweep_config_selectorIiiEEZZNS1_29radix_sort_onesweep_iterationIS3_Lb0EN6thrust23THRUST_200600_302600_NS6detail15normal_iteratorINS8_10device_ptrIiEEEESD_SD_SD_jNS0_19identity_decomposerENS1_16block_id_wrapperIjLb1EEEEE10hipError_tT1_PNSt15iterator_traitsISI_E10value_typeET2_T3_PNSJ_ISO_E10value_typeET4_T5_PST_SU_PNS1_23onesweep_lookback_stateEbbT6_jjT7_P12ihipStream_tbENKUlT_T0_SI_SN_E_clISD_PiSD_S15_EEDaS11_S12_SI_SN_EUlS11_E_NS1_11comp_targetILNS1_3genE4ELNS1_11target_archE910ELNS1_3gpuE8ELNS1_3repE0EEENS1_47radix_sort_onesweep_sort_config_static_selectorELNS0_4arch9wavefront6targetE0EEEvSI_.num_agpr, 0
	.set _ZN7rocprim17ROCPRIM_400000_NS6detail17trampoline_kernelINS0_14default_configENS1_35radix_sort_onesweep_config_selectorIiiEEZZNS1_29radix_sort_onesweep_iterationIS3_Lb0EN6thrust23THRUST_200600_302600_NS6detail15normal_iteratorINS8_10device_ptrIiEEEESD_SD_SD_jNS0_19identity_decomposerENS1_16block_id_wrapperIjLb1EEEEE10hipError_tT1_PNSt15iterator_traitsISI_E10value_typeET2_T3_PNSJ_ISO_E10value_typeET4_T5_PST_SU_PNS1_23onesweep_lookback_stateEbbT6_jjT7_P12ihipStream_tbENKUlT_T0_SI_SN_E_clISD_PiSD_S15_EEDaS11_S12_SI_SN_EUlS11_E_NS1_11comp_targetILNS1_3genE4ELNS1_11target_archE910ELNS1_3gpuE8ELNS1_3repE0EEENS1_47radix_sort_onesweep_sort_config_static_selectorELNS0_4arch9wavefront6targetE0EEEvSI_.numbered_sgpr, 0
	.set _ZN7rocprim17ROCPRIM_400000_NS6detail17trampoline_kernelINS0_14default_configENS1_35radix_sort_onesweep_config_selectorIiiEEZZNS1_29radix_sort_onesweep_iterationIS3_Lb0EN6thrust23THRUST_200600_302600_NS6detail15normal_iteratorINS8_10device_ptrIiEEEESD_SD_SD_jNS0_19identity_decomposerENS1_16block_id_wrapperIjLb1EEEEE10hipError_tT1_PNSt15iterator_traitsISI_E10value_typeET2_T3_PNSJ_ISO_E10value_typeET4_T5_PST_SU_PNS1_23onesweep_lookback_stateEbbT6_jjT7_P12ihipStream_tbENKUlT_T0_SI_SN_E_clISD_PiSD_S15_EEDaS11_S12_SI_SN_EUlS11_E_NS1_11comp_targetILNS1_3genE4ELNS1_11target_archE910ELNS1_3gpuE8ELNS1_3repE0EEENS1_47radix_sort_onesweep_sort_config_static_selectorELNS0_4arch9wavefront6targetE0EEEvSI_.num_named_barrier, 0
	.set _ZN7rocprim17ROCPRIM_400000_NS6detail17trampoline_kernelINS0_14default_configENS1_35radix_sort_onesweep_config_selectorIiiEEZZNS1_29radix_sort_onesweep_iterationIS3_Lb0EN6thrust23THRUST_200600_302600_NS6detail15normal_iteratorINS8_10device_ptrIiEEEESD_SD_SD_jNS0_19identity_decomposerENS1_16block_id_wrapperIjLb1EEEEE10hipError_tT1_PNSt15iterator_traitsISI_E10value_typeET2_T3_PNSJ_ISO_E10value_typeET4_T5_PST_SU_PNS1_23onesweep_lookback_stateEbbT6_jjT7_P12ihipStream_tbENKUlT_T0_SI_SN_E_clISD_PiSD_S15_EEDaS11_S12_SI_SN_EUlS11_E_NS1_11comp_targetILNS1_3genE4ELNS1_11target_archE910ELNS1_3gpuE8ELNS1_3repE0EEENS1_47radix_sort_onesweep_sort_config_static_selectorELNS0_4arch9wavefront6targetE0EEEvSI_.private_seg_size, 0
	.set _ZN7rocprim17ROCPRIM_400000_NS6detail17trampoline_kernelINS0_14default_configENS1_35radix_sort_onesweep_config_selectorIiiEEZZNS1_29radix_sort_onesweep_iterationIS3_Lb0EN6thrust23THRUST_200600_302600_NS6detail15normal_iteratorINS8_10device_ptrIiEEEESD_SD_SD_jNS0_19identity_decomposerENS1_16block_id_wrapperIjLb1EEEEE10hipError_tT1_PNSt15iterator_traitsISI_E10value_typeET2_T3_PNSJ_ISO_E10value_typeET4_T5_PST_SU_PNS1_23onesweep_lookback_stateEbbT6_jjT7_P12ihipStream_tbENKUlT_T0_SI_SN_E_clISD_PiSD_S15_EEDaS11_S12_SI_SN_EUlS11_E_NS1_11comp_targetILNS1_3genE4ELNS1_11target_archE910ELNS1_3gpuE8ELNS1_3repE0EEENS1_47radix_sort_onesweep_sort_config_static_selectorELNS0_4arch9wavefront6targetE0EEEvSI_.uses_vcc, 0
	.set _ZN7rocprim17ROCPRIM_400000_NS6detail17trampoline_kernelINS0_14default_configENS1_35radix_sort_onesweep_config_selectorIiiEEZZNS1_29radix_sort_onesweep_iterationIS3_Lb0EN6thrust23THRUST_200600_302600_NS6detail15normal_iteratorINS8_10device_ptrIiEEEESD_SD_SD_jNS0_19identity_decomposerENS1_16block_id_wrapperIjLb1EEEEE10hipError_tT1_PNSt15iterator_traitsISI_E10value_typeET2_T3_PNSJ_ISO_E10value_typeET4_T5_PST_SU_PNS1_23onesweep_lookback_stateEbbT6_jjT7_P12ihipStream_tbENKUlT_T0_SI_SN_E_clISD_PiSD_S15_EEDaS11_S12_SI_SN_EUlS11_E_NS1_11comp_targetILNS1_3genE4ELNS1_11target_archE910ELNS1_3gpuE8ELNS1_3repE0EEENS1_47radix_sort_onesweep_sort_config_static_selectorELNS0_4arch9wavefront6targetE0EEEvSI_.uses_flat_scratch, 0
	.set _ZN7rocprim17ROCPRIM_400000_NS6detail17trampoline_kernelINS0_14default_configENS1_35radix_sort_onesweep_config_selectorIiiEEZZNS1_29radix_sort_onesweep_iterationIS3_Lb0EN6thrust23THRUST_200600_302600_NS6detail15normal_iteratorINS8_10device_ptrIiEEEESD_SD_SD_jNS0_19identity_decomposerENS1_16block_id_wrapperIjLb1EEEEE10hipError_tT1_PNSt15iterator_traitsISI_E10value_typeET2_T3_PNSJ_ISO_E10value_typeET4_T5_PST_SU_PNS1_23onesweep_lookback_stateEbbT6_jjT7_P12ihipStream_tbENKUlT_T0_SI_SN_E_clISD_PiSD_S15_EEDaS11_S12_SI_SN_EUlS11_E_NS1_11comp_targetILNS1_3genE4ELNS1_11target_archE910ELNS1_3gpuE8ELNS1_3repE0EEENS1_47radix_sort_onesweep_sort_config_static_selectorELNS0_4arch9wavefront6targetE0EEEvSI_.has_dyn_sized_stack, 0
	.set _ZN7rocprim17ROCPRIM_400000_NS6detail17trampoline_kernelINS0_14default_configENS1_35radix_sort_onesweep_config_selectorIiiEEZZNS1_29radix_sort_onesweep_iterationIS3_Lb0EN6thrust23THRUST_200600_302600_NS6detail15normal_iteratorINS8_10device_ptrIiEEEESD_SD_SD_jNS0_19identity_decomposerENS1_16block_id_wrapperIjLb1EEEEE10hipError_tT1_PNSt15iterator_traitsISI_E10value_typeET2_T3_PNSJ_ISO_E10value_typeET4_T5_PST_SU_PNS1_23onesweep_lookback_stateEbbT6_jjT7_P12ihipStream_tbENKUlT_T0_SI_SN_E_clISD_PiSD_S15_EEDaS11_S12_SI_SN_EUlS11_E_NS1_11comp_targetILNS1_3genE4ELNS1_11target_archE910ELNS1_3gpuE8ELNS1_3repE0EEENS1_47radix_sort_onesweep_sort_config_static_selectorELNS0_4arch9wavefront6targetE0EEEvSI_.has_recursion, 0
	.set _ZN7rocprim17ROCPRIM_400000_NS6detail17trampoline_kernelINS0_14default_configENS1_35radix_sort_onesweep_config_selectorIiiEEZZNS1_29radix_sort_onesweep_iterationIS3_Lb0EN6thrust23THRUST_200600_302600_NS6detail15normal_iteratorINS8_10device_ptrIiEEEESD_SD_SD_jNS0_19identity_decomposerENS1_16block_id_wrapperIjLb1EEEEE10hipError_tT1_PNSt15iterator_traitsISI_E10value_typeET2_T3_PNSJ_ISO_E10value_typeET4_T5_PST_SU_PNS1_23onesweep_lookback_stateEbbT6_jjT7_P12ihipStream_tbENKUlT_T0_SI_SN_E_clISD_PiSD_S15_EEDaS11_S12_SI_SN_EUlS11_E_NS1_11comp_targetILNS1_3genE4ELNS1_11target_archE910ELNS1_3gpuE8ELNS1_3repE0EEENS1_47radix_sort_onesweep_sort_config_static_selectorELNS0_4arch9wavefront6targetE0EEEvSI_.has_indirect_call, 0
	.section	.AMDGPU.csdata,"",@progbits
; Kernel info:
; codeLenInByte = 0
; TotalNumSgprs: 0
; NumVgprs: 0
; ScratchSize: 0
; MemoryBound: 0
; FloatMode: 240
; IeeeMode: 1
; LDSByteSize: 0 bytes/workgroup (compile time only)
; SGPRBlocks: 0
; VGPRBlocks: 0
; NumSGPRsForWavesPerEU: 1
; NumVGPRsForWavesPerEU: 1
; Occupancy: 16
; WaveLimiterHint : 0
; COMPUTE_PGM_RSRC2:SCRATCH_EN: 0
; COMPUTE_PGM_RSRC2:USER_SGPR: 6
; COMPUTE_PGM_RSRC2:TRAP_HANDLER: 0
; COMPUTE_PGM_RSRC2:TGID_X_EN: 1
; COMPUTE_PGM_RSRC2:TGID_Y_EN: 0
; COMPUTE_PGM_RSRC2:TGID_Z_EN: 0
; COMPUTE_PGM_RSRC2:TIDIG_COMP_CNT: 0
	.section	.text._ZN7rocprim17ROCPRIM_400000_NS6detail17trampoline_kernelINS0_14default_configENS1_35radix_sort_onesweep_config_selectorIiiEEZZNS1_29radix_sort_onesweep_iterationIS3_Lb0EN6thrust23THRUST_200600_302600_NS6detail15normal_iteratorINS8_10device_ptrIiEEEESD_SD_SD_jNS0_19identity_decomposerENS1_16block_id_wrapperIjLb1EEEEE10hipError_tT1_PNSt15iterator_traitsISI_E10value_typeET2_T3_PNSJ_ISO_E10value_typeET4_T5_PST_SU_PNS1_23onesweep_lookback_stateEbbT6_jjT7_P12ihipStream_tbENKUlT_T0_SI_SN_E_clISD_PiSD_S15_EEDaS11_S12_SI_SN_EUlS11_E_NS1_11comp_targetILNS1_3genE3ELNS1_11target_archE908ELNS1_3gpuE7ELNS1_3repE0EEENS1_47radix_sort_onesweep_sort_config_static_selectorELNS0_4arch9wavefront6targetE0EEEvSI_,"axG",@progbits,_ZN7rocprim17ROCPRIM_400000_NS6detail17trampoline_kernelINS0_14default_configENS1_35radix_sort_onesweep_config_selectorIiiEEZZNS1_29radix_sort_onesweep_iterationIS3_Lb0EN6thrust23THRUST_200600_302600_NS6detail15normal_iteratorINS8_10device_ptrIiEEEESD_SD_SD_jNS0_19identity_decomposerENS1_16block_id_wrapperIjLb1EEEEE10hipError_tT1_PNSt15iterator_traitsISI_E10value_typeET2_T3_PNSJ_ISO_E10value_typeET4_T5_PST_SU_PNS1_23onesweep_lookback_stateEbbT6_jjT7_P12ihipStream_tbENKUlT_T0_SI_SN_E_clISD_PiSD_S15_EEDaS11_S12_SI_SN_EUlS11_E_NS1_11comp_targetILNS1_3genE3ELNS1_11target_archE908ELNS1_3gpuE7ELNS1_3repE0EEENS1_47radix_sort_onesweep_sort_config_static_selectorELNS0_4arch9wavefront6targetE0EEEvSI_,comdat
	.protected	_ZN7rocprim17ROCPRIM_400000_NS6detail17trampoline_kernelINS0_14default_configENS1_35radix_sort_onesweep_config_selectorIiiEEZZNS1_29radix_sort_onesweep_iterationIS3_Lb0EN6thrust23THRUST_200600_302600_NS6detail15normal_iteratorINS8_10device_ptrIiEEEESD_SD_SD_jNS0_19identity_decomposerENS1_16block_id_wrapperIjLb1EEEEE10hipError_tT1_PNSt15iterator_traitsISI_E10value_typeET2_T3_PNSJ_ISO_E10value_typeET4_T5_PST_SU_PNS1_23onesweep_lookback_stateEbbT6_jjT7_P12ihipStream_tbENKUlT_T0_SI_SN_E_clISD_PiSD_S15_EEDaS11_S12_SI_SN_EUlS11_E_NS1_11comp_targetILNS1_3genE3ELNS1_11target_archE908ELNS1_3gpuE7ELNS1_3repE0EEENS1_47radix_sort_onesweep_sort_config_static_selectorELNS0_4arch9wavefront6targetE0EEEvSI_ ; -- Begin function _ZN7rocprim17ROCPRIM_400000_NS6detail17trampoline_kernelINS0_14default_configENS1_35radix_sort_onesweep_config_selectorIiiEEZZNS1_29radix_sort_onesweep_iterationIS3_Lb0EN6thrust23THRUST_200600_302600_NS6detail15normal_iteratorINS8_10device_ptrIiEEEESD_SD_SD_jNS0_19identity_decomposerENS1_16block_id_wrapperIjLb1EEEEE10hipError_tT1_PNSt15iterator_traitsISI_E10value_typeET2_T3_PNSJ_ISO_E10value_typeET4_T5_PST_SU_PNS1_23onesweep_lookback_stateEbbT6_jjT7_P12ihipStream_tbENKUlT_T0_SI_SN_E_clISD_PiSD_S15_EEDaS11_S12_SI_SN_EUlS11_E_NS1_11comp_targetILNS1_3genE3ELNS1_11target_archE908ELNS1_3gpuE7ELNS1_3repE0EEENS1_47radix_sort_onesweep_sort_config_static_selectorELNS0_4arch9wavefront6targetE0EEEvSI_
	.globl	_ZN7rocprim17ROCPRIM_400000_NS6detail17trampoline_kernelINS0_14default_configENS1_35radix_sort_onesweep_config_selectorIiiEEZZNS1_29radix_sort_onesweep_iterationIS3_Lb0EN6thrust23THRUST_200600_302600_NS6detail15normal_iteratorINS8_10device_ptrIiEEEESD_SD_SD_jNS0_19identity_decomposerENS1_16block_id_wrapperIjLb1EEEEE10hipError_tT1_PNSt15iterator_traitsISI_E10value_typeET2_T3_PNSJ_ISO_E10value_typeET4_T5_PST_SU_PNS1_23onesweep_lookback_stateEbbT6_jjT7_P12ihipStream_tbENKUlT_T0_SI_SN_E_clISD_PiSD_S15_EEDaS11_S12_SI_SN_EUlS11_E_NS1_11comp_targetILNS1_3genE3ELNS1_11target_archE908ELNS1_3gpuE7ELNS1_3repE0EEENS1_47radix_sort_onesweep_sort_config_static_selectorELNS0_4arch9wavefront6targetE0EEEvSI_
	.p2align	8
	.type	_ZN7rocprim17ROCPRIM_400000_NS6detail17trampoline_kernelINS0_14default_configENS1_35radix_sort_onesweep_config_selectorIiiEEZZNS1_29radix_sort_onesweep_iterationIS3_Lb0EN6thrust23THRUST_200600_302600_NS6detail15normal_iteratorINS8_10device_ptrIiEEEESD_SD_SD_jNS0_19identity_decomposerENS1_16block_id_wrapperIjLb1EEEEE10hipError_tT1_PNSt15iterator_traitsISI_E10value_typeET2_T3_PNSJ_ISO_E10value_typeET4_T5_PST_SU_PNS1_23onesweep_lookback_stateEbbT6_jjT7_P12ihipStream_tbENKUlT_T0_SI_SN_E_clISD_PiSD_S15_EEDaS11_S12_SI_SN_EUlS11_E_NS1_11comp_targetILNS1_3genE3ELNS1_11target_archE908ELNS1_3gpuE7ELNS1_3repE0EEENS1_47radix_sort_onesweep_sort_config_static_selectorELNS0_4arch9wavefront6targetE0EEEvSI_,@function
_ZN7rocprim17ROCPRIM_400000_NS6detail17trampoline_kernelINS0_14default_configENS1_35radix_sort_onesweep_config_selectorIiiEEZZNS1_29radix_sort_onesweep_iterationIS3_Lb0EN6thrust23THRUST_200600_302600_NS6detail15normal_iteratorINS8_10device_ptrIiEEEESD_SD_SD_jNS0_19identity_decomposerENS1_16block_id_wrapperIjLb1EEEEE10hipError_tT1_PNSt15iterator_traitsISI_E10value_typeET2_T3_PNSJ_ISO_E10value_typeET4_T5_PST_SU_PNS1_23onesweep_lookback_stateEbbT6_jjT7_P12ihipStream_tbENKUlT_T0_SI_SN_E_clISD_PiSD_S15_EEDaS11_S12_SI_SN_EUlS11_E_NS1_11comp_targetILNS1_3genE3ELNS1_11target_archE908ELNS1_3gpuE7ELNS1_3repE0EEENS1_47radix_sort_onesweep_sort_config_static_selectorELNS0_4arch9wavefront6targetE0EEEvSI_: ; @_ZN7rocprim17ROCPRIM_400000_NS6detail17trampoline_kernelINS0_14default_configENS1_35radix_sort_onesweep_config_selectorIiiEEZZNS1_29radix_sort_onesweep_iterationIS3_Lb0EN6thrust23THRUST_200600_302600_NS6detail15normal_iteratorINS8_10device_ptrIiEEEESD_SD_SD_jNS0_19identity_decomposerENS1_16block_id_wrapperIjLb1EEEEE10hipError_tT1_PNSt15iterator_traitsISI_E10value_typeET2_T3_PNSJ_ISO_E10value_typeET4_T5_PST_SU_PNS1_23onesweep_lookback_stateEbbT6_jjT7_P12ihipStream_tbENKUlT_T0_SI_SN_E_clISD_PiSD_S15_EEDaS11_S12_SI_SN_EUlS11_E_NS1_11comp_targetILNS1_3genE3ELNS1_11target_archE908ELNS1_3gpuE7ELNS1_3repE0EEENS1_47radix_sort_onesweep_sort_config_static_selectorELNS0_4arch9wavefront6targetE0EEEvSI_
; %bb.0:
	.section	.rodata,"a",@progbits
	.p2align	6, 0x0
	.amdhsa_kernel _ZN7rocprim17ROCPRIM_400000_NS6detail17trampoline_kernelINS0_14default_configENS1_35radix_sort_onesweep_config_selectorIiiEEZZNS1_29radix_sort_onesweep_iterationIS3_Lb0EN6thrust23THRUST_200600_302600_NS6detail15normal_iteratorINS8_10device_ptrIiEEEESD_SD_SD_jNS0_19identity_decomposerENS1_16block_id_wrapperIjLb1EEEEE10hipError_tT1_PNSt15iterator_traitsISI_E10value_typeET2_T3_PNSJ_ISO_E10value_typeET4_T5_PST_SU_PNS1_23onesweep_lookback_stateEbbT6_jjT7_P12ihipStream_tbENKUlT_T0_SI_SN_E_clISD_PiSD_S15_EEDaS11_S12_SI_SN_EUlS11_E_NS1_11comp_targetILNS1_3genE3ELNS1_11target_archE908ELNS1_3gpuE7ELNS1_3repE0EEENS1_47radix_sort_onesweep_sort_config_static_selectorELNS0_4arch9wavefront6targetE0EEEvSI_
		.amdhsa_group_segment_fixed_size 0
		.amdhsa_private_segment_fixed_size 0
		.amdhsa_kernarg_size 88
		.amdhsa_user_sgpr_count 6
		.amdhsa_user_sgpr_private_segment_buffer 1
		.amdhsa_user_sgpr_dispatch_ptr 0
		.amdhsa_user_sgpr_queue_ptr 0
		.amdhsa_user_sgpr_kernarg_segment_ptr 1
		.amdhsa_user_sgpr_dispatch_id 0
		.amdhsa_user_sgpr_flat_scratch_init 0
		.amdhsa_user_sgpr_private_segment_size 0
		.amdhsa_wavefront_size32 1
		.amdhsa_uses_dynamic_stack 0
		.amdhsa_system_sgpr_private_segment_wavefront_offset 0
		.amdhsa_system_sgpr_workgroup_id_x 1
		.amdhsa_system_sgpr_workgroup_id_y 0
		.amdhsa_system_sgpr_workgroup_id_z 0
		.amdhsa_system_sgpr_workgroup_info 0
		.amdhsa_system_vgpr_workitem_id 0
		.amdhsa_next_free_vgpr 1
		.amdhsa_next_free_sgpr 1
		.amdhsa_reserve_vcc 0
		.amdhsa_reserve_flat_scratch 0
		.amdhsa_float_round_mode_32 0
		.amdhsa_float_round_mode_16_64 0
		.amdhsa_float_denorm_mode_32 3
		.amdhsa_float_denorm_mode_16_64 3
		.amdhsa_dx10_clamp 1
		.amdhsa_ieee_mode 1
		.amdhsa_fp16_overflow 0
		.amdhsa_workgroup_processor_mode 1
		.amdhsa_memory_ordered 1
		.amdhsa_forward_progress 1
		.amdhsa_shared_vgpr_count 0
		.amdhsa_exception_fp_ieee_invalid_op 0
		.amdhsa_exception_fp_denorm_src 0
		.amdhsa_exception_fp_ieee_div_zero 0
		.amdhsa_exception_fp_ieee_overflow 0
		.amdhsa_exception_fp_ieee_underflow 0
		.amdhsa_exception_fp_ieee_inexact 0
		.amdhsa_exception_int_div_zero 0
	.end_amdhsa_kernel
	.section	.text._ZN7rocprim17ROCPRIM_400000_NS6detail17trampoline_kernelINS0_14default_configENS1_35radix_sort_onesweep_config_selectorIiiEEZZNS1_29radix_sort_onesweep_iterationIS3_Lb0EN6thrust23THRUST_200600_302600_NS6detail15normal_iteratorINS8_10device_ptrIiEEEESD_SD_SD_jNS0_19identity_decomposerENS1_16block_id_wrapperIjLb1EEEEE10hipError_tT1_PNSt15iterator_traitsISI_E10value_typeET2_T3_PNSJ_ISO_E10value_typeET4_T5_PST_SU_PNS1_23onesweep_lookback_stateEbbT6_jjT7_P12ihipStream_tbENKUlT_T0_SI_SN_E_clISD_PiSD_S15_EEDaS11_S12_SI_SN_EUlS11_E_NS1_11comp_targetILNS1_3genE3ELNS1_11target_archE908ELNS1_3gpuE7ELNS1_3repE0EEENS1_47radix_sort_onesweep_sort_config_static_selectorELNS0_4arch9wavefront6targetE0EEEvSI_,"axG",@progbits,_ZN7rocprim17ROCPRIM_400000_NS6detail17trampoline_kernelINS0_14default_configENS1_35radix_sort_onesweep_config_selectorIiiEEZZNS1_29radix_sort_onesweep_iterationIS3_Lb0EN6thrust23THRUST_200600_302600_NS6detail15normal_iteratorINS8_10device_ptrIiEEEESD_SD_SD_jNS0_19identity_decomposerENS1_16block_id_wrapperIjLb1EEEEE10hipError_tT1_PNSt15iterator_traitsISI_E10value_typeET2_T3_PNSJ_ISO_E10value_typeET4_T5_PST_SU_PNS1_23onesweep_lookback_stateEbbT6_jjT7_P12ihipStream_tbENKUlT_T0_SI_SN_E_clISD_PiSD_S15_EEDaS11_S12_SI_SN_EUlS11_E_NS1_11comp_targetILNS1_3genE3ELNS1_11target_archE908ELNS1_3gpuE7ELNS1_3repE0EEENS1_47radix_sort_onesweep_sort_config_static_selectorELNS0_4arch9wavefront6targetE0EEEvSI_,comdat
.Lfunc_end836:
	.size	_ZN7rocprim17ROCPRIM_400000_NS6detail17trampoline_kernelINS0_14default_configENS1_35radix_sort_onesweep_config_selectorIiiEEZZNS1_29radix_sort_onesweep_iterationIS3_Lb0EN6thrust23THRUST_200600_302600_NS6detail15normal_iteratorINS8_10device_ptrIiEEEESD_SD_SD_jNS0_19identity_decomposerENS1_16block_id_wrapperIjLb1EEEEE10hipError_tT1_PNSt15iterator_traitsISI_E10value_typeET2_T3_PNSJ_ISO_E10value_typeET4_T5_PST_SU_PNS1_23onesweep_lookback_stateEbbT6_jjT7_P12ihipStream_tbENKUlT_T0_SI_SN_E_clISD_PiSD_S15_EEDaS11_S12_SI_SN_EUlS11_E_NS1_11comp_targetILNS1_3genE3ELNS1_11target_archE908ELNS1_3gpuE7ELNS1_3repE0EEENS1_47radix_sort_onesweep_sort_config_static_selectorELNS0_4arch9wavefront6targetE0EEEvSI_, .Lfunc_end836-_ZN7rocprim17ROCPRIM_400000_NS6detail17trampoline_kernelINS0_14default_configENS1_35radix_sort_onesweep_config_selectorIiiEEZZNS1_29radix_sort_onesweep_iterationIS3_Lb0EN6thrust23THRUST_200600_302600_NS6detail15normal_iteratorINS8_10device_ptrIiEEEESD_SD_SD_jNS0_19identity_decomposerENS1_16block_id_wrapperIjLb1EEEEE10hipError_tT1_PNSt15iterator_traitsISI_E10value_typeET2_T3_PNSJ_ISO_E10value_typeET4_T5_PST_SU_PNS1_23onesweep_lookback_stateEbbT6_jjT7_P12ihipStream_tbENKUlT_T0_SI_SN_E_clISD_PiSD_S15_EEDaS11_S12_SI_SN_EUlS11_E_NS1_11comp_targetILNS1_3genE3ELNS1_11target_archE908ELNS1_3gpuE7ELNS1_3repE0EEENS1_47radix_sort_onesweep_sort_config_static_selectorELNS0_4arch9wavefront6targetE0EEEvSI_
                                        ; -- End function
	.set _ZN7rocprim17ROCPRIM_400000_NS6detail17trampoline_kernelINS0_14default_configENS1_35radix_sort_onesweep_config_selectorIiiEEZZNS1_29radix_sort_onesweep_iterationIS3_Lb0EN6thrust23THRUST_200600_302600_NS6detail15normal_iteratorINS8_10device_ptrIiEEEESD_SD_SD_jNS0_19identity_decomposerENS1_16block_id_wrapperIjLb1EEEEE10hipError_tT1_PNSt15iterator_traitsISI_E10value_typeET2_T3_PNSJ_ISO_E10value_typeET4_T5_PST_SU_PNS1_23onesweep_lookback_stateEbbT6_jjT7_P12ihipStream_tbENKUlT_T0_SI_SN_E_clISD_PiSD_S15_EEDaS11_S12_SI_SN_EUlS11_E_NS1_11comp_targetILNS1_3genE3ELNS1_11target_archE908ELNS1_3gpuE7ELNS1_3repE0EEENS1_47radix_sort_onesweep_sort_config_static_selectorELNS0_4arch9wavefront6targetE0EEEvSI_.num_vgpr, 0
	.set _ZN7rocprim17ROCPRIM_400000_NS6detail17trampoline_kernelINS0_14default_configENS1_35radix_sort_onesweep_config_selectorIiiEEZZNS1_29radix_sort_onesweep_iterationIS3_Lb0EN6thrust23THRUST_200600_302600_NS6detail15normal_iteratorINS8_10device_ptrIiEEEESD_SD_SD_jNS0_19identity_decomposerENS1_16block_id_wrapperIjLb1EEEEE10hipError_tT1_PNSt15iterator_traitsISI_E10value_typeET2_T3_PNSJ_ISO_E10value_typeET4_T5_PST_SU_PNS1_23onesweep_lookback_stateEbbT6_jjT7_P12ihipStream_tbENKUlT_T0_SI_SN_E_clISD_PiSD_S15_EEDaS11_S12_SI_SN_EUlS11_E_NS1_11comp_targetILNS1_3genE3ELNS1_11target_archE908ELNS1_3gpuE7ELNS1_3repE0EEENS1_47radix_sort_onesweep_sort_config_static_selectorELNS0_4arch9wavefront6targetE0EEEvSI_.num_agpr, 0
	.set _ZN7rocprim17ROCPRIM_400000_NS6detail17trampoline_kernelINS0_14default_configENS1_35radix_sort_onesweep_config_selectorIiiEEZZNS1_29radix_sort_onesweep_iterationIS3_Lb0EN6thrust23THRUST_200600_302600_NS6detail15normal_iteratorINS8_10device_ptrIiEEEESD_SD_SD_jNS0_19identity_decomposerENS1_16block_id_wrapperIjLb1EEEEE10hipError_tT1_PNSt15iterator_traitsISI_E10value_typeET2_T3_PNSJ_ISO_E10value_typeET4_T5_PST_SU_PNS1_23onesweep_lookback_stateEbbT6_jjT7_P12ihipStream_tbENKUlT_T0_SI_SN_E_clISD_PiSD_S15_EEDaS11_S12_SI_SN_EUlS11_E_NS1_11comp_targetILNS1_3genE3ELNS1_11target_archE908ELNS1_3gpuE7ELNS1_3repE0EEENS1_47radix_sort_onesweep_sort_config_static_selectorELNS0_4arch9wavefront6targetE0EEEvSI_.numbered_sgpr, 0
	.set _ZN7rocprim17ROCPRIM_400000_NS6detail17trampoline_kernelINS0_14default_configENS1_35radix_sort_onesweep_config_selectorIiiEEZZNS1_29radix_sort_onesweep_iterationIS3_Lb0EN6thrust23THRUST_200600_302600_NS6detail15normal_iteratorINS8_10device_ptrIiEEEESD_SD_SD_jNS0_19identity_decomposerENS1_16block_id_wrapperIjLb1EEEEE10hipError_tT1_PNSt15iterator_traitsISI_E10value_typeET2_T3_PNSJ_ISO_E10value_typeET4_T5_PST_SU_PNS1_23onesweep_lookback_stateEbbT6_jjT7_P12ihipStream_tbENKUlT_T0_SI_SN_E_clISD_PiSD_S15_EEDaS11_S12_SI_SN_EUlS11_E_NS1_11comp_targetILNS1_3genE3ELNS1_11target_archE908ELNS1_3gpuE7ELNS1_3repE0EEENS1_47radix_sort_onesweep_sort_config_static_selectorELNS0_4arch9wavefront6targetE0EEEvSI_.num_named_barrier, 0
	.set _ZN7rocprim17ROCPRIM_400000_NS6detail17trampoline_kernelINS0_14default_configENS1_35radix_sort_onesweep_config_selectorIiiEEZZNS1_29radix_sort_onesweep_iterationIS3_Lb0EN6thrust23THRUST_200600_302600_NS6detail15normal_iteratorINS8_10device_ptrIiEEEESD_SD_SD_jNS0_19identity_decomposerENS1_16block_id_wrapperIjLb1EEEEE10hipError_tT1_PNSt15iterator_traitsISI_E10value_typeET2_T3_PNSJ_ISO_E10value_typeET4_T5_PST_SU_PNS1_23onesweep_lookback_stateEbbT6_jjT7_P12ihipStream_tbENKUlT_T0_SI_SN_E_clISD_PiSD_S15_EEDaS11_S12_SI_SN_EUlS11_E_NS1_11comp_targetILNS1_3genE3ELNS1_11target_archE908ELNS1_3gpuE7ELNS1_3repE0EEENS1_47radix_sort_onesweep_sort_config_static_selectorELNS0_4arch9wavefront6targetE0EEEvSI_.private_seg_size, 0
	.set _ZN7rocprim17ROCPRIM_400000_NS6detail17trampoline_kernelINS0_14default_configENS1_35radix_sort_onesweep_config_selectorIiiEEZZNS1_29radix_sort_onesweep_iterationIS3_Lb0EN6thrust23THRUST_200600_302600_NS6detail15normal_iteratorINS8_10device_ptrIiEEEESD_SD_SD_jNS0_19identity_decomposerENS1_16block_id_wrapperIjLb1EEEEE10hipError_tT1_PNSt15iterator_traitsISI_E10value_typeET2_T3_PNSJ_ISO_E10value_typeET4_T5_PST_SU_PNS1_23onesweep_lookback_stateEbbT6_jjT7_P12ihipStream_tbENKUlT_T0_SI_SN_E_clISD_PiSD_S15_EEDaS11_S12_SI_SN_EUlS11_E_NS1_11comp_targetILNS1_3genE3ELNS1_11target_archE908ELNS1_3gpuE7ELNS1_3repE0EEENS1_47radix_sort_onesweep_sort_config_static_selectorELNS0_4arch9wavefront6targetE0EEEvSI_.uses_vcc, 0
	.set _ZN7rocprim17ROCPRIM_400000_NS6detail17trampoline_kernelINS0_14default_configENS1_35radix_sort_onesweep_config_selectorIiiEEZZNS1_29radix_sort_onesweep_iterationIS3_Lb0EN6thrust23THRUST_200600_302600_NS6detail15normal_iteratorINS8_10device_ptrIiEEEESD_SD_SD_jNS0_19identity_decomposerENS1_16block_id_wrapperIjLb1EEEEE10hipError_tT1_PNSt15iterator_traitsISI_E10value_typeET2_T3_PNSJ_ISO_E10value_typeET4_T5_PST_SU_PNS1_23onesweep_lookback_stateEbbT6_jjT7_P12ihipStream_tbENKUlT_T0_SI_SN_E_clISD_PiSD_S15_EEDaS11_S12_SI_SN_EUlS11_E_NS1_11comp_targetILNS1_3genE3ELNS1_11target_archE908ELNS1_3gpuE7ELNS1_3repE0EEENS1_47radix_sort_onesweep_sort_config_static_selectorELNS0_4arch9wavefront6targetE0EEEvSI_.uses_flat_scratch, 0
	.set _ZN7rocprim17ROCPRIM_400000_NS6detail17trampoline_kernelINS0_14default_configENS1_35radix_sort_onesweep_config_selectorIiiEEZZNS1_29radix_sort_onesweep_iterationIS3_Lb0EN6thrust23THRUST_200600_302600_NS6detail15normal_iteratorINS8_10device_ptrIiEEEESD_SD_SD_jNS0_19identity_decomposerENS1_16block_id_wrapperIjLb1EEEEE10hipError_tT1_PNSt15iterator_traitsISI_E10value_typeET2_T3_PNSJ_ISO_E10value_typeET4_T5_PST_SU_PNS1_23onesweep_lookback_stateEbbT6_jjT7_P12ihipStream_tbENKUlT_T0_SI_SN_E_clISD_PiSD_S15_EEDaS11_S12_SI_SN_EUlS11_E_NS1_11comp_targetILNS1_3genE3ELNS1_11target_archE908ELNS1_3gpuE7ELNS1_3repE0EEENS1_47radix_sort_onesweep_sort_config_static_selectorELNS0_4arch9wavefront6targetE0EEEvSI_.has_dyn_sized_stack, 0
	.set _ZN7rocprim17ROCPRIM_400000_NS6detail17trampoline_kernelINS0_14default_configENS1_35radix_sort_onesweep_config_selectorIiiEEZZNS1_29radix_sort_onesweep_iterationIS3_Lb0EN6thrust23THRUST_200600_302600_NS6detail15normal_iteratorINS8_10device_ptrIiEEEESD_SD_SD_jNS0_19identity_decomposerENS1_16block_id_wrapperIjLb1EEEEE10hipError_tT1_PNSt15iterator_traitsISI_E10value_typeET2_T3_PNSJ_ISO_E10value_typeET4_T5_PST_SU_PNS1_23onesweep_lookback_stateEbbT6_jjT7_P12ihipStream_tbENKUlT_T0_SI_SN_E_clISD_PiSD_S15_EEDaS11_S12_SI_SN_EUlS11_E_NS1_11comp_targetILNS1_3genE3ELNS1_11target_archE908ELNS1_3gpuE7ELNS1_3repE0EEENS1_47radix_sort_onesweep_sort_config_static_selectorELNS0_4arch9wavefront6targetE0EEEvSI_.has_recursion, 0
	.set _ZN7rocprim17ROCPRIM_400000_NS6detail17trampoline_kernelINS0_14default_configENS1_35radix_sort_onesweep_config_selectorIiiEEZZNS1_29radix_sort_onesweep_iterationIS3_Lb0EN6thrust23THRUST_200600_302600_NS6detail15normal_iteratorINS8_10device_ptrIiEEEESD_SD_SD_jNS0_19identity_decomposerENS1_16block_id_wrapperIjLb1EEEEE10hipError_tT1_PNSt15iterator_traitsISI_E10value_typeET2_T3_PNSJ_ISO_E10value_typeET4_T5_PST_SU_PNS1_23onesweep_lookback_stateEbbT6_jjT7_P12ihipStream_tbENKUlT_T0_SI_SN_E_clISD_PiSD_S15_EEDaS11_S12_SI_SN_EUlS11_E_NS1_11comp_targetILNS1_3genE3ELNS1_11target_archE908ELNS1_3gpuE7ELNS1_3repE0EEENS1_47radix_sort_onesweep_sort_config_static_selectorELNS0_4arch9wavefront6targetE0EEEvSI_.has_indirect_call, 0
	.section	.AMDGPU.csdata,"",@progbits
; Kernel info:
; codeLenInByte = 0
; TotalNumSgprs: 0
; NumVgprs: 0
; ScratchSize: 0
; MemoryBound: 0
; FloatMode: 240
; IeeeMode: 1
; LDSByteSize: 0 bytes/workgroup (compile time only)
; SGPRBlocks: 0
; VGPRBlocks: 0
; NumSGPRsForWavesPerEU: 1
; NumVGPRsForWavesPerEU: 1
; Occupancy: 16
; WaveLimiterHint : 0
; COMPUTE_PGM_RSRC2:SCRATCH_EN: 0
; COMPUTE_PGM_RSRC2:USER_SGPR: 6
; COMPUTE_PGM_RSRC2:TRAP_HANDLER: 0
; COMPUTE_PGM_RSRC2:TGID_X_EN: 1
; COMPUTE_PGM_RSRC2:TGID_Y_EN: 0
; COMPUTE_PGM_RSRC2:TGID_Z_EN: 0
; COMPUTE_PGM_RSRC2:TIDIG_COMP_CNT: 0
	.section	.text._ZN7rocprim17ROCPRIM_400000_NS6detail17trampoline_kernelINS0_14default_configENS1_35radix_sort_onesweep_config_selectorIiiEEZZNS1_29radix_sort_onesweep_iterationIS3_Lb0EN6thrust23THRUST_200600_302600_NS6detail15normal_iteratorINS8_10device_ptrIiEEEESD_SD_SD_jNS0_19identity_decomposerENS1_16block_id_wrapperIjLb1EEEEE10hipError_tT1_PNSt15iterator_traitsISI_E10value_typeET2_T3_PNSJ_ISO_E10value_typeET4_T5_PST_SU_PNS1_23onesweep_lookback_stateEbbT6_jjT7_P12ihipStream_tbENKUlT_T0_SI_SN_E_clISD_PiSD_S15_EEDaS11_S12_SI_SN_EUlS11_E_NS1_11comp_targetILNS1_3genE10ELNS1_11target_archE1201ELNS1_3gpuE5ELNS1_3repE0EEENS1_47radix_sort_onesweep_sort_config_static_selectorELNS0_4arch9wavefront6targetE0EEEvSI_,"axG",@progbits,_ZN7rocprim17ROCPRIM_400000_NS6detail17trampoline_kernelINS0_14default_configENS1_35radix_sort_onesweep_config_selectorIiiEEZZNS1_29radix_sort_onesweep_iterationIS3_Lb0EN6thrust23THRUST_200600_302600_NS6detail15normal_iteratorINS8_10device_ptrIiEEEESD_SD_SD_jNS0_19identity_decomposerENS1_16block_id_wrapperIjLb1EEEEE10hipError_tT1_PNSt15iterator_traitsISI_E10value_typeET2_T3_PNSJ_ISO_E10value_typeET4_T5_PST_SU_PNS1_23onesweep_lookback_stateEbbT6_jjT7_P12ihipStream_tbENKUlT_T0_SI_SN_E_clISD_PiSD_S15_EEDaS11_S12_SI_SN_EUlS11_E_NS1_11comp_targetILNS1_3genE10ELNS1_11target_archE1201ELNS1_3gpuE5ELNS1_3repE0EEENS1_47radix_sort_onesweep_sort_config_static_selectorELNS0_4arch9wavefront6targetE0EEEvSI_,comdat
	.protected	_ZN7rocprim17ROCPRIM_400000_NS6detail17trampoline_kernelINS0_14default_configENS1_35radix_sort_onesweep_config_selectorIiiEEZZNS1_29radix_sort_onesweep_iterationIS3_Lb0EN6thrust23THRUST_200600_302600_NS6detail15normal_iteratorINS8_10device_ptrIiEEEESD_SD_SD_jNS0_19identity_decomposerENS1_16block_id_wrapperIjLb1EEEEE10hipError_tT1_PNSt15iterator_traitsISI_E10value_typeET2_T3_PNSJ_ISO_E10value_typeET4_T5_PST_SU_PNS1_23onesweep_lookback_stateEbbT6_jjT7_P12ihipStream_tbENKUlT_T0_SI_SN_E_clISD_PiSD_S15_EEDaS11_S12_SI_SN_EUlS11_E_NS1_11comp_targetILNS1_3genE10ELNS1_11target_archE1201ELNS1_3gpuE5ELNS1_3repE0EEENS1_47radix_sort_onesweep_sort_config_static_selectorELNS0_4arch9wavefront6targetE0EEEvSI_ ; -- Begin function _ZN7rocprim17ROCPRIM_400000_NS6detail17trampoline_kernelINS0_14default_configENS1_35radix_sort_onesweep_config_selectorIiiEEZZNS1_29radix_sort_onesweep_iterationIS3_Lb0EN6thrust23THRUST_200600_302600_NS6detail15normal_iteratorINS8_10device_ptrIiEEEESD_SD_SD_jNS0_19identity_decomposerENS1_16block_id_wrapperIjLb1EEEEE10hipError_tT1_PNSt15iterator_traitsISI_E10value_typeET2_T3_PNSJ_ISO_E10value_typeET4_T5_PST_SU_PNS1_23onesweep_lookback_stateEbbT6_jjT7_P12ihipStream_tbENKUlT_T0_SI_SN_E_clISD_PiSD_S15_EEDaS11_S12_SI_SN_EUlS11_E_NS1_11comp_targetILNS1_3genE10ELNS1_11target_archE1201ELNS1_3gpuE5ELNS1_3repE0EEENS1_47radix_sort_onesweep_sort_config_static_selectorELNS0_4arch9wavefront6targetE0EEEvSI_
	.globl	_ZN7rocprim17ROCPRIM_400000_NS6detail17trampoline_kernelINS0_14default_configENS1_35radix_sort_onesweep_config_selectorIiiEEZZNS1_29radix_sort_onesweep_iterationIS3_Lb0EN6thrust23THRUST_200600_302600_NS6detail15normal_iteratorINS8_10device_ptrIiEEEESD_SD_SD_jNS0_19identity_decomposerENS1_16block_id_wrapperIjLb1EEEEE10hipError_tT1_PNSt15iterator_traitsISI_E10value_typeET2_T3_PNSJ_ISO_E10value_typeET4_T5_PST_SU_PNS1_23onesweep_lookback_stateEbbT6_jjT7_P12ihipStream_tbENKUlT_T0_SI_SN_E_clISD_PiSD_S15_EEDaS11_S12_SI_SN_EUlS11_E_NS1_11comp_targetILNS1_3genE10ELNS1_11target_archE1201ELNS1_3gpuE5ELNS1_3repE0EEENS1_47radix_sort_onesweep_sort_config_static_selectorELNS0_4arch9wavefront6targetE0EEEvSI_
	.p2align	8
	.type	_ZN7rocprim17ROCPRIM_400000_NS6detail17trampoline_kernelINS0_14default_configENS1_35radix_sort_onesweep_config_selectorIiiEEZZNS1_29radix_sort_onesweep_iterationIS3_Lb0EN6thrust23THRUST_200600_302600_NS6detail15normal_iteratorINS8_10device_ptrIiEEEESD_SD_SD_jNS0_19identity_decomposerENS1_16block_id_wrapperIjLb1EEEEE10hipError_tT1_PNSt15iterator_traitsISI_E10value_typeET2_T3_PNSJ_ISO_E10value_typeET4_T5_PST_SU_PNS1_23onesweep_lookback_stateEbbT6_jjT7_P12ihipStream_tbENKUlT_T0_SI_SN_E_clISD_PiSD_S15_EEDaS11_S12_SI_SN_EUlS11_E_NS1_11comp_targetILNS1_3genE10ELNS1_11target_archE1201ELNS1_3gpuE5ELNS1_3repE0EEENS1_47radix_sort_onesweep_sort_config_static_selectorELNS0_4arch9wavefront6targetE0EEEvSI_,@function
_ZN7rocprim17ROCPRIM_400000_NS6detail17trampoline_kernelINS0_14default_configENS1_35radix_sort_onesweep_config_selectorIiiEEZZNS1_29radix_sort_onesweep_iterationIS3_Lb0EN6thrust23THRUST_200600_302600_NS6detail15normal_iteratorINS8_10device_ptrIiEEEESD_SD_SD_jNS0_19identity_decomposerENS1_16block_id_wrapperIjLb1EEEEE10hipError_tT1_PNSt15iterator_traitsISI_E10value_typeET2_T3_PNSJ_ISO_E10value_typeET4_T5_PST_SU_PNS1_23onesweep_lookback_stateEbbT6_jjT7_P12ihipStream_tbENKUlT_T0_SI_SN_E_clISD_PiSD_S15_EEDaS11_S12_SI_SN_EUlS11_E_NS1_11comp_targetILNS1_3genE10ELNS1_11target_archE1201ELNS1_3gpuE5ELNS1_3repE0EEENS1_47radix_sort_onesweep_sort_config_static_selectorELNS0_4arch9wavefront6targetE0EEEvSI_: ; @_ZN7rocprim17ROCPRIM_400000_NS6detail17trampoline_kernelINS0_14default_configENS1_35radix_sort_onesweep_config_selectorIiiEEZZNS1_29radix_sort_onesweep_iterationIS3_Lb0EN6thrust23THRUST_200600_302600_NS6detail15normal_iteratorINS8_10device_ptrIiEEEESD_SD_SD_jNS0_19identity_decomposerENS1_16block_id_wrapperIjLb1EEEEE10hipError_tT1_PNSt15iterator_traitsISI_E10value_typeET2_T3_PNSJ_ISO_E10value_typeET4_T5_PST_SU_PNS1_23onesweep_lookback_stateEbbT6_jjT7_P12ihipStream_tbENKUlT_T0_SI_SN_E_clISD_PiSD_S15_EEDaS11_S12_SI_SN_EUlS11_E_NS1_11comp_targetILNS1_3genE10ELNS1_11target_archE1201ELNS1_3gpuE5ELNS1_3repE0EEENS1_47radix_sort_onesweep_sort_config_static_selectorELNS0_4arch9wavefront6targetE0EEEvSI_
; %bb.0:
	.section	.rodata,"a",@progbits
	.p2align	6, 0x0
	.amdhsa_kernel _ZN7rocprim17ROCPRIM_400000_NS6detail17trampoline_kernelINS0_14default_configENS1_35radix_sort_onesweep_config_selectorIiiEEZZNS1_29radix_sort_onesweep_iterationIS3_Lb0EN6thrust23THRUST_200600_302600_NS6detail15normal_iteratorINS8_10device_ptrIiEEEESD_SD_SD_jNS0_19identity_decomposerENS1_16block_id_wrapperIjLb1EEEEE10hipError_tT1_PNSt15iterator_traitsISI_E10value_typeET2_T3_PNSJ_ISO_E10value_typeET4_T5_PST_SU_PNS1_23onesweep_lookback_stateEbbT6_jjT7_P12ihipStream_tbENKUlT_T0_SI_SN_E_clISD_PiSD_S15_EEDaS11_S12_SI_SN_EUlS11_E_NS1_11comp_targetILNS1_3genE10ELNS1_11target_archE1201ELNS1_3gpuE5ELNS1_3repE0EEENS1_47radix_sort_onesweep_sort_config_static_selectorELNS0_4arch9wavefront6targetE0EEEvSI_
		.amdhsa_group_segment_fixed_size 0
		.amdhsa_private_segment_fixed_size 0
		.amdhsa_kernarg_size 88
		.amdhsa_user_sgpr_count 6
		.amdhsa_user_sgpr_private_segment_buffer 1
		.amdhsa_user_sgpr_dispatch_ptr 0
		.amdhsa_user_sgpr_queue_ptr 0
		.amdhsa_user_sgpr_kernarg_segment_ptr 1
		.amdhsa_user_sgpr_dispatch_id 0
		.amdhsa_user_sgpr_flat_scratch_init 0
		.amdhsa_user_sgpr_private_segment_size 0
		.amdhsa_wavefront_size32 1
		.amdhsa_uses_dynamic_stack 0
		.amdhsa_system_sgpr_private_segment_wavefront_offset 0
		.amdhsa_system_sgpr_workgroup_id_x 1
		.amdhsa_system_sgpr_workgroup_id_y 0
		.amdhsa_system_sgpr_workgroup_id_z 0
		.amdhsa_system_sgpr_workgroup_info 0
		.amdhsa_system_vgpr_workitem_id 0
		.amdhsa_next_free_vgpr 1
		.amdhsa_next_free_sgpr 1
		.amdhsa_reserve_vcc 0
		.amdhsa_reserve_flat_scratch 0
		.amdhsa_float_round_mode_32 0
		.amdhsa_float_round_mode_16_64 0
		.amdhsa_float_denorm_mode_32 3
		.amdhsa_float_denorm_mode_16_64 3
		.amdhsa_dx10_clamp 1
		.amdhsa_ieee_mode 1
		.amdhsa_fp16_overflow 0
		.amdhsa_workgroup_processor_mode 1
		.amdhsa_memory_ordered 1
		.amdhsa_forward_progress 1
		.amdhsa_shared_vgpr_count 0
		.amdhsa_exception_fp_ieee_invalid_op 0
		.amdhsa_exception_fp_denorm_src 0
		.amdhsa_exception_fp_ieee_div_zero 0
		.amdhsa_exception_fp_ieee_overflow 0
		.amdhsa_exception_fp_ieee_underflow 0
		.amdhsa_exception_fp_ieee_inexact 0
		.amdhsa_exception_int_div_zero 0
	.end_amdhsa_kernel
	.section	.text._ZN7rocprim17ROCPRIM_400000_NS6detail17trampoline_kernelINS0_14default_configENS1_35radix_sort_onesweep_config_selectorIiiEEZZNS1_29radix_sort_onesweep_iterationIS3_Lb0EN6thrust23THRUST_200600_302600_NS6detail15normal_iteratorINS8_10device_ptrIiEEEESD_SD_SD_jNS0_19identity_decomposerENS1_16block_id_wrapperIjLb1EEEEE10hipError_tT1_PNSt15iterator_traitsISI_E10value_typeET2_T3_PNSJ_ISO_E10value_typeET4_T5_PST_SU_PNS1_23onesweep_lookback_stateEbbT6_jjT7_P12ihipStream_tbENKUlT_T0_SI_SN_E_clISD_PiSD_S15_EEDaS11_S12_SI_SN_EUlS11_E_NS1_11comp_targetILNS1_3genE10ELNS1_11target_archE1201ELNS1_3gpuE5ELNS1_3repE0EEENS1_47radix_sort_onesweep_sort_config_static_selectorELNS0_4arch9wavefront6targetE0EEEvSI_,"axG",@progbits,_ZN7rocprim17ROCPRIM_400000_NS6detail17trampoline_kernelINS0_14default_configENS1_35radix_sort_onesweep_config_selectorIiiEEZZNS1_29radix_sort_onesweep_iterationIS3_Lb0EN6thrust23THRUST_200600_302600_NS6detail15normal_iteratorINS8_10device_ptrIiEEEESD_SD_SD_jNS0_19identity_decomposerENS1_16block_id_wrapperIjLb1EEEEE10hipError_tT1_PNSt15iterator_traitsISI_E10value_typeET2_T3_PNSJ_ISO_E10value_typeET4_T5_PST_SU_PNS1_23onesweep_lookback_stateEbbT6_jjT7_P12ihipStream_tbENKUlT_T0_SI_SN_E_clISD_PiSD_S15_EEDaS11_S12_SI_SN_EUlS11_E_NS1_11comp_targetILNS1_3genE10ELNS1_11target_archE1201ELNS1_3gpuE5ELNS1_3repE0EEENS1_47radix_sort_onesweep_sort_config_static_selectorELNS0_4arch9wavefront6targetE0EEEvSI_,comdat
.Lfunc_end837:
	.size	_ZN7rocprim17ROCPRIM_400000_NS6detail17trampoline_kernelINS0_14default_configENS1_35radix_sort_onesweep_config_selectorIiiEEZZNS1_29radix_sort_onesweep_iterationIS3_Lb0EN6thrust23THRUST_200600_302600_NS6detail15normal_iteratorINS8_10device_ptrIiEEEESD_SD_SD_jNS0_19identity_decomposerENS1_16block_id_wrapperIjLb1EEEEE10hipError_tT1_PNSt15iterator_traitsISI_E10value_typeET2_T3_PNSJ_ISO_E10value_typeET4_T5_PST_SU_PNS1_23onesweep_lookback_stateEbbT6_jjT7_P12ihipStream_tbENKUlT_T0_SI_SN_E_clISD_PiSD_S15_EEDaS11_S12_SI_SN_EUlS11_E_NS1_11comp_targetILNS1_3genE10ELNS1_11target_archE1201ELNS1_3gpuE5ELNS1_3repE0EEENS1_47radix_sort_onesweep_sort_config_static_selectorELNS0_4arch9wavefront6targetE0EEEvSI_, .Lfunc_end837-_ZN7rocprim17ROCPRIM_400000_NS6detail17trampoline_kernelINS0_14default_configENS1_35radix_sort_onesweep_config_selectorIiiEEZZNS1_29radix_sort_onesweep_iterationIS3_Lb0EN6thrust23THRUST_200600_302600_NS6detail15normal_iteratorINS8_10device_ptrIiEEEESD_SD_SD_jNS0_19identity_decomposerENS1_16block_id_wrapperIjLb1EEEEE10hipError_tT1_PNSt15iterator_traitsISI_E10value_typeET2_T3_PNSJ_ISO_E10value_typeET4_T5_PST_SU_PNS1_23onesweep_lookback_stateEbbT6_jjT7_P12ihipStream_tbENKUlT_T0_SI_SN_E_clISD_PiSD_S15_EEDaS11_S12_SI_SN_EUlS11_E_NS1_11comp_targetILNS1_3genE10ELNS1_11target_archE1201ELNS1_3gpuE5ELNS1_3repE0EEENS1_47radix_sort_onesweep_sort_config_static_selectorELNS0_4arch9wavefront6targetE0EEEvSI_
                                        ; -- End function
	.set _ZN7rocprim17ROCPRIM_400000_NS6detail17trampoline_kernelINS0_14default_configENS1_35radix_sort_onesweep_config_selectorIiiEEZZNS1_29radix_sort_onesweep_iterationIS3_Lb0EN6thrust23THRUST_200600_302600_NS6detail15normal_iteratorINS8_10device_ptrIiEEEESD_SD_SD_jNS0_19identity_decomposerENS1_16block_id_wrapperIjLb1EEEEE10hipError_tT1_PNSt15iterator_traitsISI_E10value_typeET2_T3_PNSJ_ISO_E10value_typeET4_T5_PST_SU_PNS1_23onesweep_lookback_stateEbbT6_jjT7_P12ihipStream_tbENKUlT_T0_SI_SN_E_clISD_PiSD_S15_EEDaS11_S12_SI_SN_EUlS11_E_NS1_11comp_targetILNS1_3genE10ELNS1_11target_archE1201ELNS1_3gpuE5ELNS1_3repE0EEENS1_47radix_sort_onesweep_sort_config_static_selectorELNS0_4arch9wavefront6targetE0EEEvSI_.num_vgpr, 0
	.set _ZN7rocprim17ROCPRIM_400000_NS6detail17trampoline_kernelINS0_14default_configENS1_35radix_sort_onesweep_config_selectorIiiEEZZNS1_29radix_sort_onesweep_iterationIS3_Lb0EN6thrust23THRUST_200600_302600_NS6detail15normal_iteratorINS8_10device_ptrIiEEEESD_SD_SD_jNS0_19identity_decomposerENS1_16block_id_wrapperIjLb1EEEEE10hipError_tT1_PNSt15iterator_traitsISI_E10value_typeET2_T3_PNSJ_ISO_E10value_typeET4_T5_PST_SU_PNS1_23onesweep_lookback_stateEbbT6_jjT7_P12ihipStream_tbENKUlT_T0_SI_SN_E_clISD_PiSD_S15_EEDaS11_S12_SI_SN_EUlS11_E_NS1_11comp_targetILNS1_3genE10ELNS1_11target_archE1201ELNS1_3gpuE5ELNS1_3repE0EEENS1_47radix_sort_onesweep_sort_config_static_selectorELNS0_4arch9wavefront6targetE0EEEvSI_.num_agpr, 0
	.set _ZN7rocprim17ROCPRIM_400000_NS6detail17trampoline_kernelINS0_14default_configENS1_35radix_sort_onesweep_config_selectorIiiEEZZNS1_29radix_sort_onesweep_iterationIS3_Lb0EN6thrust23THRUST_200600_302600_NS6detail15normal_iteratorINS8_10device_ptrIiEEEESD_SD_SD_jNS0_19identity_decomposerENS1_16block_id_wrapperIjLb1EEEEE10hipError_tT1_PNSt15iterator_traitsISI_E10value_typeET2_T3_PNSJ_ISO_E10value_typeET4_T5_PST_SU_PNS1_23onesweep_lookback_stateEbbT6_jjT7_P12ihipStream_tbENKUlT_T0_SI_SN_E_clISD_PiSD_S15_EEDaS11_S12_SI_SN_EUlS11_E_NS1_11comp_targetILNS1_3genE10ELNS1_11target_archE1201ELNS1_3gpuE5ELNS1_3repE0EEENS1_47radix_sort_onesweep_sort_config_static_selectorELNS0_4arch9wavefront6targetE0EEEvSI_.numbered_sgpr, 0
	.set _ZN7rocprim17ROCPRIM_400000_NS6detail17trampoline_kernelINS0_14default_configENS1_35radix_sort_onesweep_config_selectorIiiEEZZNS1_29radix_sort_onesweep_iterationIS3_Lb0EN6thrust23THRUST_200600_302600_NS6detail15normal_iteratorINS8_10device_ptrIiEEEESD_SD_SD_jNS0_19identity_decomposerENS1_16block_id_wrapperIjLb1EEEEE10hipError_tT1_PNSt15iterator_traitsISI_E10value_typeET2_T3_PNSJ_ISO_E10value_typeET4_T5_PST_SU_PNS1_23onesweep_lookback_stateEbbT6_jjT7_P12ihipStream_tbENKUlT_T0_SI_SN_E_clISD_PiSD_S15_EEDaS11_S12_SI_SN_EUlS11_E_NS1_11comp_targetILNS1_3genE10ELNS1_11target_archE1201ELNS1_3gpuE5ELNS1_3repE0EEENS1_47radix_sort_onesweep_sort_config_static_selectorELNS0_4arch9wavefront6targetE0EEEvSI_.num_named_barrier, 0
	.set _ZN7rocprim17ROCPRIM_400000_NS6detail17trampoline_kernelINS0_14default_configENS1_35radix_sort_onesweep_config_selectorIiiEEZZNS1_29radix_sort_onesweep_iterationIS3_Lb0EN6thrust23THRUST_200600_302600_NS6detail15normal_iteratorINS8_10device_ptrIiEEEESD_SD_SD_jNS0_19identity_decomposerENS1_16block_id_wrapperIjLb1EEEEE10hipError_tT1_PNSt15iterator_traitsISI_E10value_typeET2_T3_PNSJ_ISO_E10value_typeET4_T5_PST_SU_PNS1_23onesweep_lookback_stateEbbT6_jjT7_P12ihipStream_tbENKUlT_T0_SI_SN_E_clISD_PiSD_S15_EEDaS11_S12_SI_SN_EUlS11_E_NS1_11comp_targetILNS1_3genE10ELNS1_11target_archE1201ELNS1_3gpuE5ELNS1_3repE0EEENS1_47radix_sort_onesweep_sort_config_static_selectorELNS0_4arch9wavefront6targetE0EEEvSI_.private_seg_size, 0
	.set _ZN7rocprim17ROCPRIM_400000_NS6detail17trampoline_kernelINS0_14default_configENS1_35radix_sort_onesweep_config_selectorIiiEEZZNS1_29radix_sort_onesweep_iterationIS3_Lb0EN6thrust23THRUST_200600_302600_NS6detail15normal_iteratorINS8_10device_ptrIiEEEESD_SD_SD_jNS0_19identity_decomposerENS1_16block_id_wrapperIjLb1EEEEE10hipError_tT1_PNSt15iterator_traitsISI_E10value_typeET2_T3_PNSJ_ISO_E10value_typeET4_T5_PST_SU_PNS1_23onesweep_lookback_stateEbbT6_jjT7_P12ihipStream_tbENKUlT_T0_SI_SN_E_clISD_PiSD_S15_EEDaS11_S12_SI_SN_EUlS11_E_NS1_11comp_targetILNS1_3genE10ELNS1_11target_archE1201ELNS1_3gpuE5ELNS1_3repE0EEENS1_47radix_sort_onesweep_sort_config_static_selectorELNS0_4arch9wavefront6targetE0EEEvSI_.uses_vcc, 0
	.set _ZN7rocprim17ROCPRIM_400000_NS6detail17trampoline_kernelINS0_14default_configENS1_35radix_sort_onesweep_config_selectorIiiEEZZNS1_29radix_sort_onesweep_iterationIS3_Lb0EN6thrust23THRUST_200600_302600_NS6detail15normal_iteratorINS8_10device_ptrIiEEEESD_SD_SD_jNS0_19identity_decomposerENS1_16block_id_wrapperIjLb1EEEEE10hipError_tT1_PNSt15iterator_traitsISI_E10value_typeET2_T3_PNSJ_ISO_E10value_typeET4_T5_PST_SU_PNS1_23onesweep_lookback_stateEbbT6_jjT7_P12ihipStream_tbENKUlT_T0_SI_SN_E_clISD_PiSD_S15_EEDaS11_S12_SI_SN_EUlS11_E_NS1_11comp_targetILNS1_3genE10ELNS1_11target_archE1201ELNS1_3gpuE5ELNS1_3repE0EEENS1_47radix_sort_onesweep_sort_config_static_selectorELNS0_4arch9wavefront6targetE0EEEvSI_.uses_flat_scratch, 0
	.set _ZN7rocprim17ROCPRIM_400000_NS6detail17trampoline_kernelINS0_14default_configENS1_35radix_sort_onesweep_config_selectorIiiEEZZNS1_29radix_sort_onesweep_iterationIS3_Lb0EN6thrust23THRUST_200600_302600_NS6detail15normal_iteratorINS8_10device_ptrIiEEEESD_SD_SD_jNS0_19identity_decomposerENS1_16block_id_wrapperIjLb1EEEEE10hipError_tT1_PNSt15iterator_traitsISI_E10value_typeET2_T3_PNSJ_ISO_E10value_typeET4_T5_PST_SU_PNS1_23onesweep_lookback_stateEbbT6_jjT7_P12ihipStream_tbENKUlT_T0_SI_SN_E_clISD_PiSD_S15_EEDaS11_S12_SI_SN_EUlS11_E_NS1_11comp_targetILNS1_3genE10ELNS1_11target_archE1201ELNS1_3gpuE5ELNS1_3repE0EEENS1_47radix_sort_onesweep_sort_config_static_selectorELNS0_4arch9wavefront6targetE0EEEvSI_.has_dyn_sized_stack, 0
	.set _ZN7rocprim17ROCPRIM_400000_NS6detail17trampoline_kernelINS0_14default_configENS1_35radix_sort_onesweep_config_selectorIiiEEZZNS1_29radix_sort_onesweep_iterationIS3_Lb0EN6thrust23THRUST_200600_302600_NS6detail15normal_iteratorINS8_10device_ptrIiEEEESD_SD_SD_jNS0_19identity_decomposerENS1_16block_id_wrapperIjLb1EEEEE10hipError_tT1_PNSt15iterator_traitsISI_E10value_typeET2_T3_PNSJ_ISO_E10value_typeET4_T5_PST_SU_PNS1_23onesweep_lookback_stateEbbT6_jjT7_P12ihipStream_tbENKUlT_T0_SI_SN_E_clISD_PiSD_S15_EEDaS11_S12_SI_SN_EUlS11_E_NS1_11comp_targetILNS1_3genE10ELNS1_11target_archE1201ELNS1_3gpuE5ELNS1_3repE0EEENS1_47radix_sort_onesweep_sort_config_static_selectorELNS0_4arch9wavefront6targetE0EEEvSI_.has_recursion, 0
	.set _ZN7rocprim17ROCPRIM_400000_NS6detail17trampoline_kernelINS0_14default_configENS1_35radix_sort_onesweep_config_selectorIiiEEZZNS1_29radix_sort_onesweep_iterationIS3_Lb0EN6thrust23THRUST_200600_302600_NS6detail15normal_iteratorINS8_10device_ptrIiEEEESD_SD_SD_jNS0_19identity_decomposerENS1_16block_id_wrapperIjLb1EEEEE10hipError_tT1_PNSt15iterator_traitsISI_E10value_typeET2_T3_PNSJ_ISO_E10value_typeET4_T5_PST_SU_PNS1_23onesweep_lookback_stateEbbT6_jjT7_P12ihipStream_tbENKUlT_T0_SI_SN_E_clISD_PiSD_S15_EEDaS11_S12_SI_SN_EUlS11_E_NS1_11comp_targetILNS1_3genE10ELNS1_11target_archE1201ELNS1_3gpuE5ELNS1_3repE0EEENS1_47radix_sort_onesweep_sort_config_static_selectorELNS0_4arch9wavefront6targetE0EEEvSI_.has_indirect_call, 0
	.section	.AMDGPU.csdata,"",@progbits
; Kernel info:
; codeLenInByte = 0
; TotalNumSgprs: 0
; NumVgprs: 0
; ScratchSize: 0
; MemoryBound: 0
; FloatMode: 240
; IeeeMode: 1
; LDSByteSize: 0 bytes/workgroup (compile time only)
; SGPRBlocks: 0
; VGPRBlocks: 0
; NumSGPRsForWavesPerEU: 1
; NumVGPRsForWavesPerEU: 1
; Occupancy: 16
; WaveLimiterHint : 0
; COMPUTE_PGM_RSRC2:SCRATCH_EN: 0
; COMPUTE_PGM_RSRC2:USER_SGPR: 6
; COMPUTE_PGM_RSRC2:TRAP_HANDLER: 0
; COMPUTE_PGM_RSRC2:TGID_X_EN: 1
; COMPUTE_PGM_RSRC2:TGID_Y_EN: 0
; COMPUTE_PGM_RSRC2:TGID_Z_EN: 0
; COMPUTE_PGM_RSRC2:TIDIG_COMP_CNT: 0
	.section	.text._ZN7rocprim17ROCPRIM_400000_NS6detail17trampoline_kernelINS0_14default_configENS1_35radix_sort_onesweep_config_selectorIiiEEZZNS1_29radix_sort_onesweep_iterationIS3_Lb0EN6thrust23THRUST_200600_302600_NS6detail15normal_iteratorINS8_10device_ptrIiEEEESD_SD_SD_jNS0_19identity_decomposerENS1_16block_id_wrapperIjLb1EEEEE10hipError_tT1_PNSt15iterator_traitsISI_E10value_typeET2_T3_PNSJ_ISO_E10value_typeET4_T5_PST_SU_PNS1_23onesweep_lookback_stateEbbT6_jjT7_P12ihipStream_tbENKUlT_T0_SI_SN_E_clISD_PiSD_S15_EEDaS11_S12_SI_SN_EUlS11_E_NS1_11comp_targetILNS1_3genE9ELNS1_11target_archE1100ELNS1_3gpuE3ELNS1_3repE0EEENS1_47radix_sort_onesweep_sort_config_static_selectorELNS0_4arch9wavefront6targetE0EEEvSI_,"axG",@progbits,_ZN7rocprim17ROCPRIM_400000_NS6detail17trampoline_kernelINS0_14default_configENS1_35radix_sort_onesweep_config_selectorIiiEEZZNS1_29radix_sort_onesweep_iterationIS3_Lb0EN6thrust23THRUST_200600_302600_NS6detail15normal_iteratorINS8_10device_ptrIiEEEESD_SD_SD_jNS0_19identity_decomposerENS1_16block_id_wrapperIjLb1EEEEE10hipError_tT1_PNSt15iterator_traitsISI_E10value_typeET2_T3_PNSJ_ISO_E10value_typeET4_T5_PST_SU_PNS1_23onesweep_lookback_stateEbbT6_jjT7_P12ihipStream_tbENKUlT_T0_SI_SN_E_clISD_PiSD_S15_EEDaS11_S12_SI_SN_EUlS11_E_NS1_11comp_targetILNS1_3genE9ELNS1_11target_archE1100ELNS1_3gpuE3ELNS1_3repE0EEENS1_47radix_sort_onesweep_sort_config_static_selectorELNS0_4arch9wavefront6targetE0EEEvSI_,comdat
	.protected	_ZN7rocprim17ROCPRIM_400000_NS6detail17trampoline_kernelINS0_14default_configENS1_35radix_sort_onesweep_config_selectorIiiEEZZNS1_29radix_sort_onesweep_iterationIS3_Lb0EN6thrust23THRUST_200600_302600_NS6detail15normal_iteratorINS8_10device_ptrIiEEEESD_SD_SD_jNS0_19identity_decomposerENS1_16block_id_wrapperIjLb1EEEEE10hipError_tT1_PNSt15iterator_traitsISI_E10value_typeET2_T3_PNSJ_ISO_E10value_typeET4_T5_PST_SU_PNS1_23onesweep_lookback_stateEbbT6_jjT7_P12ihipStream_tbENKUlT_T0_SI_SN_E_clISD_PiSD_S15_EEDaS11_S12_SI_SN_EUlS11_E_NS1_11comp_targetILNS1_3genE9ELNS1_11target_archE1100ELNS1_3gpuE3ELNS1_3repE0EEENS1_47radix_sort_onesweep_sort_config_static_selectorELNS0_4arch9wavefront6targetE0EEEvSI_ ; -- Begin function _ZN7rocprim17ROCPRIM_400000_NS6detail17trampoline_kernelINS0_14default_configENS1_35radix_sort_onesweep_config_selectorIiiEEZZNS1_29radix_sort_onesweep_iterationIS3_Lb0EN6thrust23THRUST_200600_302600_NS6detail15normal_iteratorINS8_10device_ptrIiEEEESD_SD_SD_jNS0_19identity_decomposerENS1_16block_id_wrapperIjLb1EEEEE10hipError_tT1_PNSt15iterator_traitsISI_E10value_typeET2_T3_PNSJ_ISO_E10value_typeET4_T5_PST_SU_PNS1_23onesweep_lookback_stateEbbT6_jjT7_P12ihipStream_tbENKUlT_T0_SI_SN_E_clISD_PiSD_S15_EEDaS11_S12_SI_SN_EUlS11_E_NS1_11comp_targetILNS1_3genE9ELNS1_11target_archE1100ELNS1_3gpuE3ELNS1_3repE0EEENS1_47radix_sort_onesweep_sort_config_static_selectorELNS0_4arch9wavefront6targetE0EEEvSI_
	.globl	_ZN7rocprim17ROCPRIM_400000_NS6detail17trampoline_kernelINS0_14default_configENS1_35radix_sort_onesweep_config_selectorIiiEEZZNS1_29radix_sort_onesweep_iterationIS3_Lb0EN6thrust23THRUST_200600_302600_NS6detail15normal_iteratorINS8_10device_ptrIiEEEESD_SD_SD_jNS0_19identity_decomposerENS1_16block_id_wrapperIjLb1EEEEE10hipError_tT1_PNSt15iterator_traitsISI_E10value_typeET2_T3_PNSJ_ISO_E10value_typeET4_T5_PST_SU_PNS1_23onesweep_lookback_stateEbbT6_jjT7_P12ihipStream_tbENKUlT_T0_SI_SN_E_clISD_PiSD_S15_EEDaS11_S12_SI_SN_EUlS11_E_NS1_11comp_targetILNS1_3genE9ELNS1_11target_archE1100ELNS1_3gpuE3ELNS1_3repE0EEENS1_47radix_sort_onesweep_sort_config_static_selectorELNS0_4arch9wavefront6targetE0EEEvSI_
	.p2align	8
	.type	_ZN7rocprim17ROCPRIM_400000_NS6detail17trampoline_kernelINS0_14default_configENS1_35radix_sort_onesweep_config_selectorIiiEEZZNS1_29radix_sort_onesweep_iterationIS3_Lb0EN6thrust23THRUST_200600_302600_NS6detail15normal_iteratorINS8_10device_ptrIiEEEESD_SD_SD_jNS0_19identity_decomposerENS1_16block_id_wrapperIjLb1EEEEE10hipError_tT1_PNSt15iterator_traitsISI_E10value_typeET2_T3_PNSJ_ISO_E10value_typeET4_T5_PST_SU_PNS1_23onesweep_lookback_stateEbbT6_jjT7_P12ihipStream_tbENKUlT_T0_SI_SN_E_clISD_PiSD_S15_EEDaS11_S12_SI_SN_EUlS11_E_NS1_11comp_targetILNS1_3genE9ELNS1_11target_archE1100ELNS1_3gpuE3ELNS1_3repE0EEENS1_47radix_sort_onesweep_sort_config_static_selectorELNS0_4arch9wavefront6targetE0EEEvSI_,@function
_ZN7rocprim17ROCPRIM_400000_NS6detail17trampoline_kernelINS0_14default_configENS1_35radix_sort_onesweep_config_selectorIiiEEZZNS1_29radix_sort_onesweep_iterationIS3_Lb0EN6thrust23THRUST_200600_302600_NS6detail15normal_iteratorINS8_10device_ptrIiEEEESD_SD_SD_jNS0_19identity_decomposerENS1_16block_id_wrapperIjLb1EEEEE10hipError_tT1_PNSt15iterator_traitsISI_E10value_typeET2_T3_PNSJ_ISO_E10value_typeET4_T5_PST_SU_PNS1_23onesweep_lookback_stateEbbT6_jjT7_P12ihipStream_tbENKUlT_T0_SI_SN_E_clISD_PiSD_S15_EEDaS11_S12_SI_SN_EUlS11_E_NS1_11comp_targetILNS1_3genE9ELNS1_11target_archE1100ELNS1_3gpuE3ELNS1_3repE0EEENS1_47radix_sort_onesweep_sort_config_static_selectorELNS0_4arch9wavefront6targetE0EEEvSI_: ; @_ZN7rocprim17ROCPRIM_400000_NS6detail17trampoline_kernelINS0_14default_configENS1_35radix_sort_onesweep_config_selectorIiiEEZZNS1_29radix_sort_onesweep_iterationIS3_Lb0EN6thrust23THRUST_200600_302600_NS6detail15normal_iteratorINS8_10device_ptrIiEEEESD_SD_SD_jNS0_19identity_decomposerENS1_16block_id_wrapperIjLb1EEEEE10hipError_tT1_PNSt15iterator_traitsISI_E10value_typeET2_T3_PNSJ_ISO_E10value_typeET4_T5_PST_SU_PNS1_23onesweep_lookback_stateEbbT6_jjT7_P12ihipStream_tbENKUlT_T0_SI_SN_E_clISD_PiSD_S15_EEDaS11_S12_SI_SN_EUlS11_E_NS1_11comp_targetILNS1_3genE9ELNS1_11target_archE1100ELNS1_3gpuE3ELNS1_3repE0EEENS1_47radix_sort_onesweep_sort_config_static_selectorELNS0_4arch9wavefront6targetE0EEEvSI_
; %bb.0:
	.section	.rodata,"a",@progbits
	.p2align	6, 0x0
	.amdhsa_kernel _ZN7rocprim17ROCPRIM_400000_NS6detail17trampoline_kernelINS0_14default_configENS1_35radix_sort_onesweep_config_selectorIiiEEZZNS1_29radix_sort_onesweep_iterationIS3_Lb0EN6thrust23THRUST_200600_302600_NS6detail15normal_iteratorINS8_10device_ptrIiEEEESD_SD_SD_jNS0_19identity_decomposerENS1_16block_id_wrapperIjLb1EEEEE10hipError_tT1_PNSt15iterator_traitsISI_E10value_typeET2_T3_PNSJ_ISO_E10value_typeET4_T5_PST_SU_PNS1_23onesweep_lookback_stateEbbT6_jjT7_P12ihipStream_tbENKUlT_T0_SI_SN_E_clISD_PiSD_S15_EEDaS11_S12_SI_SN_EUlS11_E_NS1_11comp_targetILNS1_3genE9ELNS1_11target_archE1100ELNS1_3gpuE3ELNS1_3repE0EEENS1_47radix_sort_onesweep_sort_config_static_selectorELNS0_4arch9wavefront6targetE0EEEvSI_
		.amdhsa_group_segment_fixed_size 0
		.amdhsa_private_segment_fixed_size 0
		.amdhsa_kernarg_size 88
		.amdhsa_user_sgpr_count 6
		.amdhsa_user_sgpr_private_segment_buffer 1
		.amdhsa_user_sgpr_dispatch_ptr 0
		.amdhsa_user_sgpr_queue_ptr 0
		.amdhsa_user_sgpr_kernarg_segment_ptr 1
		.amdhsa_user_sgpr_dispatch_id 0
		.amdhsa_user_sgpr_flat_scratch_init 0
		.amdhsa_user_sgpr_private_segment_size 0
		.amdhsa_wavefront_size32 1
		.amdhsa_uses_dynamic_stack 0
		.amdhsa_system_sgpr_private_segment_wavefront_offset 0
		.amdhsa_system_sgpr_workgroup_id_x 1
		.amdhsa_system_sgpr_workgroup_id_y 0
		.amdhsa_system_sgpr_workgroup_id_z 0
		.amdhsa_system_sgpr_workgroup_info 0
		.amdhsa_system_vgpr_workitem_id 0
		.amdhsa_next_free_vgpr 1
		.amdhsa_next_free_sgpr 1
		.amdhsa_reserve_vcc 0
		.amdhsa_reserve_flat_scratch 0
		.amdhsa_float_round_mode_32 0
		.amdhsa_float_round_mode_16_64 0
		.amdhsa_float_denorm_mode_32 3
		.amdhsa_float_denorm_mode_16_64 3
		.amdhsa_dx10_clamp 1
		.amdhsa_ieee_mode 1
		.amdhsa_fp16_overflow 0
		.amdhsa_workgroup_processor_mode 1
		.amdhsa_memory_ordered 1
		.amdhsa_forward_progress 1
		.amdhsa_shared_vgpr_count 0
		.amdhsa_exception_fp_ieee_invalid_op 0
		.amdhsa_exception_fp_denorm_src 0
		.amdhsa_exception_fp_ieee_div_zero 0
		.amdhsa_exception_fp_ieee_overflow 0
		.amdhsa_exception_fp_ieee_underflow 0
		.amdhsa_exception_fp_ieee_inexact 0
		.amdhsa_exception_int_div_zero 0
	.end_amdhsa_kernel
	.section	.text._ZN7rocprim17ROCPRIM_400000_NS6detail17trampoline_kernelINS0_14default_configENS1_35radix_sort_onesweep_config_selectorIiiEEZZNS1_29radix_sort_onesweep_iterationIS3_Lb0EN6thrust23THRUST_200600_302600_NS6detail15normal_iteratorINS8_10device_ptrIiEEEESD_SD_SD_jNS0_19identity_decomposerENS1_16block_id_wrapperIjLb1EEEEE10hipError_tT1_PNSt15iterator_traitsISI_E10value_typeET2_T3_PNSJ_ISO_E10value_typeET4_T5_PST_SU_PNS1_23onesweep_lookback_stateEbbT6_jjT7_P12ihipStream_tbENKUlT_T0_SI_SN_E_clISD_PiSD_S15_EEDaS11_S12_SI_SN_EUlS11_E_NS1_11comp_targetILNS1_3genE9ELNS1_11target_archE1100ELNS1_3gpuE3ELNS1_3repE0EEENS1_47radix_sort_onesweep_sort_config_static_selectorELNS0_4arch9wavefront6targetE0EEEvSI_,"axG",@progbits,_ZN7rocprim17ROCPRIM_400000_NS6detail17trampoline_kernelINS0_14default_configENS1_35radix_sort_onesweep_config_selectorIiiEEZZNS1_29radix_sort_onesweep_iterationIS3_Lb0EN6thrust23THRUST_200600_302600_NS6detail15normal_iteratorINS8_10device_ptrIiEEEESD_SD_SD_jNS0_19identity_decomposerENS1_16block_id_wrapperIjLb1EEEEE10hipError_tT1_PNSt15iterator_traitsISI_E10value_typeET2_T3_PNSJ_ISO_E10value_typeET4_T5_PST_SU_PNS1_23onesweep_lookback_stateEbbT6_jjT7_P12ihipStream_tbENKUlT_T0_SI_SN_E_clISD_PiSD_S15_EEDaS11_S12_SI_SN_EUlS11_E_NS1_11comp_targetILNS1_3genE9ELNS1_11target_archE1100ELNS1_3gpuE3ELNS1_3repE0EEENS1_47radix_sort_onesweep_sort_config_static_selectorELNS0_4arch9wavefront6targetE0EEEvSI_,comdat
.Lfunc_end838:
	.size	_ZN7rocprim17ROCPRIM_400000_NS6detail17trampoline_kernelINS0_14default_configENS1_35radix_sort_onesweep_config_selectorIiiEEZZNS1_29radix_sort_onesweep_iterationIS3_Lb0EN6thrust23THRUST_200600_302600_NS6detail15normal_iteratorINS8_10device_ptrIiEEEESD_SD_SD_jNS0_19identity_decomposerENS1_16block_id_wrapperIjLb1EEEEE10hipError_tT1_PNSt15iterator_traitsISI_E10value_typeET2_T3_PNSJ_ISO_E10value_typeET4_T5_PST_SU_PNS1_23onesweep_lookback_stateEbbT6_jjT7_P12ihipStream_tbENKUlT_T0_SI_SN_E_clISD_PiSD_S15_EEDaS11_S12_SI_SN_EUlS11_E_NS1_11comp_targetILNS1_3genE9ELNS1_11target_archE1100ELNS1_3gpuE3ELNS1_3repE0EEENS1_47radix_sort_onesweep_sort_config_static_selectorELNS0_4arch9wavefront6targetE0EEEvSI_, .Lfunc_end838-_ZN7rocprim17ROCPRIM_400000_NS6detail17trampoline_kernelINS0_14default_configENS1_35radix_sort_onesweep_config_selectorIiiEEZZNS1_29radix_sort_onesweep_iterationIS3_Lb0EN6thrust23THRUST_200600_302600_NS6detail15normal_iteratorINS8_10device_ptrIiEEEESD_SD_SD_jNS0_19identity_decomposerENS1_16block_id_wrapperIjLb1EEEEE10hipError_tT1_PNSt15iterator_traitsISI_E10value_typeET2_T3_PNSJ_ISO_E10value_typeET4_T5_PST_SU_PNS1_23onesweep_lookback_stateEbbT6_jjT7_P12ihipStream_tbENKUlT_T0_SI_SN_E_clISD_PiSD_S15_EEDaS11_S12_SI_SN_EUlS11_E_NS1_11comp_targetILNS1_3genE9ELNS1_11target_archE1100ELNS1_3gpuE3ELNS1_3repE0EEENS1_47radix_sort_onesweep_sort_config_static_selectorELNS0_4arch9wavefront6targetE0EEEvSI_
                                        ; -- End function
	.set _ZN7rocprim17ROCPRIM_400000_NS6detail17trampoline_kernelINS0_14default_configENS1_35radix_sort_onesweep_config_selectorIiiEEZZNS1_29radix_sort_onesweep_iterationIS3_Lb0EN6thrust23THRUST_200600_302600_NS6detail15normal_iteratorINS8_10device_ptrIiEEEESD_SD_SD_jNS0_19identity_decomposerENS1_16block_id_wrapperIjLb1EEEEE10hipError_tT1_PNSt15iterator_traitsISI_E10value_typeET2_T3_PNSJ_ISO_E10value_typeET4_T5_PST_SU_PNS1_23onesweep_lookback_stateEbbT6_jjT7_P12ihipStream_tbENKUlT_T0_SI_SN_E_clISD_PiSD_S15_EEDaS11_S12_SI_SN_EUlS11_E_NS1_11comp_targetILNS1_3genE9ELNS1_11target_archE1100ELNS1_3gpuE3ELNS1_3repE0EEENS1_47radix_sort_onesweep_sort_config_static_selectorELNS0_4arch9wavefront6targetE0EEEvSI_.num_vgpr, 0
	.set _ZN7rocprim17ROCPRIM_400000_NS6detail17trampoline_kernelINS0_14default_configENS1_35radix_sort_onesweep_config_selectorIiiEEZZNS1_29radix_sort_onesweep_iterationIS3_Lb0EN6thrust23THRUST_200600_302600_NS6detail15normal_iteratorINS8_10device_ptrIiEEEESD_SD_SD_jNS0_19identity_decomposerENS1_16block_id_wrapperIjLb1EEEEE10hipError_tT1_PNSt15iterator_traitsISI_E10value_typeET2_T3_PNSJ_ISO_E10value_typeET4_T5_PST_SU_PNS1_23onesweep_lookback_stateEbbT6_jjT7_P12ihipStream_tbENKUlT_T0_SI_SN_E_clISD_PiSD_S15_EEDaS11_S12_SI_SN_EUlS11_E_NS1_11comp_targetILNS1_3genE9ELNS1_11target_archE1100ELNS1_3gpuE3ELNS1_3repE0EEENS1_47radix_sort_onesweep_sort_config_static_selectorELNS0_4arch9wavefront6targetE0EEEvSI_.num_agpr, 0
	.set _ZN7rocprim17ROCPRIM_400000_NS6detail17trampoline_kernelINS0_14default_configENS1_35radix_sort_onesweep_config_selectorIiiEEZZNS1_29radix_sort_onesweep_iterationIS3_Lb0EN6thrust23THRUST_200600_302600_NS6detail15normal_iteratorINS8_10device_ptrIiEEEESD_SD_SD_jNS0_19identity_decomposerENS1_16block_id_wrapperIjLb1EEEEE10hipError_tT1_PNSt15iterator_traitsISI_E10value_typeET2_T3_PNSJ_ISO_E10value_typeET4_T5_PST_SU_PNS1_23onesweep_lookback_stateEbbT6_jjT7_P12ihipStream_tbENKUlT_T0_SI_SN_E_clISD_PiSD_S15_EEDaS11_S12_SI_SN_EUlS11_E_NS1_11comp_targetILNS1_3genE9ELNS1_11target_archE1100ELNS1_3gpuE3ELNS1_3repE0EEENS1_47radix_sort_onesweep_sort_config_static_selectorELNS0_4arch9wavefront6targetE0EEEvSI_.numbered_sgpr, 0
	.set _ZN7rocprim17ROCPRIM_400000_NS6detail17trampoline_kernelINS0_14default_configENS1_35radix_sort_onesweep_config_selectorIiiEEZZNS1_29radix_sort_onesweep_iterationIS3_Lb0EN6thrust23THRUST_200600_302600_NS6detail15normal_iteratorINS8_10device_ptrIiEEEESD_SD_SD_jNS0_19identity_decomposerENS1_16block_id_wrapperIjLb1EEEEE10hipError_tT1_PNSt15iterator_traitsISI_E10value_typeET2_T3_PNSJ_ISO_E10value_typeET4_T5_PST_SU_PNS1_23onesweep_lookback_stateEbbT6_jjT7_P12ihipStream_tbENKUlT_T0_SI_SN_E_clISD_PiSD_S15_EEDaS11_S12_SI_SN_EUlS11_E_NS1_11comp_targetILNS1_3genE9ELNS1_11target_archE1100ELNS1_3gpuE3ELNS1_3repE0EEENS1_47radix_sort_onesweep_sort_config_static_selectorELNS0_4arch9wavefront6targetE0EEEvSI_.num_named_barrier, 0
	.set _ZN7rocprim17ROCPRIM_400000_NS6detail17trampoline_kernelINS0_14default_configENS1_35radix_sort_onesweep_config_selectorIiiEEZZNS1_29radix_sort_onesweep_iterationIS3_Lb0EN6thrust23THRUST_200600_302600_NS6detail15normal_iteratorINS8_10device_ptrIiEEEESD_SD_SD_jNS0_19identity_decomposerENS1_16block_id_wrapperIjLb1EEEEE10hipError_tT1_PNSt15iterator_traitsISI_E10value_typeET2_T3_PNSJ_ISO_E10value_typeET4_T5_PST_SU_PNS1_23onesweep_lookback_stateEbbT6_jjT7_P12ihipStream_tbENKUlT_T0_SI_SN_E_clISD_PiSD_S15_EEDaS11_S12_SI_SN_EUlS11_E_NS1_11comp_targetILNS1_3genE9ELNS1_11target_archE1100ELNS1_3gpuE3ELNS1_3repE0EEENS1_47radix_sort_onesweep_sort_config_static_selectorELNS0_4arch9wavefront6targetE0EEEvSI_.private_seg_size, 0
	.set _ZN7rocprim17ROCPRIM_400000_NS6detail17trampoline_kernelINS0_14default_configENS1_35radix_sort_onesweep_config_selectorIiiEEZZNS1_29radix_sort_onesweep_iterationIS3_Lb0EN6thrust23THRUST_200600_302600_NS6detail15normal_iteratorINS8_10device_ptrIiEEEESD_SD_SD_jNS0_19identity_decomposerENS1_16block_id_wrapperIjLb1EEEEE10hipError_tT1_PNSt15iterator_traitsISI_E10value_typeET2_T3_PNSJ_ISO_E10value_typeET4_T5_PST_SU_PNS1_23onesweep_lookback_stateEbbT6_jjT7_P12ihipStream_tbENKUlT_T0_SI_SN_E_clISD_PiSD_S15_EEDaS11_S12_SI_SN_EUlS11_E_NS1_11comp_targetILNS1_3genE9ELNS1_11target_archE1100ELNS1_3gpuE3ELNS1_3repE0EEENS1_47radix_sort_onesweep_sort_config_static_selectorELNS0_4arch9wavefront6targetE0EEEvSI_.uses_vcc, 0
	.set _ZN7rocprim17ROCPRIM_400000_NS6detail17trampoline_kernelINS0_14default_configENS1_35radix_sort_onesweep_config_selectorIiiEEZZNS1_29radix_sort_onesweep_iterationIS3_Lb0EN6thrust23THRUST_200600_302600_NS6detail15normal_iteratorINS8_10device_ptrIiEEEESD_SD_SD_jNS0_19identity_decomposerENS1_16block_id_wrapperIjLb1EEEEE10hipError_tT1_PNSt15iterator_traitsISI_E10value_typeET2_T3_PNSJ_ISO_E10value_typeET4_T5_PST_SU_PNS1_23onesweep_lookback_stateEbbT6_jjT7_P12ihipStream_tbENKUlT_T0_SI_SN_E_clISD_PiSD_S15_EEDaS11_S12_SI_SN_EUlS11_E_NS1_11comp_targetILNS1_3genE9ELNS1_11target_archE1100ELNS1_3gpuE3ELNS1_3repE0EEENS1_47radix_sort_onesweep_sort_config_static_selectorELNS0_4arch9wavefront6targetE0EEEvSI_.uses_flat_scratch, 0
	.set _ZN7rocprim17ROCPRIM_400000_NS6detail17trampoline_kernelINS0_14default_configENS1_35radix_sort_onesweep_config_selectorIiiEEZZNS1_29radix_sort_onesweep_iterationIS3_Lb0EN6thrust23THRUST_200600_302600_NS6detail15normal_iteratorINS8_10device_ptrIiEEEESD_SD_SD_jNS0_19identity_decomposerENS1_16block_id_wrapperIjLb1EEEEE10hipError_tT1_PNSt15iterator_traitsISI_E10value_typeET2_T3_PNSJ_ISO_E10value_typeET4_T5_PST_SU_PNS1_23onesweep_lookback_stateEbbT6_jjT7_P12ihipStream_tbENKUlT_T0_SI_SN_E_clISD_PiSD_S15_EEDaS11_S12_SI_SN_EUlS11_E_NS1_11comp_targetILNS1_3genE9ELNS1_11target_archE1100ELNS1_3gpuE3ELNS1_3repE0EEENS1_47radix_sort_onesweep_sort_config_static_selectorELNS0_4arch9wavefront6targetE0EEEvSI_.has_dyn_sized_stack, 0
	.set _ZN7rocprim17ROCPRIM_400000_NS6detail17trampoline_kernelINS0_14default_configENS1_35radix_sort_onesweep_config_selectorIiiEEZZNS1_29radix_sort_onesweep_iterationIS3_Lb0EN6thrust23THRUST_200600_302600_NS6detail15normal_iteratorINS8_10device_ptrIiEEEESD_SD_SD_jNS0_19identity_decomposerENS1_16block_id_wrapperIjLb1EEEEE10hipError_tT1_PNSt15iterator_traitsISI_E10value_typeET2_T3_PNSJ_ISO_E10value_typeET4_T5_PST_SU_PNS1_23onesweep_lookback_stateEbbT6_jjT7_P12ihipStream_tbENKUlT_T0_SI_SN_E_clISD_PiSD_S15_EEDaS11_S12_SI_SN_EUlS11_E_NS1_11comp_targetILNS1_3genE9ELNS1_11target_archE1100ELNS1_3gpuE3ELNS1_3repE0EEENS1_47radix_sort_onesweep_sort_config_static_selectorELNS0_4arch9wavefront6targetE0EEEvSI_.has_recursion, 0
	.set _ZN7rocprim17ROCPRIM_400000_NS6detail17trampoline_kernelINS0_14default_configENS1_35radix_sort_onesweep_config_selectorIiiEEZZNS1_29radix_sort_onesweep_iterationIS3_Lb0EN6thrust23THRUST_200600_302600_NS6detail15normal_iteratorINS8_10device_ptrIiEEEESD_SD_SD_jNS0_19identity_decomposerENS1_16block_id_wrapperIjLb1EEEEE10hipError_tT1_PNSt15iterator_traitsISI_E10value_typeET2_T3_PNSJ_ISO_E10value_typeET4_T5_PST_SU_PNS1_23onesweep_lookback_stateEbbT6_jjT7_P12ihipStream_tbENKUlT_T0_SI_SN_E_clISD_PiSD_S15_EEDaS11_S12_SI_SN_EUlS11_E_NS1_11comp_targetILNS1_3genE9ELNS1_11target_archE1100ELNS1_3gpuE3ELNS1_3repE0EEENS1_47radix_sort_onesweep_sort_config_static_selectorELNS0_4arch9wavefront6targetE0EEEvSI_.has_indirect_call, 0
	.section	.AMDGPU.csdata,"",@progbits
; Kernel info:
; codeLenInByte = 0
; TotalNumSgprs: 0
; NumVgprs: 0
; ScratchSize: 0
; MemoryBound: 0
; FloatMode: 240
; IeeeMode: 1
; LDSByteSize: 0 bytes/workgroup (compile time only)
; SGPRBlocks: 0
; VGPRBlocks: 0
; NumSGPRsForWavesPerEU: 1
; NumVGPRsForWavesPerEU: 1
; Occupancy: 16
; WaveLimiterHint : 0
; COMPUTE_PGM_RSRC2:SCRATCH_EN: 0
; COMPUTE_PGM_RSRC2:USER_SGPR: 6
; COMPUTE_PGM_RSRC2:TRAP_HANDLER: 0
; COMPUTE_PGM_RSRC2:TGID_X_EN: 1
; COMPUTE_PGM_RSRC2:TGID_Y_EN: 0
; COMPUTE_PGM_RSRC2:TGID_Z_EN: 0
; COMPUTE_PGM_RSRC2:TIDIG_COMP_CNT: 0
	.section	.text._ZN7rocprim17ROCPRIM_400000_NS6detail17trampoline_kernelINS0_14default_configENS1_35radix_sort_onesweep_config_selectorIiiEEZZNS1_29radix_sort_onesweep_iterationIS3_Lb0EN6thrust23THRUST_200600_302600_NS6detail15normal_iteratorINS8_10device_ptrIiEEEESD_SD_SD_jNS0_19identity_decomposerENS1_16block_id_wrapperIjLb1EEEEE10hipError_tT1_PNSt15iterator_traitsISI_E10value_typeET2_T3_PNSJ_ISO_E10value_typeET4_T5_PST_SU_PNS1_23onesweep_lookback_stateEbbT6_jjT7_P12ihipStream_tbENKUlT_T0_SI_SN_E_clISD_PiSD_S15_EEDaS11_S12_SI_SN_EUlS11_E_NS1_11comp_targetILNS1_3genE8ELNS1_11target_archE1030ELNS1_3gpuE2ELNS1_3repE0EEENS1_47radix_sort_onesweep_sort_config_static_selectorELNS0_4arch9wavefront6targetE0EEEvSI_,"axG",@progbits,_ZN7rocprim17ROCPRIM_400000_NS6detail17trampoline_kernelINS0_14default_configENS1_35radix_sort_onesweep_config_selectorIiiEEZZNS1_29radix_sort_onesweep_iterationIS3_Lb0EN6thrust23THRUST_200600_302600_NS6detail15normal_iteratorINS8_10device_ptrIiEEEESD_SD_SD_jNS0_19identity_decomposerENS1_16block_id_wrapperIjLb1EEEEE10hipError_tT1_PNSt15iterator_traitsISI_E10value_typeET2_T3_PNSJ_ISO_E10value_typeET4_T5_PST_SU_PNS1_23onesweep_lookback_stateEbbT6_jjT7_P12ihipStream_tbENKUlT_T0_SI_SN_E_clISD_PiSD_S15_EEDaS11_S12_SI_SN_EUlS11_E_NS1_11comp_targetILNS1_3genE8ELNS1_11target_archE1030ELNS1_3gpuE2ELNS1_3repE0EEENS1_47radix_sort_onesweep_sort_config_static_selectorELNS0_4arch9wavefront6targetE0EEEvSI_,comdat
	.protected	_ZN7rocprim17ROCPRIM_400000_NS6detail17trampoline_kernelINS0_14default_configENS1_35radix_sort_onesweep_config_selectorIiiEEZZNS1_29radix_sort_onesweep_iterationIS3_Lb0EN6thrust23THRUST_200600_302600_NS6detail15normal_iteratorINS8_10device_ptrIiEEEESD_SD_SD_jNS0_19identity_decomposerENS1_16block_id_wrapperIjLb1EEEEE10hipError_tT1_PNSt15iterator_traitsISI_E10value_typeET2_T3_PNSJ_ISO_E10value_typeET4_T5_PST_SU_PNS1_23onesweep_lookback_stateEbbT6_jjT7_P12ihipStream_tbENKUlT_T0_SI_SN_E_clISD_PiSD_S15_EEDaS11_S12_SI_SN_EUlS11_E_NS1_11comp_targetILNS1_3genE8ELNS1_11target_archE1030ELNS1_3gpuE2ELNS1_3repE0EEENS1_47radix_sort_onesweep_sort_config_static_selectorELNS0_4arch9wavefront6targetE0EEEvSI_ ; -- Begin function _ZN7rocprim17ROCPRIM_400000_NS6detail17trampoline_kernelINS0_14default_configENS1_35radix_sort_onesweep_config_selectorIiiEEZZNS1_29radix_sort_onesweep_iterationIS3_Lb0EN6thrust23THRUST_200600_302600_NS6detail15normal_iteratorINS8_10device_ptrIiEEEESD_SD_SD_jNS0_19identity_decomposerENS1_16block_id_wrapperIjLb1EEEEE10hipError_tT1_PNSt15iterator_traitsISI_E10value_typeET2_T3_PNSJ_ISO_E10value_typeET4_T5_PST_SU_PNS1_23onesweep_lookback_stateEbbT6_jjT7_P12ihipStream_tbENKUlT_T0_SI_SN_E_clISD_PiSD_S15_EEDaS11_S12_SI_SN_EUlS11_E_NS1_11comp_targetILNS1_3genE8ELNS1_11target_archE1030ELNS1_3gpuE2ELNS1_3repE0EEENS1_47radix_sort_onesweep_sort_config_static_selectorELNS0_4arch9wavefront6targetE0EEEvSI_
	.globl	_ZN7rocprim17ROCPRIM_400000_NS6detail17trampoline_kernelINS0_14default_configENS1_35radix_sort_onesweep_config_selectorIiiEEZZNS1_29radix_sort_onesweep_iterationIS3_Lb0EN6thrust23THRUST_200600_302600_NS6detail15normal_iteratorINS8_10device_ptrIiEEEESD_SD_SD_jNS0_19identity_decomposerENS1_16block_id_wrapperIjLb1EEEEE10hipError_tT1_PNSt15iterator_traitsISI_E10value_typeET2_T3_PNSJ_ISO_E10value_typeET4_T5_PST_SU_PNS1_23onesweep_lookback_stateEbbT6_jjT7_P12ihipStream_tbENKUlT_T0_SI_SN_E_clISD_PiSD_S15_EEDaS11_S12_SI_SN_EUlS11_E_NS1_11comp_targetILNS1_3genE8ELNS1_11target_archE1030ELNS1_3gpuE2ELNS1_3repE0EEENS1_47radix_sort_onesweep_sort_config_static_selectorELNS0_4arch9wavefront6targetE0EEEvSI_
	.p2align	8
	.type	_ZN7rocprim17ROCPRIM_400000_NS6detail17trampoline_kernelINS0_14default_configENS1_35radix_sort_onesweep_config_selectorIiiEEZZNS1_29radix_sort_onesweep_iterationIS3_Lb0EN6thrust23THRUST_200600_302600_NS6detail15normal_iteratorINS8_10device_ptrIiEEEESD_SD_SD_jNS0_19identity_decomposerENS1_16block_id_wrapperIjLb1EEEEE10hipError_tT1_PNSt15iterator_traitsISI_E10value_typeET2_T3_PNSJ_ISO_E10value_typeET4_T5_PST_SU_PNS1_23onesweep_lookback_stateEbbT6_jjT7_P12ihipStream_tbENKUlT_T0_SI_SN_E_clISD_PiSD_S15_EEDaS11_S12_SI_SN_EUlS11_E_NS1_11comp_targetILNS1_3genE8ELNS1_11target_archE1030ELNS1_3gpuE2ELNS1_3repE0EEENS1_47radix_sort_onesweep_sort_config_static_selectorELNS0_4arch9wavefront6targetE0EEEvSI_,@function
_ZN7rocprim17ROCPRIM_400000_NS6detail17trampoline_kernelINS0_14default_configENS1_35radix_sort_onesweep_config_selectorIiiEEZZNS1_29radix_sort_onesweep_iterationIS3_Lb0EN6thrust23THRUST_200600_302600_NS6detail15normal_iteratorINS8_10device_ptrIiEEEESD_SD_SD_jNS0_19identity_decomposerENS1_16block_id_wrapperIjLb1EEEEE10hipError_tT1_PNSt15iterator_traitsISI_E10value_typeET2_T3_PNSJ_ISO_E10value_typeET4_T5_PST_SU_PNS1_23onesweep_lookback_stateEbbT6_jjT7_P12ihipStream_tbENKUlT_T0_SI_SN_E_clISD_PiSD_S15_EEDaS11_S12_SI_SN_EUlS11_E_NS1_11comp_targetILNS1_3genE8ELNS1_11target_archE1030ELNS1_3gpuE2ELNS1_3repE0EEENS1_47radix_sort_onesweep_sort_config_static_selectorELNS0_4arch9wavefront6targetE0EEEvSI_: ; @_ZN7rocprim17ROCPRIM_400000_NS6detail17trampoline_kernelINS0_14default_configENS1_35radix_sort_onesweep_config_selectorIiiEEZZNS1_29radix_sort_onesweep_iterationIS3_Lb0EN6thrust23THRUST_200600_302600_NS6detail15normal_iteratorINS8_10device_ptrIiEEEESD_SD_SD_jNS0_19identity_decomposerENS1_16block_id_wrapperIjLb1EEEEE10hipError_tT1_PNSt15iterator_traitsISI_E10value_typeET2_T3_PNSJ_ISO_E10value_typeET4_T5_PST_SU_PNS1_23onesweep_lookback_stateEbbT6_jjT7_P12ihipStream_tbENKUlT_T0_SI_SN_E_clISD_PiSD_S15_EEDaS11_S12_SI_SN_EUlS11_E_NS1_11comp_targetILNS1_3genE8ELNS1_11target_archE1030ELNS1_3gpuE2ELNS1_3repE0EEENS1_47radix_sort_onesweep_sort_config_static_selectorELNS0_4arch9wavefront6targetE0EEEvSI_
; %bb.0:
	s_clause 0x2
	s_load_dwordx4 s[28:31], s[4:5], 0x28
	s_load_dwordx2 s[26:27], s[4:5], 0x38
	s_load_dwordx4 s[44:47], s[4:5], 0x44
	s_add_u32 s0, s0, s7
	v_cmp_eq_u32_e64 s7, 0, v0
	s_addc_u32 s1, s1, 0
	s_and_saveexec_b32 s8, s7
	s_cbranch_execz .LBB839_4
; %bb.1:
	s_mov_b32 s10, exec_lo
	s_mov_b32 s9, exec_lo
	v_mbcnt_lo_u32_b32 v3, s10, 0
                                        ; implicit-def: $vgpr4
	v_cmpx_eq_u32_e32 0, v3
	s_cbranch_execz .LBB839_3
; %bb.2:
	s_load_dwordx2 s[12:13], s[4:5], 0x50
	s_bcnt1_i32_b32 s10, s10
	v_mov_b32_e32 v4, 0
	v_mov_b32_e32 v5, s10
	s_waitcnt lgkmcnt(0)
	global_atomic_add v4, v4, v5, s[12:13] glc
.LBB839_3:
	s_or_b32 exec_lo, exec_lo, s9
	s_waitcnt vmcnt(0)
	v_readfirstlane_b32 s9, v4
	v_mov_b32_e32 v4, 0
	v_add_nc_u32_e32 v3, s9, v3
	ds_write_b32 v4, v3 offset:36992
.LBB839_4:
	s_or_b32 exec_lo, exec_lo, s8
	v_mov_b32_e32 v3, 0
	s_clause 0x1
	s_load_dwordx8 s[36:43], s[4:5], 0x0
	s_load_dword s8, s[4:5], 0x20
	s_waitcnt lgkmcnt(0)
	s_barrier
	buffer_gl0_inv
	ds_read_b32 v3, v3 offset:36992
	v_mbcnt_lo_u32_b32 v11, -1, 0
	v_and_b32_e32 v12, 0x3e0, v0
	s_mov_b32 s9, -1
	s_waitcnt lgkmcnt(0)
	s_barrier
	buffer_gl0_inv
	v_readfirstlane_b32 s33, v3
	v_cmp_le_u32_e32 vcc_lo, s46, v3
	s_mul_i32 s34, s33, 0x3000
	s_cbranch_vccz .LBB839_136
; %bb.5:
	s_mov_b32 s35, 0
	s_mul_i32 s48, s46, 0xffffd000
	v_mul_u32_u24_e32 v3, 12, v12
	v_lshlrev_b32_e32 v13, 2, v11
	s_lshl_b64 s[46:47], s[34:35], 2
	s_add_i32 s48, s48, s8
	s_add_u32 s8, s36, s46
	s_addc_u32 s9, s37, s47
	v_lshlrev_b32_e32 v14, 2, v3
	v_add_co_u32 v4, s8, s8, v13
	v_add_co_ci_u32_e64 v6, null, s9, 0, s8
	v_or_b32_e32 v5, v11, v3
	v_add_co_u32 v3, vcc_lo, v4, v14
	v_mov_b32_e32 v15, -1
	v_add_co_ci_u32_e64 v4, null, 0, v6, vcc_lo
	v_cmp_gt_u32_e64 s8, s48, v5
	v_mov_b32_e32 v16, -1
	s_and_saveexec_b32 s9, s8
	s_cbranch_execz .LBB839_7
; %bb.6:
	global_load_dword v6, v[3:4], off
	s_waitcnt vmcnt(0)
	v_xor_b32_e32 v16, 0x80000000, v6
.LBB839_7:
	s_or_b32 exec_lo, exec_lo, s9
	v_or_b32_e32 v6, 32, v5
	v_cmp_gt_u32_e64 s9, s48, v6
	s_and_saveexec_b32 s10, s9
	s_cbranch_execz .LBB839_9
; %bb.8:
	global_load_dword v6, v[3:4], off offset:128
	s_waitcnt vmcnt(0)
	v_xor_b32_e32 v15, 0x80000000, v6
.LBB839_9:
	s_or_b32 exec_lo, exec_lo, s10
	v_or_b32_e32 v6, 64, v5
	v_mov_b32_e32 v17, -1
	v_mov_b32_e32 v18, -1
	v_cmp_gt_u32_e64 s10, s48, v6
	s_and_saveexec_b32 s11, s10
	s_cbranch_execz .LBB839_11
; %bb.10:
	global_load_dword v6, v[3:4], off offset:256
	s_waitcnt vmcnt(0)
	v_xor_b32_e32 v18, 0x80000000, v6
.LBB839_11:
	s_or_b32 exec_lo, exec_lo, s11
	v_or_b32_e32 v6, 0x60, v5
	v_cmp_gt_u32_e64 s11, s48, v6
	s_and_saveexec_b32 s12, s11
	s_cbranch_execz .LBB839_13
; %bb.12:
	global_load_dword v6, v[3:4], off offset:384
	s_waitcnt vmcnt(0)
	v_xor_b32_e32 v17, 0x80000000, v6
.LBB839_13:
	s_or_b32 exec_lo, exec_lo, s12
	v_add_nc_u32_e32 v6, 0x80, v5
	v_mov_b32_e32 v19, -1
	v_mov_b32_e32 v20, -1
	v_cmp_gt_u32_e64 s12, s48, v6
	s_and_saveexec_b32 s13, s12
	s_cbranch_execz .LBB839_15
; %bb.14:
	global_load_dword v6, v[3:4], off offset:512
	s_waitcnt vmcnt(0)
	v_xor_b32_e32 v20, 0x80000000, v6
.LBB839_15:
	s_or_b32 exec_lo, exec_lo, s13
	v_add_nc_u32_e32 v6, 0xa0, v5
	v_cmp_gt_u32_e64 s13, s48, v6
	s_and_saveexec_b32 s14, s13
	s_cbranch_execz .LBB839_17
; %bb.16:
	global_load_dword v6, v[3:4], off offset:640
	s_waitcnt vmcnt(0)
	v_xor_b32_e32 v19, 0x80000000, v6
.LBB839_17:
	s_or_b32 exec_lo, exec_lo, s14
	v_add_nc_u32_e32 v6, 0xc0, v5
	v_mov_b32_e32 v21, -1
	v_mov_b32_e32 v22, -1
	v_cmp_gt_u32_e64 s14, s48, v6
	s_and_saveexec_b32 s15, s14
	s_cbranch_execz .LBB839_19
; %bb.18:
	global_load_dword v6, v[3:4], off offset:768
	s_waitcnt vmcnt(0)
	v_xor_b32_e32 v22, 0x80000000, v6
.LBB839_19:
	s_or_b32 exec_lo, exec_lo, s15
	v_add_nc_u32_e32 v6, 0xe0, v5
	;; [unrolled: 22-line block ×4, first 2 shown]
	v_cmp_gt_u32_e64 s19, s48, v5
	s_and_saveexec_b32 s20, s19
	s_cbranch_execz .LBB839_29
; %bb.28:
	global_load_dword v3, v[3:4], off offset:1408
	s_waitcnt vmcnt(0)
	v_xor_b32_e32 v25, 0x80000000, v3
.LBB839_29:
	s_or_b32 exec_lo, exec_lo, s20
	s_clause 0x1
	s_load_dword s20, s[4:5], 0x64
	s_load_dword s35, s[4:5], 0x58
	s_add_u32 s21, s4, 0x58
	s_addc_u32 s22, s5, 0
	v_mov_b32_e32 v5, 0
	v_lshrrev_b32_e32 v4, s44, v16
	s_waitcnt lgkmcnt(0)
	s_lshr_b32 s23, s20, 16
	s_cmp_lt_u32 s6, s35
	s_cselect_b32 s20, 12, 18
	s_add_u32 s20, s21, s20
	s_addc_u32 s21, s22, 0
	global_load_ushort v3, v5, s[20:21]
	s_lshl_b32 s20, -1, s45
	s_not_b32 s49, s20
	v_and_b32_e32 v6, s49, v4
	v_and_b32_e32 v4, 1, v6
	v_lshlrev_b32_e32 v7, 30, v6
	v_lshlrev_b32_e32 v8, 29, v6
	;; [unrolled: 1-line block ×4, first 2 shown]
	v_add_co_u32 v4, s20, v4, -1
	v_cndmask_b32_e64 v10, 0, 1, s20
	v_not_b32_e32 v30, v7
	v_cmp_gt_i32_e64 s20, 0, v7
	v_not_b32_e32 v7, v8
	v_lshlrev_b32_e32 v28, 26, v6
	v_cmp_ne_u32_e32 vcc_lo, 0, v10
	v_ashrrev_i32_e32 v30, 31, v30
	v_lshlrev_b32_e32 v29, 25, v6
	v_ashrrev_i32_e32 v7, 31, v7
	v_lshlrev_b32_e32 v10, 24, v6
	v_xor_b32_e32 v4, vcc_lo, v4
	v_cmp_gt_i32_e32 vcc_lo, 0, v8
	v_not_b32_e32 v8, v9
	v_xor_b32_e32 v30, s20, v30
	v_cmp_gt_i32_e64 s20, 0, v9
	v_and_b32_e32 v4, exec_lo, v4
	v_not_b32_e32 v9, v27
	v_ashrrev_i32_e32 v8, 31, v8
	v_xor_b32_e32 v7, vcc_lo, v7
	v_cmp_gt_i32_e32 vcc_lo, 0, v27
	v_and_b32_e32 v4, v4, v30
	v_not_b32_e32 v27, v28
	v_ashrrev_i32_e32 v9, 31, v9
	v_xor_b32_e32 v8, s20, v8
	v_cmp_gt_i32_e64 s20, 0, v28
	v_and_b32_e32 v4, v4, v7
	v_not_b32_e32 v7, v29
	v_ashrrev_i32_e32 v27, 31, v27
	v_xor_b32_e32 v9, vcc_lo, v9
	v_cmp_gt_i32_e32 vcc_lo, 0, v29
	v_and_b32_e32 v4, v4, v8
	v_not_b32_e32 v8, v10
	v_ashrrev_i32_e32 v7, 31, v7
	v_xor_b32_e32 v27, s20, v27
	v_cmp_gt_i32_e64 s20, 0, v10
	v_and_b32_e32 v4, v4, v9
	v_ashrrev_i32_e32 v8, 31, v8
	v_xor_b32_e32 v7, vcc_lo, v7
	v_mad_u32_u24 v9, v2, s23, v1
	v_mul_lo_u32 v6, 0x84, v6
	v_and_b32_e32 v4, v4, v27
	v_xor_b32_e32 v8, s20, v8
	v_mul_u32_u24_e32 v30, 36, v0
	ds_write2_b32 v30, v5, v5 offset0:32 offset1:33
	ds_write2_b32 v30, v5, v5 offset0:34 offset1:35
	;; [unrolled: 1-line block ×3, first 2 shown]
	v_and_b32_e32 v7, v4, v7
	ds_write2_b32 v30, v5, v5 offset0:38 offset1:39
	ds_write_b32 v30, v5 offset:160
	s_waitcnt vmcnt(0) lgkmcnt(0)
	s_barrier
	buffer_gl0_inv
	; wave barrier
	v_mad_u64_u32 v[3:4], null, v9, v3, v[0:1]
	v_and_b32_e32 v4, v7, v8
	v_mbcnt_lo_u32_b32 v27, v4, 0
	v_lshrrev_b32_e32 v3, 5, v3
	v_cmp_ne_u32_e64 s20, 0, v4
	v_cmp_eq_u32_e32 vcc_lo, 0, v27
	v_lshl_add_u32 v31, v3, 2, v6
	s_and_b32 s21, s20, vcc_lo
	s_and_saveexec_b32 s20, s21
; %bb.30:
	v_bcnt_u32_b32 v4, v4, 0
	ds_write_b32 v31, v4 offset:128
; %bb.31:
	s_or_b32 exec_lo, exec_lo, s20
	v_lshrrev_b32_e32 v4, s44, v15
	; wave barrier
	v_and_b32_e32 v4, s49, v4
	v_and_b32_e32 v6, 1, v4
	v_lshlrev_b32_e32 v7, 30, v4
	v_lshlrev_b32_e32 v8, 29, v4
	;; [unrolled: 1-line block ×4, first 2 shown]
	v_add_co_u32 v6, s20, v6, -1
	v_cndmask_b32_e64 v10, 0, 1, s20
	v_not_b32_e32 v33, v7
	v_cmp_gt_i32_e64 s20, 0, v7
	v_not_b32_e32 v7, v8
	v_lshlrev_b32_e32 v29, 26, v4
	v_cmp_ne_u32_e32 vcc_lo, 0, v10
	v_ashrrev_i32_e32 v10, 31, v33
	v_lshlrev_b32_e32 v32, 25, v4
	v_ashrrev_i32_e32 v7, 31, v7
	v_mul_lo_u32 v5, 0x84, v4
	v_xor_b32_e32 v6, vcc_lo, v6
	v_cmp_gt_i32_e32 vcc_lo, 0, v8
	v_not_b32_e32 v8, v9
	v_xor_b32_e32 v10, s20, v10
	v_cmp_gt_i32_e64 s20, 0, v9
	v_and_b32_e32 v6, exec_lo, v6
	v_not_b32_e32 v9, v28
	v_ashrrev_i32_e32 v8, 31, v8
	v_xor_b32_e32 v7, vcc_lo, v7
	v_cmp_gt_i32_e32 vcc_lo, 0, v28
	v_and_b32_e32 v6, v6, v10
	v_not_b32_e32 v10, v29
	v_ashrrev_i32_e32 v9, 31, v9
	v_xor_b32_e32 v8, s20, v8
	v_lshlrev_b32_e32 v4, 24, v4
	v_and_b32_e32 v6, v6, v7
	v_cmp_gt_i32_e64 s20, 0, v29
	v_not_b32_e32 v7, v32
	v_ashrrev_i32_e32 v10, 31, v10
	v_xor_b32_e32 v9, vcc_lo, v9
	v_and_b32_e32 v6, v6, v8
	v_cmp_gt_i32_e32 vcc_lo, 0, v32
	v_not_b32_e32 v8, v4
	v_ashrrev_i32_e32 v7, 31, v7
	v_xor_b32_e32 v10, s20, v10
	v_and_b32_e32 v6, v6, v9
	v_cmp_gt_i32_e64 s20, 0, v4
	v_ashrrev_i32_e32 v4, 31, v8
	v_xor_b32_e32 v7, vcc_lo, v7
	v_lshl_add_u32 v34, v3, 2, v5
	v_and_b32_e32 v6, v6, v10
	v_xor_b32_e32 v4, s20, v4
	ds_read_b32 v28, v34 offset:128
	v_and_b32_e32 v5, v6, v7
	; wave barrier
	v_and_b32_e32 v4, v5, v4
	v_mbcnt_lo_u32_b32 v29, v4, 0
	v_cmp_ne_u32_e64 s20, 0, v4
	v_cmp_eq_u32_e32 vcc_lo, 0, v29
	s_and_b32 s21, s20, vcc_lo
	s_and_saveexec_b32 s20, s21
	s_cbranch_execz .LBB839_33
; %bb.32:
	s_waitcnt lgkmcnt(0)
	v_bcnt_u32_b32 v4, v4, v28
	ds_write_b32 v34, v4 offset:128
.LBB839_33:
	s_or_b32 exec_lo, exec_lo, s20
	v_lshrrev_b32_e32 v4, s44, v18
	; wave barrier
	v_and_b32_e32 v4, s49, v4
	v_and_b32_e32 v6, 1, v4
	v_lshlrev_b32_e32 v7, 30, v4
	v_lshlrev_b32_e32 v8, 29, v4
	;; [unrolled: 1-line block ×4, first 2 shown]
	v_add_co_u32 v6, s20, v6, -1
	v_cndmask_b32_e64 v10, 0, 1, s20
	v_not_b32_e32 v36, v7
	v_cmp_gt_i32_e64 s20, 0, v7
	v_not_b32_e32 v7, v8
	v_lshlrev_b32_e32 v33, 26, v4
	v_cmp_ne_u32_e32 vcc_lo, 0, v10
	v_ashrrev_i32_e32 v10, 31, v36
	v_lshlrev_b32_e32 v35, 25, v4
	v_ashrrev_i32_e32 v7, 31, v7
	v_mul_lo_u32 v5, 0x84, v4
	v_xor_b32_e32 v6, vcc_lo, v6
	v_cmp_gt_i32_e32 vcc_lo, 0, v8
	v_not_b32_e32 v8, v9
	v_xor_b32_e32 v10, s20, v10
	v_cmp_gt_i32_e64 s20, 0, v9
	v_and_b32_e32 v6, exec_lo, v6
	v_not_b32_e32 v9, v32
	v_ashrrev_i32_e32 v8, 31, v8
	v_xor_b32_e32 v7, vcc_lo, v7
	v_cmp_gt_i32_e32 vcc_lo, 0, v32
	v_and_b32_e32 v6, v6, v10
	v_not_b32_e32 v10, v33
	v_ashrrev_i32_e32 v9, 31, v9
	v_xor_b32_e32 v8, s20, v8
	v_lshlrev_b32_e32 v4, 24, v4
	v_and_b32_e32 v6, v6, v7
	v_cmp_gt_i32_e64 s20, 0, v33
	v_not_b32_e32 v7, v35
	v_ashrrev_i32_e32 v10, 31, v10
	v_xor_b32_e32 v9, vcc_lo, v9
	v_and_b32_e32 v6, v6, v8
	v_cmp_gt_i32_e32 vcc_lo, 0, v35
	v_not_b32_e32 v8, v4
	v_ashrrev_i32_e32 v7, 31, v7
	v_xor_b32_e32 v10, s20, v10
	v_and_b32_e32 v6, v6, v9
	v_cmp_gt_i32_e64 s20, 0, v4
	v_ashrrev_i32_e32 v4, 31, v8
	v_xor_b32_e32 v7, vcc_lo, v7
	v_lshl_add_u32 v37, v3, 2, v5
	v_and_b32_e32 v6, v6, v10
	v_xor_b32_e32 v4, s20, v4
	ds_read_b32 v32, v37 offset:128
	v_and_b32_e32 v5, v6, v7
	; wave barrier
	v_and_b32_e32 v4, v5, v4
	v_mbcnt_lo_u32_b32 v33, v4, 0
	v_cmp_ne_u32_e64 s20, 0, v4
	v_cmp_eq_u32_e32 vcc_lo, 0, v33
	s_and_b32 s21, s20, vcc_lo
	s_and_saveexec_b32 s20, s21
	s_cbranch_execz .LBB839_35
; %bb.34:
	s_waitcnt lgkmcnt(0)
	v_bcnt_u32_b32 v4, v4, v32
	ds_write_b32 v37, v4 offset:128
.LBB839_35:
	s_or_b32 exec_lo, exec_lo, s20
	v_lshrrev_b32_e32 v4, s44, v17
	; wave barrier
	v_and_b32_e32 v4, s49, v4
	v_and_b32_e32 v6, 1, v4
	v_lshlrev_b32_e32 v7, 30, v4
	v_lshlrev_b32_e32 v8, 29, v4
	;; [unrolled: 1-line block ×4, first 2 shown]
	v_add_co_u32 v6, s20, v6, -1
	v_cndmask_b32_e64 v10, 0, 1, s20
	v_not_b32_e32 v39, v7
	v_cmp_gt_i32_e64 s20, 0, v7
	v_not_b32_e32 v7, v8
	v_lshlrev_b32_e32 v36, 26, v4
	v_cmp_ne_u32_e32 vcc_lo, 0, v10
	v_ashrrev_i32_e32 v10, 31, v39
	v_lshlrev_b32_e32 v38, 25, v4
	v_ashrrev_i32_e32 v7, 31, v7
	v_mul_lo_u32 v5, 0x84, v4
	v_xor_b32_e32 v6, vcc_lo, v6
	v_cmp_gt_i32_e32 vcc_lo, 0, v8
	v_not_b32_e32 v8, v9
	v_xor_b32_e32 v10, s20, v10
	v_cmp_gt_i32_e64 s20, 0, v9
	v_and_b32_e32 v6, exec_lo, v6
	v_not_b32_e32 v9, v35
	v_ashrrev_i32_e32 v8, 31, v8
	v_xor_b32_e32 v7, vcc_lo, v7
	v_cmp_gt_i32_e32 vcc_lo, 0, v35
	v_and_b32_e32 v6, v6, v10
	v_not_b32_e32 v10, v36
	v_ashrrev_i32_e32 v9, 31, v9
	v_xor_b32_e32 v8, s20, v8
	v_lshlrev_b32_e32 v4, 24, v4
	v_and_b32_e32 v6, v6, v7
	v_cmp_gt_i32_e64 s20, 0, v36
	v_not_b32_e32 v7, v38
	v_ashrrev_i32_e32 v10, 31, v10
	v_xor_b32_e32 v9, vcc_lo, v9
	v_and_b32_e32 v6, v6, v8
	v_cmp_gt_i32_e32 vcc_lo, 0, v38
	v_not_b32_e32 v8, v4
	v_ashrrev_i32_e32 v7, 31, v7
	v_xor_b32_e32 v10, s20, v10
	v_and_b32_e32 v6, v6, v9
	v_cmp_gt_i32_e64 s20, 0, v4
	v_ashrrev_i32_e32 v4, 31, v8
	v_xor_b32_e32 v7, vcc_lo, v7
	v_lshl_add_u32 v40, v3, 2, v5
	v_and_b32_e32 v6, v6, v10
	v_xor_b32_e32 v4, s20, v4
	ds_read_b32 v35, v40 offset:128
	v_and_b32_e32 v5, v6, v7
	; wave barrier
	v_and_b32_e32 v4, v5, v4
	v_mbcnt_lo_u32_b32 v36, v4, 0
	v_cmp_ne_u32_e64 s20, 0, v4
	v_cmp_eq_u32_e32 vcc_lo, 0, v36
	s_and_b32 s21, s20, vcc_lo
	s_and_saveexec_b32 s20, s21
	s_cbranch_execz .LBB839_37
; %bb.36:
	s_waitcnt lgkmcnt(0)
	v_bcnt_u32_b32 v4, v4, v35
	ds_write_b32 v40, v4 offset:128
.LBB839_37:
	s_or_b32 exec_lo, exec_lo, s20
	v_lshrrev_b32_e32 v4, s44, v20
	; wave barrier
	v_and_b32_e32 v4, s49, v4
	v_and_b32_e32 v6, 1, v4
	v_lshlrev_b32_e32 v7, 30, v4
	v_lshlrev_b32_e32 v8, 29, v4
	;; [unrolled: 1-line block ×4, first 2 shown]
	v_add_co_u32 v6, s20, v6, -1
	v_cndmask_b32_e64 v10, 0, 1, s20
	v_not_b32_e32 v42, v7
	v_cmp_gt_i32_e64 s20, 0, v7
	v_not_b32_e32 v7, v8
	v_lshlrev_b32_e32 v39, 26, v4
	v_cmp_ne_u32_e32 vcc_lo, 0, v10
	v_ashrrev_i32_e32 v10, 31, v42
	v_lshlrev_b32_e32 v41, 25, v4
	v_ashrrev_i32_e32 v7, 31, v7
	v_mul_lo_u32 v5, 0x84, v4
	v_xor_b32_e32 v6, vcc_lo, v6
	v_cmp_gt_i32_e32 vcc_lo, 0, v8
	v_not_b32_e32 v8, v9
	v_xor_b32_e32 v10, s20, v10
	v_cmp_gt_i32_e64 s20, 0, v9
	v_and_b32_e32 v6, exec_lo, v6
	v_not_b32_e32 v9, v38
	v_ashrrev_i32_e32 v8, 31, v8
	v_xor_b32_e32 v7, vcc_lo, v7
	v_cmp_gt_i32_e32 vcc_lo, 0, v38
	v_and_b32_e32 v6, v6, v10
	v_not_b32_e32 v10, v39
	v_ashrrev_i32_e32 v9, 31, v9
	v_xor_b32_e32 v8, s20, v8
	v_lshlrev_b32_e32 v4, 24, v4
	v_and_b32_e32 v6, v6, v7
	v_cmp_gt_i32_e64 s20, 0, v39
	v_not_b32_e32 v7, v41
	v_ashrrev_i32_e32 v10, 31, v10
	v_xor_b32_e32 v9, vcc_lo, v9
	v_and_b32_e32 v6, v6, v8
	v_cmp_gt_i32_e32 vcc_lo, 0, v41
	v_not_b32_e32 v8, v4
	v_ashrrev_i32_e32 v7, 31, v7
	v_xor_b32_e32 v10, s20, v10
	v_and_b32_e32 v6, v6, v9
	v_cmp_gt_i32_e64 s20, 0, v4
	v_ashrrev_i32_e32 v4, 31, v8
	v_xor_b32_e32 v7, vcc_lo, v7
	v_lshl_add_u32 v43, v3, 2, v5
	v_and_b32_e32 v6, v6, v10
	v_xor_b32_e32 v4, s20, v4
	ds_read_b32 v38, v43 offset:128
	v_and_b32_e32 v5, v6, v7
	; wave barrier
	v_and_b32_e32 v4, v5, v4
	v_mbcnt_lo_u32_b32 v39, v4, 0
	v_cmp_ne_u32_e64 s20, 0, v4
	v_cmp_eq_u32_e32 vcc_lo, 0, v39
	s_and_b32 s21, s20, vcc_lo
	s_and_saveexec_b32 s20, s21
	s_cbranch_execz .LBB839_39
; %bb.38:
	s_waitcnt lgkmcnt(0)
	v_bcnt_u32_b32 v4, v4, v38
	ds_write_b32 v43, v4 offset:128
.LBB839_39:
	s_or_b32 exec_lo, exec_lo, s20
	v_lshrrev_b32_e32 v4, s44, v19
	; wave barrier
	v_and_b32_e32 v4, s49, v4
	v_and_b32_e32 v6, 1, v4
	v_lshlrev_b32_e32 v7, 30, v4
	v_lshlrev_b32_e32 v8, 29, v4
	;; [unrolled: 1-line block ×4, first 2 shown]
	v_add_co_u32 v6, s20, v6, -1
	v_cndmask_b32_e64 v10, 0, 1, s20
	v_not_b32_e32 v45, v7
	v_cmp_gt_i32_e64 s20, 0, v7
	v_not_b32_e32 v7, v8
	v_lshlrev_b32_e32 v42, 26, v4
	v_cmp_ne_u32_e32 vcc_lo, 0, v10
	v_ashrrev_i32_e32 v10, 31, v45
	v_lshlrev_b32_e32 v44, 25, v4
	v_ashrrev_i32_e32 v7, 31, v7
	v_mul_lo_u32 v5, 0x84, v4
	v_xor_b32_e32 v6, vcc_lo, v6
	v_cmp_gt_i32_e32 vcc_lo, 0, v8
	v_not_b32_e32 v8, v9
	v_xor_b32_e32 v10, s20, v10
	v_cmp_gt_i32_e64 s20, 0, v9
	v_and_b32_e32 v6, exec_lo, v6
	v_not_b32_e32 v9, v41
	v_ashrrev_i32_e32 v8, 31, v8
	v_xor_b32_e32 v7, vcc_lo, v7
	v_cmp_gt_i32_e32 vcc_lo, 0, v41
	v_and_b32_e32 v6, v6, v10
	v_not_b32_e32 v10, v42
	v_ashrrev_i32_e32 v9, 31, v9
	v_xor_b32_e32 v8, s20, v8
	v_lshlrev_b32_e32 v4, 24, v4
	v_and_b32_e32 v6, v6, v7
	v_cmp_gt_i32_e64 s20, 0, v42
	v_not_b32_e32 v7, v44
	v_ashrrev_i32_e32 v10, 31, v10
	v_xor_b32_e32 v9, vcc_lo, v9
	v_and_b32_e32 v6, v6, v8
	v_cmp_gt_i32_e32 vcc_lo, 0, v44
	v_not_b32_e32 v8, v4
	v_ashrrev_i32_e32 v7, 31, v7
	v_xor_b32_e32 v10, s20, v10
	v_and_b32_e32 v6, v6, v9
	v_cmp_gt_i32_e64 s20, 0, v4
	v_ashrrev_i32_e32 v4, 31, v8
	v_xor_b32_e32 v7, vcc_lo, v7
	v_lshl_add_u32 v46, v3, 2, v5
	v_and_b32_e32 v6, v6, v10
	v_xor_b32_e32 v4, s20, v4
	ds_read_b32 v41, v46 offset:128
	v_and_b32_e32 v5, v6, v7
	; wave barrier
	v_and_b32_e32 v4, v5, v4
	v_mbcnt_lo_u32_b32 v42, v4, 0
	v_cmp_ne_u32_e64 s20, 0, v4
	v_cmp_eq_u32_e32 vcc_lo, 0, v42
	s_and_b32 s21, s20, vcc_lo
	s_and_saveexec_b32 s20, s21
	s_cbranch_execz .LBB839_41
; %bb.40:
	s_waitcnt lgkmcnt(0)
	v_bcnt_u32_b32 v4, v4, v41
	ds_write_b32 v46, v4 offset:128
.LBB839_41:
	s_or_b32 exec_lo, exec_lo, s20
	v_lshrrev_b32_e32 v4, s44, v22
	; wave barrier
	v_and_b32_e32 v4, s49, v4
	v_and_b32_e32 v6, 1, v4
	v_lshlrev_b32_e32 v7, 30, v4
	v_lshlrev_b32_e32 v8, 29, v4
	;; [unrolled: 1-line block ×4, first 2 shown]
	v_add_co_u32 v6, s20, v6, -1
	v_cndmask_b32_e64 v10, 0, 1, s20
	v_not_b32_e32 v48, v7
	v_cmp_gt_i32_e64 s20, 0, v7
	v_not_b32_e32 v7, v8
	v_lshlrev_b32_e32 v45, 26, v4
	v_cmp_ne_u32_e32 vcc_lo, 0, v10
	v_ashrrev_i32_e32 v10, 31, v48
	v_lshlrev_b32_e32 v47, 25, v4
	v_ashrrev_i32_e32 v7, 31, v7
	v_mul_lo_u32 v5, 0x84, v4
	v_xor_b32_e32 v6, vcc_lo, v6
	v_cmp_gt_i32_e32 vcc_lo, 0, v8
	v_not_b32_e32 v8, v9
	v_xor_b32_e32 v10, s20, v10
	v_cmp_gt_i32_e64 s20, 0, v9
	v_and_b32_e32 v6, exec_lo, v6
	v_not_b32_e32 v9, v44
	v_ashrrev_i32_e32 v8, 31, v8
	v_xor_b32_e32 v7, vcc_lo, v7
	v_cmp_gt_i32_e32 vcc_lo, 0, v44
	v_and_b32_e32 v6, v6, v10
	v_not_b32_e32 v10, v45
	v_ashrrev_i32_e32 v9, 31, v9
	v_xor_b32_e32 v8, s20, v8
	v_lshlrev_b32_e32 v4, 24, v4
	v_and_b32_e32 v6, v6, v7
	v_cmp_gt_i32_e64 s20, 0, v45
	v_not_b32_e32 v7, v47
	v_ashrrev_i32_e32 v10, 31, v10
	v_xor_b32_e32 v9, vcc_lo, v9
	v_and_b32_e32 v6, v6, v8
	v_cmp_gt_i32_e32 vcc_lo, 0, v47
	v_not_b32_e32 v8, v4
	v_ashrrev_i32_e32 v7, 31, v7
	v_xor_b32_e32 v10, s20, v10
	v_and_b32_e32 v6, v6, v9
	v_cmp_gt_i32_e64 s20, 0, v4
	v_ashrrev_i32_e32 v4, 31, v8
	v_xor_b32_e32 v7, vcc_lo, v7
	v_lshl_add_u32 v49, v3, 2, v5
	v_and_b32_e32 v6, v6, v10
	v_xor_b32_e32 v4, s20, v4
	ds_read_b32 v44, v49 offset:128
	v_and_b32_e32 v5, v6, v7
	; wave barrier
	v_and_b32_e32 v4, v5, v4
	v_mbcnt_lo_u32_b32 v45, v4, 0
	v_cmp_ne_u32_e64 s20, 0, v4
	v_cmp_eq_u32_e32 vcc_lo, 0, v45
	s_and_b32 s21, s20, vcc_lo
	s_and_saveexec_b32 s20, s21
	s_cbranch_execz .LBB839_43
; %bb.42:
	s_waitcnt lgkmcnt(0)
	v_bcnt_u32_b32 v4, v4, v44
	ds_write_b32 v49, v4 offset:128
.LBB839_43:
	s_or_b32 exec_lo, exec_lo, s20
	v_lshrrev_b32_e32 v4, s44, v21
	; wave barrier
	v_and_b32_e32 v4, s49, v4
	v_and_b32_e32 v6, 1, v4
	v_lshlrev_b32_e32 v7, 30, v4
	v_lshlrev_b32_e32 v8, 29, v4
	v_lshlrev_b32_e32 v9, 28, v4
	v_lshlrev_b32_e32 v47, 27, v4
	v_add_co_u32 v6, s20, v6, -1
	v_cndmask_b32_e64 v10, 0, 1, s20
	v_not_b32_e32 v51, v7
	v_cmp_gt_i32_e64 s20, 0, v7
	v_not_b32_e32 v7, v8
	v_lshlrev_b32_e32 v48, 26, v4
	v_cmp_ne_u32_e32 vcc_lo, 0, v10
	v_ashrrev_i32_e32 v10, 31, v51
	v_lshlrev_b32_e32 v50, 25, v4
	v_ashrrev_i32_e32 v7, 31, v7
	v_mul_lo_u32 v5, 0x84, v4
	v_xor_b32_e32 v6, vcc_lo, v6
	v_cmp_gt_i32_e32 vcc_lo, 0, v8
	v_not_b32_e32 v8, v9
	v_xor_b32_e32 v10, s20, v10
	v_cmp_gt_i32_e64 s20, 0, v9
	v_and_b32_e32 v6, exec_lo, v6
	v_not_b32_e32 v9, v47
	v_ashrrev_i32_e32 v8, 31, v8
	v_xor_b32_e32 v7, vcc_lo, v7
	v_cmp_gt_i32_e32 vcc_lo, 0, v47
	v_and_b32_e32 v6, v6, v10
	v_not_b32_e32 v10, v48
	v_ashrrev_i32_e32 v9, 31, v9
	v_xor_b32_e32 v8, s20, v8
	v_lshlrev_b32_e32 v4, 24, v4
	v_and_b32_e32 v6, v6, v7
	v_cmp_gt_i32_e64 s20, 0, v48
	v_not_b32_e32 v7, v50
	v_ashrrev_i32_e32 v10, 31, v10
	v_xor_b32_e32 v9, vcc_lo, v9
	v_and_b32_e32 v6, v6, v8
	v_cmp_gt_i32_e32 vcc_lo, 0, v50
	v_not_b32_e32 v8, v4
	v_ashrrev_i32_e32 v7, 31, v7
	v_xor_b32_e32 v10, s20, v10
	v_and_b32_e32 v6, v6, v9
	v_cmp_gt_i32_e64 s20, 0, v4
	v_ashrrev_i32_e32 v4, 31, v8
	v_xor_b32_e32 v7, vcc_lo, v7
	v_lshl_add_u32 v52, v3, 2, v5
	v_and_b32_e32 v6, v6, v10
	v_xor_b32_e32 v4, s20, v4
	ds_read_b32 v47, v52 offset:128
	v_and_b32_e32 v5, v6, v7
	; wave barrier
	v_and_b32_e32 v4, v5, v4
	v_mbcnt_lo_u32_b32 v48, v4, 0
	v_cmp_ne_u32_e64 s20, 0, v4
	v_cmp_eq_u32_e32 vcc_lo, 0, v48
	s_and_b32 s21, s20, vcc_lo
	s_and_saveexec_b32 s20, s21
	s_cbranch_execz .LBB839_45
; %bb.44:
	s_waitcnt lgkmcnt(0)
	v_bcnt_u32_b32 v4, v4, v47
	ds_write_b32 v52, v4 offset:128
.LBB839_45:
	s_or_b32 exec_lo, exec_lo, s20
	v_lshrrev_b32_e32 v4, s44, v24
	; wave barrier
	v_and_b32_e32 v4, s49, v4
	v_and_b32_e32 v6, 1, v4
	v_lshlrev_b32_e32 v7, 30, v4
	v_lshlrev_b32_e32 v8, 29, v4
	;; [unrolled: 1-line block ×4, first 2 shown]
	v_add_co_u32 v6, s20, v6, -1
	v_cndmask_b32_e64 v10, 0, 1, s20
	v_not_b32_e32 v54, v7
	v_cmp_gt_i32_e64 s20, 0, v7
	v_not_b32_e32 v7, v8
	v_lshlrev_b32_e32 v51, 26, v4
	v_cmp_ne_u32_e32 vcc_lo, 0, v10
	v_ashrrev_i32_e32 v10, 31, v54
	v_lshlrev_b32_e32 v53, 25, v4
	v_ashrrev_i32_e32 v7, 31, v7
	v_mul_lo_u32 v5, 0x84, v4
	v_xor_b32_e32 v6, vcc_lo, v6
	v_cmp_gt_i32_e32 vcc_lo, 0, v8
	v_not_b32_e32 v8, v9
	v_xor_b32_e32 v10, s20, v10
	v_cmp_gt_i32_e64 s20, 0, v9
	v_and_b32_e32 v6, exec_lo, v6
	v_not_b32_e32 v9, v50
	v_ashrrev_i32_e32 v8, 31, v8
	v_xor_b32_e32 v7, vcc_lo, v7
	v_cmp_gt_i32_e32 vcc_lo, 0, v50
	v_and_b32_e32 v6, v6, v10
	v_not_b32_e32 v10, v51
	v_ashrrev_i32_e32 v9, 31, v9
	v_xor_b32_e32 v8, s20, v8
	v_lshlrev_b32_e32 v4, 24, v4
	v_and_b32_e32 v6, v6, v7
	v_cmp_gt_i32_e64 s20, 0, v51
	v_not_b32_e32 v7, v53
	v_ashrrev_i32_e32 v10, 31, v10
	v_xor_b32_e32 v9, vcc_lo, v9
	v_and_b32_e32 v6, v6, v8
	v_cmp_gt_i32_e32 vcc_lo, 0, v53
	v_not_b32_e32 v8, v4
	v_ashrrev_i32_e32 v7, 31, v7
	v_xor_b32_e32 v10, s20, v10
	v_and_b32_e32 v6, v6, v9
	v_cmp_gt_i32_e64 s20, 0, v4
	v_ashrrev_i32_e32 v4, 31, v8
	v_xor_b32_e32 v7, vcc_lo, v7
	v_lshl_add_u32 v55, v3, 2, v5
	v_and_b32_e32 v6, v6, v10
	v_xor_b32_e32 v4, s20, v4
	ds_read_b32 v50, v55 offset:128
	v_and_b32_e32 v5, v6, v7
	; wave barrier
	v_and_b32_e32 v4, v5, v4
	v_mbcnt_lo_u32_b32 v51, v4, 0
	v_cmp_ne_u32_e64 s20, 0, v4
	v_cmp_eq_u32_e32 vcc_lo, 0, v51
	s_and_b32 s21, s20, vcc_lo
	s_and_saveexec_b32 s20, s21
	s_cbranch_execz .LBB839_47
; %bb.46:
	s_waitcnt lgkmcnt(0)
	v_bcnt_u32_b32 v4, v4, v50
	ds_write_b32 v55, v4 offset:128
.LBB839_47:
	s_or_b32 exec_lo, exec_lo, s20
	v_lshrrev_b32_e32 v4, s44, v23
	; wave barrier
	v_and_b32_e32 v4, s49, v4
	v_and_b32_e32 v6, 1, v4
	v_lshlrev_b32_e32 v7, 30, v4
	v_lshlrev_b32_e32 v8, 29, v4
	;; [unrolled: 1-line block ×4, first 2 shown]
	v_add_co_u32 v6, s20, v6, -1
	v_cndmask_b32_e64 v10, 0, 1, s20
	v_not_b32_e32 v57, v7
	v_cmp_gt_i32_e64 s20, 0, v7
	v_not_b32_e32 v7, v8
	v_lshlrev_b32_e32 v54, 26, v4
	v_cmp_ne_u32_e32 vcc_lo, 0, v10
	v_ashrrev_i32_e32 v10, 31, v57
	v_lshlrev_b32_e32 v56, 25, v4
	v_ashrrev_i32_e32 v7, 31, v7
	v_mul_lo_u32 v5, 0x84, v4
	v_xor_b32_e32 v6, vcc_lo, v6
	v_cmp_gt_i32_e32 vcc_lo, 0, v8
	v_not_b32_e32 v8, v9
	v_xor_b32_e32 v10, s20, v10
	v_cmp_gt_i32_e64 s20, 0, v9
	v_and_b32_e32 v6, exec_lo, v6
	v_not_b32_e32 v9, v53
	v_ashrrev_i32_e32 v8, 31, v8
	v_xor_b32_e32 v7, vcc_lo, v7
	v_cmp_gt_i32_e32 vcc_lo, 0, v53
	v_and_b32_e32 v6, v6, v10
	v_not_b32_e32 v10, v54
	v_ashrrev_i32_e32 v9, 31, v9
	v_xor_b32_e32 v8, s20, v8
	v_lshlrev_b32_e32 v4, 24, v4
	v_and_b32_e32 v6, v6, v7
	v_cmp_gt_i32_e64 s20, 0, v54
	v_not_b32_e32 v7, v56
	v_ashrrev_i32_e32 v10, 31, v10
	v_xor_b32_e32 v9, vcc_lo, v9
	v_and_b32_e32 v6, v6, v8
	v_cmp_gt_i32_e32 vcc_lo, 0, v56
	v_not_b32_e32 v8, v4
	v_ashrrev_i32_e32 v7, 31, v7
	v_xor_b32_e32 v10, s20, v10
	v_and_b32_e32 v6, v6, v9
	v_cmp_gt_i32_e64 s20, 0, v4
	v_ashrrev_i32_e32 v4, 31, v8
	v_xor_b32_e32 v7, vcc_lo, v7
	v_lshl_add_u32 v58, v3, 2, v5
	v_and_b32_e32 v6, v6, v10
	v_xor_b32_e32 v4, s20, v4
	ds_read_b32 v53, v58 offset:128
	v_and_b32_e32 v5, v6, v7
	; wave barrier
	v_and_b32_e32 v4, v5, v4
	v_mbcnt_lo_u32_b32 v54, v4, 0
	v_cmp_ne_u32_e64 s20, 0, v4
	v_cmp_eq_u32_e32 vcc_lo, 0, v54
	s_and_b32 s21, s20, vcc_lo
	s_and_saveexec_b32 s20, s21
	s_cbranch_execz .LBB839_49
; %bb.48:
	s_waitcnt lgkmcnt(0)
	v_bcnt_u32_b32 v4, v4, v53
	ds_write_b32 v58, v4 offset:128
.LBB839_49:
	s_or_b32 exec_lo, exec_lo, s20
	v_lshrrev_b32_e32 v4, s44, v26
	; wave barrier
	v_and_b32_e32 v4, s49, v4
	v_and_b32_e32 v6, 1, v4
	v_lshlrev_b32_e32 v7, 30, v4
	v_lshlrev_b32_e32 v8, 29, v4
	;; [unrolled: 1-line block ×4, first 2 shown]
	v_add_co_u32 v6, s20, v6, -1
	v_cndmask_b32_e64 v10, 0, 1, s20
	v_not_b32_e32 v60, v7
	v_cmp_gt_i32_e64 s20, 0, v7
	v_not_b32_e32 v7, v8
	v_lshlrev_b32_e32 v57, 26, v4
	v_cmp_ne_u32_e32 vcc_lo, 0, v10
	v_ashrrev_i32_e32 v10, 31, v60
	v_lshlrev_b32_e32 v59, 25, v4
	v_ashrrev_i32_e32 v7, 31, v7
	v_mul_lo_u32 v5, 0x84, v4
	v_xor_b32_e32 v6, vcc_lo, v6
	v_cmp_gt_i32_e32 vcc_lo, 0, v8
	v_not_b32_e32 v8, v9
	v_xor_b32_e32 v10, s20, v10
	v_cmp_gt_i32_e64 s20, 0, v9
	v_and_b32_e32 v6, exec_lo, v6
	v_not_b32_e32 v9, v56
	v_ashrrev_i32_e32 v8, 31, v8
	v_xor_b32_e32 v7, vcc_lo, v7
	v_cmp_gt_i32_e32 vcc_lo, 0, v56
	v_and_b32_e32 v6, v6, v10
	v_not_b32_e32 v10, v57
	v_ashrrev_i32_e32 v9, 31, v9
	v_xor_b32_e32 v8, s20, v8
	v_lshlrev_b32_e32 v4, 24, v4
	v_and_b32_e32 v6, v6, v7
	v_cmp_gt_i32_e64 s20, 0, v57
	v_not_b32_e32 v7, v59
	v_ashrrev_i32_e32 v10, 31, v10
	v_xor_b32_e32 v9, vcc_lo, v9
	v_and_b32_e32 v6, v6, v8
	v_cmp_gt_i32_e32 vcc_lo, 0, v59
	v_not_b32_e32 v8, v4
	v_ashrrev_i32_e32 v7, 31, v7
	v_xor_b32_e32 v10, s20, v10
	v_and_b32_e32 v6, v6, v9
	v_cmp_gt_i32_e64 s20, 0, v4
	v_ashrrev_i32_e32 v4, 31, v8
	v_xor_b32_e32 v7, vcc_lo, v7
	v_lshl_add_u32 v61, v3, 2, v5
	v_and_b32_e32 v6, v6, v10
	v_xor_b32_e32 v4, s20, v4
	ds_read_b32 v56, v61 offset:128
	v_and_b32_e32 v5, v6, v7
	; wave barrier
	v_and_b32_e32 v4, v5, v4
	v_mbcnt_lo_u32_b32 v57, v4, 0
	v_cmp_ne_u32_e64 s20, 0, v4
	v_cmp_eq_u32_e32 vcc_lo, 0, v57
	s_and_b32 s21, s20, vcc_lo
	s_and_saveexec_b32 s20, s21
	s_cbranch_execz .LBB839_51
; %bb.50:
	s_waitcnt lgkmcnt(0)
	v_bcnt_u32_b32 v4, v4, v56
	ds_write_b32 v61, v4 offset:128
.LBB839_51:
	s_or_b32 exec_lo, exec_lo, s20
	v_lshrrev_b32_e32 v4, s44, v25
	; wave barrier
	v_and_b32_e32 v4, s49, v4
	v_and_b32_e32 v6, 1, v4
	v_lshlrev_b32_e32 v7, 30, v4
	v_lshlrev_b32_e32 v8, 29, v4
	;; [unrolled: 1-line block ×4, first 2 shown]
	v_add_co_u32 v6, s20, v6, -1
	v_cndmask_b32_e64 v10, 0, 1, s20
	v_not_b32_e32 v63, v7
	v_cmp_gt_i32_e64 s20, 0, v7
	v_not_b32_e32 v7, v8
	v_lshlrev_b32_e32 v60, 26, v4
	v_cmp_ne_u32_e32 vcc_lo, 0, v10
	v_ashrrev_i32_e32 v10, 31, v63
	v_lshlrev_b32_e32 v62, 25, v4
	v_ashrrev_i32_e32 v7, 31, v7
	v_mul_lo_u32 v5, 0x84, v4
	v_xor_b32_e32 v6, vcc_lo, v6
	v_cmp_gt_i32_e32 vcc_lo, 0, v8
	v_not_b32_e32 v8, v9
	v_xor_b32_e32 v10, s20, v10
	v_cmp_gt_i32_e64 s20, 0, v9
	v_and_b32_e32 v6, exec_lo, v6
	v_not_b32_e32 v9, v59
	v_ashrrev_i32_e32 v8, 31, v8
	v_xor_b32_e32 v7, vcc_lo, v7
	v_cmp_gt_i32_e32 vcc_lo, 0, v59
	v_and_b32_e32 v6, v6, v10
	v_not_b32_e32 v10, v60
	v_ashrrev_i32_e32 v9, 31, v9
	v_xor_b32_e32 v8, s20, v8
	v_lshlrev_b32_e32 v4, 24, v4
	v_and_b32_e32 v6, v6, v7
	v_cmp_gt_i32_e64 s20, 0, v60
	v_not_b32_e32 v7, v62
	v_ashrrev_i32_e32 v10, 31, v10
	v_xor_b32_e32 v9, vcc_lo, v9
	v_and_b32_e32 v6, v6, v8
	v_cmp_gt_i32_e32 vcc_lo, 0, v62
	v_not_b32_e32 v8, v4
	v_ashrrev_i32_e32 v7, 31, v7
	v_xor_b32_e32 v10, s20, v10
	v_and_b32_e32 v6, v6, v9
	v_cmp_gt_i32_e64 s20, 0, v4
	v_ashrrev_i32_e32 v4, 31, v8
	v_xor_b32_e32 v7, vcc_lo, v7
	v_lshl_add_u32 v62, v3, 2, v5
	v_and_b32_e32 v6, v6, v10
	v_xor_b32_e32 v3, s20, v4
	ds_read_b32 v59, v62 offset:128
	v_and_b32_e32 v4, v6, v7
	; wave barrier
	v_and_b32_e32 v3, v4, v3
	v_mbcnt_lo_u32_b32 v60, v3, 0
	v_cmp_ne_u32_e64 s20, 0, v3
	v_cmp_eq_u32_e32 vcc_lo, 0, v60
	s_and_b32 s21, s20, vcc_lo
	s_and_saveexec_b32 s20, s21
	s_cbranch_execz .LBB839_53
; %bb.52:
	s_waitcnt lgkmcnt(0)
	v_bcnt_u32_b32 v3, v3, v59
	ds_write_b32 v62, v3 offset:128
.LBB839_53:
	s_or_b32 exec_lo, exec_lo, s20
	; wave barrier
	s_waitcnt lgkmcnt(0)
	s_barrier
	buffer_gl0_inv
	ds_read2_b32 v[9:10], v30 offset0:32 offset1:33
	ds_read2_b32 v[7:8], v30 offset0:34 offset1:35
	;; [unrolled: 1-line block ×4, first 2 shown]
	ds_read_b32 v63, v30 offset:160
	v_and_b32_e32 v66, 16, v11
	v_and_b32_e32 v67, 31, v0
	s_mov_b32 s25, exec_lo
	v_cmp_eq_u32_e64 s23, 0, v66
	s_waitcnt lgkmcnt(3)
	v_add3_u32 v64, v10, v9, v7
	s_waitcnt lgkmcnt(2)
	v_add3_u32 v64, v64, v8, v5
	;; [unrolled: 2-line block ×4, first 2 shown]
	v_and_b32_e32 v64, 15, v11
	v_mov_b32_dpp v65, v63 row_shr:1 row_mask:0xf bank_mask:0xf
	v_cmp_eq_u32_e32 vcc_lo, 0, v64
	v_cmp_lt_u32_e64 s20, 1, v64
	v_cmp_lt_u32_e64 s21, 3, v64
	;; [unrolled: 1-line block ×3, first 2 shown]
	v_cndmask_b32_e64 v65, v65, 0, vcc_lo
	v_add_nc_u32_e32 v63, v65, v63
	v_mov_b32_dpp v65, v63 row_shr:2 row_mask:0xf bank_mask:0xf
	v_cndmask_b32_e64 v65, 0, v65, s20
	v_add_nc_u32_e32 v63, v63, v65
	v_mov_b32_dpp v65, v63 row_shr:4 row_mask:0xf bank_mask:0xf
	v_cndmask_b32_e64 v65, 0, v65, s21
	;; [unrolled: 3-line block ×3, first 2 shown]
	v_bfe_i32 v65, v11, 4, 1
	v_add_nc_u32_e32 v63, v63, v64
	ds_swizzle_b32 v64, v63 offset:swizzle(BROADCAST,32,15)
	s_waitcnt lgkmcnt(0)
	v_and_b32_e32 v65, v65, v64
	v_lshrrev_b32_e32 v64, 5, v0
	v_add_nc_u32_e32 v63, v63, v65
	v_cmpx_eq_u32_e32 31, v67
; %bb.54:
	v_lshlrev_b32_e32 v65, 2, v64
	ds_write_b32 v65, v63
; %bb.55:
	s_or_b32 exec_lo, exec_lo, s25
	v_cmp_lt_u32_e64 s24, 31, v0
	s_mov_b32 s50, exec_lo
	s_waitcnt lgkmcnt(0)
	s_barrier
	buffer_gl0_inv
	v_cmpx_gt_u32_e32 32, v0
	s_cbranch_execz .LBB839_57
; %bb.56:
	v_lshlrev_b32_e32 v65, 2, v0
	ds_read_b32 v66, v65
	s_waitcnt lgkmcnt(0)
	v_mov_b32_dpp v67, v66 row_shr:1 row_mask:0xf bank_mask:0xf
	v_cndmask_b32_e64 v67, v67, 0, vcc_lo
	v_add_nc_u32_e32 v66, v67, v66
	v_mov_b32_dpp v67, v66 row_shr:2 row_mask:0xf bank_mask:0xf
	v_cndmask_b32_e64 v67, 0, v67, s20
	v_add_nc_u32_e32 v66, v66, v67
	v_mov_b32_dpp v67, v66 row_shr:4 row_mask:0xf bank_mask:0xf
	v_cndmask_b32_e64 v67, 0, v67, s21
	;; [unrolled: 3-line block ×3, first 2 shown]
	v_add_nc_u32_e32 v66, v66, v67
	ds_swizzle_b32 v67, v66 offset:swizzle(BROADCAST,32,15)
	s_waitcnt lgkmcnt(0)
	v_cndmask_b32_e64 v67, v67, 0, s23
	v_add_nc_u32_e32 v66, v66, v67
	ds_write_b32 v65, v66
.LBB839_57:
	s_or_b32 exec_lo, exec_lo, s50
	v_mov_b32_e32 v65, 0
	s_waitcnt lgkmcnt(0)
	s_barrier
	buffer_gl0_inv
	s_and_saveexec_b32 s20, s24
; %bb.58:
	v_lshl_add_u32 v64, v64, 2, -4
	ds_read_b32 v65, v64
; %bb.59:
	s_or_b32 exec_lo, exec_lo, s20
	v_sub_co_u32 v64, vcc_lo, v11, 1
	s_waitcnt lgkmcnt(0)
	v_add_nc_u32_e32 v63, v65, v63
	v_cmp_gt_i32_e64 s20, 0, v64
	v_cndmask_b32_e64 v64, v64, v11, s20
	v_cmp_lt_u32_e64 s20, 0xff, v0
	v_lshlrev_b32_e32 v64, 2, v64
	ds_bpermute_b32 v63, v64, v63
	s_waitcnt lgkmcnt(0)
	v_cndmask_b32_e32 v63, v63, v65, vcc_lo
	v_cmp_gt_u32_e32 vcc_lo, 0x100, v0
	v_cndmask_b32_e64 v63, v63, 0, s7
	v_add_nc_u32_e32 v9, v63, v9
	v_add_nc_u32_e32 v10, v9, v10
	;; [unrolled: 1-line block ×8, first 2 shown]
	ds_write2_b32 v30, v63, v9 offset0:32 offset1:33
	ds_write2_b32 v30, v10, v7 offset0:34 offset1:35
	;; [unrolled: 1-line block ×4, first 2 shown]
	ds_write_b32 v30, v4 offset:160
	s_waitcnt lgkmcnt(0)
	s_barrier
	buffer_gl0_inv
	ds_read_b32 v31, v31 offset:128
	ds_read_b32 v34, v34 offset:128
	ds_read_b32 v37, v37 offset:128
	ds_read_b32 v40, v40 offset:128
	ds_read_b32 v43, v43 offset:128
	ds_read_b32 v46, v46 offset:128
	ds_read_b32 v49, v49 offset:128
	ds_read_b32 v52, v52 offset:128
	ds_read_b32 v55, v55 offset:128
	ds_read_b32 v58, v58 offset:128
	ds_read_b32 v61, v61 offset:128
	ds_read_b32 v62, v62 offset:128
                                        ; implicit-def: $vgpr9
                                        ; implicit-def: $vgpr10
	s_and_saveexec_b32 s22, vcc_lo
	s_cbranch_execz .LBB839_63
; %bb.60:
	v_mul_u32_u24_e32 v3, 0x84, v0
	v_add_nc_u32_e32 v4, 1, v0
	s_mov_b32 s23, exec_lo
	ds_read_b32 v9, v3 offset:128
	v_mov_b32_e32 v3, 0x3000
	v_cmpx_ne_u32_e32 0x100, v4
; %bb.61:
	v_mul_u32_u24_e32 v3, 0x84, v4
	ds_read_b32 v3, v3 offset:128
; %bb.62:
	s_or_b32 exec_lo, exec_lo, s23
	s_waitcnt lgkmcnt(0)
	v_sub_nc_u32_e32 v10, v3, v9
.LBB839_63:
	s_or_b32 exec_lo, exec_lo, s22
	v_mov_b32_e32 v4, 0
	v_lshlrev_b32_e32 v30, 2, v0
	s_waitcnt lgkmcnt(0)
	s_barrier
	buffer_gl0_inv
	s_and_saveexec_b32 s21, vcc_lo
	s_cbranch_execz .LBB839_73
; %bb.64:
	v_lshl_add_u32 v3, s33, 8, v0
	v_mov_b32_e32 v63, 0
	s_mov_b32 s22, 0
	s_mov_b32 s23, s33
                                        ; implicit-def: $sgpr24
	v_lshlrev_b64 v[5:6], 2, v[3:4]
	v_or_b32_e32 v3, 2.0, v10
	v_add_co_u32 v5, vcc_lo, s26, v5
	v_add_co_ci_u32_e64 v6, null, s27, v6, vcc_lo
	global_store_dword v[5:6], v3, off
	s_branch .LBB839_67
	.p2align	6
.LBB839_65:                             ;   in Loop: Header=BB839_67 Depth=1
	s_or_b32 exec_lo, exec_lo, s25
.LBB839_66:                             ;   in Loop: Header=BB839_67 Depth=1
	s_or_b32 exec_lo, exec_lo, s24
	v_and_b32_e32 v7, 0x3fffffff, v3
	v_cmp_gt_i32_e64 s24, -2.0, v3
	v_add_nc_u32_e32 v63, v7, v63
	s_and_b32 s25, exec_lo, s24
	s_or_b32 s22, s25, s22
	s_andn2_b32 exec_lo, exec_lo, s22
	s_cbranch_execz .LBB839_72
.LBB839_67:                             ; =>This Loop Header: Depth=1
                                        ;     Child Loop BB839_70 Depth 2
	s_or_b32 s24, s24, exec_lo
	s_cmp_eq_u32 s23, 0
	s_cbranch_scc1 .LBB839_71
; %bb.68:                               ;   in Loop: Header=BB839_67 Depth=1
	s_add_i32 s23, s23, -1
	s_mov_b32 s24, exec_lo
	v_lshl_or_b32 v3, s23, 8, v0
	v_lshlrev_b64 v[7:8], 2, v[3:4]
	v_add_co_u32 v7, vcc_lo, s26, v7
	v_add_co_ci_u32_e64 v8, null, s27, v8, vcc_lo
	global_load_dword v3, v[7:8], off glc dlc
	s_waitcnt vmcnt(0)
	v_cmpx_gt_u32_e32 2.0, v3
	s_cbranch_execz .LBB839_66
; %bb.69:                               ;   in Loop: Header=BB839_67 Depth=1
	s_mov_b32 s25, 0
.LBB839_70:                             ;   Parent Loop BB839_67 Depth=1
                                        ; =>  This Inner Loop Header: Depth=2
	global_load_dword v3, v[7:8], off glc dlc
	s_waitcnt vmcnt(0)
	v_cmp_lt_u32_e32 vcc_lo, 0x3fffffff, v3
	s_or_b32 s25, vcc_lo, s25
	s_andn2_b32 exec_lo, exec_lo, s25
	s_cbranch_execnz .LBB839_70
	s_branch .LBB839_65
.LBB839_71:                             ;   in Loop: Header=BB839_67 Depth=1
                                        ; implicit-def: $sgpr23
	s_and_b32 s25, exec_lo, s24
	s_or_b32 s22, s25, s22
	s_andn2_b32 exec_lo, exec_lo, s22
	s_cbranch_execnz .LBB839_67
.LBB839_72:
	s_or_b32 exec_lo, exec_lo, s22
	v_add_nc_u32_e32 v3, v63, v10
	v_sub_nc_u32_e32 v4, v63, v9
	v_or_b32_e32 v3, 0x80000000, v3
	global_store_dword v[5:6], v3, off
	global_load_dword v3, v30, s[28:29]
	s_waitcnt vmcnt(0)
	v_add_nc_u32_e32 v3, v4, v3
	ds_write_b32 v30, v3
.LBB839_73:
	s_or_b32 exec_lo, exec_lo, s21
	v_add_nc_u32_e32 v5, v31, v27
	v_add3_u32 v6, v29, v28, v34
	v_add3_u32 v7, v33, v32, v37
	;; [unrolled: 1-line block ×11, first 2 shown]
	v_mov_b32_e32 v4, 0
	v_mov_b32_e32 v36, v5
	v_mov_b32_e32 v37, v6
	v_mov_b32_e32 v38, v7
	v_mov_b32_e32 v39, v8
	v_mov_b32_e32 v40, v27
	v_mov_b32_e32 v41, v28
	v_mov_b32_e32 v42, v29
	v_mov_b32_e32 v43, v31
	v_mov_b32_e32 v44, v32
	v_mov_b32_e32 v45, v33
	v_mov_b32_e32 v46, v34
	v_mov_b32_e32 v47, v35
	v_mov_b32_e32 v48, v0
	s_mov_b32 s21, 32
	s_mov_b32 s23, 0
	s_mov_b32 s22, -1
	s_branch .LBB839_75
.LBB839_74:                             ;   in Loop: Header=BB839_75 Depth=1
	s_or_b32 exec_lo, exec_lo, s24
	v_add_nc_u32_e32 v48, 0x2000, v48
	v_add_nc_u32_e32 v47, 0xffffe000, v47
	;; [unrolled: 1-line block ×13, first 2 shown]
	s_xor_b32 s23, s22, -1
	s_mov_b32 s22, 0
	s_and_b32 vcc_lo, exec_lo, s23
	s_mov_b32 s23, s21
	s_waitcnt_vscnt null, 0x0
	s_barrier
	buffer_gl0_inv
	s_cbranch_vccnz .LBB839_91
.LBB839_75:                             ; =>This Inner Loop Header: Depth=1
	v_min_u32_e32 v3, 0x2000, v36
	v_min_u32_e32 v49, 0x2000, v37
	;; [unrolled: 1-line block ×5, first 2 shown]
	v_lshlrev_b32_e32 v3, 2, v3
	v_lshlrev_b32_e32 v49, 2, v49
	v_min_u32_e32 v53, 0x2000, v41
	v_lshlrev_b32_e32 v50, 2, v50
	s_mov_b32 s24, exec_lo
	ds_write_b32 v3, v16 offset:1024
	ds_write_b32 v49, v15 offset:1024
	v_min_u32_e32 v3, 0x2000, v42
	v_lshlrev_b32_e32 v49, 2, v51
	v_lshlrev_b32_e32 v51, 2, v52
	v_lshlrev_b32_e32 v52, 2, v53
	ds_write_b32 v50, v18 offset:1024
	v_lshlrev_b32_e32 v3, 2, v3
	ds_write_b32 v49, v17 offset:1024
	ds_write_b32 v51, v20 offset:1024
	;; [unrolled: 1-line block ×3, first 2 shown]
	v_min_u32_e32 v49, 0x2000, v43
	v_min_u32_e32 v50, 0x2000, v45
	;; [unrolled: 1-line block ×3, first 2 shown]
	ds_write_b32 v3, v22 offset:1024
	v_min_u32_e32 v3, 0x2000, v44
	v_lshlrev_b32_e32 v49, 2, v49
	v_min_u32_e32 v52, 0x2000, v47
	v_lshlrev_b32_e32 v50, 2, v50
	v_lshlrev_b32_e32 v51, 2, v51
	;; [unrolled: 1-line block ×3, first 2 shown]
	ds_write_b32 v49, v21 offset:1024
	v_lshlrev_b32_e32 v49, 2, v52
	ds_write_b32 v3, v24 offset:1024
	ds_write_b32 v50, v23 offset:1024
	;; [unrolled: 1-line block ×4, first 2 shown]
	s_waitcnt lgkmcnt(0)
	s_waitcnt_vscnt null, 0x0
	s_barrier
	buffer_gl0_inv
	v_cmpx_gt_u32_e64 s48, v48
	s_cbranch_execz .LBB839_77
; %bb.76:                               ;   in Loop: Header=BB839_75 Depth=1
	ds_read_b32 v51, v30 offset:1024
	s_waitcnt lgkmcnt(0)
	v_lshrrev_b32_e32 v3, s44, v51
	v_and_b32_e32 v52, s49, v3
	v_lshlrev_b32_e32 v3, 2, v52
	ds_read_b32 v3, v3
	s_waitcnt lgkmcnt(0)
	v_add_nc_u32_e32 v3, v48, v3
	v_lshlrev_b64 v[49:50], 2, v[3:4]
	v_xor_b32_e32 v3, 0x80000000, v51
	v_mov_b32_e32 v51, s23
	v_add_co_u32 v49, vcc_lo, s38, v49
	v_add_co_ci_u32_e64 v50, null, s39, v50, vcc_lo
	buffer_store_dword v52, v51, s[0:3], 0 offen
	global_store_dword v[49:50], v3, off
.LBB839_77:                             ;   in Loop: Header=BB839_75 Depth=1
	s_or_b32 exec_lo, exec_lo, s24
	v_add_nc_u32_e32 v3, 0x400, v48
	s_mov_b32 s24, exec_lo
	v_cmpx_gt_u32_e64 s48, v3
	s_cbranch_execz .LBB839_79
; %bb.78:                               ;   in Loop: Header=BB839_75 Depth=1
	ds_read_b32 v51, v30 offset:5120
	s_waitcnt lgkmcnt(0)
	v_lshrrev_b32_e32 v3, s44, v51
	v_and_b32_e32 v52, s49, v3
	v_lshlrev_b32_e32 v3, 2, v52
	ds_read_b32 v3, v3
	s_waitcnt lgkmcnt(0)
	v_add3_u32 v3, v48, v3, 0x400
	v_lshlrev_b64 v[49:50], 2, v[3:4]
	v_xor_b32_e32 v3, 0x80000000, v51
	v_mov_b32_e32 v51, s23
	v_add_co_u32 v49, vcc_lo, s38, v49
	v_add_co_ci_u32_e64 v50, null, s39, v50, vcc_lo
	buffer_store_dword v52, v51, s[0:3], 0 offen offset:4
	global_store_dword v[49:50], v3, off
.LBB839_79:                             ;   in Loop: Header=BB839_75 Depth=1
	s_or_b32 exec_lo, exec_lo, s24
	v_add_nc_u32_e32 v3, 0x800, v48
	s_mov_b32 s24, exec_lo
	v_cmpx_gt_u32_e64 s48, v3
	s_cbranch_execz .LBB839_81
; %bb.80:                               ;   in Loop: Header=BB839_75 Depth=1
	ds_read_b32 v51, v30 offset:9216
	s_waitcnt lgkmcnt(0)
	v_lshrrev_b32_e32 v3, s44, v51
	v_and_b32_e32 v52, s49, v3
	v_lshlrev_b32_e32 v3, 2, v52
	ds_read_b32 v3, v3
	s_waitcnt lgkmcnt(0)
	v_add3_u32 v3, v48, v3, 0x800
	v_lshlrev_b64 v[49:50], 2, v[3:4]
	v_xor_b32_e32 v3, 0x80000000, v51
	v_mov_b32_e32 v51, s23
	v_add_co_u32 v49, vcc_lo, s38, v49
	v_add_co_ci_u32_e64 v50, null, s39, v50, vcc_lo
	buffer_store_dword v52, v51, s[0:3], 0 offen offset:8
	global_store_dword v[49:50], v3, off
.LBB839_81:                             ;   in Loop: Header=BB839_75 Depth=1
	;; [unrolled: 22-line block ×6, first 2 shown]
	s_or_b32 exec_lo, exec_lo, s24
	v_add_nc_u32_e32 v3, 0x1c00, v48
	s_mov_b32 s24, exec_lo
	v_cmpx_gt_u32_e64 s48, v3
	s_cbranch_execz .LBB839_74
; %bb.90:                               ;   in Loop: Header=BB839_75 Depth=1
	ds_read_b32 v51, v30 offset:29696
	s_waitcnt lgkmcnt(0)
	v_lshrrev_b32_e32 v3, s44, v51
	v_and_b32_e32 v52, s49, v3
	v_lshlrev_b32_e32 v3, 2, v52
	ds_read_b32 v3, v3
	s_waitcnt lgkmcnt(0)
	v_add3_u32 v3, v48, v3, 0x1c00
	v_lshlrev_b64 v[49:50], 2, v[3:4]
	v_xor_b32_e32 v3, 0x80000000, v51
	v_mov_b32_e32 v51, s23
	v_add_co_u32 v49, vcc_lo, s38, v49
	v_add_co_ci_u32_e64 v50, null, s39, v50, vcc_lo
	buffer_store_dword v52, v51, s[0:3], 0 offen offset:28
	global_store_dword v[49:50], v3, off
	s_branch .LBB839_74
.LBB839_91:
	s_add_u32 s22, s40, s46
	s_addc_u32 s23, s41, s47
	v_add_co_u32 v3, s22, s22, v13
	v_add_co_ci_u32_e64 v4, null, s23, 0, s22
                                        ; implicit-def: $vgpr13
	v_add_co_u32 v3, vcc_lo, v3, v14
	v_add_co_ci_u32_e64 v4, null, 0, v4, vcc_lo
	s_and_saveexec_b32 s22, s8
	s_cbranch_execz .LBB839_103
; %bb.92:
	global_load_dword v13, v[3:4], off
	s_or_b32 exec_lo, exec_lo, s22
                                        ; implicit-def: $vgpr14
	s_and_saveexec_b32 s8, s9
	s_cbranch_execnz .LBB839_104
.LBB839_93:
	s_or_b32 exec_lo, exec_lo, s8
                                        ; implicit-def: $vgpr15
	s_and_saveexec_b32 s8, s10
	s_cbranch_execz .LBB839_105
.LBB839_94:
	global_load_dword v15, v[3:4], off offset:256
	s_or_b32 exec_lo, exec_lo, s8
                                        ; implicit-def: $vgpr16
	s_and_saveexec_b32 s8, s11
	s_cbranch_execnz .LBB839_106
.LBB839_95:
	s_or_b32 exec_lo, exec_lo, s8
                                        ; implicit-def: $vgpr17
	s_and_saveexec_b32 s8, s12
	s_cbranch_execz .LBB839_107
.LBB839_96:
	global_load_dword v17, v[3:4], off offset:512
	s_or_b32 exec_lo, exec_lo, s8
                                        ; implicit-def: $vgpr18
	s_and_saveexec_b32 s8, s13
	s_cbranch_execnz .LBB839_108
.LBB839_97:
	s_or_b32 exec_lo, exec_lo, s8
                                        ; implicit-def: $vgpr19
	s_and_saveexec_b32 s8, s14
	s_cbranch_execz .LBB839_109
.LBB839_98:
	global_load_dword v19, v[3:4], off offset:768
	s_or_b32 exec_lo, exec_lo, s8
                                        ; implicit-def: $vgpr20
	s_and_saveexec_b32 s8, s15
	s_cbranch_execnz .LBB839_110
.LBB839_99:
	s_or_b32 exec_lo, exec_lo, s8
                                        ; implicit-def: $vgpr21
	s_and_saveexec_b32 s8, s16
	s_cbranch_execz .LBB839_111
.LBB839_100:
	global_load_dword v21, v[3:4], off offset:1024
	s_or_b32 exec_lo, exec_lo, s8
                                        ; implicit-def: $vgpr22
	s_and_saveexec_b32 s8, s17
	s_cbranch_execnz .LBB839_112
.LBB839_101:
	s_or_b32 exec_lo, exec_lo, s8
                                        ; implicit-def: $vgpr23
	s_and_saveexec_b32 s8, s18
	s_cbranch_execz .LBB839_113
.LBB839_102:
	global_load_dword v23, v[3:4], off offset:1280
	s_or_b32 exec_lo, exec_lo, s8
                                        ; implicit-def: $vgpr24
	s_and_saveexec_b32 s8, s19
	s_cbranch_execnz .LBB839_114
	s_branch .LBB839_115
.LBB839_103:
	s_or_b32 exec_lo, exec_lo, s22
                                        ; implicit-def: $vgpr14
	s_and_saveexec_b32 s8, s9
	s_cbranch_execz .LBB839_93
.LBB839_104:
	global_load_dword v14, v[3:4], off offset:128
	s_or_b32 exec_lo, exec_lo, s8
                                        ; implicit-def: $vgpr15
	s_and_saveexec_b32 s8, s10
	s_cbranch_execnz .LBB839_94
.LBB839_105:
	s_or_b32 exec_lo, exec_lo, s8
                                        ; implicit-def: $vgpr16
	s_and_saveexec_b32 s8, s11
	s_cbranch_execz .LBB839_95
.LBB839_106:
	global_load_dword v16, v[3:4], off offset:384
	s_or_b32 exec_lo, exec_lo, s8
                                        ; implicit-def: $vgpr17
	s_and_saveexec_b32 s8, s12
	s_cbranch_execnz .LBB839_96
.LBB839_107:
	s_or_b32 exec_lo, exec_lo, s8
                                        ; implicit-def: $vgpr18
	s_and_saveexec_b32 s8, s13
	s_cbranch_execz .LBB839_97
.LBB839_108:
	global_load_dword v18, v[3:4], off offset:640
	s_or_b32 exec_lo, exec_lo, s8
                                        ; implicit-def: $vgpr19
	s_and_saveexec_b32 s8, s14
	s_cbranch_execnz .LBB839_98
.LBB839_109:
	s_or_b32 exec_lo, exec_lo, s8
                                        ; implicit-def: $vgpr20
	s_and_saveexec_b32 s8, s15
	s_cbranch_execz .LBB839_99
.LBB839_110:
	global_load_dword v20, v[3:4], off offset:896
	s_or_b32 exec_lo, exec_lo, s8
                                        ; implicit-def: $vgpr21
	s_and_saveexec_b32 s8, s16
	s_cbranch_execnz .LBB839_100
.LBB839_111:
	s_or_b32 exec_lo, exec_lo, s8
                                        ; implicit-def: $vgpr22
	s_and_saveexec_b32 s8, s17
	s_cbranch_execz .LBB839_101
.LBB839_112:
	global_load_dword v22, v[3:4], off offset:1152
	s_or_b32 exec_lo, exec_lo, s8
                                        ; implicit-def: $vgpr23
	s_and_saveexec_b32 s8, s18
	s_cbranch_execnz .LBB839_102
.LBB839_113:
	s_or_b32 exec_lo, exec_lo, s8
                                        ; implicit-def: $vgpr24
	s_and_saveexec_b32 s8, s19
	s_cbranch_execz .LBB839_115
.LBB839_114:
	global_load_dword v24, v[3:4], off offset:1408
.LBB839_115:
	s_or_b32 exec_lo, exec_lo, s8
	v_mov_b32_e32 v4, 0
	v_mov_b32_e32 v25, v0
	s_mov_b32 s9, 0
	s_mov_b32 s8, -1
	s_branch .LBB839_117
.LBB839_116:                            ;   in Loop: Header=BB839_117 Depth=1
	s_or_b32 exec_lo, exec_lo, s10
	v_add_nc_u32_e32 v25, 0x2000, v25
	v_add_nc_u32_e32 v35, 0xffffe000, v35
	;; [unrolled: 1-line block ×13, first 2 shown]
	s_xor_b32 s9, s8, -1
	s_mov_b32 s8, 0
	s_and_b32 vcc_lo, exec_lo, s9
	s_mov_b32 s9, s21
	s_waitcnt_vscnt null, 0x0
	s_barrier
	buffer_gl0_inv
	s_cbranch_vccnz .LBB839_133
.LBB839_117:                            ; =>This Inner Loop Header: Depth=1
	v_min_u32_e32 v3, 0x2000, v5
	v_min_u32_e32 v26, 0x2000, v6
	;; [unrolled: 1-line block ×5, first 2 shown]
	v_lshlrev_b32_e32 v3, 2, v3
	v_lshlrev_b32_e32 v26, 2, v26
	v_min_u32_e32 v39, 0x2000, v28
	v_lshlrev_b32_e32 v36, 2, v36
	s_mov_b32 s10, exec_lo
	s_waitcnt vmcnt(0)
	ds_write_b32 v3, v13 offset:1024
	ds_write_b32 v26, v14 offset:1024
	v_min_u32_e32 v3, 0x2000, v29
	v_lshlrev_b32_e32 v26, 2, v37
	v_lshlrev_b32_e32 v37, 2, v38
	;; [unrolled: 1-line block ×3, first 2 shown]
	ds_write_b32 v36, v15 offset:1024
	v_lshlrev_b32_e32 v3, 2, v3
	ds_write_b32 v26, v16 offset:1024
	ds_write_b32 v37, v17 offset:1024
	;; [unrolled: 1-line block ×3, first 2 shown]
	v_min_u32_e32 v26, 0x2000, v31
	v_min_u32_e32 v36, 0x2000, v33
	;; [unrolled: 1-line block ×3, first 2 shown]
	ds_write_b32 v3, v19 offset:1024
	v_min_u32_e32 v3, 0x2000, v32
	v_lshlrev_b32_e32 v26, 2, v26
	v_min_u32_e32 v38, 0x2000, v35
	v_lshlrev_b32_e32 v36, 2, v36
	v_lshlrev_b32_e32 v37, 2, v37
	;; [unrolled: 1-line block ×3, first 2 shown]
	ds_write_b32 v26, v20 offset:1024
	v_lshlrev_b32_e32 v26, 2, v38
	ds_write_b32 v3, v21 offset:1024
	ds_write_b32 v36, v22 offset:1024
	ds_write_b32 v37, v23 offset:1024
	ds_write_b32 v26, v24 offset:1024
	s_waitcnt lgkmcnt(0)
	s_barrier
	buffer_gl0_inv
	v_cmpx_gt_u32_e64 s48, v25
	s_cbranch_execz .LBB839_119
; %bb.118:                              ;   in Loop: Header=BB839_117 Depth=1
	v_mov_b32_e32 v3, s9
	buffer_load_dword v3, v3, s[0:3], 0 offen
	s_waitcnt vmcnt(0)
	v_lshlrev_b32_e32 v3, 2, v3
	ds_read_b32 v3, v3
	ds_read_b32 v26, v30 offset:1024
	s_waitcnt lgkmcnt(1)
	v_add_nc_u32_e32 v3, v25, v3
	v_lshlrev_b64 v[36:37], 2, v[3:4]
	v_add_co_u32 v36, vcc_lo, s42, v36
	v_add_co_ci_u32_e64 v37, null, s43, v37, vcc_lo
	s_waitcnt lgkmcnt(0)
	global_store_dword v[36:37], v26, off
.LBB839_119:                            ;   in Loop: Header=BB839_117 Depth=1
	s_or_b32 exec_lo, exec_lo, s10
	v_add_nc_u32_e32 v3, 0x400, v25
	s_mov_b32 s10, exec_lo
	v_cmpx_gt_u32_e64 s48, v3
	s_cbranch_execz .LBB839_121
; %bb.120:                              ;   in Loop: Header=BB839_117 Depth=1
	v_mov_b32_e32 v3, s9
	buffer_load_dword v3, v3, s[0:3], 0 offen offset:4
	s_waitcnt vmcnt(0)
	v_lshlrev_b32_e32 v3, 2, v3
	ds_read_b32 v3, v3
	ds_read_b32 v26, v30 offset:5120
	s_waitcnt lgkmcnt(1)
	v_add3_u32 v3, v25, v3, 0x400
	v_lshlrev_b64 v[36:37], 2, v[3:4]
	v_add_co_u32 v36, vcc_lo, s42, v36
	v_add_co_ci_u32_e64 v37, null, s43, v37, vcc_lo
	s_waitcnt lgkmcnt(0)
	global_store_dword v[36:37], v26, off
.LBB839_121:                            ;   in Loop: Header=BB839_117 Depth=1
	s_or_b32 exec_lo, exec_lo, s10
	v_add_nc_u32_e32 v3, 0x800, v25
	s_mov_b32 s10, exec_lo
	v_cmpx_gt_u32_e64 s48, v3
	s_cbranch_execz .LBB839_123
; %bb.122:                              ;   in Loop: Header=BB839_117 Depth=1
	v_mov_b32_e32 v3, s9
	buffer_load_dword v3, v3, s[0:3], 0 offen offset:8
	s_waitcnt vmcnt(0)
	v_lshlrev_b32_e32 v3, 2, v3
	ds_read_b32 v3, v3
	ds_read_b32 v26, v30 offset:9216
	s_waitcnt lgkmcnt(1)
	v_add3_u32 v3, v25, v3, 0x800
	v_lshlrev_b64 v[36:37], 2, v[3:4]
	v_add_co_u32 v36, vcc_lo, s42, v36
	v_add_co_ci_u32_e64 v37, null, s43, v37, vcc_lo
	s_waitcnt lgkmcnt(0)
	global_store_dword v[36:37], v26, off
.LBB839_123:                            ;   in Loop: Header=BB839_117 Depth=1
	s_or_b32 exec_lo, exec_lo, s10
	v_add_nc_u32_e32 v3, 0xc00, v25
	s_mov_b32 s10, exec_lo
	v_cmpx_gt_u32_e64 s48, v3
	s_cbranch_execz .LBB839_125
; %bb.124:                              ;   in Loop: Header=BB839_117 Depth=1
	v_mov_b32_e32 v3, s9
	buffer_load_dword v3, v3, s[0:3], 0 offen offset:12
	s_waitcnt vmcnt(0)
	v_lshlrev_b32_e32 v3, 2, v3
	ds_read_b32 v3, v3
	ds_read_b32 v26, v30 offset:13312
	s_waitcnt lgkmcnt(1)
	v_add3_u32 v3, v25, v3, 0xc00
	v_lshlrev_b64 v[36:37], 2, v[3:4]
	v_add_co_u32 v36, vcc_lo, s42, v36
	v_add_co_ci_u32_e64 v37, null, s43, v37, vcc_lo
	s_waitcnt lgkmcnt(0)
	global_store_dword v[36:37], v26, off
.LBB839_125:                            ;   in Loop: Header=BB839_117 Depth=1
	s_or_b32 exec_lo, exec_lo, s10
	v_add_nc_u32_e32 v3, 0x1000, v25
	s_mov_b32 s10, exec_lo
	v_cmpx_gt_u32_e64 s48, v3
	s_cbranch_execz .LBB839_127
; %bb.126:                              ;   in Loop: Header=BB839_117 Depth=1
	v_mov_b32_e32 v3, s9
	buffer_load_dword v3, v3, s[0:3], 0 offen offset:16
	s_waitcnt vmcnt(0)
	v_lshlrev_b32_e32 v3, 2, v3
	ds_read_b32 v3, v3
	ds_read_b32 v26, v30 offset:17408
	s_waitcnt lgkmcnt(1)
	v_add3_u32 v3, v25, v3, 0x1000
	v_lshlrev_b64 v[36:37], 2, v[3:4]
	v_add_co_u32 v36, vcc_lo, s42, v36
	v_add_co_ci_u32_e64 v37, null, s43, v37, vcc_lo
	s_waitcnt lgkmcnt(0)
	global_store_dword v[36:37], v26, off
.LBB839_127:                            ;   in Loop: Header=BB839_117 Depth=1
	s_or_b32 exec_lo, exec_lo, s10
	v_add_nc_u32_e32 v3, 0x1400, v25
	s_mov_b32 s10, exec_lo
	v_cmpx_gt_u32_e64 s48, v3
	s_cbranch_execz .LBB839_129
; %bb.128:                              ;   in Loop: Header=BB839_117 Depth=1
	v_mov_b32_e32 v3, s9
	buffer_load_dword v3, v3, s[0:3], 0 offen offset:20
	s_waitcnt vmcnt(0)
	v_lshlrev_b32_e32 v3, 2, v3
	ds_read_b32 v3, v3
	ds_read_b32 v26, v30 offset:21504
	s_waitcnt lgkmcnt(1)
	v_add3_u32 v3, v25, v3, 0x1400
	v_lshlrev_b64 v[36:37], 2, v[3:4]
	v_add_co_u32 v36, vcc_lo, s42, v36
	v_add_co_ci_u32_e64 v37, null, s43, v37, vcc_lo
	s_waitcnt lgkmcnt(0)
	global_store_dword v[36:37], v26, off
.LBB839_129:                            ;   in Loop: Header=BB839_117 Depth=1
	s_or_b32 exec_lo, exec_lo, s10
	v_add_nc_u32_e32 v3, 0x1800, v25
	s_mov_b32 s10, exec_lo
	v_cmpx_gt_u32_e64 s48, v3
	s_cbranch_execz .LBB839_131
; %bb.130:                              ;   in Loop: Header=BB839_117 Depth=1
	v_mov_b32_e32 v3, s9
	buffer_load_dword v3, v3, s[0:3], 0 offen offset:24
	s_waitcnt vmcnt(0)
	v_lshlrev_b32_e32 v3, 2, v3
	ds_read_b32 v3, v3
	ds_read_b32 v26, v30 offset:25600
	s_waitcnt lgkmcnt(1)
	v_add3_u32 v3, v25, v3, 0x1800
	v_lshlrev_b64 v[36:37], 2, v[3:4]
	v_add_co_u32 v36, vcc_lo, s42, v36
	v_add_co_ci_u32_e64 v37, null, s43, v37, vcc_lo
	s_waitcnt lgkmcnt(0)
	global_store_dword v[36:37], v26, off
.LBB839_131:                            ;   in Loop: Header=BB839_117 Depth=1
	s_or_b32 exec_lo, exec_lo, s10
	v_add_nc_u32_e32 v3, 0x1c00, v25
	s_mov_b32 s10, exec_lo
	v_cmpx_gt_u32_e64 s48, v3
	s_cbranch_execz .LBB839_116
; %bb.132:                              ;   in Loop: Header=BB839_117 Depth=1
	v_mov_b32_e32 v3, s9
	buffer_load_dword v3, v3, s[0:3], 0 offen offset:28
	s_waitcnt vmcnt(0)
	v_lshlrev_b32_e32 v3, 2, v3
	ds_read_b32 v3, v3
	ds_read_b32 v26, v30 offset:29696
	s_waitcnt lgkmcnt(1)
	v_add3_u32 v3, v25, v3, 0x1c00
	v_lshlrev_b64 v[36:37], 2, v[3:4]
	v_add_co_u32 v36, vcc_lo, s42, v36
	v_add_co_ci_u32_e64 v37, null, s43, v37, vcc_lo
	s_waitcnt lgkmcnt(0)
	global_store_dword v[36:37], v26, off
	s_branch .LBB839_116
.LBB839_133:
	s_add_i32 s35, s35, -1
	s_cmp_eq_u32 s33, s35
	s_cselect_b32 s8, -1, 0
	s_xor_b32 s9, s20, -1
	s_and_b32 s9, s9, s8
	s_and_saveexec_b32 s8, s9
	s_cbranch_execz .LBB839_135
; %bb.134:
	ds_read_b32 v3, v30
	s_waitcnt lgkmcnt(0)
	v_add3_u32 v3, v9, v10, v3
	global_store_dword v30, v3, s[30:31]
.LBB839_135:
	s_or_b32 exec_lo, exec_lo, s8
	s_mov_b32 s9, 0
.LBB839_136:
	s_and_b32 vcc_lo, exec_lo, s9
	s_cbranch_vccz .LBB839_203
; %bb.137:
	s_mov_b32 s35, 0
	v_mul_u32_u24_e32 v3, 12, v12
	v_lshlrev_b32_e32 v9, 2, v11
	s_lshl_b64 s[12:13], s[34:35], 2
	v_mov_b32_e32 v22, 0
	s_add_u32 s8, s36, s12
	s_addc_u32 s9, s37, s13
	v_lshlrev_b32_e32 v10, 2, v3
	v_add_co_u32 v3, s8, s8, v9
	v_add_co_ci_u32_e64 v4, null, s9, 0, s8
	v_add_co_u32 v18, vcc_lo, v3, v10
	v_add_co_ci_u32_e64 v19, null, 0, v4, vcc_lo
	global_load_dword v12, v[18:19], off
	s_clause 0x1
	s_load_dword s8, s[4:5], 0x64
	s_load_dword s11, s[4:5], 0x58
	s_add_u32 s4, s4, 0x58
	s_addc_u32 s5, s5, 0
	s_waitcnt lgkmcnt(0)
	s_lshr_b32 s8, s8, 16
	s_cmp_lt_u32 s6, s11
	v_mad_u32_u24 v1, v2, s8, v1
	s_cselect_b32 s6, 12, 18
	s_add_u32 s4, s4, s6
	s_addc_u32 s5, s5, 0
	global_load_ushort v16, v22, s[4:5]
	s_clause 0xa
	global_load_dword v13, v[18:19], off offset:128
	global_load_dword v14, v[18:19], off offset:256
	;; [unrolled: 1-line block ×11, first 2 shown]
	s_lshl_b32 s4, -1, s45
	s_not_b32 s14, s4
	s_waitcnt vmcnt(12)
	v_xor_b32_e32 v12, 0x80000000, v12
	v_lshrrev_b32_e32 v18, s44, v12
	v_and_b32_e32 v18, s14, v18
	v_and_b32_e32 v19, 1, v18
	v_lshlrev_b32_e32 v21, 30, v18
	v_lshlrev_b32_e32 v23, 29, v18
	v_lshlrev_b32_e32 v24, 28, v18
	v_lshlrev_b32_e32 v26, 27, v18
	v_add_co_u32 v19, s4, v19, -1
	v_cndmask_b32_e64 v25, 0, 1, s4
	v_not_b32_e32 v29, v21
	v_cmp_gt_i32_e64 s4, 0, v21
	v_not_b32_e32 v21, v23
	v_lshlrev_b32_e32 v27, 26, v18
	v_cmp_ne_u32_e32 vcc_lo, 0, v25
	v_ashrrev_i32_e32 v29, 31, v29
	v_lshlrev_b32_e32 v28, 25, v18
	v_ashrrev_i32_e32 v21, 31, v21
	v_lshlrev_b32_e32 v25, 24, v18
	v_xor_b32_e32 v19, vcc_lo, v19
	v_cmp_gt_i32_e32 vcc_lo, 0, v23
	v_not_b32_e32 v23, v24
	v_xor_b32_e32 v29, s4, v29
	v_cmp_gt_i32_e64 s4, 0, v24
	v_and_b32_e32 v19, exec_lo, v19
	v_not_b32_e32 v24, v26
	v_ashrrev_i32_e32 v23, 31, v23
	v_xor_b32_e32 v21, vcc_lo, v21
	v_cmp_gt_i32_e32 vcc_lo, 0, v26
	v_and_b32_e32 v19, v19, v29
	v_not_b32_e32 v26, v27
	v_ashrrev_i32_e32 v24, 31, v24
	v_xor_b32_e32 v23, s4, v23
	v_cmp_gt_i32_e64 s4, 0, v27
	v_and_b32_e32 v19, v19, v21
	v_not_b32_e32 v21, v28
	v_ashrrev_i32_e32 v26, 31, v26
	v_xor_b32_e32 v24, vcc_lo, v24
	v_cmp_gt_i32_e32 vcc_lo, 0, v28
	v_and_b32_e32 v19, v19, v23
	v_not_b32_e32 v23, v25
	v_ashrrev_i32_e32 v21, 31, v21
	v_xor_b32_e32 v26, s4, v26
	v_cmp_gt_i32_e64 s4, 0, v25
	v_and_b32_e32 v19, v19, v24
	v_ashrrev_i32_e32 v23, 31, v23
	v_xor_b32_e32 v21, vcc_lo, v21
	s_waitcnt vmcnt(11)
	v_mad_u64_u32 v[1:2], null, v1, v16, v[0:1]
	v_and_b32_e32 v19, v19, v26
	v_xor_b32_e32 v23, s4, v23
	v_mul_lo_u32 v18, 0x84, v18
	v_and_b32_e32 v19, v19, v21
	v_mul_u32_u24_e32 v21, 36, v0
	v_lshrrev_b32_e32 v1, 5, v1
	ds_write2_b32 v21, v22, v22 offset0:32 offset1:33
	ds_write2_b32 v21, v22, v22 offset0:34 offset1:35
	;; [unrolled: 1-line block ×3, first 2 shown]
	v_and_b32_e32 v2, v19, v23
	ds_write2_b32 v21, v22, v22 offset0:38 offset1:39
	ds_write_b32 v21, v22 offset:160
	v_lshl_add_u32 v22, v1, 2, v18
	s_waitcnt vmcnt(0) lgkmcnt(0)
	s_waitcnt_vscnt null, 0x0
	s_barrier
	v_mbcnt_lo_u32_b32 v16, v2, 0
	v_cmp_ne_u32_e64 s4, 0, v2
	buffer_gl0_inv
	; wave barrier
	v_cmp_eq_u32_e32 vcc_lo, 0, v16
	s_and_b32 s5, s4, vcc_lo
	s_and_saveexec_b32 s4, s5
; %bb.138:
	v_bcnt_u32_b32 v2, v2, 0
	ds_write_b32 v22, v2 offset:128
; %bb.139:
	s_or_b32 exec_lo, exec_lo, s4
	v_xor_b32_e32 v13, 0x80000000, v13
	; wave barrier
	v_lshrrev_b32_e32 v2, s44, v13
	v_and_b32_e32 v2, s14, v2
	v_and_b32_e32 v19, 1, v2
	v_lshlrev_b32_e32 v23, 30, v2
	v_lshlrev_b32_e32 v24, 29, v2
	;; [unrolled: 1-line block ×4, first 2 shown]
	v_add_co_u32 v19, s4, v19, -1
	v_cndmask_b32_e64 v26, 0, 1, s4
	v_not_b32_e32 v30, v23
	v_cmp_gt_i32_e64 s4, 0, v23
	v_not_b32_e32 v23, v24
	v_lshlrev_b32_e32 v28, 26, v2
	v_cmp_ne_u32_e32 vcc_lo, 0, v26
	v_ashrrev_i32_e32 v26, 31, v30
	v_lshlrev_b32_e32 v29, 25, v2
	v_ashrrev_i32_e32 v23, 31, v23
	v_mul_lo_u32 v18, 0x84, v2
	v_xor_b32_e32 v19, vcc_lo, v19
	v_cmp_gt_i32_e32 vcc_lo, 0, v24
	v_not_b32_e32 v24, v25
	v_xor_b32_e32 v26, s4, v26
	v_cmp_gt_i32_e64 s4, 0, v25
	v_and_b32_e32 v19, exec_lo, v19
	v_not_b32_e32 v25, v27
	v_ashrrev_i32_e32 v24, 31, v24
	v_xor_b32_e32 v23, vcc_lo, v23
	v_cmp_gt_i32_e32 vcc_lo, 0, v27
	v_and_b32_e32 v19, v19, v26
	v_not_b32_e32 v26, v28
	v_ashrrev_i32_e32 v25, 31, v25
	v_xor_b32_e32 v24, s4, v24
	v_lshlrev_b32_e32 v2, 24, v2
	v_and_b32_e32 v19, v19, v23
	v_cmp_gt_i32_e64 s4, 0, v28
	v_not_b32_e32 v23, v29
	v_ashrrev_i32_e32 v26, 31, v26
	v_xor_b32_e32 v25, vcc_lo, v25
	v_and_b32_e32 v19, v19, v24
	v_cmp_gt_i32_e32 vcc_lo, 0, v29
	v_not_b32_e32 v24, v2
	v_ashrrev_i32_e32 v23, 31, v23
	v_xor_b32_e32 v26, s4, v26
	v_and_b32_e32 v19, v19, v25
	v_cmp_gt_i32_e64 s4, 0, v2
	v_ashrrev_i32_e32 v2, 31, v24
	v_xor_b32_e32 v23, vcc_lo, v23
	v_and_b32_e32 v19, v19, v26
	v_lshl_add_u32 v26, v1, 2, v18
	v_xor_b32_e32 v2, s4, v2
	v_and_b32_e32 v19, v19, v23
	ds_read_b32 v18, v26 offset:128
	; wave barrier
	v_and_b32_e32 v2, v19, v2
	v_mbcnt_lo_u32_b32 v19, v2, 0
	v_cmp_ne_u32_e64 s4, 0, v2
	v_cmp_eq_u32_e32 vcc_lo, 0, v19
	s_and_b32 s5, s4, vcc_lo
	s_and_saveexec_b32 s4, s5
	s_cbranch_execz .LBB839_141
; %bb.140:
	s_waitcnt lgkmcnt(0)
	v_bcnt_u32_b32 v2, v2, v18
	ds_write_b32 v26, v2 offset:128
.LBB839_141:
	s_or_b32 exec_lo, exec_lo, s4
	v_xor_b32_e32 v14, 0x80000000, v14
	; wave barrier
	v_lshrrev_b32_e32 v2, s44, v14
	v_and_b32_e32 v2, s14, v2
	v_and_b32_e32 v24, 1, v2
	v_lshlrev_b32_e32 v25, 30, v2
	v_lshlrev_b32_e32 v27, 29, v2
	;; [unrolled: 1-line block ×4, first 2 shown]
	v_add_co_u32 v24, s4, v24, -1
	v_cndmask_b32_e64 v29, 0, 1, s4
	v_not_b32_e32 v33, v25
	v_cmp_gt_i32_e64 s4, 0, v25
	v_not_b32_e32 v25, v27
	v_lshlrev_b32_e32 v31, 26, v2
	v_cmp_ne_u32_e32 vcc_lo, 0, v29
	v_ashrrev_i32_e32 v29, 31, v33
	v_lshlrev_b32_e32 v32, 25, v2
	v_ashrrev_i32_e32 v25, 31, v25
	v_mul_lo_u32 v23, 0x84, v2
	v_xor_b32_e32 v24, vcc_lo, v24
	v_cmp_gt_i32_e32 vcc_lo, 0, v27
	v_not_b32_e32 v27, v28
	v_xor_b32_e32 v29, s4, v29
	v_cmp_gt_i32_e64 s4, 0, v28
	v_and_b32_e32 v24, exec_lo, v24
	v_not_b32_e32 v28, v30
	v_ashrrev_i32_e32 v27, 31, v27
	v_xor_b32_e32 v25, vcc_lo, v25
	v_cmp_gt_i32_e32 vcc_lo, 0, v30
	v_and_b32_e32 v24, v24, v29
	v_not_b32_e32 v29, v31
	v_ashrrev_i32_e32 v28, 31, v28
	v_xor_b32_e32 v27, s4, v27
	v_lshlrev_b32_e32 v2, 24, v2
	v_and_b32_e32 v24, v24, v25
	v_cmp_gt_i32_e64 s4, 0, v31
	v_not_b32_e32 v25, v32
	v_ashrrev_i32_e32 v29, 31, v29
	v_xor_b32_e32 v28, vcc_lo, v28
	v_and_b32_e32 v24, v24, v27
	v_cmp_gt_i32_e32 vcc_lo, 0, v32
	v_not_b32_e32 v27, v2
	v_ashrrev_i32_e32 v25, 31, v25
	v_xor_b32_e32 v29, s4, v29
	v_and_b32_e32 v24, v24, v28
	v_cmp_gt_i32_e64 s4, 0, v2
	v_ashrrev_i32_e32 v2, 31, v27
	v_xor_b32_e32 v25, vcc_lo, v25
	v_lshl_add_u32 v30, v1, 2, v23
	v_and_b32_e32 v24, v24, v29
	v_xor_b32_e32 v2, s4, v2
	ds_read_b32 v23, v30 offset:128
	v_and_b32_e32 v24, v24, v25
	; wave barrier
	v_and_b32_e32 v2, v24, v2
	v_mbcnt_lo_u32_b32 v24, v2, 0
	v_cmp_ne_u32_e64 s4, 0, v2
	v_cmp_eq_u32_e32 vcc_lo, 0, v24
	s_and_b32 s5, s4, vcc_lo
	s_and_saveexec_b32 s4, s5
	s_cbranch_execz .LBB839_143
; %bb.142:
	s_waitcnt lgkmcnt(0)
	v_bcnt_u32_b32 v2, v2, v23
	ds_write_b32 v30, v2 offset:128
.LBB839_143:
	s_or_b32 exec_lo, exec_lo, s4
	v_xor_b32_e32 v15, 0x80000000, v15
	; wave barrier
	v_lshrrev_b32_e32 v2, s44, v15
	v_and_b32_e32 v2, s14, v2
	v_and_b32_e32 v27, 1, v2
	v_lshlrev_b32_e32 v28, 30, v2
	v_lshlrev_b32_e32 v29, 29, v2
	v_lshlrev_b32_e32 v31, 28, v2
	v_lshlrev_b32_e32 v33, 27, v2
	v_add_co_u32 v27, s4, v27, -1
	v_cndmask_b32_e64 v32, 0, 1, s4
	v_not_b32_e32 v36, v28
	v_cmp_gt_i32_e64 s4, 0, v28
	v_not_b32_e32 v28, v29
	v_lshlrev_b32_e32 v34, 26, v2
	v_cmp_ne_u32_e32 vcc_lo, 0, v32
	v_ashrrev_i32_e32 v32, 31, v36
	v_lshlrev_b32_e32 v35, 25, v2
	v_ashrrev_i32_e32 v28, 31, v28
	v_mul_lo_u32 v25, 0x84, v2
	v_xor_b32_e32 v27, vcc_lo, v27
	v_cmp_gt_i32_e32 vcc_lo, 0, v29
	v_not_b32_e32 v29, v31
	v_xor_b32_e32 v32, s4, v32
	v_cmp_gt_i32_e64 s4, 0, v31
	v_and_b32_e32 v27, exec_lo, v27
	v_not_b32_e32 v31, v33
	v_ashrrev_i32_e32 v29, 31, v29
	v_xor_b32_e32 v28, vcc_lo, v28
	v_cmp_gt_i32_e32 vcc_lo, 0, v33
	v_and_b32_e32 v27, v27, v32
	v_not_b32_e32 v32, v34
	v_ashrrev_i32_e32 v31, 31, v31
	v_xor_b32_e32 v29, s4, v29
	v_lshlrev_b32_e32 v2, 24, v2
	v_and_b32_e32 v27, v27, v28
	v_cmp_gt_i32_e64 s4, 0, v34
	v_not_b32_e32 v28, v35
	v_ashrrev_i32_e32 v32, 31, v32
	v_xor_b32_e32 v31, vcc_lo, v31
	v_and_b32_e32 v27, v27, v29
	v_cmp_gt_i32_e32 vcc_lo, 0, v35
	v_not_b32_e32 v29, v2
	v_ashrrev_i32_e32 v28, 31, v28
	v_xor_b32_e32 v32, s4, v32
	v_and_b32_e32 v27, v27, v31
	v_cmp_gt_i32_e64 s4, 0, v2
	v_ashrrev_i32_e32 v2, 31, v29
	v_xor_b32_e32 v28, vcc_lo, v28
	v_lshl_add_u32 v34, v1, 2, v25
	v_and_b32_e32 v27, v27, v32
	v_xor_b32_e32 v2, s4, v2
	v_and_b32_e32 v25, v27, v28
	ds_read_b32 v27, v34 offset:128
	; wave barrier
	v_and_b32_e32 v2, v25, v2
	v_mbcnt_lo_u32_b32 v28, v2, 0
	v_cmp_ne_u32_e64 s4, 0, v2
	v_cmp_eq_u32_e32 vcc_lo, 0, v28
	s_and_b32 s5, s4, vcc_lo
	s_and_saveexec_b32 s4, s5
	s_cbranch_execz .LBB839_145
; %bb.144:
	s_waitcnt lgkmcnt(0)
	v_bcnt_u32_b32 v2, v2, v27
	ds_write_b32 v34, v2 offset:128
.LBB839_145:
	s_or_b32 exec_lo, exec_lo, s4
	v_xor_b32_e32 v17, 0x80000000, v17
	; wave barrier
	v_lshrrev_b32_e32 v2, s44, v17
	v_and_b32_e32 v2, s14, v2
	v_and_b32_e32 v29, 1, v2
	v_lshlrev_b32_e32 v31, 30, v2
	v_lshlrev_b32_e32 v32, 29, v2
	;; [unrolled: 1-line block ×4, first 2 shown]
	v_add_co_u32 v29, s4, v29, -1
	v_cndmask_b32_e64 v35, 0, 1, s4
	v_not_b32_e32 v39, v31
	v_cmp_gt_i32_e64 s4, 0, v31
	v_not_b32_e32 v31, v32
	v_lshlrev_b32_e32 v37, 26, v2
	v_cmp_ne_u32_e32 vcc_lo, 0, v35
	v_ashrrev_i32_e32 v35, 31, v39
	v_lshlrev_b32_e32 v38, 25, v2
	v_ashrrev_i32_e32 v31, 31, v31
	v_mul_lo_u32 v25, 0x84, v2
	v_xor_b32_e32 v29, vcc_lo, v29
	v_cmp_gt_i32_e32 vcc_lo, 0, v32
	v_not_b32_e32 v32, v33
	v_xor_b32_e32 v35, s4, v35
	v_cmp_gt_i32_e64 s4, 0, v33
	v_and_b32_e32 v29, exec_lo, v29
	v_not_b32_e32 v33, v36
	v_ashrrev_i32_e32 v32, 31, v32
	v_xor_b32_e32 v31, vcc_lo, v31
	v_cmp_gt_i32_e32 vcc_lo, 0, v36
	v_and_b32_e32 v29, v29, v35
	v_not_b32_e32 v35, v37
	v_ashrrev_i32_e32 v33, 31, v33
	v_xor_b32_e32 v32, s4, v32
	v_lshlrev_b32_e32 v2, 24, v2
	v_and_b32_e32 v29, v29, v31
	v_cmp_gt_i32_e64 s4, 0, v37
	v_not_b32_e32 v31, v38
	v_ashrrev_i32_e32 v35, 31, v35
	v_xor_b32_e32 v33, vcc_lo, v33
	v_and_b32_e32 v29, v29, v32
	v_cmp_gt_i32_e32 vcc_lo, 0, v38
	v_not_b32_e32 v32, v2
	v_ashrrev_i32_e32 v31, 31, v31
	v_xor_b32_e32 v35, s4, v35
	v_and_b32_e32 v29, v29, v33
	v_cmp_gt_i32_e64 s4, 0, v2
	v_ashrrev_i32_e32 v2, 31, v32
	v_xor_b32_e32 v31, vcc_lo, v31
	v_lshl_add_u32 v38, v1, 2, v25
	v_and_b32_e32 v29, v29, v35
	v_xor_b32_e32 v2, s4, v2
	v_and_b32_e32 v25, v29, v31
	ds_read_b32 v31, v38 offset:128
	; wave barrier
	v_and_b32_e32 v2, v25, v2
	v_mbcnt_lo_u32_b32 v32, v2, 0
	v_cmp_ne_u32_e64 s4, 0, v2
	v_cmp_eq_u32_e32 vcc_lo, 0, v32
	s_and_b32 s5, s4, vcc_lo
	s_and_saveexec_b32 s4, s5
	s_cbranch_execz .LBB839_147
; %bb.146:
	s_waitcnt lgkmcnt(0)
	v_bcnt_u32_b32 v2, v2, v31
	ds_write_b32 v38, v2 offset:128
.LBB839_147:
	s_or_b32 exec_lo, exec_lo, s4
	v_xor_b32_e32 v20, 0x80000000, v20
	; wave barrier
	v_lshrrev_b32_e32 v2, s44, v20
	v_and_b32_e32 v2, s14, v2
	v_and_b32_e32 v29, 1, v2
	v_lshlrev_b32_e32 v33, 30, v2
	v_lshlrev_b32_e32 v35, 29, v2
	;; [unrolled: 1-line block ×4, first 2 shown]
	v_add_co_u32 v29, s4, v29, -1
	v_cndmask_b32_e64 v37, 0, 1, s4
	v_not_b32_e32 v42, v33
	v_cmp_gt_i32_e64 s4, 0, v33
	v_not_b32_e32 v33, v35
	v_lshlrev_b32_e32 v40, 26, v2
	v_cmp_ne_u32_e32 vcc_lo, 0, v37
	v_ashrrev_i32_e32 v37, 31, v42
	v_lshlrev_b32_e32 v41, 25, v2
	v_ashrrev_i32_e32 v33, 31, v33
	v_mul_lo_u32 v25, 0x84, v2
	v_xor_b32_e32 v29, vcc_lo, v29
	v_cmp_gt_i32_e32 vcc_lo, 0, v35
	v_not_b32_e32 v35, v36
	v_xor_b32_e32 v37, s4, v37
	v_cmp_gt_i32_e64 s4, 0, v36
	v_and_b32_e32 v29, exec_lo, v29
	v_not_b32_e32 v36, v39
	v_ashrrev_i32_e32 v35, 31, v35
	v_xor_b32_e32 v33, vcc_lo, v33
	v_cmp_gt_i32_e32 vcc_lo, 0, v39
	v_and_b32_e32 v29, v29, v37
	v_not_b32_e32 v37, v40
	v_ashrrev_i32_e32 v36, 31, v36
	v_xor_b32_e32 v35, s4, v35
	v_lshlrev_b32_e32 v2, 24, v2
	v_and_b32_e32 v29, v29, v33
	v_cmp_gt_i32_e64 s4, 0, v40
	v_not_b32_e32 v33, v41
	v_ashrrev_i32_e32 v37, 31, v37
	v_xor_b32_e32 v36, vcc_lo, v36
	v_and_b32_e32 v29, v29, v35
	v_cmp_gt_i32_e32 vcc_lo, 0, v41
	v_not_b32_e32 v35, v2
	v_ashrrev_i32_e32 v33, 31, v33
	v_xor_b32_e32 v37, s4, v37
	v_and_b32_e32 v29, v29, v36
	v_cmp_gt_i32_e64 s4, 0, v2
	v_ashrrev_i32_e32 v2, 31, v35
	v_xor_b32_e32 v33, vcc_lo, v33
	v_lshl_add_u32 v43, v1, 2, v25
	v_and_b32_e32 v29, v29, v37
	v_xor_b32_e32 v2, s4, v2
	ds_read_b32 v35, v43 offset:128
	v_and_b32_e32 v25, v29, v33
	; wave barrier
	v_and_b32_e32 v2, v25, v2
	v_mbcnt_lo_u32_b32 v36, v2, 0
	v_cmp_ne_u32_e64 s4, 0, v2
	v_cmp_eq_u32_e32 vcc_lo, 0, v36
	s_and_b32 s5, s4, vcc_lo
	s_and_saveexec_b32 s4, s5
	s_cbranch_execz .LBB839_149
; %bb.148:
	s_waitcnt lgkmcnt(0)
	v_bcnt_u32_b32 v2, v2, v35
	ds_write_b32 v43, v2 offset:128
.LBB839_149:
	s_or_b32 exec_lo, exec_lo, s4
	v_xor_b32_e32 v25, 0x80000000, v8
	; wave barrier
	v_lshrrev_b32_e32 v2, s44, v25
	v_and_b32_e32 v2, s14, v2
	v_and_b32_e32 v29, 1, v2
	v_lshlrev_b32_e32 v33, 30, v2
	v_lshlrev_b32_e32 v37, 29, v2
	;; [unrolled: 1-line block ×4, first 2 shown]
	v_add_co_u32 v29, s4, v29, -1
	v_cndmask_b32_e64 v40, 0, 1, s4
	v_not_b32_e32 v45, v33
	v_cmp_gt_i32_e64 s4, 0, v33
	v_not_b32_e32 v33, v37
	v_lshlrev_b32_e32 v42, 26, v2
	v_cmp_ne_u32_e32 vcc_lo, 0, v40
	v_ashrrev_i32_e32 v40, 31, v45
	v_lshlrev_b32_e32 v44, 25, v2
	v_ashrrev_i32_e32 v33, 31, v33
	v_mul_lo_u32 v8, 0x84, v2
	v_xor_b32_e32 v29, vcc_lo, v29
	v_cmp_gt_i32_e32 vcc_lo, 0, v37
	v_not_b32_e32 v37, v39
	v_xor_b32_e32 v40, s4, v40
	v_cmp_gt_i32_e64 s4, 0, v39
	v_and_b32_e32 v29, exec_lo, v29
	v_not_b32_e32 v39, v41
	v_ashrrev_i32_e32 v37, 31, v37
	v_xor_b32_e32 v33, vcc_lo, v33
	v_cmp_gt_i32_e32 vcc_lo, 0, v41
	v_and_b32_e32 v29, v29, v40
	v_not_b32_e32 v40, v42
	v_ashrrev_i32_e32 v39, 31, v39
	v_xor_b32_e32 v37, s4, v37
	v_lshlrev_b32_e32 v2, 24, v2
	v_and_b32_e32 v29, v29, v33
	v_cmp_gt_i32_e64 s4, 0, v42
	v_not_b32_e32 v33, v44
	v_ashrrev_i32_e32 v40, 31, v40
	v_xor_b32_e32 v39, vcc_lo, v39
	v_and_b32_e32 v29, v29, v37
	v_cmp_gt_i32_e32 vcc_lo, 0, v44
	v_not_b32_e32 v37, v2
	v_ashrrev_i32_e32 v33, 31, v33
	v_xor_b32_e32 v40, s4, v40
	v_and_b32_e32 v29, v29, v39
	v_cmp_gt_i32_e64 s4, 0, v2
	v_ashrrev_i32_e32 v2, 31, v37
	v_xor_b32_e32 v33, vcc_lo, v33
	v_lshl_add_u32 v47, v1, 2, v8
	v_and_b32_e32 v29, v29, v40
	v_xor_b32_e32 v2, s4, v2
	ds_read_b32 v39, v47 offset:128
	v_and_b32_e32 v8, v29, v33
	; wave barrier
	v_and_b32_e32 v2, v8, v2
	v_mbcnt_lo_u32_b32 v41, v2, 0
	v_cmp_ne_u32_e64 s4, 0, v2
	v_cmp_eq_u32_e32 vcc_lo, 0, v41
	s_and_b32 s5, s4, vcc_lo
	s_and_saveexec_b32 s4, s5
	s_cbranch_execz .LBB839_151
; %bb.150:
	s_waitcnt lgkmcnt(0)
	v_bcnt_u32_b32 v2, v2, v39
	ds_write_b32 v47, v2 offset:128
.LBB839_151:
	s_or_b32 exec_lo, exec_lo, s4
	v_xor_b32_e32 v29, 0x80000000, v7
	; wave barrier
	v_lshrrev_b32_e32 v2, s44, v29
	v_and_b32_e32 v2, s14, v2
	v_and_b32_e32 v8, 1, v2
	v_lshlrev_b32_e32 v33, 30, v2
	v_lshlrev_b32_e32 v37, 29, v2
	;; [unrolled: 1-line block ×4, first 2 shown]
	v_add_co_u32 v8, s4, v8, -1
	v_cndmask_b32_e64 v42, 0, 1, s4
	v_not_b32_e32 v48, v33
	v_cmp_gt_i32_e64 s4, 0, v33
	v_not_b32_e32 v33, v37
	v_lshlrev_b32_e32 v45, 26, v2
	v_cmp_ne_u32_e32 vcc_lo, 0, v42
	v_ashrrev_i32_e32 v42, 31, v48
	v_lshlrev_b32_e32 v46, 25, v2
	v_ashrrev_i32_e32 v33, 31, v33
	v_mul_lo_u32 v7, 0x84, v2
	v_xor_b32_e32 v8, vcc_lo, v8
	v_cmp_gt_i32_e32 vcc_lo, 0, v37
	v_not_b32_e32 v37, v40
	v_xor_b32_e32 v42, s4, v42
	v_cmp_gt_i32_e64 s4, 0, v40
	v_and_b32_e32 v8, exec_lo, v8
	v_not_b32_e32 v40, v44
	v_ashrrev_i32_e32 v37, 31, v37
	v_xor_b32_e32 v33, vcc_lo, v33
	v_cmp_gt_i32_e32 vcc_lo, 0, v44
	v_and_b32_e32 v8, v8, v42
	v_not_b32_e32 v42, v45
	v_ashrrev_i32_e32 v40, 31, v40
	v_xor_b32_e32 v37, s4, v37
	v_lshlrev_b32_e32 v2, 24, v2
	v_and_b32_e32 v8, v8, v33
	v_cmp_gt_i32_e64 s4, 0, v45
	v_not_b32_e32 v33, v46
	v_ashrrev_i32_e32 v42, 31, v42
	v_xor_b32_e32 v40, vcc_lo, v40
	v_and_b32_e32 v8, v8, v37
	v_cmp_gt_i32_e32 vcc_lo, 0, v46
	v_not_b32_e32 v37, v2
	v_ashrrev_i32_e32 v33, 31, v33
	v_xor_b32_e32 v42, s4, v42
	v_and_b32_e32 v8, v8, v40
	v_cmp_gt_i32_e64 s4, 0, v2
	v_ashrrev_i32_e32 v2, 31, v37
	v_xor_b32_e32 v33, vcc_lo, v33
	v_lshl_add_u32 v50, v1, 2, v7
	v_and_b32_e32 v8, v8, v42
	v_xor_b32_e32 v2, s4, v2
	ds_read_b32 v44, v50 offset:128
	v_and_b32_e32 v7, v8, v33
	; wave barrier
	v_and_b32_e32 v2, v7, v2
	v_mbcnt_lo_u32_b32 v45, v2, 0
	v_cmp_ne_u32_e64 s4, 0, v2
	v_cmp_eq_u32_e32 vcc_lo, 0, v45
	s_and_b32 s5, s4, vcc_lo
	s_and_saveexec_b32 s4, s5
	s_cbranch_execz .LBB839_153
; %bb.152:
	s_waitcnt lgkmcnt(0)
	v_bcnt_u32_b32 v2, v2, v44
	ds_write_b32 v50, v2 offset:128
.LBB839_153:
	s_or_b32 exec_lo, exec_lo, s4
	v_xor_b32_e32 v33, 0x80000000, v6
	; wave barrier
	v_lshrrev_b32_e32 v2, s44, v33
	v_and_b32_e32 v2, s14, v2
	v_and_b32_e32 v7, 1, v2
	v_lshlrev_b32_e32 v8, 30, v2
	v_lshlrev_b32_e32 v37, 29, v2
	;; [unrolled: 1-line block ×4, first 2 shown]
	v_add_co_u32 v7, s4, v7, -1
	v_cndmask_b32_e64 v42, 0, 1, s4
	v_not_b32_e32 v51, v8
	v_cmp_gt_i32_e64 s4, 0, v8
	v_not_b32_e32 v8, v37
	v_lshlrev_b32_e32 v48, 26, v2
	v_cmp_ne_u32_e32 vcc_lo, 0, v42
	v_ashrrev_i32_e32 v42, 31, v51
	v_lshlrev_b32_e32 v49, 25, v2
	v_ashrrev_i32_e32 v8, 31, v8
	v_mul_lo_u32 v6, 0x84, v2
	v_xor_b32_e32 v7, vcc_lo, v7
	v_cmp_gt_i32_e32 vcc_lo, 0, v37
	v_not_b32_e32 v37, v40
	v_xor_b32_e32 v42, s4, v42
	v_cmp_gt_i32_e64 s4, 0, v40
	v_and_b32_e32 v7, exec_lo, v7
	v_not_b32_e32 v40, v46
	v_ashrrev_i32_e32 v37, 31, v37
	v_xor_b32_e32 v8, vcc_lo, v8
	v_cmp_gt_i32_e32 vcc_lo, 0, v46
	v_and_b32_e32 v7, v7, v42
	v_not_b32_e32 v42, v48
	v_ashrrev_i32_e32 v40, 31, v40
	v_xor_b32_e32 v37, s4, v37
	v_lshlrev_b32_e32 v2, 24, v2
	v_and_b32_e32 v7, v7, v8
	v_cmp_gt_i32_e64 s4, 0, v48
	v_not_b32_e32 v8, v49
	v_ashrrev_i32_e32 v42, 31, v42
	v_xor_b32_e32 v40, vcc_lo, v40
	v_and_b32_e32 v7, v7, v37
	v_cmp_gt_i32_e32 vcc_lo, 0, v49
	v_not_b32_e32 v37, v2
	v_ashrrev_i32_e32 v8, 31, v8
	v_xor_b32_e32 v42, s4, v42
	v_and_b32_e32 v7, v7, v40
	v_cmp_gt_i32_e64 s4, 0, v2
	v_ashrrev_i32_e32 v2, 31, v37
	v_xor_b32_e32 v8, vcc_lo, v8
	v_lshl_add_u32 v53, v1, 2, v6
	v_and_b32_e32 v7, v7, v42
	v_xor_b32_e32 v2, s4, v2
	ds_read_b32 v48, v53 offset:128
	v_and_b32_e32 v6, v7, v8
	; wave barrier
	v_and_b32_e32 v2, v6, v2
	v_mbcnt_lo_u32_b32 v49, v2, 0
	v_cmp_ne_u32_e64 s4, 0, v2
	v_cmp_eq_u32_e32 vcc_lo, 0, v49
	s_and_b32 s5, s4, vcc_lo
	s_and_saveexec_b32 s4, s5
	s_cbranch_execz .LBB839_155
; %bb.154:
	s_waitcnt lgkmcnt(0)
	v_bcnt_u32_b32 v2, v2, v48
	ds_write_b32 v53, v2 offset:128
.LBB839_155:
	s_or_b32 exec_lo, exec_lo, s4
	v_xor_b32_e32 v37, 0x80000000, v5
	; wave barrier
	v_lshrrev_b32_e32 v2, s44, v37
	v_and_b32_e32 v2, s14, v2
	v_and_b32_e32 v6, 1, v2
	v_lshlrev_b32_e32 v7, 30, v2
	v_lshlrev_b32_e32 v8, 29, v2
	;; [unrolled: 1-line block ×4, first 2 shown]
	v_add_co_u32 v6, s4, v6, -1
	v_cndmask_b32_e64 v42, 0, 1, s4
	v_not_b32_e32 v54, v7
	v_cmp_gt_i32_e64 s4, 0, v7
	v_not_b32_e32 v7, v8
	v_lshlrev_b32_e32 v51, 26, v2
	v_cmp_ne_u32_e32 vcc_lo, 0, v42
	v_ashrrev_i32_e32 v42, 31, v54
	v_lshlrev_b32_e32 v52, 25, v2
	v_ashrrev_i32_e32 v7, 31, v7
	v_mul_lo_u32 v5, 0x84, v2
	v_xor_b32_e32 v6, vcc_lo, v6
	v_cmp_gt_i32_e32 vcc_lo, 0, v8
	v_not_b32_e32 v8, v40
	v_xor_b32_e32 v42, s4, v42
	v_cmp_gt_i32_e64 s4, 0, v40
	v_and_b32_e32 v6, exec_lo, v6
	v_not_b32_e32 v40, v46
	v_ashrrev_i32_e32 v8, 31, v8
	v_xor_b32_e32 v7, vcc_lo, v7
	v_cmp_gt_i32_e32 vcc_lo, 0, v46
	v_and_b32_e32 v6, v6, v42
	v_not_b32_e32 v42, v51
	v_ashrrev_i32_e32 v40, 31, v40
	v_xor_b32_e32 v8, s4, v8
	v_lshlrev_b32_e32 v2, 24, v2
	v_and_b32_e32 v6, v6, v7
	v_cmp_gt_i32_e64 s4, 0, v51
	v_not_b32_e32 v7, v52
	v_ashrrev_i32_e32 v42, 31, v42
	v_xor_b32_e32 v40, vcc_lo, v40
	v_and_b32_e32 v6, v6, v8
	v_cmp_gt_i32_e32 vcc_lo, 0, v52
	v_not_b32_e32 v8, v2
	v_ashrrev_i32_e32 v7, 31, v7
	v_xor_b32_e32 v42, s4, v42
	v_and_b32_e32 v6, v6, v40
	v_cmp_gt_i32_e64 s4, 0, v2
	v_ashrrev_i32_e32 v2, 31, v8
	v_xor_b32_e32 v7, vcc_lo, v7
	v_lshl_add_u32 v56, v1, 2, v5
	v_and_b32_e32 v6, v6, v42
	v_xor_b32_e32 v2, s4, v2
	ds_read_b32 v51, v56 offset:128
	v_and_b32_e32 v5, v6, v7
	; wave barrier
	v_and_b32_e32 v2, v5, v2
	v_mbcnt_lo_u32_b32 v52, v2, 0
	v_cmp_ne_u32_e64 s4, 0, v2
	v_cmp_eq_u32_e32 vcc_lo, 0, v52
	s_and_b32 s5, s4, vcc_lo
	s_and_saveexec_b32 s4, s5
	s_cbranch_execz .LBB839_157
; %bb.156:
	s_waitcnt lgkmcnt(0)
	v_bcnt_u32_b32 v2, v2, v51
	ds_write_b32 v56, v2 offset:128
.LBB839_157:
	s_or_b32 exec_lo, exec_lo, s4
	v_xor_b32_e32 v42, 0x80000000, v4
	; wave barrier
	v_lshrrev_b32_e32 v2, s44, v42
	v_and_b32_e32 v2, s14, v2
	v_and_b32_e32 v5, 1, v2
	v_lshlrev_b32_e32 v6, 30, v2
	v_lshlrev_b32_e32 v7, 29, v2
	;; [unrolled: 1-line block ×4, first 2 shown]
	v_add_co_u32 v5, s4, v5, -1
	v_cndmask_b32_e64 v40, 0, 1, s4
	v_not_b32_e32 v57, v6
	v_cmp_gt_i32_e64 s4, 0, v6
	v_not_b32_e32 v6, v7
	v_lshlrev_b32_e32 v54, 26, v2
	v_cmp_ne_u32_e32 vcc_lo, 0, v40
	v_ashrrev_i32_e32 v40, 31, v57
	v_lshlrev_b32_e32 v55, 25, v2
	v_ashrrev_i32_e32 v6, 31, v6
	v_mul_lo_u32 v4, 0x84, v2
	v_xor_b32_e32 v5, vcc_lo, v5
	v_cmp_gt_i32_e32 vcc_lo, 0, v7
	v_not_b32_e32 v7, v8
	v_xor_b32_e32 v40, s4, v40
	v_cmp_gt_i32_e64 s4, 0, v8
	v_and_b32_e32 v5, exec_lo, v5
	v_not_b32_e32 v8, v46
	v_ashrrev_i32_e32 v7, 31, v7
	v_xor_b32_e32 v6, vcc_lo, v6
	v_cmp_gt_i32_e32 vcc_lo, 0, v46
	v_and_b32_e32 v5, v5, v40
	v_not_b32_e32 v40, v54
	v_ashrrev_i32_e32 v8, 31, v8
	v_xor_b32_e32 v7, s4, v7
	v_lshlrev_b32_e32 v2, 24, v2
	v_and_b32_e32 v5, v5, v6
	v_cmp_gt_i32_e64 s4, 0, v54
	v_not_b32_e32 v6, v55
	v_ashrrev_i32_e32 v40, 31, v40
	v_xor_b32_e32 v8, vcc_lo, v8
	v_and_b32_e32 v5, v5, v7
	v_cmp_gt_i32_e32 vcc_lo, 0, v55
	v_not_b32_e32 v7, v2
	v_ashrrev_i32_e32 v6, 31, v6
	v_xor_b32_e32 v40, s4, v40
	v_and_b32_e32 v5, v5, v8
	v_cmp_gt_i32_e64 s4, 0, v2
	v_ashrrev_i32_e32 v2, 31, v7
	v_xor_b32_e32 v6, vcc_lo, v6
	v_lshl_add_u32 v59, v1, 2, v4
	v_and_b32_e32 v5, v5, v40
	v_xor_b32_e32 v2, s4, v2
	ds_read_b32 v54, v59 offset:128
	v_and_b32_e32 v4, v5, v6
	; wave barrier
	v_and_b32_e32 v2, v4, v2
	v_mbcnt_lo_u32_b32 v55, v2, 0
	v_cmp_ne_u32_e64 s4, 0, v2
	v_cmp_eq_u32_e32 vcc_lo, 0, v55
	s_and_b32 s5, s4, vcc_lo
	s_and_saveexec_b32 s4, s5
	s_cbranch_execz .LBB839_159
; %bb.158:
	s_waitcnt lgkmcnt(0)
	v_bcnt_u32_b32 v2, v2, v54
	ds_write_b32 v59, v2 offset:128
.LBB839_159:
	s_or_b32 exec_lo, exec_lo, s4
	v_xor_b32_e32 v46, 0x80000000, v3
	; wave barrier
	v_lshrrev_b32_e32 v2, s44, v46
	v_and_b32_e32 v2, s14, v2
	v_and_b32_e32 v4, 1, v2
	v_lshlrev_b32_e32 v5, 30, v2
	v_lshlrev_b32_e32 v6, 29, v2
	v_lshlrev_b32_e32 v7, 28, v2
	v_lshlrev_b32_e32 v40, 27, v2
	v_add_co_u32 v4, s4, v4, -1
	v_cndmask_b32_e64 v8, 0, 1, s4
	v_not_b32_e32 v60, v5
	v_cmp_gt_i32_e64 s4, 0, v5
	v_not_b32_e32 v5, v6
	v_lshlrev_b32_e32 v57, 26, v2
	v_cmp_ne_u32_e32 vcc_lo, 0, v8
	v_ashrrev_i32_e32 v8, 31, v60
	v_lshlrev_b32_e32 v58, 25, v2
	v_ashrrev_i32_e32 v5, 31, v5
	v_mul_lo_u32 v3, 0x84, v2
	v_xor_b32_e32 v4, vcc_lo, v4
	v_cmp_gt_i32_e32 vcc_lo, 0, v6
	v_not_b32_e32 v6, v7
	v_xor_b32_e32 v8, s4, v8
	v_cmp_gt_i32_e64 s4, 0, v7
	v_and_b32_e32 v4, exec_lo, v4
	v_not_b32_e32 v7, v40
	v_ashrrev_i32_e32 v6, 31, v6
	v_xor_b32_e32 v5, vcc_lo, v5
	v_cmp_gt_i32_e32 vcc_lo, 0, v40
	v_and_b32_e32 v4, v4, v8
	v_not_b32_e32 v8, v57
	v_ashrrev_i32_e32 v7, 31, v7
	v_xor_b32_e32 v6, s4, v6
	v_lshlrev_b32_e32 v2, 24, v2
	v_and_b32_e32 v4, v4, v5
	v_cmp_gt_i32_e64 s4, 0, v57
	v_not_b32_e32 v5, v58
	v_ashrrev_i32_e32 v8, 31, v8
	v_xor_b32_e32 v7, vcc_lo, v7
	v_and_b32_e32 v4, v4, v6
	v_cmp_gt_i32_e32 vcc_lo, 0, v58
	v_not_b32_e32 v6, v2
	v_ashrrev_i32_e32 v5, 31, v5
	v_xor_b32_e32 v8, s4, v8
	v_and_b32_e32 v4, v4, v7
	v_cmp_gt_i32_e64 s4, 0, v2
	v_ashrrev_i32_e32 v2, 31, v6
	v_xor_b32_e32 v5, vcc_lo, v5
	v_lshl_add_u32 v60, v1, 2, v3
	v_and_b32_e32 v4, v4, v8
	v_xor_b32_e32 v1, s4, v2
	ds_read_b32 v57, v60 offset:128
	v_and_b32_e32 v2, v4, v5
	; wave barrier
	v_and_b32_e32 v1, v2, v1
	v_mbcnt_lo_u32_b32 v58, v1, 0
	v_cmp_ne_u32_e64 s4, 0, v1
	v_cmp_eq_u32_e32 vcc_lo, 0, v58
	s_and_b32 s5, s4, vcc_lo
	s_and_saveexec_b32 s4, s5
	s_cbranch_execz .LBB839_161
; %bb.160:
	s_waitcnt lgkmcnt(0)
	v_bcnt_u32_b32 v1, v1, v57
	ds_write_b32 v60, v1 offset:128
.LBB839_161:
	s_or_b32 exec_lo, exec_lo, s4
	; wave barrier
	s_waitcnt lgkmcnt(0)
	s_barrier
	buffer_gl0_inv
	ds_read2_b32 v[7:8], v21 offset0:32 offset1:33
	ds_read2_b32 v[5:6], v21 offset0:34 offset1:35
	;; [unrolled: 1-line block ×4, first 2 shown]
	ds_read_b32 v40, v21 offset:160
	v_and_b32_e32 v63, 16, v11
	v_and_b32_e32 v64, 31, v0
	s_mov_b32 s10, exec_lo
	v_cmp_eq_u32_e64 s8, 0, v63
	s_waitcnt lgkmcnt(3)
	v_add3_u32 v61, v8, v7, v5
	s_waitcnt lgkmcnt(2)
	v_add3_u32 v61, v61, v6, v3
	;; [unrolled: 2-line block ×4, first 2 shown]
	v_and_b32_e32 v61, 15, v11
	v_mov_b32_dpp v62, v40 row_shr:1 row_mask:0xf bank_mask:0xf
	v_cmp_eq_u32_e32 vcc_lo, 0, v61
	v_cmp_lt_u32_e64 s4, 1, v61
	v_cmp_lt_u32_e64 s5, 3, v61
	v_cmp_lt_u32_e64 s6, 7, v61
	v_cndmask_b32_e64 v62, v62, 0, vcc_lo
	v_add_nc_u32_e32 v40, v62, v40
	v_mov_b32_dpp v62, v40 row_shr:2 row_mask:0xf bank_mask:0xf
	v_cndmask_b32_e64 v62, 0, v62, s4
	v_add_nc_u32_e32 v40, v40, v62
	v_mov_b32_dpp v62, v40 row_shr:4 row_mask:0xf bank_mask:0xf
	v_cndmask_b32_e64 v62, 0, v62, s5
	;; [unrolled: 3-line block ×3, first 2 shown]
	v_bfe_i32 v62, v11, 4, 1
	v_add_nc_u32_e32 v40, v40, v61
	ds_swizzle_b32 v61, v40 offset:swizzle(BROADCAST,32,15)
	s_waitcnt lgkmcnt(0)
	v_and_b32_e32 v61, v62, v61
	v_lshrrev_b32_e32 v62, 5, v0
	v_add_nc_u32_e32 v61, v40, v61
	v_cmpx_eq_u32_e32 31, v64
; %bb.162:
	v_lshlrev_b32_e32 v40, 2, v62
	ds_write_b32 v40, v61
; %bb.163:
	s_or_b32 exec_lo, exec_lo, s10
	v_cmp_lt_u32_e64 s9, 31, v0
	v_lshlrev_b32_e32 v40, 2, v0
	s_mov_b32 s15, exec_lo
	s_waitcnt lgkmcnt(0)
	s_barrier
	buffer_gl0_inv
	v_cmpx_gt_u32_e32 32, v0
	s_cbranch_execz .LBB839_165
; %bb.164:
	ds_read_b32 v63, v40
	s_waitcnt lgkmcnt(0)
	v_mov_b32_dpp v64, v63 row_shr:1 row_mask:0xf bank_mask:0xf
	v_cndmask_b32_e64 v64, v64, 0, vcc_lo
	v_add_nc_u32_e32 v63, v64, v63
	v_mov_b32_dpp v64, v63 row_shr:2 row_mask:0xf bank_mask:0xf
	v_cndmask_b32_e64 v64, 0, v64, s4
	v_add_nc_u32_e32 v63, v63, v64
	v_mov_b32_dpp v64, v63 row_shr:4 row_mask:0xf bank_mask:0xf
	v_cndmask_b32_e64 v64, 0, v64, s5
	;; [unrolled: 3-line block ×3, first 2 shown]
	v_add_nc_u32_e32 v63, v63, v64
	ds_swizzle_b32 v64, v63 offset:swizzle(BROADCAST,32,15)
	s_waitcnt lgkmcnt(0)
	v_cndmask_b32_e64 v64, v64, 0, s8
	v_add_nc_u32_e32 v63, v63, v64
	ds_write_b32 v40, v63
.LBB839_165:
	s_or_b32 exec_lo, exec_lo, s15
	v_mov_b32_e32 v63, 0
	s_waitcnt lgkmcnt(0)
	s_barrier
	buffer_gl0_inv
	s_and_saveexec_b32 s4, s9
; %bb.166:
	v_lshl_add_u32 v62, v62, 2, -4
	ds_read_b32 v63, v62
; %bb.167:
	s_or_b32 exec_lo, exec_lo, s4
	v_sub_co_u32 v62, vcc_lo, v11, 1
	s_waitcnt lgkmcnt(0)
	v_add_nc_u32_e32 v61, v63, v61
	v_cmp_gt_i32_e64 s4, 0, v62
	v_cndmask_b32_e64 v11, v62, v11, s4
	v_cmp_lt_u32_e64 s4, 0xff, v0
	v_lshlrev_b32_e32 v11, 2, v11
	ds_bpermute_b32 v11, v11, v61
	s_waitcnt lgkmcnt(0)
	v_cndmask_b32_e32 v11, v11, v63, vcc_lo
	v_cmp_gt_u32_e32 vcc_lo, 0x100, v0
	v_cndmask_b32_e64 v11, v11, 0, s7
	v_add_nc_u32_e32 v7, v11, v7
	v_add_nc_u32_e32 v8, v7, v8
	;; [unrolled: 1-line block ×8, first 2 shown]
	ds_write2_b32 v21, v11, v7 offset0:32 offset1:33
	ds_write2_b32 v21, v8, v5 offset0:34 offset1:35
	;; [unrolled: 1-line block ×4, first 2 shown]
	ds_write_b32 v21, v2 offset:160
	s_waitcnt lgkmcnt(0)
	s_barrier
	buffer_gl0_inv
	ds_read_b32 v11, v22 offset:128
	ds_read_b32 v21, v26 offset:128
	;; [unrolled: 1-line block ×12, first 2 shown]
                                        ; implicit-def: $vgpr7
                                        ; implicit-def: $vgpr8
	s_and_saveexec_b32 s6, vcc_lo
	s_cbranch_execz .LBB839_171
; %bb.168:
	v_mul_u32_u24_e32 v1, 0x84, v0
	v_add_nc_u32_e32 v2, 1, v0
	s_mov_b32 s7, exec_lo
	ds_read_b32 v7, v1 offset:128
	v_mov_b32_e32 v1, 0x3000
	v_cmpx_ne_u32_e32 0x100, v2
; %bb.169:
	v_mul_u32_u24_e32 v1, 0x84, v2
	ds_read_b32 v1, v1 offset:128
; %bb.170:
	s_or_b32 exec_lo, exec_lo, s7
	s_waitcnt lgkmcnt(0)
	v_sub_nc_u32_e32 v8, v1, v7
.LBB839_171:
	s_or_b32 exec_lo, exec_lo, s6
	v_mov_b32_e32 v2, 0
	s_waitcnt lgkmcnt(0)
	s_barrier
	buffer_gl0_inv
	s_and_saveexec_b32 s5, vcc_lo
	s_cbranch_execz .LBB839_181
; %bb.172:
	v_lshl_add_u32 v1, s33, 8, v0
	v_mov_b32_e32 v59, 0
	s_mov_b32 s6, 0
	s_mov_b32 s7, s33
                                        ; implicit-def: $sgpr8
	v_lshlrev_b64 v[3:4], 2, v[1:2]
	v_or_b32_e32 v1, 2.0, v8
	v_add_co_u32 v3, vcc_lo, s26, v3
	v_add_co_ci_u32_e64 v4, null, s27, v4, vcc_lo
	global_store_dword v[3:4], v1, off
	s_branch .LBB839_175
	.p2align	6
.LBB839_173:                            ;   in Loop: Header=BB839_175 Depth=1
	s_or_b32 exec_lo, exec_lo, s9
.LBB839_174:                            ;   in Loop: Header=BB839_175 Depth=1
	s_or_b32 exec_lo, exec_lo, s8
	v_and_b32_e32 v5, 0x3fffffff, v1
	v_cmp_gt_i32_e64 s8, -2.0, v1
	v_add_nc_u32_e32 v59, v5, v59
	s_and_b32 s9, exec_lo, s8
	s_or_b32 s6, s9, s6
	s_andn2_b32 exec_lo, exec_lo, s6
	s_cbranch_execz .LBB839_180
.LBB839_175:                            ; =>This Loop Header: Depth=1
                                        ;     Child Loop BB839_178 Depth 2
	s_or_b32 s8, s8, exec_lo
	s_cmp_eq_u32 s7, 0
	s_cbranch_scc1 .LBB839_179
; %bb.176:                              ;   in Loop: Header=BB839_175 Depth=1
	s_add_i32 s7, s7, -1
	s_mov_b32 s8, exec_lo
	v_lshl_or_b32 v1, s7, 8, v0
	v_lshlrev_b64 v[5:6], 2, v[1:2]
	v_add_co_u32 v5, vcc_lo, s26, v5
	v_add_co_ci_u32_e64 v6, null, s27, v6, vcc_lo
	global_load_dword v1, v[5:6], off glc dlc
	s_waitcnt vmcnt(0)
	v_cmpx_gt_u32_e32 2.0, v1
	s_cbranch_execz .LBB839_174
; %bb.177:                              ;   in Loop: Header=BB839_175 Depth=1
	s_mov_b32 s9, 0
.LBB839_178:                            ;   Parent Loop BB839_175 Depth=1
                                        ; =>  This Inner Loop Header: Depth=2
	global_load_dword v1, v[5:6], off glc dlc
	s_waitcnt vmcnt(0)
	v_cmp_lt_u32_e32 vcc_lo, 0x3fffffff, v1
	s_or_b32 s9, vcc_lo, s9
	s_andn2_b32 exec_lo, exec_lo, s9
	s_cbranch_execnz .LBB839_178
	s_branch .LBB839_173
.LBB839_179:                            ;   in Loop: Header=BB839_175 Depth=1
                                        ; implicit-def: $sgpr7
	s_and_b32 s9, exec_lo, s8
	s_or_b32 s6, s9, s6
	s_andn2_b32 exec_lo, exec_lo, s6
	s_cbranch_execnz .LBB839_175
.LBB839_180:
	s_or_b32 exec_lo, exec_lo, s6
	v_add_nc_u32_e32 v1, v59, v8
	v_sub_nc_u32_e32 v2, v59, v7
	v_or_b32_e32 v1, 0x80000000, v1
	global_store_dword v[3:4], v1, off
	global_load_dword v1, v40, s[28:29]
	s_waitcnt vmcnt(0)
	v_add_nc_u32_e32 v1, v2, v1
	ds_write_b32 v40, v1
.LBB839_181:
	s_or_b32 exec_lo, exec_lo, s5
	v_add_nc_u32_e32 v3, v11, v16
	v_add3_u32 v4, v19, v18, v21
	v_add3_u32 v5, v24, v23, v22
	;; [unrolled: 1-line block ×11, first 2 shown]
	v_mov_b32_e32 v2, 0
	v_mov_b32_e32 v26, v3
	;; [unrolled: 1-line block ×13, first 2 shown]
	s_mov_b32 s5, 32
	s_mov_b32 s8, 0
	;; [unrolled: 1-line block ×3, first 2 shown]
	s_mov_b32 s7, -1
	s_branch .LBB839_183
.LBB839_182:                            ;   in Loop: Header=BB839_183 Depth=1
	v_add_nc_u32_e32 v41, 0xffffe000, v41
	v_add_nc_u32_e32 v39, 0xffffe000, v39
	;; [unrolled: 1-line block ×12, first 2 shown]
	s_xor_b32 s8, s7, -1
	s_addk_i32 s6, 0x2000
	s_mov_b32 s7, 0
	s_and_b32 vcc_lo, exec_lo, s8
	s_mov_b32 s8, s5
	s_waitcnt_vscnt null, 0x0
	s_barrier
	buffer_gl0_inv
	s_cbranch_vccnz .LBB839_191
.LBB839_183:                            ; =>This Inner Loop Header: Depth=1
	v_min_u32_e32 v1, 0x2000, v26
	v_min_u32_e32 v43, 0x2000, v27
	;; [unrolled: 1-line block ×5, first 2 shown]
	v_lshlrev_b32_e32 v1, 2, v1
	v_lshlrev_b32_e32 v43, 2, v43
	v_min_u32_e32 v48, 0x2000, v32
	v_min_u32_e32 v49, 0x2000, v34
	v_mov_b32_e32 v57, s8
	ds_write_b32 v1, v12 offset:1024
	ds_write_b32 v43, v13 offset:1024
	v_lshlrev_b32_e32 v1, 2, v44
	v_lshlrev_b32_e32 v43, 2, v45
	v_lshlrev_b32_e32 v44, 2, v47
	v_lshlrev_b32_e32 v45, 2, v48
	v_lshlrev_b32_e32 v47, 2, v49
	ds_write_b32 v1, v14 offset:1024
	ds_write_b32 v43, v15 offset:1024
	;; [unrolled: 1-line block ×5, first 2 shown]
	v_min_u32_e32 v1, 0x2000, v35
	v_min_u32_e32 v43, 0x2000, v36
	;; [unrolled: 1-line block ×5, first 2 shown]
	v_lshlrev_b32_e32 v1, 2, v1
	v_lshlrev_b32_e32 v43, 2, v43
	;; [unrolled: 1-line block ×5, first 2 shown]
	ds_write_b32 v1, v29 offset:1024
	ds_write_b32 v43, v33 offset:1024
	;; [unrolled: 1-line block ×5, first 2 shown]
	s_waitcnt lgkmcnt(0)
	s_waitcnt_vscnt null, 0x0
	s_barrier
	buffer_gl0_inv
	ds_read2st64_b32 v[44:45], v40 offset0:4 offset1:20
	ds_read2st64_b32 v[47:48], v40 offset0:36 offset1:52
	s_add_i32 s9, s6, 0x1000
	s_cmpk_lt_u32 s9, 0x3000
	s_waitcnt lgkmcnt(1)
	v_lshrrev_b32_e32 v1, s44, v44
	v_xor_b32_e32 v58, 0x80000000, v44
	v_xor_b32_e32 v59, 0x80000000, v45
	s_waitcnt lgkmcnt(0)
	v_xor_b32_e32 v60, 0x80000000, v47
	v_xor_b32_e32 v61, 0x80000000, v48
	v_and_b32_e32 v49, s14, v1
	v_lshrrev_b32_e32 v1, s44, v45
	v_lshlrev_b32_e32 v43, 2, v49
	v_and_b32_e32 v50, s14, v1
	v_lshrrev_b32_e32 v1, s44, v47
	ds_read_b32 v51, v43
	v_and_b32_e32 v53, s14, v1
	v_lshrrev_b32_e32 v1, s44, v48
	v_and_b32_e32 v54, s14, v1
	v_lshlrev_b32_e32 v1, 2, v54
	ds_read_b32 v56, v1
	v_lshlrev_b32_e32 v43, 2, v50
	ds_read_b32 v52, v43
	;; [unrolled: 2-line block ×3, first 2 shown]
	v_add_nc_u32_e32 v43, s6, v0
	buffer_store_dword v49, v57, s[0:3], 0 offen
	buffer_store_dword v50, v57, s[0:3], 0 offen offset:4
	buffer_store_dword v53, v57, s[0:3], 0 offen offset:8
	s_waitcnt lgkmcnt(3)
	v_add_nc_u32_e32 v1, v43, v51
	v_lshlrev_b64 v[44:45], 2, v[1:2]
	s_waitcnt lgkmcnt(1)
	v_add3_u32 v1, v43, v52, 0x400
	v_add_co_u32 v44, vcc_lo, s38, v44
	v_lshlrev_b64 v[47:48], 2, v[1:2]
	s_waitcnt lgkmcnt(0)
	v_add3_u32 v1, v43, v55, 0x800
	v_add_co_ci_u32_e64 v45, null, s39, v45, vcc_lo
	v_lshlrev_b64 v[49:50], 2, v[1:2]
	v_add3_u32 v1, v43, v56, 0xc00
	v_add_co_u32 v47, vcc_lo, s38, v47
	v_add_co_ci_u32_e64 v48, null, s39, v48, vcc_lo
	v_lshlrev_b64 v[51:52], 2, v[1:2]
	v_add_co_u32 v49, vcc_lo, s38, v49
	v_add_co_ci_u32_e64 v50, null, s39, v50, vcc_lo
	v_add_co_u32 v51, vcc_lo, s38, v51
	v_add_co_ci_u32_e64 v52, null, s39, v52, vcc_lo
	global_store_dword v[44:45], v58, off
	global_store_dword v[47:48], v59, off
	global_store_dword v[49:50], v60, off
	global_store_dword v[51:52], v61, off
	buffer_store_dword v54, v57, s[0:3], 0 offen offset:12
	s_cbranch_scc0 .LBB839_187
; %bb.184:                              ;   in Loop: Header=BB839_183 Depth=1
	ds_read_b32 v47, v40 offset:17408
	s_waitcnt lgkmcnt(0)
	v_lshrrev_b32_e32 v1, s44, v47
	v_and_b32_e32 v48, s14, v1
	v_lshlrev_b32_e32 v1, 2, v48
	ds_read_b32 v1, v1
	s_waitcnt lgkmcnt(0)
	v_add3_u32 v1, v43, v1, 0x1000
	v_lshlrev_b64 v[44:45], 2, v[1:2]
	v_xor_b32_e32 v1, 0x80000000, v47
	v_mov_b32_e32 v47, s8
	v_add_co_u32 v44, vcc_lo, s38, v44
	v_add_co_ci_u32_e64 v45, null, s39, v45, vcc_lo
	buffer_store_dword v48, v47, s[0:3], 0 offen offset:16
	global_store_dword v[44:45], v1, off
	s_add_i32 s9, s6, 0x1400
	s_cmpk_gt_u32 s9, 0x2fff
	s_cbranch_scc0 .LBB839_188
.LBB839_185:                            ;   in Loop: Header=BB839_183 Depth=1
	s_add_i32 s9, s6, 0x1800
	s_cmpk_gt_u32 s9, 0x2fff
	s_cbranch_scc1 .LBB839_189
.LBB839_186:                            ;   in Loop: Header=BB839_183 Depth=1
	ds_read_b32 v47, v40 offset:25600
	s_waitcnt lgkmcnt(0)
	v_lshrrev_b32_e32 v1, s44, v47
	v_and_b32_e32 v48, s14, v1
	v_lshlrev_b32_e32 v1, 2, v48
	ds_read_b32 v1, v1
	s_waitcnt lgkmcnt(0)
	v_add3_u32 v1, v43, v1, 0x1800
	v_lshlrev_b64 v[44:45], 2, v[1:2]
	v_xor_b32_e32 v1, 0x80000000, v47
	v_mov_b32_e32 v47, s8
	v_add_co_u32 v44, vcc_lo, s38, v44
	v_add_co_ci_u32_e64 v45, null, s39, v45, vcc_lo
	buffer_store_dword v48, v47, s[0:3], 0 offen offset:24
	global_store_dword v[44:45], v1, off
	s_add_i32 s9, s6, 0x1c00
	s_cmpk_gt_u32 s9, 0x2fff
	s_cbranch_scc1 .LBB839_182
	s_branch .LBB839_190
.LBB839_187:                            ;   in Loop: Header=BB839_183 Depth=1
	s_add_i32 s9, s6, 0x1400
	s_cmpk_gt_u32 s9, 0x2fff
	s_cbranch_scc1 .LBB839_185
.LBB839_188:                            ;   in Loop: Header=BB839_183 Depth=1
	ds_read_b32 v47, v40 offset:21504
	s_waitcnt lgkmcnt(0)
	v_lshrrev_b32_e32 v1, s44, v47
	v_and_b32_e32 v48, s14, v1
	v_lshlrev_b32_e32 v1, 2, v48
	ds_read_b32 v1, v1
	s_waitcnt lgkmcnt(0)
	v_add3_u32 v1, v43, v1, 0x1400
	v_lshlrev_b64 v[44:45], 2, v[1:2]
	v_xor_b32_e32 v1, 0x80000000, v47
	v_mov_b32_e32 v47, s8
	v_add_co_u32 v44, vcc_lo, s38, v44
	v_add_co_ci_u32_e64 v45, null, s39, v45, vcc_lo
	buffer_store_dword v48, v47, s[0:3], 0 offen offset:20
	global_store_dword v[44:45], v1, off
	s_add_i32 s9, s6, 0x1800
	s_cmpk_gt_u32 s9, 0x2fff
	s_cbranch_scc0 .LBB839_186
.LBB839_189:                            ;   in Loop: Header=BB839_183 Depth=1
	s_add_i32 s9, s6, 0x1c00
	s_cmpk_gt_u32 s9, 0x2fff
	s_cbranch_scc1 .LBB839_182
.LBB839_190:                            ;   in Loop: Header=BB839_183 Depth=1
	ds_read_b32 v45, v40 offset:29696
	s_waitcnt lgkmcnt(0)
	v_lshrrev_b32_e32 v1, s44, v45
	v_and_b32_e32 v47, s14, v1
	v_lshlrev_b32_e32 v1, 2, v47
	ds_read_b32 v1, v1
	s_waitcnt lgkmcnt(0)
	v_add3_u32 v1, v43, v1, 0x1c00
	v_lshlrev_b64 v[43:44], 2, v[1:2]
	v_xor_b32_e32 v1, 0x80000000, v45
	v_mov_b32_e32 v45, s8
	v_add_co_u32 v43, vcc_lo, s38, v43
	v_add_co_ci_u32_e64 v44, null, s39, v44, vcc_lo
	buffer_store_dword v47, v45, s[0:3], 0 offen offset:28
	global_store_dword v[43:44], v1, off
	s_branch .LBB839_182
.LBB839_191:
	s_add_u32 s6, s40, s12
	s_addc_u32 s7, s41, s13
	v_add_co_u32 v1, s6, s6, v9
	v_add_co_ci_u32_e64 v2, null, s7, 0, s6
	s_mov_b32 s8, 0
	v_add_co_u32 v1, vcc_lo, v1, v10
	v_add_co_ci_u32_e64 v2, null, 0, v2, vcc_lo
	s_mov_b32 s7, -1
	s_mov_b32 s6, 0
	s_clause 0xb
	global_load_dword v9, v[1:2], off
	global_load_dword v10, v[1:2], off offset:128
	global_load_dword v12, v[1:2], off offset:256
	;; [unrolled: 1-line block ×11, first 2 shown]
	v_mov_b32_e32 v2, 0
	s_branch .LBB839_193
.LBB839_192:                            ;   in Loop: Header=BB839_193 Depth=1
	v_add_nc_u32_e32 v24, 0xffffe000, v24
	v_add_nc_u32_e32 v23, 0xffffe000, v23
	;; [unrolled: 1-line block ×12, first 2 shown]
	s_xor_b32 s8, s7, -1
	s_addk_i32 s6, 0x2000
	s_mov_b32 s7, 0
	s_and_b32 vcc_lo, exec_lo, s8
	s_mov_b32 s8, s5
	s_waitcnt_vscnt null, 0x0
	s_barrier
	buffer_gl0_inv
	s_cbranch_vccnz .LBB839_201
.LBB839_193:                            ; =>This Inner Loop Header: Depth=1
	v_min_u32_e32 v1, 0x2000, v3
	v_min_u32_e32 v29, 0x2000, v4
	;; [unrolled: 1-line block ×5, first 2 shown]
	v_lshlrev_b32_e32 v1, 2, v1
	v_lshlrev_b32_e32 v29, 2, v29
	v_min_u32_e32 v33, 0x2000, v16
	v_lshlrev_b32_e32 v30, 2, v30
	s_add_i32 s9, s6, 0x1000
	s_waitcnt vmcnt(11)
	ds_write_b32 v1, v9 offset:1024
	s_waitcnt vmcnt(10)
	ds_write_b32 v29, v10 offset:1024
	v_min_u32_e32 v1, 0x2000, v18
	v_lshlrev_b32_e32 v29, 2, v31
	v_lshlrev_b32_e32 v31, 2, v32
	;; [unrolled: 1-line block ×3, first 2 shown]
	s_waitcnt vmcnt(9)
	ds_write_b32 v30, v12 offset:1024
	v_lshlrev_b32_e32 v1, 2, v1
	s_waitcnt vmcnt(8)
	ds_write_b32 v29, v13 offset:1024
	s_waitcnt vmcnt(7)
	ds_write_b32 v31, v14 offset:1024
	;; [unrolled: 2-line block ×3, first 2 shown]
	v_min_u32_e32 v29, 0x2000, v19
	v_min_u32_e32 v30, 0x2000, v22
	;; [unrolled: 1-line block ×3, first 2 shown]
	s_waitcnt vmcnt(5)
	ds_write_b32 v1, v17 offset:1024
	v_min_u32_e32 v1, 0x2000, v21
	v_lshlrev_b32_e32 v29, 2, v29
	v_min_u32_e32 v32, 0x2000, v24
	v_lshlrev_b32_e32 v30, 2, v30
	v_lshlrev_b32_e32 v31, 2, v31
	;; [unrolled: 1-line block ×3, first 2 shown]
	s_waitcnt vmcnt(4)
	ds_write_b32 v29, v20 offset:1024
	v_lshlrev_b32_e32 v29, 2, v32
	s_waitcnt vmcnt(3)
	ds_write_b32 v1, v25 offset:1024
	s_waitcnt vmcnt(2)
	ds_write_b32 v30, v26 offset:1024
	;; [unrolled: 2-line block ×3, first 2 shown]
	v_mov_b32_e32 v1, s8
	s_waitcnt vmcnt(0)
	ds_write_b32 v29, v28 offset:1024
	s_waitcnt lgkmcnt(0)
	s_barrier
	buffer_gl0_inv
	s_clause 0x3
	buffer_load_dword v29, v1, s[0:3], 0 offen
	buffer_load_dword v30, v1, s[0:3], 0 offen offset:4
	buffer_load_dword v31, v1, s[0:3], 0 offen offset:8
	buffer_load_dword v1, v1, s[0:3], 0 offen offset:12
	s_cmpk_lt_u32 s9, 0x3000
	s_waitcnt vmcnt(3)
	v_lshlrev_b32_e32 v29, 2, v29
	s_waitcnt vmcnt(0)
	v_lshlrev_b32_e32 v1, 2, v1
	ds_read_b32 v32, v29
	ds_read_b32 v41, v1
	v_lshlrev_b32_e32 v29, 2, v30
	ds_read_b32 v34, v29
	v_lshlrev_b32_e32 v29, 2, v31
	ds_read2st64_b32 v[30:31], v40 offset0:4 offset1:20
	ds_read_b32 v36, v29
	v_add_nc_u32_e32 v29, s6, v0
	s_waitcnt lgkmcnt(4)
	v_add_nc_u32_e32 v1, v29, v32
	v_lshlrev_b64 v[32:33], 2, v[1:2]
	s_waitcnt lgkmcnt(2)
	v_add3_u32 v1, v29, v34, 0x400
	v_add_co_u32 v32, vcc_lo, s42, v32
	v_lshlrev_b64 v[34:35], 2, v[1:2]
	s_waitcnt lgkmcnt(0)
	v_add3_u32 v1, v29, v36, 0x800
	ds_read2st64_b32 v[36:37], v40 offset0:36 offset1:52
	v_add_co_ci_u32_e64 v33, null, s43, v33, vcc_lo
	v_lshlrev_b64 v[38:39], 2, v[1:2]
	v_add3_u32 v1, v29, v41, 0xc00
	global_store_dword v[32:33], v30, off
	v_add_co_u32 v32, vcc_lo, s42, v34
	v_add_co_ci_u32_e64 v33, null, s43, v35, vcc_lo
	v_lshlrev_b64 v[34:35], 2, v[1:2]
	v_add_co_u32 v38, vcc_lo, s42, v38
	v_add_co_ci_u32_e64 v39, null, s43, v39, vcc_lo
	global_store_dword v[32:33], v31, off
	v_add_co_u32 v34, vcc_lo, s42, v34
	v_add_co_ci_u32_e64 v35, null, s43, v35, vcc_lo
	s_waitcnt lgkmcnt(0)
	global_store_dword v[38:39], v36, off
	global_store_dword v[34:35], v37, off
	s_cbranch_scc0 .LBB839_197
; %bb.194:                              ;   in Loop: Header=BB839_193 Depth=1
	v_mov_b32_e32 v1, s8
	buffer_load_dword v1, v1, s[0:3], 0 offen offset:16
	s_waitcnt vmcnt(0)
	v_lshlrev_b32_e32 v1, 2, v1
	ds_read_b32 v1, v1
	ds_read_b32 v32, v40 offset:17408
	s_waitcnt lgkmcnt(1)
	v_add3_u32 v1, v29, v1, 0x1000
	v_lshlrev_b64 v[30:31], 2, v[1:2]
	v_add_co_u32 v30, vcc_lo, s42, v30
	v_add_co_ci_u32_e64 v31, null, s43, v31, vcc_lo
	s_waitcnt lgkmcnt(0)
	global_store_dword v[30:31], v32, off
	s_add_i32 s9, s6, 0x1400
	s_cmpk_gt_u32 s9, 0x2fff
	s_cbranch_scc0 .LBB839_198
.LBB839_195:                            ;   in Loop: Header=BB839_193 Depth=1
	s_add_i32 s9, s6, 0x1800
	s_cmpk_gt_u32 s9, 0x2fff
	s_cbranch_scc1 .LBB839_199
.LBB839_196:                            ;   in Loop: Header=BB839_193 Depth=1
	v_mov_b32_e32 v1, s8
	buffer_load_dword v1, v1, s[0:3], 0 offen offset:24
	s_waitcnt vmcnt(0)
	v_lshlrev_b32_e32 v1, 2, v1
	ds_read_b32 v1, v1
	ds_read_b32 v32, v40 offset:25600
	s_waitcnt lgkmcnt(1)
	v_add3_u32 v1, v29, v1, 0x1800
	v_lshlrev_b64 v[30:31], 2, v[1:2]
	v_add_co_u32 v30, vcc_lo, s42, v30
	v_add_co_ci_u32_e64 v31, null, s43, v31, vcc_lo
	s_waitcnt lgkmcnt(0)
	global_store_dword v[30:31], v32, off
	s_add_i32 s9, s6, 0x1c00
	s_cmpk_gt_u32 s9, 0x2fff
	s_cbranch_scc1 .LBB839_192
	s_branch .LBB839_200
.LBB839_197:                            ;   in Loop: Header=BB839_193 Depth=1
	s_add_i32 s9, s6, 0x1400
	s_cmpk_gt_u32 s9, 0x2fff
	s_cbranch_scc1 .LBB839_195
.LBB839_198:                            ;   in Loop: Header=BB839_193 Depth=1
	v_mov_b32_e32 v1, s8
	buffer_load_dword v1, v1, s[0:3], 0 offen offset:20
	s_waitcnt vmcnt(0)
	v_lshlrev_b32_e32 v1, 2, v1
	ds_read_b32 v1, v1
	ds_read_b32 v32, v40 offset:21504
	s_waitcnt lgkmcnt(1)
	v_add3_u32 v1, v29, v1, 0x1400
	v_lshlrev_b64 v[30:31], 2, v[1:2]
	v_add_co_u32 v30, vcc_lo, s42, v30
	v_add_co_ci_u32_e64 v31, null, s43, v31, vcc_lo
	s_waitcnt lgkmcnt(0)
	global_store_dword v[30:31], v32, off
	s_add_i32 s9, s6, 0x1800
	s_cmpk_gt_u32 s9, 0x2fff
	s_cbranch_scc0 .LBB839_196
.LBB839_199:                            ;   in Loop: Header=BB839_193 Depth=1
	s_add_i32 s9, s6, 0x1c00
	s_cmpk_gt_u32 s9, 0x2fff
	s_cbranch_scc1 .LBB839_192
.LBB839_200:                            ;   in Loop: Header=BB839_193 Depth=1
	v_mov_b32_e32 v1, s8
	buffer_load_dword v1, v1, s[0:3], 0 offen offset:28
	s_waitcnt vmcnt(0)
	v_lshlrev_b32_e32 v1, 2, v1
	ds_read_b32 v1, v1
	ds_read_b32 v31, v40 offset:29696
	s_waitcnt lgkmcnt(1)
	v_add3_u32 v1, v29, v1, 0x1c00
	v_lshlrev_b64 v[29:30], 2, v[1:2]
	v_add_co_u32 v29, vcc_lo, s42, v29
	v_add_co_ci_u32_e64 v30, null, s43, v30, vcc_lo
	s_waitcnt lgkmcnt(0)
	global_store_dword v[29:30], v31, off
	s_branch .LBB839_192
.LBB839_201:
	s_add_i32 s11, s11, -1
	s_cmp_eq_u32 s33, s11
	s_cselect_b32 s5, -1, 0
	s_xor_b32 s4, s4, -1
	s_and_b32 s4, s4, s5
	s_and_saveexec_b32 s5, s4
	s_cbranch_execz .LBB839_203
; %bb.202:
	ds_read_b32 v0, v40
	s_waitcnt lgkmcnt(0)
	v_add3_u32 v0, v7, v8, v0
	global_store_dword v40, v0, s[30:31]
.LBB839_203:
	s_endpgm
	.section	.rodata,"a",@progbits
	.p2align	6, 0x0
	.amdhsa_kernel _ZN7rocprim17ROCPRIM_400000_NS6detail17trampoline_kernelINS0_14default_configENS1_35radix_sort_onesweep_config_selectorIiiEEZZNS1_29radix_sort_onesweep_iterationIS3_Lb0EN6thrust23THRUST_200600_302600_NS6detail15normal_iteratorINS8_10device_ptrIiEEEESD_SD_SD_jNS0_19identity_decomposerENS1_16block_id_wrapperIjLb1EEEEE10hipError_tT1_PNSt15iterator_traitsISI_E10value_typeET2_T3_PNSJ_ISO_E10value_typeET4_T5_PST_SU_PNS1_23onesweep_lookback_stateEbbT6_jjT7_P12ihipStream_tbENKUlT_T0_SI_SN_E_clISD_PiSD_S15_EEDaS11_S12_SI_SN_EUlS11_E_NS1_11comp_targetILNS1_3genE8ELNS1_11target_archE1030ELNS1_3gpuE2ELNS1_3repE0EEENS1_47radix_sort_onesweep_sort_config_static_selectorELNS0_4arch9wavefront6targetE0EEEvSI_
		.amdhsa_group_segment_fixed_size 37000
		.amdhsa_private_segment_fixed_size 64
		.amdhsa_kernarg_size 344
		.amdhsa_user_sgpr_count 6
		.amdhsa_user_sgpr_private_segment_buffer 1
		.amdhsa_user_sgpr_dispatch_ptr 0
		.amdhsa_user_sgpr_queue_ptr 0
		.amdhsa_user_sgpr_kernarg_segment_ptr 1
		.amdhsa_user_sgpr_dispatch_id 0
		.amdhsa_user_sgpr_flat_scratch_init 0
		.amdhsa_user_sgpr_private_segment_size 0
		.amdhsa_wavefront_size32 1
		.amdhsa_uses_dynamic_stack 0
		.amdhsa_system_sgpr_private_segment_wavefront_offset 1
		.amdhsa_system_sgpr_workgroup_id_x 1
		.amdhsa_system_sgpr_workgroup_id_y 0
		.amdhsa_system_sgpr_workgroup_id_z 0
		.amdhsa_system_sgpr_workgroup_info 0
		.amdhsa_system_vgpr_workitem_id 2
		.amdhsa_next_free_vgpr 68
		.amdhsa_next_free_sgpr 51
		.amdhsa_reserve_vcc 1
		.amdhsa_reserve_flat_scratch 0
		.amdhsa_float_round_mode_32 0
		.amdhsa_float_round_mode_16_64 0
		.amdhsa_float_denorm_mode_32 3
		.amdhsa_float_denorm_mode_16_64 3
		.amdhsa_dx10_clamp 1
		.amdhsa_ieee_mode 1
		.amdhsa_fp16_overflow 0
		.amdhsa_workgroup_processor_mode 1
		.amdhsa_memory_ordered 1
		.amdhsa_forward_progress 1
		.amdhsa_shared_vgpr_count 0
		.amdhsa_exception_fp_ieee_invalid_op 0
		.amdhsa_exception_fp_denorm_src 0
		.amdhsa_exception_fp_ieee_div_zero 0
		.amdhsa_exception_fp_ieee_overflow 0
		.amdhsa_exception_fp_ieee_underflow 0
		.amdhsa_exception_fp_ieee_inexact 0
		.amdhsa_exception_int_div_zero 0
	.end_amdhsa_kernel
	.section	.text._ZN7rocprim17ROCPRIM_400000_NS6detail17trampoline_kernelINS0_14default_configENS1_35radix_sort_onesweep_config_selectorIiiEEZZNS1_29radix_sort_onesweep_iterationIS3_Lb0EN6thrust23THRUST_200600_302600_NS6detail15normal_iteratorINS8_10device_ptrIiEEEESD_SD_SD_jNS0_19identity_decomposerENS1_16block_id_wrapperIjLb1EEEEE10hipError_tT1_PNSt15iterator_traitsISI_E10value_typeET2_T3_PNSJ_ISO_E10value_typeET4_T5_PST_SU_PNS1_23onesweep_lookback_stateEbbT6_jjT7_P12ihipStream_tbENKUlT_T0_SI_SN_E_clISD_PiSD_S15_EEDaS11_S12_SI_SN_EUlS11_E_NS1_11comp_targetILNS1_3genE8ELNS1_11target_archE1030ELNS1_3gpuE2ELNS1_3repE0EEENS1_47radix_sort_onesweep_sort_config_static_selectorELNS0_4arch9wavefront6targetE0EEEvSI_,"axG",@progbits,_ZN7rocprim17ROCPRIM_400000_NS6detail17trampoline_kernelINS0_14default_configENS1_35radix_sort_onesweep_config_selectorIiiEEZZNS1_29radix_sort_onesweep_iterationIS3_Lb0EN6thrust23THRUST_200600_302600_NS6detail15normal_iteratorINS8_10device_ptrIiEEEESD_SD_SD_jNS0_19identity_decomposerENS1_16block_id_wrapperIjLb1EEEEE10hipError_tT1_PNSt15iterator_traitsISI_E10value_typeET2_T3_PNSJ_ISO_E10value_typeET4_T5_PST_SU_PNS1_23onesweep_lookback_stateEbbT6_jjT7_P12ihipStream_tbENKUlT_T0_SI_SN_E_clISD_PiSD_S15_EEDaS11_S12_SI_SN_EUlS11_E_NS1_11comp_targetILNS1_3genE8ELNS1_11target_archE1030ELNS1_3gpuE2ELNS1_3repE0EEENS1_47radix_sort_onesweep_sort_config_static_selectorELNS0_4arch9wavefront6targetE0EEEvSI_,comdat
.Lfunc_end839:
	.size	_ZN7rocprim17ROCPRIM_400000_NS6detail17trampoline_kernelINS0_14default_configENS1_35radix_sort_onesweep_config_selectorIiiEEZZNS1_29radix_sort_onesweep_iterationIS3_Lb0EN6thrust23THRUST_200600_302600_NS6detail15normal_iteratorINS8_10device_ptrIiEEEESD_SD_SD_jNS0_19identity_decomposerENS1_16block_id_wrapperIjLb1EEEEE10hipError_tT1_PNSt15iterator_traitsISI_E10value_typeET2_T3_PNSJ_ISO_E10value_typeET4_T5_PST_SU_PNS1_23onesweep_lookback_stateEbbT6_jjT7_P12ihipStream_tbENKUlT_T0_SI_SN_E_clISD_PiSD_S15_EEDaS11_S12_SI_SN_EUlS11_E_NS1_11comp_targetILNS1_3genE8ELNS1_11target_archE1030ELNS1_3gpuE2ELNS1_3repE0EEENS1_47radix_sort_onesweep_sort_config_static_selectorELNS0_4arch9wavefront6targetE0EEEvSI_, .Lfunc_end839-_ZN7rocprim17ROCPRIM_400000_NS6detail17trampoline_kernelINS0_14default_configENS1_35radix_sort_onesweep_config_selectorIiiEEZZNS1_29radix_sort_onesweep_iterationIS3_Lb0EN6thrust23THRUST_200600_302600_NS6detail15normal_iteratorINS8_10device_ptrIiEEEESD_SD_SD_jNS0_19identity_decomposerENS1_16block_id_wrapperIjLb1EEEEE10hipError_tT1_PNSt15iterator_traitsISI_E10value_typeET2_T3_PNSJ_ISO_E10value_typeET4_T5_PST_SU_PNS1_23onesweep_lookback_stateEbbT6_jjT7_P12ihipStream_tbENKUlT_T0_SI_SN_E_clISD_PiSD_S15_EEDaS11_S12_SI_SN_EUlS11_E_NS1_11comp_targetILNS1_3genE8ELNS1_11target_archE1030ELNS1_3gpuE2ELNS1_3repE0EEENS1_47radix_sort_onesweep_sort_config_static_selectorELNS0_4arch9wavefront6targetE0EEEvSI_
                                        ; -- End function
	.set _ZN7rocprim17ROCPRIM_400000_NS6detail17trampoline_kernelINS0_14default_configENS1_35radix_sort_onesweep_config_selectorIiiEEZZNS1_29radix_sort_onesweep_iterationIS3_Lb0EN6thrust23THRUST_200600_302600_NS6detail15normal_iteratorINS8_10device_ptrIiEEEESD_SD_SD_jNS0_19identity_decomposerENS1_16block_id_wrapperIjLb1EEEEE10hipError_tT1_PNSt15iterator_traitsISI_E10value_typeET2_T3_PNSJ_ISO_E10value_typeET4_T5_PST_SU_PNS1_23onesweep_lookback_stateEbbT6_jjT7_P12ihipStream_tbENKUlT_T0_SI_SN_E_clISD_PiSD_S15_EEDaS11_S12_SI_SN_EUlS11_E_NS1_11comp_targetILNS1_3genE8ELNS1_11target_archE1030ELNS1_3gpuE2ELNS1_3repE0EEENS1_47radix_sort_onesweep_sort_config_static_selectorELNS0_4arch9wavefront6targetE0EEEvSI_.num_vgpr, 68
	.set _ZN7rocprim17ROCPRIM_400000_NS6detail17trampoline_kernelINS0_14default_configENS1_35radix_sort_onesweep_config_selectorIiiEEZZNS1_29radix_sort_onesweep_iterationIS3_Lb0EN6thrust23THRUST_200600_302600_NS6detail15normal_iteratorINS8_10device_ptrIiEEEESD_SD_SD_jNS0_19identity_decomposerENS1_16block_id_wrapperIjLb1EEEEE10hipError_tT1_PNSt15iterator_traitsISI_E10value_typeET2_T3_PNSJ_ISO_E10value_typeET4_T5_PST_SU_PNS1_23onesweep_lookback_stateEbbT6_jjT7_P12ihipStream_tbENKUlT_T0_SI_SN_E_clISD_PiSD_S15_EEDaS11_S12_SI_SN_EUlS11_E_NS1_11comp_targetILNS1_3genE8ELNS1_11target_archE1030ELNS1_3gpuE2ELNS1_3repE0EEENS1_47radix_sort_onesweep_sort_config_static_selectorELNS0_4arch9wavefront6targetE0EEEvSI_.num_agpr, 0
	.set _ZN7rocprim17ROCPRIM_400000_NS6detail17trampoline_kernelINS0_14default_configENS1_35radix_sort_onesweep_config_selectorIiiEEZZNS1_29radix_sort_onesweep_iterationIS3_Lb0EN6thrust23THRUST_200600_302600_NS6detail15normal_iteratorINS8_10device_ptrIiEEEESD_SD_SD_jNS0_19identity_decomposerENS1_16block_id_wrapperIjLb1EEEEE10hipError_tT1_PNSt15iterator_traitsISI_E10value_typeET2_T3_PNSJ_ISO_E10value_typeET4_T5_PST_SU_PNS1_23onesweep_lookback_stateEbbT6_jjT7_P12ihipStream_tbENKUlT_T0_SI_SN_E_clISD_PiSD_S15_EEDaS11_S12_SI_SN_EUlS11_E_NS1_11comp_targetILNS1_3genE8ELNS1_11target_archE1030ELNS1_3gpuE2ELNS1_3repE0EEENS1_47radix_sort_onesweep_sort_config_static_selectorELNS0_4arch9wavefront6targetE0EEEvSI_.numbered_sgpr, 51
	.set _ZN7rocprim17ROCPRIM_400000_NS6detail17trampoline_kernelINS0_14default_configENS1_35radix_sort_onesweep_config_selectorIiiEEZZNS1_29radix_sort_onesweep_iterationIS3_Lb0EN6thrust23THRUST_200600_302600_NS6detail15normal_iteratorINS8_10device_ptrIiEEEESD_SD_SD_jNS0_19identity_decomposerENS1_16block_id_wrapperIjLb1EEEEE10hipError_tT1_PNSt15iterator_traitsISI_E10value_typeET2_T3_PNSJ_ISO_E10value_typeET4_T5_PST_SU_PNS1_23onesweep_lookback_stateEbbT6_jjT7_P12ihipStream_tbENKUlT_T0_SI_SN_E_clISD_PiSD_S15_EEDaS11_S12_SI_SN_EUlS11_E_NS1_11comp_targetILNS1_3genE8ELNS1_11target_archE1030ELNS1_3gpuE2ELNS1_3repE0EEENS1_47radix_sort_onesweep_sort_config_static_selectorELNS0_4arch9wavefront6targetE0EEEvSI_.num_named_barrier, 0
	.set _ZN7rocprim17ROCPRIM_400000_NS6detail17trampoline_kernelINS0_14default_configENS1_35radix_sort_onesweep_config_selectorIiiEEZZNS1_29radix_sort_onesweep_iterationIS3_Lb0EN6thrust23THRUST_200600_302600_NS6detail15normal_iteratorINS8_10device_ptrIiEEEESD_SD_SD_jNS0_19identity_decomposerENS1_16block_id_wrapperIjLb1EEEEE10hipError_tT1_PNSt15iterator_traitsISI_E10value_typeET2_T3_PNSJ_ISO_E10value_typeET4_T5_PST_SU_PNS1_23onesweep_lookback_stateEbbT6_jjT7_P12ihipStream_tbENKUlT_T0_SI_SN_E_clISD_PiSD_S15_EEDaS11_S12_SI_SN_EUlS11_E_NS1_11comp_targetILNS1_3genE8ELNS1_11target_archE1030ELNS1_3gpuE2ELNS1_3repE0EEENS1_47radix_sort_onesweep_sort_config_static_selectorELNS0_4arch9wavefront6targetE0EEEvSI_.private_seg_size, 64
	.set _ZN7rocprim17ROCPRIM_400000_NS6detail17trampoline_kernelINS0_14default_configENS1_35radix_sort_onesweep_config_selectorIiiEEZZNS1_29radix_sort_onesweep_iterationIS3_Lb0EN6thrust23THRUST_200600_302600_NS6detail15normal_iteratorINS8_10device_ptrIiEEEESD_SD_SD_jNS0_19identity_decomposerENS1_16block_id_wrapperIjLb1EEEEE10hipError_tT1_PNSt15iterator_traitsISI_E10value_typeET2_T3_PNSJ_ISO_E10value_typeET4_T5_PST_SU_PNS1_23onesweep_lookback_stateEbbT6_jjT7_P12ihipStream_tbENKUlT_T0_SI_SN_E_clISD_PiSD_S15_EEDaS11_S12_SI_SN_EUlS11_E_NS1_11comp_targetILNS1_3genE8ELNS1_11target_archE1030ELNS1_3gpuE2ELNS1_3repE0EEENS1_47radix_sort_onesweep_sort_config_static_selectorELNS0_4arch9wavefront6targetE0EEEvSI_.uses_vcc, 1
	.set _ZN7rocprim17ROCPRIM_400000_NS6detail17trampoline_kernelINS0_14default_configENS1_35radix_sort_onesweep_config_selectorIiiEEZZNS1_29radix_sort_onesweep_iterationIS3_Lb0EN6thrust23THRUST_200600_302600_NS6detail15normal_iteratorINS8_10device_ptrIiEEEESD_SD_SD_jNS0_19identity_decomposerENS1_16block_id_wrapperIjLb1EEEEE10hipError_tT1_PNSt15iterator_traitsISI_E10value_typeET2_T3_PNSJ_ISO_E10value_typeET4_T5_PST_SU_PNS1_23onesweep_lookback_stateEbbT6_jjT7_P12ihipStream_tbENKUlT_T0_SI_SN_E_clISD_PiSD_S15_EEDaS11_S12_SI_SN_EUlS11_E_NS1_11comp_targetILNS1_3genE8ELNS1_11target_archE1030ELNS1_3gpuE2ELNS1_3repE0EEENS1_47radix_sort_onesweep_sort_config_static_selectorELNS0_4arch9wavefront6targetE0EEEvSI_.uses_flat_scratch, 0
	.set _ZN7rocprim17ROCPRIM_400000_NS6detail17trampoline_kernelINS0_14default_configENS1_35radix_sort_onesweep_config_selectorIiiEEZZNS1_29radix_sort_onesweep_iterationIS3_Lb0EN6thrust23THRUST_200600_302600_NS6detail15normal_iteratorINS8_10device_ptrIiEEEESD_SD_SD_jNS0_19identity_decomposerENS1_16block_id_wrapperIjLb1EEEEE10hipError_tT1_PNSt15iterator_traitsISI_E10value_typeET2_T3_PNSJ_ISO_E10value_typeET4_T5_PST_SU_PNS1_23onesweep_lookback_stateEbbT6_jjT7_P12ihipStream_tbENKUlT_T0_SI_SN_E_clISD_PiSD_S15_EEDaS11_S12_SI_SN_EUlS11_E_NS1_11comp_targetILNS1_3genE8ELNS1_11target_archE1030ELNS1_3gpuE2ELNS1_3repE0EEENS1_47radix_sort_onesweep_sort_config_static_selectorELNS0_4arch9wavefront6targetE0EEEvSI_.has_dyn_sized_stack, 0
	.set _ZN7rocprim17ROCPRIM_400000_NS6detail17trampoline_kernelINS0_14default_configENS1_35radix_sort_onesweep_config_selectorIiiEEZZNS1_29radix_sort_onesweep_iterationIS3_Lb0EN6thrust23THRUST_200600_302600_NS6detail15normal_iteratorINS8_10device_ptrIiEEEESD_SD_SD_jNS0_19identity_decomposerENS1_16block_id_wrapperIjLb1EEEEE10hipError_tT1_PNSt15iterator_traitsISI_E10value_typeET2_T3_PNSJ_ISO_E10value_typeET4_T5_PST_SU_PNS1_23onesweep_lookback_stateEbbT6_jjT7_P12ihipStream_tbENKUlT_T0_SI_SN_E_clISD_PiSD_S15_EEDaS11_S12_SI_SN_EUlS11_E_NS1_11comp_targetILNS1_3genE8ELNS1_11target_archE1030ELNS1_3gpuE2ELNS1_3repE0EEENS1_47radix_sort_onesweep_sort_config_static_selectorELNS0_4arch9wavefront6targetE0EEEvSI_.has_recursion, 0
	.set _ZN7rocprim17ROCPRIM_400000_NS6detail17trampoline_kernelINS0_14default_configENS1_35radix_sort_onesweep_config_selectorIiiEEZZNS1_29radix_sort_onesweep_iterationIS3_Lb0EN6thrust23THRUST_200600_302600_NS6detail15normal_iteratorINS8_10device_ptrIiEEEESD_SD_SD_jNS0_19identity_decomposerENS1_16block_id_wrapperIjLb1EEEEE10hipError_tT1_PNSt15iterator_traitsISI_E10value_typeET2_T3_PNSJ_ISO_E10value_typeET4_T5_PST_SU_PNS1_23onesweep_lookback_stateEbbT6_jjT7_P12ihipStream_tbENKUlT_T0_SI_SN_E_clISD_PiSD_S15_EEDaS11_S12_SI_SN_EUlS11_E_NS1_11comp_targetILNS1_3genE8ELNS1_11target_archE1030ELNS1_3gpuE2ELNS1_3repE0EEENS1_47radix_sort_onesweep_sort_config_static_selectorELNS0_4arch9wavefront6targetE0EEEvSI_.has_indirect_call, 0
	.section	.AMDGPU.csdata,"",@progbits
; Kernel info:
; codeLenInByte = 17560
; TotalNumSgprs: 53
; NumVgprs: 68
; ScratchSize: 64
; MemoryBound: 0
; FloatMode: 240
; IeeeMode: 1
; LDSByteSize: 37000 bytes/workgroup (compile time only)
; SGPRBlocks: 0
; VGPRBlocks: 8
; NumSGPRsForWavesPerEU: 53
; NumVGPRsForWavesPerEU: 68
; Occupancy: 12
; WaveLimiterHint : 1
; COMPUTE_PGM_RSRC2:SCRATCH_EN: 1
; COMPUTE_PGM_RSRC2:USER_SGPR: 6
; COMPUTE_PGM_RSRC2:TRAP_HANDLER: 0
; COMPUTE_PGM_RSRC2:TGID_X_EN: 1
; COMPUTE_PGM_RSRC2:TGID_Y_EN: 0
; COMPUTE_PGM_RSRC2:TGID_Z_EN: 0
; COMPUTE_PGM_RSRC2:TIDIG_COMP_CNT: 2
	.section	.text._ZN7rocprim17ROCPRIM_400000_NS6detail17trampoline_kernelINS0_14default_configENS1_35radix_sort_onesweep_config_selectorIiiEEZZNS1_29radix_sort_onesweep_iterationIS3_Lb0EN6thrust23THRUST_200600_302600_NS6detail15normal_iteratorINS8_10device_ptrIiEEEESD_SD_SD_jNS0_19identity_decomposerENS1_16block_id_wrapperIjLb1EEEEE10hipError_tT1_PNSt15iterator_traitsISI_E10value_typeET2_T3_PNSJ_ISO_E10value_typeET4_T5_PST_SU_PNS1_23onesweep_lookback_stateEbbT6_jjT7_P12ihipStream_tbENKUlT_T0_SI_SN_E_clIPiSD_S15_SD_EEDaS11_S12_SI_SN_EUlS11_E_NS1_11comp_targetILNS1_3genE0ELNS1_11target_archE4294967295ELNS1_3gpuE0ELNS1_3repE0EEENS1_47radix_sort_onesweep_sort_config_static_selectorELNS0_4arch9wavefront6targetE0EEEvSI_,"axG",@progbits,_ZN7rocprim17ROCPRIM_400000_NS6detail17trampoline_kernelINS0_14default_configENS1_35radix_sort_onesweep_config_selectorIiiEEZZNS1_29radix_sort_onesweep_iterationIS3_Lb0EN6thrust23THRUST_200600_302600_NS6detail15normal_iteratorINS8_10device_ptrIiEEEESD_SD_SD_jNS0_19identity_decomposerENS1_16block_id_wrapperIjLb1EEEEE10hipError_tT1_PNSt15iterator_traitsISI_E10value_typeET2_T3_PNSJ_ISO_E10value_typeET4_T5_PST_SU_PNS1_23onesweep_lookback_stateEbbT6_jjT7_P12ihipStream_tbENKUlT_T0_SI_SN_E_clIPiSD_S15_SD_EEDaS11_S12_SI_SN_EUlS11_E_NS1_11comp_targetILNS1_3genE0ELNS1_11target_archE4294967295ELNS1_3gpuE0ELNS1_3repE0EEENS1_47radix_sort_onesweep_sort_config_static_selectorELNS0_4arch9wavefront6targetE0EEEvSI_,comdat
	.protected	_ZN7rocprim17ROCPRIM_400000_NS6detail17trampoline_kernelINS0_14default_configENS1_35radix_sort_onesweep_config_selectorIiiEEZZNS1_29radix_sort_onesweep_iterationIS3_Lb0EN6thrust23THRUST_200600_302600_NS6detail15normal_iteratorINS8_10device_ptrIiEEEESD_SD_SD_jNS0_19identity_decomposerENS1_16block_id_wrapperIjLb1EEEEE10hipError_tT1_PNSt15iterator_traitsISI_E10value_typeET2_T3_PNSJ_ISO_E10value_typeET4_T5_PST_SU_PNS1_23onesweep_lookback_stateEbbT6_jjT7_P12ihipStream_tbENKUlT_T0_SI_SN_E_clIPiSD_S15_SD_EEDaS11_S12_SI_SN_EUlS11_E_NS1_11comp_targetILNS1_3genE0ELNS1_11target_archE4294967295ELNS1_3gpuE0ELNS1_3repE0EEENS1_47radix_sort_onesweep_sort_config_static_selectorELNS0_4arch9wavefront6targetE0EEEvSI_ ; -- Begin function _ZN7rocprim17ROCPRIM_400000_NS6detail17trampoline_kernelINS0_14default_configENS1_35radix_sort_onesweep_config_selectorIiiEEZZNS1_29radix_sort_onesweep_iterationIS3_Lb0EN6thrust23THRUST_200600_302600_NS6detail15normal_iteratorINS8_10device_ptrIiEEEESD_SD_SD_jNS0_19identity_decomposerENS1_16block_id_wrapperIjLb1EEEEE10hipError_tT1_PNSt15iterator_traitsISI_E10value_typeET2_T3_PNSJ_ISO_E10value_typeET4_T5_PST_SU_PNS1_23onesweep_lookback_stateEbbT6_jjT7_P12ihipStream_tbENKUlT_T0_SI_SN_E_clIPiSD_S15_SD_EEDaS11_S12_SI_SN_EUlS11_E_NS1_11comp_targetILNS1_3genE0ELNS1_11target_archE4294967295ELNS1_3gpuE0ELNS1_3repE0EEENS1_47radix_sort_onesweep_sort_config_static_selectorELNS0_4arch9wavefront6targetE0EEEvSI_
	.globl	_ZN7rocprim17ROCPRIM_400000_NS6detail17trampoline_kernelINS0_14default_configENS1_35radix_sort_onesweep_config_selectorIiiEEZZNS1_29radix_sort_onesweep_iterationIS3_Lb0EN6thrust23THRUST_200600_302600_NS6detail15normal_iteratorINS8_10device_ptrIiEEEESD_SD_SD_jNS0_19identity_decomposerENS1_16block_id_wrapperIjLb1EEEEE10hipError_tT1_PNSt15iterator_traitsISI_E10value_typeET2_T3_PNSJ_ISO_E10value_typeET4_T5_PST_SU_PNS1_23onesweep_lookback_stateEbbT6_jjT7_P12ihipStream_tbENKUlT_T0_SI_SN_E_clIPiSD_S15_SD_EEDaS11_S12_SI_SN_EUlS11_E_NS1_11comp_targetILNS1_3genE0ELNS1_11target_archE4294967295ELNS1_3gpuE0ELNS1_3repE0EEENS1_47radix_sort_onesweep_sort_config_static_selectorELNS0_4arch9wavefront6targetE0EEEvSI_
	.p2align	8
	.type	_ZN7rocprim17ROCPRIM_400000_NS6detail17trampoline_kernelINS0_14default_configENS1_35radix_sort_onesweep_config_selectorIiiEEZZNS1_29radix_sort_onesweep_iterationIS3_Lb0EN6thrust23THRUST_200600_302600_NS6detail15normal_iteratorINS8_10device_ptrIiEEEESD_SD_SD_jNS0_19identity_decomposerENS1_16block_id_wrapperIjLb1EEEEE10hipError_tT1_PNSt15iterator_traitsISI_E10value_typeET2_T3_PNSJ_ISO_E10value_typeET4_T5_PST_SU_PNS1_23onesweep_lookback_stateEbbT6_jjT7_P12ihipStream_tbENKUlT_T0_SI_SN_E_clIPiSD_S15_SD_EEDaS11_S12_SI_SN_EUlS11_E_NS1_11comp_targetILNS1_3genE0ELNS1_11target_archE4294967295ELNS1_3gpuE0ELNS1_3repE0EEENS1_47radix_sort_onesweep_sort_config_static_selectorELNS0_4arch9wavefront6targetE0EEEvSI_,@function
_ZN7rocprim17ROCPRIM_400000_NS6detail17trampoline_kernelINS0_14default_configENS1_35radix_sort_onesweep_config_selectorIiiEEZZNS1_29radix_sort_onesweep_iterationIS3_Lb0EN6thrust23THRUST_200600_302600_NS6detail15normal_iteratorINS8_10device_ptrIiEEEESD_SD_SD_jNS0_19identity_decomposerENS1_16block_id_wrapperIjLb1EEEEE10hipError_tT1_PNSt15iterator_traitsISI_E10value_typeET2_T3_PNSJ_ISO_E10value_typeET4_T5_PST_SU_PNS1_23onesweep_lookback_stateEbbT6_jjT7_P12ihipStream_tbENKUlT_T0_SI_SN_E_clIPiSD_S15_SD_EEDaS11_S12_SI_SN_EUlS11_E_NS1_11comp_targetILNS1_3genE0ELNS1_11target_archE4294967295ELNS1_3gpuE0ELNS1_3repE0EEENS1_47radix_sort_onesweep_sort_config_static_selectorELNS0_4arch9wavefront6targetE0EEEvSI_: ; @_ZN7rocprim17ROCPRIM_400000_NS6detail17trampoline_kernelINS0_14default_configENS1_35radix_sort_onesweep_config_selectorIiiEEZZNS1_29radix_sort_onesweep_iterationIS3_Lb0EN6thrust23THRUST_200600_302600_NS6detail15normal_iteratorINS8_10device_ptrIiEEEESD_SD_SD_jNS0_19identity_decomposerENS1_16block_id_wrapperIjLb1EEEEE10hipError_tT1_PNSt15iterator_traitsISI_E10value_typeET2_T3_PNSJ_ISO_E10value_typeET4_T5_PST_SU_PNS1_23onesweep_lookback_stateEbbT6_jjT7_P12ihipStream_tbENKUlT_T0_SI_SN_E_clIPiSD_S15_SD_EEDaS11_S12_SI_SN_EUlS11_E_NS1_11comp_targetILNS1_3genE0ELNS1_11target_archE4294967295ELNS1_3gpuE0ELNS1_3repE0EEENS1_47radix_sort_onesweep_sort_config_static_selectorELNS0_4arch9wavefront6targetE0EEEvSI_
; %bb.0:
	.section	.rodata,"a",@progbits
	.p2align	6, 0x0
	.amdhsa_kernel _ZN7rocprim17ROCPRIM_400000_NS6detail17trampoline_kernelINS0_14default_configENS1_35radix_sort_onesweep_config_selectorIiiEEZZNS1_29radix_sort_onesweep_iterationIS3_Lb0EN6thrust23THRUST_200600_302600_NS6detail15normal_iteratorINS8_10device_ptrIiEEEESD_SD_SD_jNS0_19identity_decomposerENS1_16block_id_wrapperIjLb1EEEEE10hipError_tT1_PNSt15iterator_traitsISI_E10value_typeET2_T3_PNSJ_ISO_E10value_typeET4_T5_PST_SU_PNS1_23onesweep_lookback_stateEbbT6_jjT7_P12ihipStream_tbENKUlT_T0_SI_SN_E_clIPiSD_S15_SD_EEDaS11_S12_SI_SN_EUlS11_E_NS1_11comp_targetILNS1_3genE0ELNS1_11target_archE4294967295ELNS1_3gpuE0ELNS1_3repE0EEENS1_47radix_sort_onesweep_sort_config_static_selectorELNS0_4arch9wavefront6targetE0EEEvSI_
		.amdhsa_group_segment_fixed_size 0
		.amdhsa_private_segment_fixed_size 0
		.amdhsa_kernarg_size 88
		.amdhsa_user_sgpr_count 6
		.amdhsa_user_sgpr_private_segment_buffer 1
		.amdhsa_user_sgpr_dispatch_ptr 0
		.amdhsa_user_sgpr_queue_ptr 0
		.amdhsa_user_sgpr_kernarg_segment_ptr 1
		.amdhsa_user_sgpr_dispatch_id 0
		.amdhsa_user_sgpr_flat_scratch_init 0
		.amdhsa_user_sgpr_private_segment_size 0
		.amdhsa_wavefront_size32 1
		.amdhsa_uses_dynamic_stack 0
		.amdhsa_system_sgpr_private_segment_wavefront_offset 0
		.amdhsa_system_sgpr_workgroup_id_x 1
		.amdhsa_system_sgpr_workgroup_id_y 0
		.amdhsa_system_sgpr_workgroup_id_z 0
		.amdhsa_system_sgpr_workgroup_info 0
		.amdhsa_system_vgpr_workitem_id 0
		.amdhsa_next_free_vgpr 1
		.amdhsa_next_free_sgpr 1
		.amdhsa_reserve_vcc 0
		.amdhsa_reserve_flat_scratch 0
		.amdhsa_float_round_mode_32 0
		.amdhsa_float_round_mode_16_64 0
		.amdhsa_float_denorm_mode_32 3
		.amdhsa_float_denorm_mode_16_64 3
		.amdhsa_dx10_clamp 1
		.amdhsa_ieee_mode 1
		.amdhsa_fp16_overflow 0
		.amdhsa_workgroup_processor_mode 1
		.amdhsa_memory_ordered 1
		.amdhsa_forward_progress 1
		.amdhsa_shared_vgpr_count 0
		.amdhsa_exception_fp_ieee_invalid_op 0
		.amdhsa_exception_fp_denorm_src 0
		.amdhsa_exception_fp_ieee_div_zero 0
		.amdhsa_exception_fp_ieee_overflow 0
		.amdhsa_exception_fp_ieee_underflow 0
		.amdhsa_exception_fp_ieee_inexact 0
		.amdhsa_exception_int_div_zero 0
	.end_amdhsa_kernel
	.section	.text._ZN7rocprim17ROCPRIM_400000_NS6detail17trampoline_kernelINS0_14default_configENS1_35radix_sort_onesweep_config_selectorIiiEEZZNS1_29radix_sort_onesweep_iterationIS3_Lb0EN6thrust23THRUST_200600_302600_NS6detail15normal_iteratorINS8_10device_ptrIiEEEESD_SD_SD_jNS0_19identity_decomposerENS1_16block_id_wrapperIjLb1EEEEE10hipError_tT1_PNSt15iterator_traitsISI_E10value_typeET2_T3_PNSJ_ISO_E10value_typeET4_T5_PST_SU_PNS1_23onesweep_lookback_stateEbbT6_jjT7_P12ihipStream_tbENKUlT_T0_SI_SN_E_clIPiSD_S15_SD_EEDaS11_S12_SI_SN_EUlS11_E_NS1_11comp_targetILNS1_3genE0ELNS1_11target_archE4294967295ELNS1_3gpuE0ELNS1_3repE0EEENS1_47radix_sort_onesweep_sort_config_static_selectorELNS0_4arch9wavefront6targetE0EEEvSI_,"axG",@progbits,_ZN7rocprim17ROCPRIM_400000_NS6detail17trampoline_kernelINS0_14default_configENS1_35radix_sort_onesweep_config_selectorIiiEEZZNS1_29radix_sort_onesweep_iterationIS3_Lb0EN6thrust23THRUST_200600_302600_NS6detail15normal_iteratorINS8_10device_ptrIiEEEESD_SD_SD_jNS0_19identity_decomposerENS1_16block_id_wrapperIjLb1EEEEE10hipError_tT1_PNSt15iterator_traitsISI_E10value_typeET2_T3_PNSJ_ISO_E10value_typeET4_T5_PST_SU_PNS1_23onesweep_lookback_stateEbbT6_jjT7_P12ihipStream_tbENKUlT_T0_SI_SN_E_clIPiSD_S15_SD_EEDaS11_S12_SI_SN_EUlS11_E_NS1_11comp_targetILNS1_3genE0ELNS1_11target_archE4294967295ELNS1_3gpuE0ELNS1_3repE0EEENS1_47radix_sort_onesweep_sort_config_static_selectorELNS0_4arch9wavefront6targetE0EEEvSI_,comdat
.Lfunc_end840:
	.size	_ZN7rocprim17ROCPRIM_400000_NS6detail17trampoline_kernelINS0_14default_configENS1_35radix_sort_onesweep_config_selectorIiiEEZZNS1_29radix_sort_onesweep_iterationIS3_Lb0EN6thrust23THRUST_200600_302600_NS6detail15normal_iteratorINS8_10device_ptrIiEEEESD_SD_SD_jNS0_19identity_decomposerENS1_16block_id_wrapperIjLb1EEEEE10hipError_tT1_PNSt15iterator_traitsISI_E10value_typeET2_T3_PNSJ_ISO_E10value_typeET4_T5_PST_SU_PNS1_23onesweep_lookback_stateEbbT6_jjT7_P12ihipStream_tbENKUlT_T0_SI_SN_E_clIPiSD_S15_SD_EEDaS11_S12_SI_SN_EUlS11_E_NS1_11comp_targetILNS1_3genE0ELNS1_11target_archE4294967295ELNS1_3gpuE0ELNS1_3repE0EEENS1_47radix_sort_onesweep_sort_config_static_selectorELNS0_4arch9wavefront6targetE0EEEvSI_, .Lfunc_end840-_ZN7rocprim17ROCPRIM_400000_NS6detail17trampoline_kernelINS0_14default_configENS1_35radix_sort_onesweep_config_selectorIiiEEZZNS1_29radix_sort_onesweep_iterationIS3_Lb0EN6thrust23THRUST_200600_302600_NS6detail15normal_iteratorINS8_10device_ptrIiEEEESD_SD_SD_jNS0_19identity_decomposerENS1_16block_id_wrapperIjLb1EEEEE10hipError_tT1_PNSt15iterator_traitsISI_E10value_typeET2_T3_PNSJ_ISO_E10value_typeET4_T5_PST_SU_PNS1_23onesweep_lookback_stateEbbT6_jjT7_P12ihipStream_tbENKUlT_T0_SI_SN_E_clIPiSD_S15_SD_EEDaS11_S12_SI_SN_EUlS11_E_NS1_11comp_targetILNS1_3genE0ELNS1_11target_archE4294967295ELNS1_3gpuE0ELNS1_3repE0EEENS1_47radix_sort_onesweep_sort_config_static_selectorELNS0_4arch9wavefront6targetE0EEEvSI_
                                        ; -- End function
	.set _ZN7rocprim17ROCPRIM_400000_NS6detail17trampoline_kernelINS0_14default_configENS1_35radix_sort_onesweep_config_selectorIiiEEZZNS1_29radix_sort_onesweep_iterationIS3_Lb0EN6thrust23THRUST_200600_302600_NS6detail15normal_iteratorINS8_10device_ptrIiEEEESD_SD_SD_jNS0_19identity_decomposerENS1_16block_id_wrapperIjLb1EEEEE10hipError_tT1_PNSt15iterator_traitsISI_E10value_typeET2_T3_PNSJ_ISO_E10value_typeET4_T5_PST_SU_PNS1_23onesweep_lookback_stateEbbT6_jjT7_P12ihipStream_tbENKUlT_T0_SI_SN_E_clIPiSD_S15_SD_EEDaS11_S12_SI_SN_EUlS11_E_NS1_11comp_targetILNS1_3genE0ELNS1_11target_archE4294967295ELNS1_3gpuE0ELNS1_3repE0EEENS1_47radix_sort_onesweep_sort_config_static_selectorELNS0_4arch9wavefront6targetE0EEEvSI_.num_vgpr, 0
	.set _ZN7rocprim17ROCPRIM_400000_NS6detail17trampoline_kernelINS0_14default_configENS1_35radix_sort_onesweep_config_selectorIiiEEZZNS1_29radix_sort_onesweep_iterationIS3_Lb0EN6thrust23THRUST_200600_302600_NS6detail15normal_iteratorINS8_10device_ptrIiEEEESD_SD_SD_jNS0_19identity_decomposerENS1_16block_id_wrapperIjLb1EEEEE10hipError_tT1_PNSt15iterator_traitsISI_E10value_typeET2_T3_PNSJ_ISO_E10value_typeET4_T5_PST_SU_PNS1_23onesweep_lookback_stateEbbT6_jjT7_P12ihipStream_tbENKUlT_T0_SI_SN_E_clIPiSD_S15_SD_EEDaS11_S12_SI_SN_EUlS11_E_NS1_11comp_targetILNS1_3genE0ELNS1_11target_archE4294967295ELNS1_3gpuE0ELNS1_3repE0EEENS1_47radix_sort_onesweep_sort_config_static_selectorELNS0_4arch9wavefront6targetE0EEEvSI_.num_agpr, 0
	.set _ZN7rocprim17ROCPRIM_400000_NS6detail17trampoline_kernelINS0_14default_configENS1_35radix_sort_onesweep_config_selectorIiiEEZZNS1_29radix_sort_onesweep_iterationIS3_Lb0EN6thrust23THRUST_200600_302600_NS6detail15normal_iteratorINS8_10device_ptrIiEEEESD_SD_SD_jNS0_19identity_decomposerENS1_16block_id_wrapperIjLb1EEEEE10hipError_tT1_PNSt15iterator_traitsISI_E10value_typeET2_T3_PNSJ_ISO_E10value_typeET4_T5_PST_SU_PNS1_23onesweep_lookback_stateEbbT6_jjT7_P12ihipStream_tbENKUlT_T0_SI_SN_E_clIPiSD_S15_SD_EEDaS11_S12_SI_SN_EUlS11_E_NS1_11comp_targetILNS1_3genE0ELNS1_11target_archE4294967295ELNS1_3gpuE0ELNS1_3repE0EEENS1_47radix_sort_onesweep_sort_config_static_selectorELNS0_4arch9wavefront6targetE0EEEvSI_.numbered_sgpr, 0
	.set _ZN7rocprim17ROCPRIM_400000_NS6detail17trampoline_kernelINS0_14default_configENS1_35radix_sort_onesweep_config_selectorIiiEEZZNS1_29radix_sort_onesweep_iterationIS3_Lb0EN6thrust23THRUST_200600_302600_NS6detail15normal_iteratorINS8_10device_ptrIiEEEESD_SD_SD_jNS0_19identity_decomposerENS1_16block_id_wrapperIjLb1EEEEE10hipError_tT1_PNSt15iterator_traitsISI_E10value_typeET2_T3_PNSJ_ISO_E10value_typeET4_T5_PST_SU_PNS1_23onesweep_lookback_stateEbbT6_jjT7_P12ihipStream_tbENKUlT_T0_SI_SN_E_clIPiSD_S15_SD_EEDaS11_S12_SI_SN_EUlS11_E_NS1_11comp_targetILNS1_3genE0ELNS1_11target_archE4294967295ELNS1_3gpuE0ELNS1_3repE0EEENS1_47radix_sort_onesweep_sort_config_static_selectorELNS0_4arch9wavefront6targetE0EEEvSI_.num_named_barrier, 0
	.set _ZN7rocprim17ROCPRIM_400000_NS6detail17trampoline_kernelINS0_14default_configENS1_35radix_sort_onesweep_config_selectorIiiEEZZNS1_29radix_sort_onesweep_iterationIS3_Lb0EN6thrust23THRUST_200600_302600_NS6detail15normal_iteratorINS8_10device_ptrIiEEEESD_SD_SD_jNS0_19identity_decomposerENS1_16block_id_wrapperIjLb1EEEEE10hipError_tT1_PNSt15iterator_traitsISI_E10value_typeET2_T3_PNSJ_ISO_E10value_typeET4_T5_PST_SU_PNS1_23onesweep_lookback_stateEbbT6_jjT7_P12ihipStream_tbENKUlT_T0_SI_SN_E_clIPiSD_S15_SD_EEDaS11_S12_SI_SN_EUlS11_E_NS1_11comp_targetILNS1_3genE0ELNS1_11target_archE4294967295ELNS1_3gpuE0ELNS1_3repE0EEENS1_47radix_sort_onesweep_sort_config_static_selectorELNS0_4arch9wavefront6targetE0EEEvSI_.private_seg_size, 0
	.set _ZN7rocprim17ROCPRIM_400000_NS6detail17trampoline_kernelINS0_14default_configENS1_35radix_sort_onesweep_config_selectorIiiEEZZNS1_29radix_sort_onesweep_iterationIS3_Lb0EN6thrust23THRUST_200600_302600_NS6detail15normal_iteratorINS8_10device_ptrIiEEEESD_SD_SD_jNS0_19identity_decomposerENS1_16block_id_wrapperIjLb1EEEEE10hipError_tT1_PNSt15iterator_traitsISI_E10value_typeET2_T3_PNSJ_ISO_E10value_typeET4_T5_PST_SU_PNS1_23onesweep_lookback_stateEbbT6_jjT7_P12ihipStream_tbENKUlT_T0_SI_SN_E_clIPiSD_S15_SD_EEDaS11_S12_SI_SN_EUlS11_E_NS1_11comp_targetILNS1_3genE0ELNS1_11target_archE4294967295ELNS1_3gpuE0ELNS1_3repE0EEENS1_47radix_sort_onesweep_sort_config_static_selectorELNS0_4arch9wavefront6targetE0EEEvSI_.uses_vcc, 0
	.set _ZN7rocprim17ROCPRIM_400000_NS6detail17trampoline_kernelINS0_14default_configENS1_35radix_sort_onesweep_config_selectorIiiEEZZNS1_29radix_sort_onesweep_iterationIS3_Lb0EN6thrust23THRUST_200600_302600_NS6detail15normal_iteratorINS8_10device_ptrIiEEEESD_SD_SD_jNS0_19identity_decomposerENS1_16block_id_wrapperIjLb1EEEEE10hipError_tT1_PNSt15iterator_traitsISI_E10value_typeET2_T3_PNSJ_ISO_E10value_typeET4_T5_PST_SU_PNS1_23onesweep_lookback_stateEbbT6_jjT7_P12ihipStream_tbENKUlT_T0_SI_SN_E_clIPiSD_S15_SD_EEDaS11_S12_SI_SN_EUlS11_E_NS1_11comp_targetILNS1_3genE0ELNS1_11target_archE4294967295ELNS1_3gpuE0ELNS1_3repE0EEENS1_47radix_sort_onesweep_sort_config_static_selectorELNS0_4arch9wavefront6targetE0EEEvSI_.uses_flat_scratch, 0
	.set _ZN7rocprim17ROCPRIM_400000_NS6detail17trampoline_kernelINS0_14default_configENS1_35radix_sort_onesweep_config_selectorIiiEEZZNS1_29radix_sort_onesweep_iterationIS3_Lb0EN6thrust23THRUST_200600_302600_NS6detail15normal_iteratorINS8_10device_ptrIiEEEESD_SD_SD_jNS0_19identity_decomposerENS1_16block_id_wrapperIjLb1EEEEE10hipError_tT1_PNSt15iterator_traitsISI_E10value_typeET2_T3_PNSJ_ISO_E10value_typeET4_T5_PST_SU_PNS1_23onesweep_lookback_stateEbbT6_jjT7_P12ihipStream_tbENKUlT_T0_SI_SN_E_clIPiSD_S15_SD_EEDaS11_S12_SI_SN_EUlS11_E_NS1_11comp_targetILNS1_3genE0ELNS1_11target_archE4294967295ELNS1_3gpuE0ELNS1_3repE0EEENS1_47radix_sort_onesweep_sort_config_static_selectorELNS0_4arch9wavefront6targetE0EEEvSI_.has_dyn_sized_stack, 0
	.set _ZN7rocprim17ROCPRIM_400000_NS6detail17trampoline_kernelINS0_14default_configENS1_35radix_sort_onesweep_config_selectorIiiEEZZNS1_29radix_sort_onesweep_iterationIS3_Lb0EN6thrust23THRUST_200600_302600_NS6detail15normal_iteratorINS8_10device_ptrIiEEEESD_SD_SD_jNS0_19identity_decomposerENS1_16block_id_wrapperIjLb1EEEEE10hipError_tT1_PNSt15iterator_traitsISI_E10value_typeET2_T3_PNSJ_ISO_E10value_typeET4_T5_PST_SU_PNS1_23onesweep_lookback_stateEbbT6_jjT7_P12ihipStream_tbENKUlT_T0_SI_SN_E_clIPiSD_S15_SD_EEDaS11_S12_SI_SN_EUlS11_E_NS1_11comp_targetILNS1_3genE0ELNS1_11target_archE4294967295ELNS1_3gpuE0ELNS1_3repE0EEENS1_47radix_sort_onesweep_sort_config_static_selectorELNS0_4arch9wavefront6targetE0EEEvSI_.has_recursion, 0
	.set _ZN7rocprim17ROCPRIM_400000_NS6detail17trampoline_kernelINS0_14default_configENS1_35radix_sort_onesweep_config_selectorIiiEEZZNS1_29radix_sort_onesweep_iterationIS3_Lb0EN6thrust23THRUST_200600_302600_NS6detail15normal_iteratorINS8_10device_ptrIiEEEESD_SD_SD_jNS0_19identity_decomposerENS1_16block_id_wrapperIjLb1EEEEE10hipError_tT1_PNSt15iterator_traitsISI_E10value_typeET2_T3_PNSJ_ISO_E10value_typeET4_T5_PST_SU_PNS1_23onesweep_lookback_stateEbbT6_jjT7_P12ihipStream_tbENKUlT_T0_SI_SN_E_clIPiSD_S15_SD_EEDaS11_S12_SI_SN_EUlS11_E_NS1_11comp_targetILNS1_3genE0ELNS1_11target_archE4294967295ELNS1_3gpuE0ELNS1_3repE0EEENS1_47radix_sort_onesweep_sort_config_static_selectorELNS0_4arch9wavefront6targetE0EEEvSI_.has_indirect_call, 0
	.section	.AMDGPU.csdata,"",@progbits
; Kernel info:
; codeLenInByte = 0
; TotalNumSgprs: 0
; NumVgprs: 0
; ScratchSize: 0
; MemoryBound: 0
; FloatMode: 240
; IeeeMode: 1
; LDSByteSize: 0 bytes/workgroup (compile time only)
; SGPRBlocks: 0
; VGPRBlocks: 0
; NumSGPRsForWavesPerEU: 1
; NumVGPRsForWavesPerEU: 1
; Occupancy: 16
; WaveLimiterHint : 0
; COMPUTE_PGM_RSRC2:SCRATCH_EN: 0
; COMPUTE_PGM_RSRC2:USER_SGPR: 6
; COMPUTE_PGM_RSRC2:TRAP_HANDLER: 0
; COMPUTE_PGM_RSRC2:TGID_X_EN: 1
; COMPUTE_PGM_RSRC2:TGID_Y_EN: 0
; COMPUTE_PGM_RSRC2:TGID_Z_EN: 0
; COMPUTE_PGM_RSRC2:TIDIG_COMP_CNT: 0
	.section	.text._ZN7rocprim17ROCPRIM_400000_NS6detail17trampoline_kernelINS0_14default_configENS1_35radix_sort_onesweep_config_selectorIiiEEZZNS1_29radix_sort_onesweep_iterationIS3_Lb0EN6thrust23THRUST_200600_302600_NS6detail15normal_iteratorINS8_10device_ptrIiEEEESD_SD_SD_jNS0_19identity_decomposerENS1_16block_id_wrapperIjLb1EEEEE10hipError_tT1_PNSt15iterator_traitsISI_E10value_typeET2_T3_PNSJ_ISO_E10value_typeET4_T5_PST_SU_PNS1_23onesweep_lookback_stateEbbT6_jjT7_P12ihipStream_tbENKUlT_T0_SI_SN_E_clIPiSD_S15_SD_EEDaS11_S12_SI_SN_EUlS11_E_NS1_11comp_targetILNS1_3genE6ELNS1_11target_archE950ELNS1_3gpuE13ELNS1_3repE0EEENS1_47radix_sort_onesweep_sort_config_static_selectorELNS0_4arch9wavefront6targetE0EEEvSI_,"axG",@progbits,_ZN7rocprim17ROCPRIM_400000_NS6detail17trampoline_kernelINS0_14default_configENS1_35radix_sort_onesweep_config_selectorIiiEEZZNS1_29radix_sort_onesweep_iterationIS3_Lb0EN6thrust23THRUST_200600_302600_NS6detail15normal_iteratorINS8_10device_ptrIiEEEESD_SD_SD_jNS0_19identity_decomposerENS1_16block_id_wrapperIjLb1EEEEE10hipError_tT1_PNSt15iterator_traitsISI_E10value_typeET2_T3_PNSJ_ISO_E10value_typeET4_T5_PST_SU_PNS1_23onesweep_lookback_stateEbbT6_jjT7_P12ihipStream_tbENKUlT_T0_SI_SN_E_clIPiSD_S15_SD_EEDaS11_S12_SI_SN_EUlS11_E_NS1_11comp_targetILNS1_3genE6ELNS1_11target_archE950ELNS1_3gpuE13ELNS1_3repE0EEENS1_47radix_sort_onesweep_sort_config_static_selectorELNS0_4arch9wavefront6targetE0EEEvSI_,comdat
	.protected	_ZN7rocprim17ROCPRIM_400000_NS6detail17trampoline_kernelINS0_14default_configENS1_35radix_sort_onesweep_config_selectorIiiEEZZNS1_29radix_sort_onesweep_iterationIS3_Lb0EN6thrust23THRUST_200600_302600_NS6detail15normal_iteratorINS8_10device_ptrIiEEEESD_SD_SD_jNS0_19identity_decomposerENS1_16block_id_wrapperIjLb1EEEEE10hipError_tT1_PNSt15iterator_traitsISI_E10value_typeET2_T3_PNSJ_ISO_E10value_typeET4_T5_PST_SU_PNS1_23onesweep_lookback_stateEbbT6_jjT7_P12ihipStream_tbENKUlT_T0_SI_SN_E_clIPiSD_S15_SD_EEDaS11_S12_SI_SN_EUlS11_E_NS1_11comp_targetILNS1_3genE6ELNS1_11target_archE950ELNS1_3gpuE13ELNS1_3repE0EEENS1_47radix_sort_onesweep_sort_config_static_selectorELNS0_4arch9wavefront6targetE0EEEvSI_ ; -- Begin function _ZN7rocprim17ROCPRIM_400000_NS6detail17trampoline_kernelINS0_14default_configENS1_35radix_sort_onesweep_config_selectorIiiEEZZNS1_29radix_sort_onesweep_iterationIS3_Lb0EN6thrust23THRUST_200600_302600_NS6detail15normal_iteratorINS8_10device_ptrIiEEEESD_SD_SD_jNS0_19identity_decomposerENS1_16block_id_wrapperIjLb1EEEEE10hipError_tT1_PNSt15iterator_traitsISI_E10value_typeET2_T3_PNSJ_ISO_E10value_typeET4_T5_PST_SU_PNS1_23onesweep_lookback_stateEbbT6_jjT7_P12ihipStream_tbENKUlT_T0_SI_SN_E_clIPiSD_S15_SD_EEDaS11_S12_SI_SN_EUlS11_E_NS1_11comp_targetILNS1_3genE6ELNS1_11target_archE950ELNS1_3gpuE13ELNS1_3repE0EEENS1_47radix_sort_onesweep_sort_config_static_selectorELNS0_4arch9wavefront6targetE0EEEvSI_
	.globl	_ZN7rocprim17ROCPRIM_400000_NS6detail17trampoline_kernelINS0_14default_configENS1_35radix_sort_onesweep_config_selectorIiiEEZZNS1_29radix_sort_onesweep_iterationIS3_Lb0EN6thrust23THRUST_200600_302600_NS6detail15normal_iteratorINS8_10device_ptrIiEEEESD_SD_SD_jNS0_19identity_decomposerENS1_16block_id_wrapperIjLb1EEEEE10hipError_tT1_PNSt15iterator_traitsISI_E10value_typeET2_T3_PNSJ_ISO_E10value_typeET4_T5_PST_SU_PNS1_23onesweep_lookback_stateEbbT6_jjT7_P12ihipStream_tbENKUlT_T0_SI_SN_E_clIPiSD_S15_SD_EEDaS11_S12_SI_SN_EUlS11_E_NS1_11comp_targetILNS1_3genE6ELNS1_11target_archE950ELNS1_3gpuE13ELNS1_3repE0EEENS1_47radix_sort_onesweep_sort_config_static_selectorELNS0_4arch9wavefront6targetE0EEEvSI_
	.p2align	8
	.type	_ZN7rocprim17ROCPRIM_400000_NS6detail17trampoline_kernelINS0_14default_configENS1_35radix_sort_onesweep_config_selectorIiiEEZZNS1_29radix_sort_onesweep_iterationIS3_Lb0EN6thrust23THRUST_200600_302600_NS6detail15normal_iteratorINS8_10device_ptrIiEEEESD_SD_SD_jNS0_19identity_decomposerENS1_16block_id_wrapperIjLb1EEEEE10hipError_tT1_PNSt15iterator_traitsISI_E10value_typeET2_T3_PNSJ_ISO_E10value_typeET4_T5_PST_SU_PNS1_23onesweep_lookback_stateEbbT6_jjT7_P12ihipStream_tbENKUlT_T0_SI_SN_E_clIPiSD_S15_SD_EEDaS11_S12_SI_SN_EUlS11_E_NS1_11comp_targetILNS1_3genE6ELNS1_11target_archE950ELNS1_3gpuE13ELNS1_3repE0EEENS1_47radix_sort_onesweep_sort_config_static_selectorELNS0_4arch9wavefront6targetE0EEEvSI_,@function
_ZN7rocprim17ROCPRIM_400000_NS6detail17trampoline_kernelINS0_14default_configENS1_35radix_sort_onesweep_config_selectorIiiEEZZNS1_29radix_sort_onesweep_iterationIS3_Lb0EN6thrust23THRUST_200600_302600_NS6detail15normal_iteratorINS8_10device_ptrIiEEEESD_SD_SD_jNS0_19identity_decomposerENS1_16block_id_wrapperIjLb1EEEEE10hipError_tT1_PNSt15iterator_traitsISI_E10value_typeET2_T3_PNSJ_ISO_E10value_typeET4_T5_PST_SU_PNS1_23onesweep_lookback_stateEbbT6_jjT7_P12ihipStream_tbENKUlT_T0_SI_SN_E_clIPiSD_S15_SD_EEDaS11_S12_SI_SN_EUlS11_E_NS1_11comp_targetILNS1_3genE6ELNS1_11target_archE950ELNS1_3gpuE13ELNS1_3repE0EEENS1_47radix_sort_onesweep_sort_config_static_selectorELNS0_4arch9wavefront6targetE0EEEvSI_: ; @_ZN7rocprim17ROCPRIM_400000_NS6detail17trampoline_kernelINS0_14default_configENS1_35radix_sort_onesweep_config_selectorIiiEEZZNS1_29radix_sort_onesweep_iterationIS3_Lb0EN6thrust23THRUST_200600_302600_NS6detail15normal_iteratorINS8_10device_ptrIiEEEESD_SD_SD_jNS0_19identity_decomposerENS1_16block_id_wrapperIjLb1EEEEE10hipError_tT1_PNSt15iterator_traitsISI_E10value_typeET2_T3_PNSJ_ISO_E10value_typeET4_T5_PST_SU_PNS1_23onesweep_lookback_stateEbbT6_jjT7_P12ihipStream_tbENKUlT_T0_SI_SN_E_clIPiSD_S15_SD_EEDaS11_S12_SI_SN_EUlS11_E_NS1_11comp_targetILNS1_3genE6ELNS1_11target_archE950ELNS1_3gpuE13ELNS1_3repE0EEENS1_47radix_sort_onesweep_sort_config_static_selectorELNS0_4arch9wavefront6targetE0EEEvSI_
; %bb.0:
	.section	.rodata,"a",@progbits
	.p2align	6, 0x0
	.amdhsa_kernel _ZN7rocprim17ROCPRIM_400000_NS6detail17trampoline_kernelINS0_14default_configENS1_35radix_sort_onesweep_config_selectorIiiEEZZNS1_29radix_sort_onesweep_iterationIS3_Lb0EN6thrust23THRUST_200600_302600_NS6detail15normal_iteratorINS8_10device_ptrIiEEEESD_SD_SD_jNS0_19identity_decomposerENS1_16block_id_wrapperIjLb1EEEEE10hipError_tT1_PNSt15iterator_traitsISI_E10value_typeET2_T3_PNSJ_ISO_E10value_typeET4_T5_PST_SU_PNS1_23onesweep_lookback_stateEbbT6_jjT7_P12ihipStream_tbENKUlT_T0_SI_SN_E_clIPiSD_S15_SD_EEDaS11_S12_SI_SN_EUlS11_E_NS1_11comp_targetILNS1_3genE6ELNS1_11target_archE950ELNS1_3gpuE13ELNS1_3repE0EEENS1_47radix_sort_onesweep_sort_config_static_selectorELNS0_4arch9wavefront6targetE0EEEvSI_
		.amdhsa_group_segment_fixed_size 0
		.amdhsa_private_segment_fixed_size 0
		.amdhsa_kernarg_size 88
		.amdhsa_user_sgpr_count 6
		.amdhsa_user_sgpr_private_segment_buffer 1
		.amdhsa_user_sgpr_dispatch_ptr 0
		.amdhsa_user_sgpr_queue_ptr 0
		.amdhsa_user_sgpr_kernarg_segment_ptr 1
		.amdhsa_user_sgpr_dispatch_id 0
		.amdhsa_user_sgpr_flat_scratch_init 0
		.amdhsa_user_sgpr_private_segment_size 0
		.amdhsa_wavefront_size32 1
		.amdhsa_uses_dynamic_stack 0
		.amdhsa_system_sgpr_private_segment_wavefront_offset 0
		.amdhsa_system_sgpr_workgroup_id_x 1
		.amdhsa_system_sgpr_workgroup_id_y 0
		.amdhsa_system_sgpr_workgroup_id_z 0
		.amdhsa_system_sgpr_workgroup_info 0
		.amdhsa_system_vgpr_workitem_id 0
		.amdhsa_next_free_vgpr 1
		.amdhsa_next_free_sgpr 1
		.amdhsa_reserve_vcc 0
		.amdhsa_reserve_flat_scratch 0
		.amdhsa_float_round_mode_32 0
		.amdhsa_float_round_mode_16_64 0
		.amdhsa_float_denorm_mode_32 3
		.amdhsa_float_denorm_mode_16_64 3
		.amdhsa_dx10_clamp 1
		.amdhsa_ieee_mode 1
		.amdhsa_fp16_overflow 0
		.amdhsa_workgroup_processor_mode 1
		.amdhsa_memory_ordered 1
		.amdhsa_forward_progress 1
		.amdhsa_shared_vgpr_count 0
		.amdhsa_exception_fp_ieee_invalid_op 0
		.amdhsa_exception_fp_denorm_src 0
		.amdhsa_exception_fp_ieee_div_zero 0
		.amdhsa_exception_fp_ieee_overflow 0
		.amdhsa_exception_fp_ieee_underflow 0
		.amdhsa_exception_fp_ieee_inexact 0
		.amdhsa_exception_int_div_zero 0
	.end_amdhsa_kernel
	.section	.text._ZN7rocprim17ROCPRIM_400000_NS6detail17trampoline_kernelINS0_14default_configENS1_35radix_sort_onesweep_config_selectorIiiEEZZNS1_29radix_sort_onesweep_iterationIS3_Lb0EN6thrust23THRUST_200600_302600_NS6detail15normal_iteratorINS8_10device_ptrIiEEEESD_SD_SD_jNS0_19identity_decomposerENS1_16block_id_wrapperIjLb1EEEEE10hipError_tT1_PNSt15iterator_traitsISI_E10value_typeET2_T3_PNSJ_ISO_E10value_typeET4_T5_PST_SU_PNS1_23onesweep_lookback_stateEbbT6_jjT7_P12ihipStream_tbENKUlT_T0_SI_SN_E_clIPiSD_S15_SD_EEDaS11_S12_SI_SN_EUlS11_E_NS1_11comp_targetILNS1_3genE6ELNS1_11target_archE950ELNS1_3gpuE13ELNS1_3repE0EEENS1_47radix_sort_onesweep_sort_config_static_selectorELNS0_4arch9wavefront6targetE0EEEvSI_,"axG",@progbits,_ZN7rocprim17ROCPRIM_400000_NS6detail17trampoline_kernelINS0_14default_configENS1_35radix_sort_onesweep_config_selectorIiiEEZZNS1_29radix_sort_onesweep_iterationIS3_Lb0EN6thrust23THRUST_200600_302600_NS6detail15normal_iteratorINS8_10device_ptrIiEEEESD_SD_SD_jNS0_19identity_decomposerENS1_16block_id_wrapperIjLb1EEEEE10hipError_tT1_PNSt15iterator_traitsISI_E10value_typeET2_T3_PNSJ_ISO_E10value_typeET4_T5_PST_SU_PNS1_23onesweep_lookback_stateEbbT6_jjT7_P12ihipStream_tbENKUlT_T0_SI_SN_E_clIPiSD_S15_SD_EEDaS11_S12_SI_SN_EUlS11_E_NS1_11comp_targetILNS1_3genE6ELNS1_11target_archE950ELNS1_3gpuE13ELNS1_3repE0EEENS1_47radix_sort_onesweep_sort_config_static_selectorELNS0_4arch9wavefront6targetE0EEEvSI_,comdat
.Lfunc_end841:
	.size	_ZN7rocprim17ROCPRIM_400000_NS6detail17trampoline_kernelINS0_14default_configENS1_35radix_sort_onesweep_config_selectorIiiEEZZNS1_29radix_sort_onesweep_iterationIS3_Lb0EN6thrust23THRUST_200600_302600_NS6detail15normal_iteratorINS8_10device_ptrIiEEEESD_SD_SD_jNS0_19identity_decomposerENS1_16block_id_wrapperIjLb1EEEEE10hipError_tT1_PNSt15iterator_traitsISI_E10value_typeET2_T3_PNSJ_ISO_E10value_typeET4_T5_PST_SU_PNS1_23onesweep_lookback_stateEbbT6_jjT7_P12ihipStream_tbENKUlT_T0_SI_SN_E_clIPiSD_S15_SD_EEDaS11_S12_SI_SN_EUlS11_E_NS1_11comp_targetILNS1_3genE6ELNS1_11target_archE950ELNS1_3gpuE13ELNS1_3repE0EEENS1_47radix_sort_onesweep_sort_config_static_selectorELNS0_4arch9wavefront6targetE0EEEvSI_, .Lfunc_end841-_ZN7rocprim17ROCPRIM_400000_NS6detail17trampoline_kernelINS0_14default_configENS1_35radix_sort_onesweep_config_selectorIiiEEZZNS1_29radix_sort_onesweep_iterationIS3_Lb0EN6thrust23THRUST_200600_302600_NS6detail15normal_iteratorINS8_10device_ptrIiEEEESD_SD_SD_jNS0_19identity_decomposerENS1_16block_id_wrapperIjLb1EEEEE10hipError_tT1_PNSt15iterator_traitsISI_E10value_typeET2_T3_PNSJ_ISO_E10value_typeET4_T5_PST_SU_PNS1_23onesweep_lookback_stateEbbT6_jjT7_P12ihipStream_tbENKUlT_T0_SI_SN_E_clIPiSD_S15_SD_EEDaS11_S12_SI_SN_EUlS11_E_NS1_11comp_targetILNS1_3genE6ELNS1_11target_archE950ELNS1_3gpuE13ELNS1_3repE0EEENS1_47radix_sort_onesweep_sort_config_static_selectorELNS0_4arch9wavefront6targetE0EEEvSI_
                                        ; -- End function
	.set _ZN7rocprim17ROCPRIM_400000_NS6detail17trampoline_kernelINS0_14default_configENS1_35radix_sort_onesweep_config_selectorIiiEEZZNS1_29radix_sort_onesweep_iterationIS3_Lb0EN6thrust23THRUST_200600_302600_NS6detail15normal_iteratorINS8_10device_ptrIiEEEESD_SD_SD_jNS0_19identity_decomposerENS1_16block_id_wrapperIjLb1EEEEE10hipError_tT1_PNSt15iterator_traitsISI_E10value_typeET2_T3_PNSJ_ISO_E10value_typeET4_T5_PST_SU_PNS1_23onesweep_lookback_stateEbbT6_jjT7_P12ihipStream_tbENKUlT_T0_SI_SN_E_clIPiSD_S15_SD_EEDaS11_S12_SI_SN_EUlS11_E_NS1_11comp_targetILNS1_3genE6ELNS1_11target_archE950ELNS1_3gpuE13ELNS1_3repE0EEENS1_47radix_sort_onesweep_sort_config_static_selectorELNS0_4arch9wavefront6targetE0EEEvSI_.num_vgpr, 0
	.set _ZN7rocprim17ROCPRIM_400000_NS6detail17trampoline_kernelINS0_14default_configENS1_35radix_sort_onesweep_config_selectorIiiEEZZNS1_29radix_sort_onesweep_iterationIS3_Lb0EN6thrust23THRUST_200600_302600_NS6detail15normal_iteratorINS8_10device_ptrIiEEEESD_SD_SD_jNS0_19identity_decomposerENS1_16block_id_wrapperIjLb1EEEEE10hipError_tT1_PNSt15iterator_traitsISI_E10value_typeET2_T3_PNSJ_ISO_E10value_typeET4_T5_PST_SU_PNS1_23onesweep_lookback_stateEbbT6_jjT7_P12ihipStream_tbENKUlT_T0_SI_SN_E_clIPiSD_S15_SD_EEDaS11_S12_SI_SN_EUlS11_E_NS1_11comp_targetILNS1_3genE6ELNS1_11target_archE950ELNS1_3gpuE13ELNS1_3repE0EEENS1_47radix_sort_onesweep_sort_config_static_selectorELNS0_4arch9wavefront6targetE0EEEvSI_.num_agpr, 0
	.set _ZN7rocprim17ROCPRIM_400000_NS6detail17trampoline_kernelINS0_14default_configENS1_35radix_sort_onesweep_config_selectorIiiEEZZNS1_29radix_sort_onesweep_iterationIS3_Lb0EN6thrust23THRUST_200600_302600_NS6detail15normal_iteratorINS8_10device_ptrIiEEEESD_SD_SD_jNS0_19identity_decomposerENS1_16block_id_wrapperIjLb1EEEEE10hipError_tT1_PNSt15iterator_traitsISI_E10value_typeET2_T3_PNSJ_ISO_E10value_typeET4_T5_PST_SU_PNS1_23onesweep_lookback_stateEbbT6_jjT7_P12ihipStream_tbENKUlT_T0_SI_SN_E_clIPiSD_S15_SD_EEDaS11_S12_SI_SN_EUlS11_E_NS1_11comp_targetILNS1_3genE6ELNS1_11target_archE950ELNS1_3gpuE13ELNS1_3repE0EEENS1_47radix_sort_onesweep_sort_config_static_selectorELNS0_4arch9wavefront6targetE0EEEvSI_.numbered_sgpr, 0
	.set _ZN7rocprim17ROCPRIM_400000_NS6detail17trampoline_kernelINS0_14default_configENS1_35radix_sort_onesweep_config_selectorIiiEEZZNS1_29radix_sort_onesweep_iterationIS3_Lb0EN6thrust23THRUST_200600_302600_NS6detail15normal_iteratorINS8_10device_ptrIiEEEESD_SD_SD_jNS0_19identity_decomposerENS1_16block_id_wrapperIjLb1EEEEE10hipError_tT1_PNSt15iterator_traitsISI_E10value_typeET2_T3_PNSJ_ISO_E10value_typeET4_T5_PST_SU_PNS1_23onesweep_lookback_stateEbbT6_jjT7_P12ihipStream_tbENKUlT_T0_SI_SN_E_clIPiSD_S15_SD_EEDaS11_S12_SI_SN_EUlS11_E_NS1_11comp_targetILNS1_3genE6ELNS1_11target_archE950ELNS1_3gpuE13ELNS1_3repE0EEENS1_47radix_sort_onesweep_sort_config_static_selectorELNS0_4arch9wavefront6targetE0EEEvSI_.num_named_barrier, 0
	.set _ZN7rocprim17ROCPRIM_400000_NS6detail17trampoline_kernelINS0_14default_configENS1_35radix_sort_onesweep_config_selectorIiiEEZZNS1_29radix_sort_onesweep_iterationIS3_Lb0EN6thrust23THRUST_200600_302600_NS6detail15normal_iteratorINS8_10device_ptrIiEEEESD_SD_SD_jNS0_19identity_decomposerENS1_16block_id_wrapperIjLb1EEEEE10hipError_tT1_PNSt15iterator_traitsISI_E10value_typeET2_T3_PNSJ_ISO_E10value_typeET4_T5_PST_SU_PNS1_23onesweep_lookback_stateEbbT6_jjT7_P12ihipStream_tbENKUlT_T0_SI_SN_E_clIPiSD_S15_SD_EEDaS11_S12_SI_SN_EUlS11_E_NS1_11comp_targetILNS1_3genE6ELNS1_11target_archE950ELNS1_3gpuE13ELNS1_3repE0EEENS1_47radix_sort_onesweep_sort_config_static_selectorELNS0_4arch9wavefront6targetE0EEEvSI_.private_seg_size, 0
	.set _ZN7rocprim17ROCPRIM_400000_NS6detail17trampoline_kernelINS0_14default_configENS1_35radix_sort_onesweep_config_selectorIiiEEZZNS1_29radix_sort_onesweep_iterationIS3_Lb0EN6thrust23THRUST_200600_302600_NS6detail15normal_iteratorINS8_10device_ptrIiEEEESD_SD_SD_jNS0_19identity_decomposerENS1_16block_id_wrapperIjLb1EEEEE10hipError_tT1_PNSt15iterator_traitsISI_E10value_typeET2_T3_PNSJ_ISO_E10value_typeET4_T5_PST_SU_PNS1_23onesweep_lookback_stateEbbT6_jjT7_P12ihipStream_tbENKUlT_T0_SI_SN_E_clIPiSD_S15_SD_EEDaS11_S12_SI_SN_EUlS11_E_NS1_11comp_targetILNS1_3genE6ELNS1_11target_archE950ELNS1_3gpuE13ELNS1_3repE0EEENS1_47radix_sort_onesweep_sort_config_static_selectorELNS0_4arch9wavefront6targetE0EEEvSI_.uses_vcc, 0
	.set _ZN7rocprim17ROCPRIM_400000_NS6detail17trampoline_kernelINS0_14default_configENS1_35radix_sort_onesweep_config_selectorIiiEEZZNS1_29radix_sort_onesweep_iterationIS3_Lb0EN6thrust23THRUST_200600_302600_NS6detail15normal_iteratorINS8_10device_ptrIiEEEESD_SD_SD_jNS0_19identity_decomposerENS1_16block_id_wrapperIjLb1EEEEE10hipError_tT1_PNSt15iterator_traitsISI_E10value_typeET2_T3_PNSJ_ISO_E10value_typeET4_T5_PST_SU_PNS1_23onesweep_lookback_stateEbbT6_jjT7_P12ihipStream_tbENKUlT_T0_SI_SN_E_clIPiSD_S15_SD_EEDaS11_S12_SI_SN_EUlS11_E_NS1_11comp_targetILNS1_3genE6ELNS1_11target_archE950ELNS1_3gpuE13ELNS1_3repE0EEENS1_47radix_sort_onesweep_sort_config_static_selectorELNS0_4arch9wavefront6targetE0EEEvSI_.uses_flat_scratch, 0
	.set _ZN7rocprim17ROCPRIM_400000_NS6detail17trampoline_kernelINS0_14default_configENS1_35radix_sort_onesweep_config_selectorIiiEEZZNS1_29radix_sort_onesweep_iterationIS3_Lb0EN6thrust23THRUST_200600_302600_NS6detail15normal_iteratorINS8_10device_ptrIiEEEESD_SD_SD_jNS0_19identity_decomposerENS1_16block_id_wrapperIjLb1EEEEE10hipError_tT1_PNSt15iterator_traitsISI_E10value_typeET2_T3_PNSJ_ISO_E10value_typeET4_T5_PST_SU_PNS1_23onesweep_lookback_stateEbbT6_jjT7_P12ihipStream_tbENKUlT_T0_SI_SN_E_clIPiSD_S15_SD_EEDaS11_S12_SI_SN_EUlS11_E_NS1_11comp_targetILNS1_3genE6ELNS1_11target_archE950ELNS1_3gpuE13ELNS1_3repE0EEENS1_47radix_sort_onesweep_sort_config_static_selectorELNS0_4arch9wavefront6targetE0EEEvSI_.has_dyn_sized_stack, 0
	.set _ZN7rocprim17ROCPRIM_400000_NS6detail17trampoline_kernelINS0_14default_configENS1_35radix_sort_onesweep_config_selectorIiiEEZZNS1_29radix_sort_onesweep_iterationIS3_Lb0EN6thrust23THRUST_200600_302600_NS6detail15normal_iteratorINS8_10device_ptrIiEEEESD_SD_SD_jNS0_19identity_decomposerENS1_16block_id_wrapperIjLb1EEEEE10hipError_tT1_PNSt15iterator_traitsISI_E10value_typeET2_T3_PNSJ_ISO_E10value_typeET4_T5_PST_SU_PNS1_23onesweep_lookback_stateEbbT6_jjT7_P12ihipStream_tbENKUlT_T0_SI_SN_E_clIPiSD_S15_SD_EEDaS11_S12_SI_SN_EUlS11_E_NS1_11comp_targetILNS1_3genE6ELNS1_11target_archE950ELNS1_3gpuE13ELNS1_3repE0EEENS1_47radix_sort_onesweep_sort_config_static_selectorELNS0_4arch9wavefront6targetE0EEEvSI_.has_recursion, 0
	.set _ZN7rocprim17ROCPRIM_400000_NS6detail17trampoline_kernelINS0_14default_configENS1_35radix_sort_onesweep_config_selectorIiiEEZZNS1_29radix_sort_onesweep_iterationIS3_Lb0EN6thrust23THRUST_200600_302600_NS6detail15normal_iteratorINS8_10device_ptrIiEEEESD_SD_SD_jNS0_19identity_decomposerENS1_16block_id_wrapperIjLb1EEEEE10hipError_tT1_PNSt15iterator_traitsISI_E10value_typeET2_T3_PNSJ_ISO_E10value_typeET4_T5_PST_SU_PNS1_23onesweep_lookback_stateEbbT6_jjT7_P12ihipStream_tbENKUlT_T0_SI_SN_E_clIPiSD_S15_SD_EEDaS11_S12_SI_SN_EUlS11_E_NS1_11comp_targetILNS1_3genE6ELNS1_11target_archE950ELNS1_3gpuE13ELNS1_3repE0EEENS1_47radix_sort_onesweep_sort_config_static_selectorELNS0_4arch9wavefront6targetE0EEEvSI_.has_indirect_call, 0
	.section	.AMDGPU.csdata,"",@progbits
; Kernel info:
; codeLenInByte = 0
; TotalNumSgprs: 0
; NumVgprs: 0
; ScratchSize: 0
; MemoryBound: 0
; FloatMode: 240
; IeeeMode: 1
; LDSByteSize: 0 bytes/workgroup (compile time only)
; SGPRBlocks: 0
; VGPRBlocks: 0
; NumSGPRsForWavesPerEU: 1
; NumVGPRsForWavesPerEU: 1
; Occupancy: 16
; WaveLimiterHint : 0
; COMPUTE_PGM_RSRC2:SCRATCH_EN: 0
; COMPUTE_PGM_RSRC2:USER_SGPR: 6
; COMPUTE_PGM_RSRC2:TRAP_HANDLER: 0
; COMPUTE_PGM_RSRC2:TGID_X_EN: 1
; COMPUTE_PGM_RSRC2:TGID_Y_EN: 0
; COMPUTE_PGM_RSRC2:TGID_Z_EN: 0
; COMPUTE_PGM_RSRC2:TIDIG_COMP_CNT: 0
	.section	.text._ZN7rocprim17ROCPRIM_400000_NS6detail17trampoline_kernelINS0_14default_configENS1_35radix_sort_onesweep_config_selectorIiiEEZZNS1_29radix_sort_onesweep_iterationIS3_Lb0EN6thrust23THRUST_200600_302600_NS6detail15normal_iteratorINS8_10device_ptrIiEEEESD_SD_SD_jNS0_19identity_decomposerENS1_16block_id_wrapperIjLb1EEEEE10hipError_tT1_PNSt15iterator_traitsISI_E10value_typeET2_T3_PNSJ_ISO_E10value_typeET4_T5_PST_SU_PNS1_23onesweep_lookback_stateEbbT6_jjT7_P12ihipStream_tbENKUlT_T0_SI_SN_E_clIPiSD_S15_SD_EEDaS11_S12_SI_SN_EUlS11_E_NS1_11comp_targetILNS1_3genE5ELNS1_11target_archE942ELNS1_3gpuE9ELNS1_3repE0EEENS1_47radix_sort_onesweep_sort_config_static_selectorELNS0_4arch9wavefront6targetE0EEEvSI_,"axG",@progbits,_ZN7rocprim17ROCPRIM_400000_NS6detail17trampoline_kernelINS0_14default_configENS1_35radix_sort_onesweep_config_selectorIiiEEZZNS1_29radix_sort_onesweep_iterationIS3_Lb0EN6thrust23THRUST_200600_302600_NS6detail15normal_iteratorINS8_10device_ptrIiEEEESD_SD_SD_jNS0_19identity_decomposerENS1_16block_id_wrapperIjLb1EEEEE10hipError_tT1_PNSt15iterator_traitsISI_E10value_typeET2_T3_PNSJ_ISO_E10value_typeET4_T5_PST_SU_PNS1_23onesweep_lookback_stateEbbT6_jjT7_P12ihipStream_tbENKUlT_T0_SI_SN_E_clIPiSD_S15_SD_EEDaS11_S12_SI_SN_EUlS11_E_NS1_11comp_targetILNS1_3genE5ELNS1_11target_archE942ELNS1_3gpuE9ELNS1_3repE0EEENS1_47radix_sort_onesweep_sort_config_static_selectorELNS0_4arch9wavefront6targetE0EEEvSI_,comdat
	.protected	_ZN7rocprim17ROCPRIM_400000_NS6detail17trampoline_kernelINS0_14default_configENS1_35radix_sort_onesweep_config_selectorIiiEEZZNS1_29radix_sort_onesweep_iterationIS3_Lb0EN6thrust23THRUST_200600_302600_NS6detail15normal_iteratorINS8_10device_ptrIiEEEESD_SD_SD_jNS0_19identity_decomposerENS1_16block_id_wrapperIjLb1EEEEE10hipError_tT1_PNSt15iterator_traitsISI_E10value_typeET2_T3_PNSJ_ISO_E10value_typeET4_T5_PST_SU_PNS1_23onesweep_lookback_stateEbbT6_jjT7_P12ihipStream_tbENKUlT_T0_SI_SN_E_clIPiSD_S15_SD_EEDaS11_S12_SI_SN_EUlS11_E_NS1_11comp_targetILNS1_3genE5ELNS1_11target_archE942ELNS1_3gpuE9ELNS1_3repE0EEENS1_47radix_sort_onesweep_sort_config_static_selectorELNS0_4arch9wavefront6targetE0EEEvSI_ ; -- Begin function _ZN7rocprim17ROCPRIM_400000_NS6detail17trampoline_kernelINS0_14default_configENS1_35radix_sort_onesweep_config_selectorIiiEEZZNS1_29radix_sort_onesweep_iterationIS3_Lb0EN6thrust23THRUST_200600_302600_NS6detail15normal_iteratorINS8_10device_ptrIiEEEESD_SD_SD_jNS0_19identity_decomposerENS1_16block_id_wrapperIjLb1EEEEE10hipError_tT1_PNSt15iterator_traitsISI_E10value_typeET2_T3_PNSJ_ISO_E10value_typeET4_T5_PST_SU_PNS1_23onesweep_lookback_stateEbbT6_jjT7_P12ihipStream_tbENKUlT_T0_SI_SN_E_clIPiSD_S15_SD_EEDaS11_S12_SI_SN_EUlS11_E_NS1_11comp_targetILNS1_3genE5ELNS1_11target_archE942ELNS1_3gpuE9ELNS1_3repE0EEENS1_47radix_sort_onesweep_sort_config_static_selectorELNS0_4arch9wavefront6targetE0EEEvSI_
	.globl	_ZN7rocprim17ROCPRIM_400000_NS6detail17trampoline_kernelINS0_14default_configENS1_35radix_sort_onesweep_config_selectorIiiEEZZNS1_29radix_sort_onesweep_iterationIS3_Lb0EN6thrust23THRUST_200600_302600_NS6detail15normal_iteratorINS8_10device_ptrIiEEEESD_SD_SD_jNS0_19identity_decomposerENS1_16block_id_wrapperIjLb1EEEEE10hipError_tT1_PNSt15iterator_traitsISI_E10value_typeET2_T3_PNSJ_ISO_E10value_typeET4_T5_PST_SU_PNS1_23onesweep_lookback_stateEbbT6_jjT7_P12ihipStream_tbENKUlT_T0_SI_SN_E_clIPiSD_S15_SD_EEDaS11_S12_SI_SN_EUlS11_E_NS1_11comp_targetILNS1_3genE5ELNS1_11target_archE942ELNS1_3gpuE9ELNS1_3repE0EEENS1_47radix_sort_onesweep_sort_config_static_selectorELNS0_4arch9wavefront6targetE0EEEvSI_
	.p2align	8
	.type	_ZN7rocprim17ROCPRIM_400000_NS6detail17trampoline_kernelINS0_14default_configENS1_35radix_sort_onesweep_config_selectorIiiEEZZNS1_29radix_sort_onesweep_iterationIS3_Lb0EN6thrust23THRUST_200600_302600_NS6detail15normal_iteratorINS8_10device_ptrIiEEEESD_SD_SD_jNS0_19identity_decomposerENS1_16block_id_wrapperIjLb1EEEEE10hipError_tT1_PNSt15iterator_traitsISI_E10value_typeET2_T3_PNSJ_ISO_E10value_typeET4_T5_PST_SU_PNS1_23onesweep_lookback_stateEbbT6_jjT7_P12ihipStream_tbENKUlT_T0_SI_SN_E_clIPiSD_S15_SD_EEDaS11_S12_SI_SN_EUlS11_E_NS1_11comp_targetILNS1_3genE5ELNS1_11target_archE942ELNS1_3gpuE9ELNS1_3repE0EEENS1_47radix_sort_onesweep_sort_config_static_selectorELNS0_4arch9wavefront6targetE0EEEvSI_,@function
_ZN7rocprim17ROCPRIM_400000_NS6detail17trampoline_kernelINS0_14default_configENS1_35radix_sort_onesweep_config_selectorIiiEEZZNS1_29radix_sort_onesweep_iterationIS3_Lb0EN6thrust23THRUST_200600_302600_NS6detail15normal_iteratorINS8_10device_ptrIiEEEESD_SD_SD_jNS0_19identity_decomposerENS1_16block_id_wrapperIjLb1EEEEE10hipError_tT1_PNSt15iterator_traitsISI_E10value_typeET2_T3_PNSJ_ISO_E10value_typeET4_T5_PST_SU_PNS1_23onesweep_lookback_stateEbbT6_jjT7_P12ihipStream_tbENKUlT_T0_SI_SN_E_clIPiSD_S15_SD_EEDaS11_S12_SI_SN_EUlS11_E_NS1_11comp_targetILNS1_3genE5ELNS1_11target_archE942ELNS1_3gpuE9ELNS1_3repE0EEENS1_47radix_sort_onesweep_sort_config_static_selectorELNS0_4arch9wavefront6targetE0EEEvSI_: ; @_ZN7rocprim17ROCPRIM_400000_NS6detail17trampoline_kernelINS0_14default_configENS1_35radix_sort_onesweep_config_selectorIiiEEZZNS1_29radix_sort_onesweep_iterationIS3_Lb0EN6thrust23THRUST_200600_302600_NS6detail15normal_iteratorINS8_10device_ptrIiEEEESD_SD_SD_jNS0_19identity_decomposerENS1_16block_id_wrapperIjLb1EEEEE10hipError_tT1_PNSt15iterator_traitsISI_E10value_typeET2_T3_PNSJ_ISO_E10value_typeET4_T5_PST_SU_PNS1_23onesweep_lookback_stateEbbT6_jjT7_P12ihipStream_tbENKUlT_T0_SI_SN_E_clIPiSD_S15_SD_EEDaS11_S12_SI_SN_EUlS11_E_NS1_11comp_targetILNS1_3genE5ELNS1_11target_archE942ELNS1_3gpuE9ELNS1_3repE0EEENS1_47radix_sort_onesweep_sort_config_static_selectorELNS0_4arch9wavefront6targetE0EEEvSI_
; %bb.0:
	.section	.rodata,"a",@progbits
	.p2align	6, 0x0
	.amdhsa_kernel _ZN7rocprim17ROCPRIM_400000_NS6detail17trampoline_kernelINS0_14default_configENS1_35radix_sort_onesweep_config_selectorIiiEEZZNS1_29radix_sort_onesweep_iterationIS3_Lb0EN6thrust23THRUST_200600_302600_NS6detail15normal_iteratorINS8_10device_ptrIiEEEESD_SD_SD_jNS0_19identity_decomposerENS1_16block_id_wrapperIjLb1EEEEE10hipError_tT1_PNSt15iterator_traitsISI_E10value_typeET2_T3_PNSJ_ISO_E10value_typeET4_T5_PST_SU_PNS1_23onesweep_lookback_stateEbbT6_jjT7_P12ihipStream_tbENKUlT_T0_SI_SN_E_clIPiSD_S15_SD_EEDaS11_S12_SI_SN_EUlS11_E_NS1_11comp_targetILNS1_3genE5ELNS1_11target_archE942ELNS1_3gpuE9ELNS1_3repE0EEENS1_47radix_sort_onesweep_sort_config_static_selectorELNS0_4arch9wavefront6targetE0EEEvSI_
		.amdhsa_group_segment_fixed_size 0
		.amdhsa_private_segment_fixed_size 0
		.amdhsa_kernarg_size 88
		.amdhsa_user_sgpr_count 6
		.amdhsa_user_sgpr_private_segment_buffer 1
		.amdhsa_user_sgpr_dispatch_ptr 0
		.amdhsa_user_sgpr_queue_ptr 0
		.amdhsa_user_sgpr_kernarg_segment_ptr 1
		.amdhsa_user_sgpr_dispatch_id 0
		.amdhsa_user_sgpr_flat_scratch_init 0
		.amdhsa_user_sgpr_private_segment_size 0
		.amdhsa_wavefront_size32 1
		.amdhsa_uses_dynamic_stack 0
		.amdhsa_system_sgpr_private_segment_wavefront_offset 0
		.amdhsa_system_sgpr_workgroup_id_x 1
		.amdhsa_system_sgpr_workgroup_id_y 0
		.amdhsa_system_sgpr_workgroup_id_z 0
		.amdhsa_system_sgpr_workgroup_info 0
		.amdhsa_system_vgpr_workitem_id 0
		.amdhsa_next_free_vgpr 1
		.amdhsa_next_free_sgpr 1
		.amdhsa_reserve_vcc 0
		.amdhsa_reserve_flat_scratch 0
		.amdhsa_float_round_mode_32 0
		.amdhsa_float_round_mode_16_64 0
		.amdhsa_float_denorm_mode_32 3
		.amdhsa_float_denorm_mode_16_64 3
		.amdhsa_dx10_clamp 1
		.amdhsa_ieee_mode 1
		.amdhsa_fp16_overflow 0
		.amdhsa_workgroup_processor_mode 1
		.amdhsa_memory_ordered 1
		.amdhsa_forward_progress 1
		.amdhsa_shared_vgpr_count 0
		.amdhsa_exception_fp_ieee_invalid_op 0
		.amdhsa_exception_fp_denorm_src 0
		.amdhsa_exception_fp_ieee_div_zero 0
		.amdhsa_exception_fp_ieee_overflow 0
		.amdhsa_exception_fp_ieee_underflow 0
		.amdhsa_exception_fp_ieee_inexact 0
		.amdhsa_exception_int_div_zero 0
	.end_amdhsa_kernel
	.section	.text._ZN7rocprim17ROCPRIM_400000_NS6detail17trampoline_kernelINS0_14default_configENS1_35radix_sort_onesweep_config_selectorIiiEEZZNS1_29radix_sort_onesweep_iterationIS3_Lb0EN6thrust23THRUST_200600_302600_NS6detail15normal_iteratorINS8_10device_ptrIiEEEESD_SD_SD_jNS0_19identity_decomposerENS1_16block_id_wrapperIjLb1EEEEE10hipError_tT1_PNSt15iterator_traitsISI_E10value_typeET2_T3_PNSJ_ISO_E10value_typeET4_T5_PST_SU_PNS1_23onesweep_lookback_stateEbbT6_jjT7_P12ihipStream_tbENKUlT_T0_SI_SN_E_clIPiSD_S15_SD_EEDaS11_S12_SI_SN_EUlS11_E_NS1_11comp_targetILNS1_3genE5ELNS1_11target_archE942ELNS1_3gpuE9ELNS1_3repE0EEENS1_47radix_sort_onesweep_sort_config_static_selectorELNS0_4arch9wavefront6targetE0EEEvSI_,"axG",@progbits,_ZN7rocprim17ROCPRIM_400000_NS6detail17trampoline_kernelINS0_14default_configENS1_35radix_sort_onesweep_config_selectorIiiEEZZNS1_29radix_sort_onesweep_iterationIS3_Lb0EN6thrust23THRUST_200600_302600_NS6detail15normal_iteratorINS8_10device_ptrIiEEEESD_SD_SD_jNS0_19identity_decomposerENS1_16block_id_wrapperIjLb1EEEEE10hipError_tT1_PNSt15iterator_traitsISI_E10value_typeET2_T3_PNSJ_ISO_E10value_typeET4_T5_PST_SU_PNS1_23onesweep_lookback_stateEbbT6_jjT7_P12ihipStream_tbENKUlT_T0_SI_SN_E_clIPiSD_S15_SD_EEDaS11_S12_SI_SN_EUlS11_E_NS1_11comp_targetILNS1_3genE5ELNS1_11target_archE942ELNS1_3gpuE9ELNS1_3repE0EEENS1_47radix_sort_onesweep_sort_config_static_selectorELNS0_4arch9wavefront6targetE0EEEvSI_,comdat
.Lfunc_end842:
	.size	_ZN7rocprim17ROCPRIM_400000_NS6detail17trampoline_kernelINS0_14default_configENS1_35radix_sort_onesweep_config_selectorIiiEEZZNS1_29radix_sort_onesweep_iterationIS3_Lb0EN6thrust23THRUST_200600_302600_NS6detail15normal_iteratorINS8_10device_ptrIiEEEESD_SD_SD_jNS0_19identity_decomposerENS1_16block_id_wrapperIjLb1EEEEE10hipError_tT1_PNSt15iterator_traitsISI_E10value_typeET2_T3_PNSJ_ISO_E10value_typeET4_T5_PST_SU_PNS1_23onesweep_lookback_stateEbbT6_jjT7_P12ihipStream_tbENKUlT_T0_SI_SN_E_clIPiSD_S15_SD_EEDaS11_S12_SI_SN_EUlS11_E_NS1_11comp_targetILNS1_3genE5ELNS1_11target_archE942ELNS1_3gpuE9ELNS1_3repE0EEENS1_47radix_sort_onesweep_sort_config_static_selectorELNS0_4arch9wavefront6targetE0EEEvSI_, .Lfunc_end842-_ZN7rocprim17ROCPRIM_400000_NS6detail17trampoline_kernelINS0_14default_configENS1_35radix_sort_onesweep_config_selectorIiiEEZZNS1_29radix_sort_onesweep_iterationIS3_Lb0EN6thrust23THRUST_200600_302600_NS6detail15normal_iteratorINS8_10device_ptrIiEEEESD_SD_SD_jNS0_19identity_decomposerENS1_16block_id_wrapperIjLb1EEEEE10hipError_tT1_PNSt15iterator_traitsISI_E10value_typeET2_T3_PNSJ_ISO_E10value_typeET4_T5_PST_SU_PNS1_23onesweep_lookback_stateEbbT6_jjT7_P12ihipStream_tbENKUlT_T0_SI_SN_E_clIPiSD_S15_SD_EEDaS11_S12_SI_SN_EUlS11_E_NS1_11comp_targetILNS1_3genE5ELNS1_11target_archE942ELNS1_3gpuE9ELNS1_3repE0EEENS1_47radix_sort_onesweep_sort_config_static_selectorELNS0_4arch9wavefront6targetE0EEEvSI_
                                        ; -- End function
	.set _ZN7rocprim17ROCPRIM_400000_NS6detail17trampoline_kernelINS0_14default_configENS1_35radix_sort_onesweep_config_selectorIiiEEZZNS1_29radix_sort_onesweep_iterationIS3_Lb0EN6thrust23THRUST_200600_302600_NS6detail15normal_iteratorINS8_10device_ptrIiEEEESD_SD_SD_jNS0_19identity_decomposerENS1_16block_id_wrapperIjLb1EEEEE10hipError_tT1_PNSt15iterator_traitsISI_E10value_typeET2_T3_PNSJ_ISO_E10value_typeET4_T5_PST_SU_PNS1_23onesweep_lookback_stateEbbT6_jjT7_P12ihipStream_tbENKUlT_T0_SI_SN_E_clIPiSD_S15_SD_EEDaS11_S12_SI_SN_EUlS11_E_NS1_11comp_targetILNS1_3genE5ELNS1_11target_archE942ELNS1_3gpuE9ELNS1_3repE0EEENS1_47radix_sort_onesweep_sort_config_static_selectorELNS0_4arch9wavefront6targetE0EEEvSI_.num_vgpr, 0
	.set _ZN7rocprim17ROCPRIM_400000_NS6detail17trampoline_kernelINS0_14default_configENS1_35radix_sort_onesweep_config_selectorIiiEEZZNS1_29radix_sort_onesweep_iterationIS3_Lb0EN6thrust23THRUST_200600_302600_NS6detail15normal_iteratorINS8_10device_ptrIiEEEESD_SD_SD_jNS0_19identity_decomposerENS1_16block_id_wrapperIjLb1EEEEE10hipError_tT1_PNSt15iterator_traitsISI_E10value_typeET2_T3_PNSJ_ISO_E10value_typeET4_T5_PST_SU_PNS1_23onesweep_lookback_stateEbbT6_jjT7_P12ihipStream_tbENKUlT_T0_SI_SN_E_clIPiSD_S15_SD_EEDaS11_S12_SI_SN_EUlS11_E_NS1_11comp_targetILNS1_3genE5ELNS1_11target_archE942ELNS1_3gpuE9ELNS1_3repE0EEENS1_47radix_sort_onesweep_sort_config_static_selectorELNS0_4arch9wavefront6targetE0EEEvSI_.num_agpr, 0
	.set _ZN7rocprim17ROCPRIM_400000_NS6detail17trampoline_kernelINS0_14default_configENS1_35radix_sort_onesweep_config_selectorIiiEEZZNS1_29radix_sort_onesweep_iterationIS3_Lb0EN6thrust23THRUST_200600_302600_NS6detail15normal_iteratorINS8_10device_ptrIiEEEESD_SD_SD_jNS0_19identity_decomposerENS1_16block_id_wrapperIjLb1EEEEE10hipError_tT1_PNSt15iterator_traitsISI_E10value_typeET2_T3_PNSJ_ISO_E10value_typeET4_T5_PST_SU_PNS1_23onesweep_lookback_stateEbbT6_jjT7_P12ihipStream_tbENKUlT_T0_SI_SN_E_clIPiSD_S15_SD_EEDaS11_S12_SI_SN_EUlS11_E_NS1_11comp_targetILNS1_3genE5ELNS1_11target_archE942ELNS1_3gpuE9ELNS1_3repE0EEENS1_47radix_sort_onesweep_sort_config_static_selectorELNS0_4arch9wavefront6targetE0EEEvSI_.numbered_sgpr, 0
	.set _ZN7rocprim17ROCPRIM_400000_NS6detail17trampoline_kernelINS0_14default_configENS1_35radix_sort_onesweep_config_selectorIiiEEZZNS1_29radix_sort_onesweep_iterationIS3_Lb0EN6thrust23THRUST_200600_302600_NS6detail15normal_iteratorINS8_10device_ptrIiEEEESD_SD_SD_jNS0_19identity_decomposerENS1_16block_id_wrapperIjLb1EEEEE10hipError_tT1_PNSt15iterator_traitsISI_E10value_typeET2_T3_PNSJ_ISO_E10value_typeET4_T5_PST_SU_PNS1_23onesweep_lookback_stateEbbT6_jjT7_P12ihipStream_tbENKUlT_T0_SI_SN_E_clIPiSD_S15_SD_EEDaS11_S12_SI_SN_EUlS11_E_NS1_11comp_targetILNS1_3genE5ELNS1_11target_archE942ELNS1_3gpuE9ELNS1_3repE0EEENS1_47radix_sort_onesweep_sort_config_static_selectorELNS0_4arch9wavefront6targetE0EEEvSI_.num_named_barrier, 0
	.set _ZN7rocprim17ROCPRIM_400000_NS6detail17trampoline_kernelINS0_14default_configENS1_35radix_sort_onesweep_config_selectorIiiEEZZNS1_29radix_sort_onesweep_iterationIS3_Lb0EN6thrust23THRUST_200600_302600_NS6detail15normal_iteratorINS8_10device_ptrIiEEEESD_SD_SD_jNS0_19identity_decomposerENS1_16block_id_wrapperIjLb1EEEEE10hipError_tT1_PNSt15iterator_traitsISI_E10value_typeET2_T3_PNSJ_ISO_E10value_typeET4_T5_PST_SU_PNS1_23onesweep_lookback_stateEbbT6_jjT7_P12ihipStream_tbENKUlT_T0_SI_SN_E_clIPiSD_S15_SD_EEDaS11_S12_SI_SN_EUlS11_E_NS1_11comp_targetILNS1_3genE5ELNS1_11target_archE942ELNS1_3gpuE9ELNS1_3repE0EEENS1_47radix_sort_onesweep_sort_config_static_selectorELNS0_4arch9wavefront6targetE0EEEvSI_.private_seg_size, 0
	.set _ZN7rocprim17ROCPRIM_400000_NS6detail17trampoline_kernelINS0_14default_configENS1_35radix_sort_onesweep_config_selectorIiiEEZZNS1_29radix_sort_onesweep_iterationIS3_Lb0EN6thrust23THRUST_200600_302600_NS6detail15normal_iteratorINS8_10device_ptrIiEEEESD_SD_SD_jNS0_19identity_decomposerENS1_16block_id_wrapperIjLb1EEEEE10hipError_tT1_PNSt15iterator_traitsISI_E10value_typeET2_T3_PNSJ_ISO_E10value_typeET4_T5_PST_SU_PNS1_23onesweep_lookback_stateEbbT6_jjT7_P12ihipStream_tbENKUlT_T0_SI_SN_E_clIPiSD_S15_SD_EEDaS11_S12_SI_SN_EUlS11_E_NS1_11comp_targetILNS1_3genE5ELNS1_11target_archE942ELNS1_3gpuE9ELNS1_3repE0EEENS1_47radix_sort_onesweep_sort_config_static_selectorELNS0_4arch9wavefront6targetE0EEEvSI_.uses_vcc, 0
	.set _ZN7rocprim17ROCPRIM_400000_NS6detail17trampoline_kernelINS0_14default_configENS1_35radix_sort_onesweep_config_selectorIiiEEZZNS1_29radix_sort_onesweep_iterationIS3_Lb0EN6thrust23THRUST_200600_302600_NS6detail15normal_iteratorINS8_10device_ptrIiEEEESD_SD_SD_jNS0_19identity_decomposerENS1_16block_id_wrapperIjLb1EEEEE10hipError_tT1_PNSt15iterator_traitsISI_E10value_typeET2_T3_PNSJ_ISO_E10value_typeET4_T5_PST_SU_PNS1_23onesweep_lookback_stateEbbT6_jjT7_P12ihipStream_tbENKUlT_T0_SI_SN_E_clIPiSD_S15_SD_EEDaS11_S12_SI_SN_EUlS11_E_NS1_11comp_targetILNS1_3genE5ELNS1_11target_archE942ELNS1_3gpuE9ELNS1_3repE0EEENS1_47radix_sort_onesweep_sort_config_static_selectorELNS0_4arch9wavefront6targetE0EEEvSI_.uses_flat_scratch, 0
	.set _ZN7rocprim17ROCPRIM_400000_NS6detail17trampoline_kernelINS0_14default_configENS1_35radix_sort_onesweep_config_selectorIiiEEZZNS1_29radix_sort_onesweep_iterationIS3_Lb0EN6thrust23THRUST_200600_302600_NS6detail15normal_iteratorINS8_10device_ptrIiEEEESD_SD_SD_jNS0_19identity_decomposerENS1_16block_id_wrapperIjLb1EEEEE10hipError_tT1_PNSt15iterator_traitsISI_E10value_typeET2_T3_PNSJ_ISO_E10value_typeET4_T5_PST_SU_PNS1_23onesweep_lookback_stateEbbT6_jjT7_P12ihipStream_tbENKUlT_T0_SI_SN_E_clIPiSD_S15_SD_EEDaS11_S12_SI_SN_EUlS11_E_NS1_11comp_targetILNS1_3genE5ELNS1_11target_archE942ELNS1_3gpuE9ELNS1_3repE0EEENS1_47radix_sort_onesweep_sort_config_static_selectorELNS0_4arch9wavefront6targetE0EEEvSI_.has_dyn_sized_stack, 0
	.set _ZN7rocprim17ROCPRIM_400000_NS6detail17trampoline_kernelINS0_14default_configENS1_35radix_sort_onesweep_config_selectorIiiEEZZNS1_29radix_sort_onesweep_iterationIS3_Lb0EN6thrust23THRUST_200600_302600_NS6detail15normal_iteratorINS8_10device_ptrIiEEEESD_SD_SD_jNS0_19identity_decomposerENS1_16block_id_wrapperIjLb1EEEEE10hipError_tT1_PNSt15iterator_traitsISI_E10value_typeET2_T3_PNSJ_ISO_E10value_typeET4_T5_PST_SU_PNS1_23onesweep_lookback_stateEbbT6_jjT7_P12ihipStream_tbENKUlT_T0_SI_SN_E_clIPiSD_S15_SD_EEDaS11_S12_SI_SN_EUlS11_E_NS1_11comp_targetILNS1_3genE5ELNS1_11target_archE942ELNS1_3gpuE9ELNS1_3repE0EEENS1_47radix_sort_onesweep_sort_config_static_selectorELNS0_4arch9wavefront6targetE0EEEvSI_.has_recursion, 0
	.set _ZN7rocprim17ROCPRIM_400000_NS6detail17trampoline_kernelINS0_14default_configENS1_35radix_sort_onesweep_config_selectorIiiEEZZNS1_29radix_sort_onesweep_iterationIS3_Lb0EN6thrust23THRUST_200600_302600_NS6detail15normal_iteratorINS8_10device_ptrIiEEEESD_SD_SD_jNS0_19identity_decomposerENS1_16block_id_wrapperIjLb1EEEEE10hipError_tT1_PNSt15iterator_traitsISI_E10value_typeET2_T3_PNSJ_ISO_E10value_typeET4_T5_PST_SU_PNS1_23onesweep_lookback_stateEbbT6_jjT7_P12ihipStream_tbENKUlT_T0_SI_SN_E_clIPiSD_S15_SD_EEDaS11_S12_SI_SN_EUlS11_E_NS1_11comp_targetILNS1_3genE5ELNS1_11target_archE942ELNS1_3gpuE9ELNS1_3repE0EEENS1_47radix_sort_onesweep_sort_config_static_selectorELNS0_4arch9wavefront6targetE0EEEvSI_.has_indirect_call, 0
	.section	.AMDGPU.csdata,"",@progbits
; Kernel info:
; codeLenInByte = 0
; TotalNumSgprs: 0
; NumVgprs: 0
; ScratchSize: 0
; MemoryBound: 0
; FloatMode: 240
; IeeeMode: 1
; LDSByteSize: 0 bytes/workgroup (compile time only)
; SGPRBlocks: 0
; VGPRBlocks: 0
; NumSGPRsForWavesPerEU: 1
; NumVGPRsForWavesPerEU: 1
; Occupancy: 16
; WaveLimiterHint : 0
; COMPUTE_PGM_RSRC2:SCRATCH_EN: 0
; COMPUTE_PGM_RSRC2:USER_SGPR: 6
; COMPUTE_PGM_RSRC2:TRAP_HANDLER: 0
; COMPUTE_PGM_RSRC2:TGID_X_EN: 1
; COMPUTE_PGM_RSRC2:TGID_Y_EN: 0
; COMPUTE_PGM_RSRC2:TGID_Z_EN: 0
; COMPUTE_PGM_RSRC2:TIDIG_COMP_CNT: 0
	.section	.text._ZN7rocprim17ROCPRIM_400000_NS6detail17trampoline_kernelINS0_14default_configENS1_35radix_sort_onesweep_config_selectorIiiEEZZNS1_29radix_sort_onesweep_iterationIS3_Lb0EN6thrust23THRUST_200600_302600_NS6detail15normal_iteratorINS8_10device_ptrIiEEEESD_SD_SD_jNS0_19identity_decomposerENS1_16block_id_wrapperIjLb1EEEEE10hipError_tT1_PNSt15iterator_traitsISI_E10value_typeET2_T3_PNSJ_ISO_E10value_typeET4_T5_PST_SU_PNS1_23onesweep_lookback_stateEbbT6_jjT7_P12ihipStream_tbENKUlT_T0_SI_SN_E_clIPiSD_S15_SD_EEDaS11_S12_SI_SN_EUlS11_E_NS1_11comp_targetILNS1_3genE2ELNS1_11target_archE906ELNS1_3gpuE6ELNS1_3repE0EEENS1_47radix_sort_onesweep_sort_config_static_selectorELNS0_4arch9wavefront6targetE0EEEvSI_,"axG",@progbits,_ZN7rocprim17ROCPRIM_400000_NS6detail17trampoline_kernelINS0_14default_configENS1_35radix_sort_onesweep_config_selectorIiiEEZZNS1_29radix_sort_onesweep_iterationIS3_Lb0EN6thrust23THRUST_200600_302600_NS6detail15normal_iteratorINS8_10device_ptrIiEEEESD_SD_SD_jNS0_19identity_decomposerENS1_16block_id_wrapperIjLb1EEEEE10hipError_tT1_PNSt15iterator_traitsISI_E10value_typeET2_T3_PNSJ_ISO_E10value_typeET4_T5_PST_SU_PNS1_23onesweep_lookback_stateEbbT6_jjT7_P12ihipStream_tbENKUlT_T0_SI_SN_E_clIPiSD_S15_SD_EEDaS11_S12_SI_SN_EUlS11_E_NS1_11comp_targetILNS1_3genE2ELNS1_11target_archE906ELNS1_3gpuE6ELNS1_3repE0EEENS1_47radix_sort_onesweep_sort_config_static_selectorELNS0_4arch9wavefront6targetE0EEEvSI_,comdat
	.protected	_ZN7rocprim17ROCPRIM_400000_NS6detail17trampoline_kernelINS0_14default_configENS1_35radix_sort_onesweep_config_selectorIiiEEZZNS1_29radix_sort_onesweep_iterationIS3_Lb0EN6thrust23THRUST_200600_302600_NS6detail15normal_iteratorINS8_10device_ptrIiEEEESD_SD_SD_jNS0_19identity_decomposerENS1_16block_id_wrapperIjLb1EEEEE10hipError_tT1_PNSt15iterator_traitsISI_E10value_typeET2_T3_PNSJ_ISO_E10value_typeET4_T5_PST_SU_PNS1_23onesweep_lookback_stateEbbT6_jjT7_P12ihipStream_tbENKUlT_T0_SI_SN_E_clIPiSD_S15_SD_EEDaS11_S12_SI_SN_EUlS11_E_NS1_11comp_targetILNS1_3genE2ELNS1_11target_archE906ELNS1_3gpuE6ELNS1_3repE0EEENS1_47radix_sort_onesweep_sort_config_static_selectorELNS0_4arch9wavefront6targetE0EEEvSI_ ; -- Begin function _ZN7rocprim17ROCPRIM_400000_NS6detail17trampoline_kernelINS0_14default_configENS1_35radix_sort_onesweep_config_selectorIiiEEZZNS1_29radix_sort_onesweep_iterationIS3_Lb0EN6thrust23THRUST_200600_302600_NS6detail15normal_iteratorINS8_10device_ptrIiEEEESD_SD_SD_jNS0_19identity_decomposerENS1_16block_id_wrapperIjLb1EEEEE10hipError_tT1_PNSt15iterator_traitsISI_E10value_typeET2_T3_PNSJ_ISO_E10value_typeET4_T5_PST_SU_PNS1_23onesweep_lookback_stateEbbT6_jjT7_P12ihipStream_tbENKUlT_T0_SI_SN_E_clIPiSD_S15_SD_EEDaS11_S12_SI_SN_EUlS11_E_NS1_11comp_targetILNS1_3genE2ELNS1_11target_archE906ELNS1_3gpuE6ELNS1_3repE0EEENS1_47radix_sort_onesweep_sort_config_static_selectorELNS0_4arch9wavefront6targetE0EEEvSI_
	.globl	_ZN7rocprim17ROCPRIM_400000_NS6detail17trampoline_kernelINS0_14default_configENS1_35radix_sort_onesweep_config_selectorIiiEEZZNS1_29radix_sort_onesweep_iterationIS3_Lb0EN6thrust23THRUST_200600_302600_NS6detail15normal_iteratorINS8_10device_ptrIiEEEESD_SD_SD_jNS0_19identity_decomposerENS1_16block_id_wrapperIjLb1EEEEE10hipError_tT1_PNSt15iterator_traitsISI_E10value_typeET2_T3_PNSJ_ISO_E10value_typeET4_T5_PST_SU_PNS1_23onesweep_lookback_stateEbbT6_jjT7_P12ihipStream_tbENKUlT_T0_SI_SN_E_clIPiSD_S15_SD_EEDaS11_S12_SI_SN_EUlS11_E_NS1_11comp_targetILNS1_3genE2ELNS1_11target_archE906ELNS1_3gpuE6ELNS1_3repE0EEENS1_47radix_sort_onesweep_sort_config_static_selectorELNS0_4arch9wavefront6targetE0EEEvSI_
	.p2align	8
	.type	_ZN7rocprim17ROCPRIM_400000_NS6detail17trampoline_kernelINS0_14default_configENS1_35radix_sort_onesweep_config_selectorIiiEEZZNS1_29radix_sort_onesweep_iterationIS3_Lb0EN6thrust23THRUST_200600_302600_NS6detail15normal_iteratorINS8_10device_ptrIiEEEESD_SD_SD_jNS0_19identity_decomposerENS1_16block_id_wrapperIjLb1EEEEE10hipError_tT1_PNSt15iterator_traitsISI_E10value_typeET2_T3_PNSJ_ISO_E10value_typeET4_T5_PST_SU_PNS1_23onesweep_lookback_stateEbbT6_jjT7_P12ihipStream_tbENKUlT_T0_SI_SN_E_clIPiSD_S15_SD_EEDaS11_S12_SI_SN_EUlS11_E_NS1_11comp_targetILNS1_3genE2ELNS1_11target_archE906ELNS1_3gpuE6ELNS1_3repE0EEENS1_47radix_sort_onesweep_sort_config_static_selectorELNS0_4arch9wavefront6targetE0EEEvSI_,@function
_ZN7rocprim17ROCPRIM_400000_NS6detail17trampoline_kernelINS0_14default_configENS1_35radix_sort_onesweep_config_selectorIiiEEZZNS1_29radix_sort_onesweep_iterationIS3_Lb0EN6thrust23THRUST_200600_302600_NS6detail15normal_iteratorINS8_10device_ptrIiEEEESD_SD_SD_jNS0_19identity_decomposerENS1_16block_id_wrapperIjLb1EEEEE10hipError_tT1_PNSt15iterator_traitsISI_E10value_typeET2_T3_PNSJ_ISO_E10value_typeET4_T5_PST_SU_PNS1_23onesweep_lookback_stateEbbT6_jjT7_P12ihipStream_tbENKUlT_T0_SI_SN_E_clIPiSD_S15_SD_EEDaS11_S12_SI_SN_EUlS11_E_NS1_11comp_targetILNS1_3genE2ELNS1_11target_archE906ELNS1_3gpuE6ELNS1_3repE0EEENS1_47radix_sort_onesweep_sort_config_static_selectorELNS0_4arch9wavefront6targetE0EEEvSI_: ; @_ZN7rocprim17ROCPRIM_400000_NS6detail17trampoline_kernelINS0_14default_configENS1_35radix_sort_onesweep_config_selectorIiiEEZZNS1_29radix_sort_onesweep_iterationIS3_Lb0EN6thrust23THRUST_200600_302600_NS6detail15normal_iteratorINS8_10device_ptrIiEEEESD_SD_SD_jNS0_19identity_decomposerENS1_16block_id_wrapperIjLb1EEEEE10hipError_tT1_PNSt15iterator_traitsISI_E10value_typeET2_T3_PNSJ_ISO_E10value_typeET4_T5_PST_SU_PNS1_23onesweep_lookback_stateEbbT6_jjT7_P12ihipStream_tbENKUlT_T0_SI_SN_E_clIPiSD_S15_SD_EEDaS11_S12_SI_SN_EUlS11_E_NS1_11comp_targetILNS1_3genE2ELNS1_11target_archE906ELNS1_3gpuE6ELNS1_3repE0EEENS1_47radix_sort_onesweep_sort_config_static_selectorELNS0_4arch9wavefront6targetE0EEEvSI_
; %bb.0:
	.section	.rodata,"a",@progbits
	.p2align	6, 0x0
	.amdhsa_kernel _ZN7rocprim17ROCPRIM_400000_NS6detail17trampoline_kernelINS0_14default_configENS1_35radix_sort_onesweep_config_selectorIiiEEZZNS1_29radix_sort_onesweep_iterationIS3_Lb0EN6thrust23THRUST_200600_302600_NS6detail15normal_iteratorINS8_10device_ptrIiEEEESD_SD_SD_jNS0_19identity_decomposerENS1_16block_id_wrapperIjLb1EEEEE10hipError_tT1_PNSt15iterator_traitsISI_E10value_typeET2_T3_PNSJ_ISO_E10value_typeET4_T5_PST_SU_PNS1_23onesweep_lookback_stateEbbT6_jjT7_P12ihipStream_tbENKUlT_T0_SI_SN_E_clIPiSD_S15_SD_EEDaS11_S12_SI_SN_EUlS11_E_NS1_11comp_targetILNS1_3genE2ELNS1_11target_archE906ELNS1_3gpuE6ELNS1_3repE0EEENS1_47radix_sort_onesweep_sort_config_static_selectorELNS0_4arch9wavefront6targetE0EEEvSI_
		.amdhsa_group_segment_fixed_size 0
		.amdhsa_private_segment_fixed_size 0
		.amdhsa_kernarg_size 88
		.amdhsa_user_sgpr_count 6
		.amdhsa_user_sgpr_private_segment_buffer 1
		.amdhsa_user_sgpr_dispatch_ptr 0
		.amdhsa_user_sgpr_queue_ptr 0
		.amdhsa_user_sgpr_kernarg_segment_ptr 1
		.amdhsa_user_sgpr_dispatch_id 0
		.amdhsa_user_sgpr_flat_scratch_init 0
		.amdhsa_user_sgpr_private_segment_size 0
		.amdhsa_wavefront_size32 1
		.amdhsa_uses_dynamic_stack 0
		.amdhsa_system_sgpr_private_segment_wavefront_offset 0
		.amdhsa_system_sgpr_workgroup_id_x 1
		.amdhsa_system_sgpr_workgroup_id_y 0
		.amdhsa_system_sgpr_workgroup_id_z 0
		.amdhsa_system_sgpr_workgroup_info 0
		.amdhsa_system_vgpr_workitem_id 0
		.amdhsa_next_free_vgpr 1
		.amdhsa_next_free_sgpr 1
		.amdhsa_reserve_vcc 0
		.amdhsa_reserve_flat_scratch 0
		.amdhsa_float_round_mode_32 0
		.amdhsa_float_round_mode_16_64 0
		.amdhsa_float_denorm_mode_32 3
		.amdhsa_float_denorm_mode_16_64 3
		.amdhsa_dx10_clamp 1
		.amdhsa_ieee_mode 1
		.amdhsa_fp16_overflow 0
		.amdhsa_workgroup_processor_mode 1
		.amdhsa_memory_ordered 1
		.amdhsa_forward_progress 1
		.amdhsa_shared_vgpr_count 0
		.amdhsa_exception_fp_ieee_invalid_op 0
		.amdhsa_exception_fp_denorm_src 0
		.amdhsa_exception_fp_ieee_div_zero 0
		.amdhsa_exception_fp_ieee_overflow 0
		.amdhsa_exception_fp_ieee_underflow 0
		.amdhsa_exception_fp_ieee_inexact 0
		.amdhsa_exception_int_div_zero 0
	.end_amdhsa_kernel
	.section	.text._ZN7rocprim17ROCPRIM_400000_NS6detail17trampoline_kernelINS0_14default_configENS1_35radix_sort_onesweep_config_selectorIiiEEZZNS1_29radix_sort_onesweep_iterationIS3_Lb0EN6thrust23THRUST_200600_302600_NS6detail15normal_iteratorINS8_10device_ptrIiEEEESD_SD_SD_jNS0_19identity_decomposerENS1_16block_id_wrapperIjLb1EEEEE10hipError_tT1_PNSt15iterator_traitsISI_E10value_typeET2_T3_PNSJ_ISO_E10value_typeET4_T5_PST_SU_PNS1_23onesweep_lookback_stateEbbT6_jjT7_P12ihipStream_tbENKUlT_T0_SI_SN_E_clIPiSD_S15_SD_EEDaS11_S12_SI_SN_EUlS11_E_NS1_11comp_targetILNS1_3genE2ELNS1_11target_archE906ELNS1_3gpuE6ELNS1_3repE0EEENS1_47radix_sort_onesweep_sort_config_static_selectorELNS0_4arch9wavefront6targetE0EEEvSI_,"axG",@progbits,_ZN7rocprim17ROCPRIM_400000_NS6detail17trampoline_kernelINS0_14default_configENS1_35radix_sort_onesweep_config_selectorIiiEEZZNS1_29radix_sort_onesweep_iterationIS3_Lb0EN6thrust23THRUST_200600_302600_NS6detail15normal_iteratorINS8_10device_ptrIiEEEESD_SD_SD_jNS0_19identity_decomposerENS1_16block_id_wrapperIjLb1EEEEE10hipError_tT1_PNSt15iterator_traitsISI_E10value_typeET2_T3_PNSJ_ISO_E10value_typeET4_T5_PST_SU_PNS1_23onesweep_lookback_stateEbbT6_jjT7_P12ihipStream_tbENKUlT_T0_SI_SN_E_clIPiSD_S15_SD_EEDaS11_S12_SI_SN_EUlS11_E_NS1_11comp_targetILNS1_3genE2ELNS1_11target_archE906ELNS1_3gpuE6ELNS1_3repE0EEENS1_47radix_sort_onesweep_sort_config_static_selectorELNS0_4arch9wavefront6targetE0EEEvSI_,comdat
.Lfunc_end843:
	.size	_ZN7rocprim17ROCPRIM_400000_NS6detail17trampoline_kernelINS0_14default_configENS1_35radix_sort_onesweep_config_selectorIiiEEZZNS1_29radix_sort_onesweep_iterationIS3_Lb0EN6thrust23THRUST_200600_302600_NS6detail15normal_iteratorINS8_10device_ptrIiEEEESD_SD_SD_jNS0_19identity_decomposerENS1_16block_id_wrapperIjLb1EEEEE10hipError_tT1_PNSt15iterator_traitsISI_E10value_typeET2_T3_PNSJ_ISO_E10value_typeET4_T5_PST_SU_PNS1_23onesweep_lookback_stateEbbT6_jjT7_P12ihipStream_tbENKUlT_T0_SI_SN_E_clIPiSD_S15_SD_EEDaS11_S12_SI_SN_EUlS11_E_NS1_11comp_targetILNS1_3genE2ELNS1_11target_archE906ELNS1_3gpuE6ELNS1_3repE0EEENS1_47radix_sort_onesweep_sort_config_static_selectorELNS0_4arch9wavefront6targetE0EEEvSI_, .Lfunc_end843-_ZN7rocprim17ROCPRIM_400000_NS6detail17trampoline_kernelINS0_14default_configENS1_35radix_sort_onesweep_config_selectorIiiEEZZNS1_29radix_sort_onesweep_iterationIS3_Lb0EN6thrust23THRUST_200600_302600_NS6detail15normal_iteratorINS8_10device_ptrIiEEEESD_SD_SD_jNS0_19identity_decomposerENS1_16block_id_wrapperIjLb1EEEEE10hipError_tT1_PNSt15iterator_traitsISI_E10value_typeET2_T3_PNSJ_ISO_E10value_typeET4_T5_PST_SU_PNS1_23onesweep_lookback_stateEbbT6_jjT7_P12ihipStream_tbENKUlT_T0_SI_SN_E_clIPiSD_S15_SD_EEDaS11_S12_SI_SN_EUlS11_E_NS1_11comp_targetILNS1_3genE2ELNS1_11target_archE906ELNS1_3gpuE6ELNS1_3repE0EEENS1_47radix_sort_onesweep_sort_config_static_selectorELNS0_4arch9wavefront6targetE0EEEvSI_
                                        ; -- End function
	.set _ZN7rocprim17ROCPRIM_400000_NS6detail17trampoline_kernelINS0_14default_configENS1_35radix_sort_onesweep_config_selectorIiiEEZZNS1_29radix_sort_onesweep_iterationIS3_Lb0EN6thrust23THRUST_200600_302600_NS6detail15normal_iteratorINS8_10device_ptrIiEEEESD_SD_SD_jNS0_19identity_decomposerENS1_16block_id_wrapperIjLb1EEEEE10hipError_tT1_PNSt15iterator_traitsISI_E10value_typeET2_T3_PNSJ_ISO_E10value_typeET4_T5_PST_SU_PNS1_23onesweep_lookback_stateEbbT6_jjT7_P12ihipStream_tbENKUlT_T0_SI_SN_E_clIPiSD_S15_SD_EEDaS11_S12_SI_SN_EUlS11_E_NS1_11comp_targetILNS1_3genE2ELNS1_11target_archE906ELNS1_3gpuE6ELNS1_3repE0EEENS1_47radix_sort_onesweep_sort_config_static_selectorELNS0_4arch9wavefront6targetE0EEEvSI_.num_vgpr, 0
	.set _ZN7rocprim17ROCPRIM_400000_NS6detail17trampoline_kernelINS0_14default_configENS1_35radix_sort_onesweep_config_selectorIiiEEZZNS1_29radix_sort_onesweep_iterationIS3_Lb0EN6thrust23THRUST_200600_302600_NS6detail15normal_iteratorINS8_10device_ptrIiEEEESD_SD_SD_jNS0_19identity_decomposerENS1_16block_id_wrapperIjLb1EEEEE10hipError_tT1_PNSt15iterator_traitsISI_E10value_typeET2_T3_PNSJ_ISO_E10value_typeET4_T5_PST_SU_PNS1_23onesweep_lookback_stateEbbT6_jjT7_P12ihipStream_tbENKUlT_T0_SI_SN_E_clIPiSD_S15_SD_EEDaS11_S12_SI_SN_EUlS11_E_NS1_11comp_targetILNS1_3genE2ELNS1_11target_archE906ELNS1_3gpuE6ELNS1_3repE0EEENS1_47radix_sort_onesweep_sort_config_static_selectorELNS0_4arch9wavefront6targetE0EEEvSI_.num_agpr, 0
	.set _ZN7rocprim17ROCPRIM_400000_NS6detail17trampoline_kernelINS0_14default_configENS1_35radix_sort_onesweep_config_selectorIiiEEZZNS1_29radix_sort_onesweep_iterationIS3_Lb0EN6thrust23THRUST_200600_302600_NS6detail15normal_iteratorINS8_10device_ptrIiEEEESD_SD_SD_jNS0_19identity_decomposerENS1_16block_id_wrapperIjLb1EEEEE10hipError_tT1_PNSt15iterator_traitsISI_E10value_typeET2_T3_PNSJ_ISO_E10value_typeET4_T5_PST_SU_PNS1_23onesweep_lookback_stateEbbT6_jjT7_P12ihipStream_tbENKUlT_T0_SI_SN_E_clIPiSD_S15_SD_EEDaS11_S12_SI_SN_EUlS11_E_NS1_11comp_targetILNS1_3genE2ELNS1_11target_archE906ELNS1_3gpuE6ELNS1_3repE0EEENS1_47radix_sort_onesweep_sort_config_static_selectorELNS0_4arch9wavefront6targetE0EEEvSI_.numbered_sgpr, 0
	.set _ZN7rocprim17ROCPRIM_400000_NS6detail17trampoline_kernelINS0_14default_configENS1_35radix_sort_onesweep_config_selectorIiiEEZZNS1_29radix_sort_onesweep_iterationIS3_Lb0EN6thrust23THRUST_200600_302600_NS6detail15normal_iteratorINS8_10device_ptrIiEEEESD_SD_SD_jNS0_19identity_decomposerENS1_16block_id_wrapperIjLb1EEEEE10hipError_tT1_PNSt15iterator_traitsISI_E10value_typeET2_T3_PNSJ_ISO_E10value_typeET4_T5_PST_SU_PNS1_23onesweep_lookback_stateEbbT6_jjT7_P12ihipStream_tbENKUlT_T0_SI_SN_E_clIPiSD_S15_SD_EEDaS11_S12_SI_SN_EUlS11_E_NS1_11comp_targetILNS1_3genE2ELNS1_11target_archE906ELNS1_3gpuE6ELNS1_3repE0EEENS1_47radix_sort_onesweep_sort_config_static_selectorELNS0_4arch9wavefront6targetE0EEEvSI_.num_named_barrier, 0
	.set _ZN7rocprim17ROCPRIM_400000_NS6detail17trampoline_kernelINS0_14default_configENS1_35radix_sort_onesweep_config_selectorIiiEEZZNS1_29radix_sort_onesweep_iterationIS3_Lb0EN6thrust23THRUST_200600_302600_NS6detail15normal_iteratorINS8_10device_ptrIiEEEESD_SD_SD_jNS0_19identity_decomposerENS1_16block_id_wrapperIjLb1EEEEE10hipError_tT1_PNSt15iterator_traitsISI_E10value_typeET2_T3_PNSJ_ISO_E10value_typeET4_T5_PST_SU_PNS1_23onesweep_lookback_stateEbbT6_jjT7_P12ihipStream_tbENKUlT_T0_SI_SN_E_clIPiSD_S15_SD_EEDaS11_S12_SI_SN_EUlS11_E_NS1_11comp_targetILNS1_3genE2ELNS1_11target_archE906ELNS1_3gpuE6ELNS1_3repE0EEENS1_47radix_sort_onesweep_sort_config_static_selectorELNS0_4arch9wavefront6targetE0EEEvSI_.private_seg_size, 0
	.set _ZN7rocprim17ROCPRIM_400000_NS6detail17trampoline_kernelINS0_14default_configENS1_35radix_sort_onesweep_config_selectorIiiEEZZNS1_29radix_sort_onesweep_iterationIS3_Lb0EN6thrust23THRUST_200600_302600_NS6detail15normal_iteratorINS8_10device_ptrIiEEEESD_SD_SD_jNS0_19identity_decomposerENS1_16block_id_wrapperIjLb1EEEEE10hipError_tT1_PNSt15iterator_traitsISI_E10value_typeET2_T3_PNSJ_ISO_E10value_typeET4_T5_PST_SU_PNS1_23onesweep_lookback_stateEbbT6_jjT7_P12ihipStream_tbENKUlT_T0_SI_SN_E_clIPiSD_S15_SD_EEDaS11_S12_SI_SN_EUlS11_E_NS1_11comp_targetILNS1_3genE2ELNS1_11target_archE906ELNS1_3gpuE6ELNS1_3repE0EEENS1_47radix_sort_onesweep_sort_config_static_selectorELNS0_4arch9wavefront6targetE0EEEvSI_.uses_vcc, 0
	.set _ZN7rocprim17ROCPRIM_400000_NS6detail17trampoline_kernelINS0_14default_configENS1_35radix_sort_onesweep_config_selectorIiiEEZZNS1_29radix_sort_onesweep_iterationIS3_Lb0EN6thrust23THRUST_200600_302600_NS6detail15normal_iteratorINS8_10device_ptrIiEEEESD_SD_SD_jNS0_19identity_decomposerENS1_16block_id_wrapperIjLb1EEEEE10hipError_tT1_PNSt15iterator_traitsISI_E10value_typeET2_T3_PNSJ_ISO_E10value_typeET4_T5_PST_SU_PNS1_23onesweep_lookback_stateEbbT6_jjT7_P12ihipStream_tbENKUlT_T0_SI_SN_E_clIPiSD_S15_SD_EEDaS11_S12_SI_SN_EUlS11_E_NS1_11comp_targetILNS1_3genE2ELNS1_11target_archE906ELNS1_3gpuE6ELNS1_3repE0EEENS1_47radix_sort_onesweep_sort_config_static_selectorELNS0_4arch9wavefront6targetE0EEEvSI_.uses_flat_scratch, 0
	.set _ZN7rocprim17ROCPRIM_400000_NS6detail17trampoline_kernelINS0_14default_configENS1_35radix_sort_onesweep_config_selectorIiiEEZZNS1_29radix_sort_onesweep_iterationIS3_Lb0EN6thrust23THRUST_200600_302600_NS6detail15normal_iteratorINS8_10device_ptrIiEEEESD_SD_SD_jNS0_19identity_decomposerENS1_16block_id_wrapperIjLb1EEEEE10hipError_tT1_PNSt15iterator_traitsISI_E10value_typeET2_T3_PNSJ_ISO_E10value_typeET4_T5_PST_SU_PNS1_23onesweep_lookback_stateEbbT6_jjT7_P12ihipStream_tbENKUlT_T0_SI_SN_E_clIPiSD_S15_SD_EEDaS11_S12_SI_SN_EUlS11_E_NS1_11comp_targetILNS1_3genE2ELNS1_11target_archE906ELNS1_3gpuE6ELNS1_3repE0EEENS1_47radix_sort_onesweep_sort_config_static_selectorELNS0_4arch9wavefront6targetE0EEEvSI_.has_dyn_sized_stack, 0
	.set _ZN7rocprim17ROCPRIM_400000_NS6detail17trampoline_kernelINS0_14default_configENS1_35radix_sort_onesweep_config_selectorIiiEEZZNS1_29radix_sort_onesweep_iterationIS3_Lb0EN6thrust23THRUST_200600_302600_NS6detail15normal_iteratorINS8_10device_ptrIiEEEESD_SD_SD_jNS0_19identity_decomposerENS1_16block_id_wrapperIjLb1EEEEE10hipError_tT1_PNSt15iterator_traitsISI_E10value_typeET2_T3_PNSJ_ISO_E10value_typeET4_T5_PST_SU_PNS1_23onesweep_lookback_stateEbbT6_jjT7_P12ihipStream_tbENKUlT_T0_SI_SN_E_clIPiSD_S15_SD_EEDaS11_S12_SI_SN_EUlS11_E_NS1_11comp_targetILNS1_3genE2ELNS1_11target_archE906ELNS1_3gpuE6ELNS1_3repE0EEENS1_47radix_sort_onesweep_sort_config_static_selectorELNS0_4arch9wavefront6targetE0EEEvSI_.has_recursion, 0
	.set _ZN7rocprim17ROCPRIM_400000_NS6detail17trampoline_kernelINS0_14default_configENS1_35radix_sort_onesweep_config_selectorIiiEEZZNS1_29radix_sort_onesweep_iterationIS3_Lb0EN6thrust23THRUST_200600_302600_NS6detail15normal_iteratorINS8_10device_ptrIiEEEESD_SD_SD_jNS0_19identity_decomposerENS1_16block_id_wrapperIjLb1EEEEE10hipError_tT1_PNSt15iterator_traitsISI_E10value_typeET2_T3_PNSJ_ISO_E10value_typeET4_T5_PST_SU_PNS1_23onesweep_lookback_stateEbbT6_jjT7_P12ihipStream_tbENKUlT_T0_SI_SN_E_clIPiSD_S15_SD_EEDaS11_S12_SI_SN_EUlS11_E_NS1_11comp_targetILNS1_3genE2ELNS1_11target_archE906ELNS1_3gpuE6ELNS1_3repE0EEENS1_47radix_sort_onesweep_sort_config_static_selectorELNS0_4arch9wavefront6targetE0EEEvSI_.has_indirect_call, 0
	.section	.AMDGPU.csdata,"",@progbits
; Kernel info:
; codeLenInByte = 0
; TotalNumSgprs: 0
; NumVgprs: 0
; ScratchSize: 0
; MemoryBound: 0
; FloatMode: 240
; IeeeMode: 1
; LDSByteSize: 0 bytes/workgroup (compile time only)
; SGPRBlocks: 0
; VGPRBlocks: 0
; NumSGPRsForWavesPerEU: 1
; NumVGPRsForWavesPerEU: 1
; Occupancy: 16
; WaveLimiterHint : 0
; COMPUTE_PGM_RSRC2:SCRATCH_EN: 0
; COMPUTE_PGM_RSRC2:USER_SGPR: 6
; COMPUTE_PGM_RSRC2:TRAP_HANDLER: 0
; COMPUTE_PGM_RSRC2:TGID_X_EN: 1
; COMPUTE_PGM_RSRC2:TGID_Y_EN: 0
; COMPUTE_PGM_RSRC2:TGID_Z_EN: 0
; COMPUTE_PGM_RSRC2:TIDIG_COMP_CNT: 0
	.section	.text._ZN7rocprim17ROCPRIM_400000_NS6detail17trampoline_kernelINS0_14default_configENS1_35radix_sort_onesweep_config_selectorIiiEEZZNS1_29radix_sort_onesweep_iterationIS3_Lb0EN6thrust23THRUST_200600_302600_NS6detail15normal_iteratorINS8_10device_ptrIiEEEESD_SD_SD_jNS0_19identity_decomposerENS1_16block_id_wrapperIjLb1EEEEE10hipError_tT1_PNSt15iterator_traitsISI_E10value_typeET2_T3_PNSJ_ISO_E10value_typeET4_T5_PST_SU_PNS1_23onesweep_lookback_stateEbbT6_jjT7_P12ihipStream_tbENKUlT_T0_SI_SN_E_clIPiSD_S15_SD_EEDaS11_S12_SI_SN_EUlS11_E_NS1_11comp_targetILNS1_3genE4ELNS1_11target_archE910ELNS1_3gpuE8ELNS1_3repE0EEENS1_47radix_sort_onesweep_sort_config_static_selectorELNS0_4arch9wavefront6targetE0EEEvSI_,"axG",@progbits,_ZN7rocprim17ROCPRIM_400000_NS6detail17trampoline_kernelINS0_14default_configENS1_35radix_sort_onesweep_config_selectorIiiEEZZNS1_29radix_sort_onesweep_iterationIS3_Lb0EN6thrust23THRUST_200600_302600_NS6detail15normal_iteratorINS8_10device_ptrIiEEEESD_SD_SD_jNS0_19identity_decomposerENS1_16block_id_wrapperIjLb1EEEEE10hipError_tT1_PNSt15iterator_traitsISI_E10value_typeET2_T3_PNSJ_ISO_E10value_typeET4_T5_PST_SU_PNS1_23onesweep_lookback_stateEbbT6_jjT7_P12ihipStream_tbENKUlT_T0_SI_SN_E_clIPiSD_S15_SD_EEDaS11_S12_SI_SN_EUlS11_E_NS1_11comp_targetILNS1_3genE4ELNS1_11target_archE910ELNS1_3gpuE8ELNS1_3repE0EEENS1_47radix_sort_onesweep_sort_config_static_selectorELNS0_4arch9wavefront6targetE0EEEvSI_,comdat
	.protected	_ZN7rocprim17ROCPRIM_400000_NS6detail17trampoline_kernelINS0_14default_configENS1_35radix_sort_onesweep_config_selectorIiiEEZZNS1_29radix_sort_onesweep_iterationIS3_Lb0EN6thrust23THRUST_200600_302600_NS6detail15normal_iteratorINS8_10device_ptrIiEEEESD_SD_SD_jNS0_19identity_decomposerENS1_16block_id_wrapperIjLb1EEEEE10hipError_tT1_PNSt15iterator_traitsISI_E10value_typeET2_T3_PNSJ_ISO_E10value_typeET4_T5_PST_SU_PNS1_23onesweep_lookback_stateEbbT6_jjT7_P12ihipStream_tbENKUlT_T0_SI_SN_E_clIPiSD_S15_SD_EEDaS11_S12_SI_SN_EUlS11_E_NS1_11comp_targetILNS1_3genE4ELNS1_11target_archE910ELNS1_3gpuE8ELNS1_3repE0EEENS1_47radix_sort_onesweep_sort_config_static_selectorELNS0_4arch9wavefront6targetE0EEEvSI_ ; -- Begin function _ZN7rocprim17ROCPRIM_400000_NS6detail17trampoline_kernelINS0_14default_configENS1_35radix_sort_onesweep_config_selectorIiiEEZZNS1_29radix_sort_onesweep_iterationIS3_Lb0EN6thrust23THRUST_200600_302600_NS6detail15normal_iteratorINS8_10device_ptrIiEEEESD_SD_SD_jNS0_19identity_decomposerENS1_16block_id_wrapperIjLb1EEEEE10hipError_tT1_PNSt15iterator_traitsISI_E10value_typeET2_T3_PNSJ_ISO_E10value_typeET4_T5_PST_SU_PNS1_23onesweep_lookback_stateEbbT6_jjT7_P12ihipStream_tbENKUlT_T0_SI_SN_E_clIPiSD_S15_SD_EEDaS11_S12_SI_SN_EUlS11_E_NS1_11comp_targetILNS1_3genE4ELNS1_11target_archE910ELNS1_3gpuE8ELNS1_3repE0EEENS1_47radix_sort_onesweep_sort_config_static_selectorELNS0_4arch9wavefront6targetE0EEEvSI_
	.globl	_ZN7rocprim17ROCPRIM_400000_NS6detail17trampoline_kernelINS0_14default_configENS1_35radix_sort_onesweep_config_selectorIiiEEZZNS1_29radix_sort_onesweep_iterationIS3_Lb0EN6thrust23THRUST_200600_302600_NS6detail15normal_iteratorINS8_10device_ptrIiEEEESD_SD_SD_jNS0_19identity_decomposerENS1_16block_id_wrapperIjLb1EEEEE10hipError_tT1_PNSt15iterator_traitsISI_E10value_typeET2_T3_PNSJ_ISO_E10value_typeET4_T5_PST_SU_PNS1_23onesweep_lookback_stateEbbT6_jjT7_P12ihipStream_tbENKUlT_T0_SI_SN_E_clIPiSD_S15_SD_EEDaS11_S12_SI_SN_EUlS11_E_NS1_11comp_targetILNS1_3genE4ELNS1_11target_archE910ELNS1_3gpuE8ELNS1_3repE0EEENS1_47radix_sort_onesweep_sort_config_static_selectorELNS0_4arch9wavefront6targetE0EEEvSI_
	.p2align	8
	.type	_ZN7rocprim17ROCPRIM_400000_NS6detail17trampoline_kernelINS0_14default_configENS1_35radix_sort_onesweep_config_selectorIiiEEZZNS1_29radix_sort_onesweep_iterationIS3_Lb0EN6thrust23THRUST_200600_302600_NS6detail15normal_iteratorINS8_10device_ptrIiEEEESD_SD_SD_jNS0_19identity_decomposerENS1_16block_id_wrapperIjLb1EEEEE10hipError_tT1_PNSt15iterator_traitsISI_E10value_typeET2_T3_PNSJ_ISO_E10value_typeET4_T5_PST_SU_PNS1_23onesweep_lookback_stateEbbT6_jjT7_P12ihipStream_tbENKUlT_T0_SI_SN_E_clIPiSD_S15_SD_EEDaS11_S12_SI_SN_EUlS11_E_NS1_11comp_targetILNS1_3genE4ELNS1_11target_archE910ELNS1_3gpuE8ELNS1_3repE0EEENS1_47radix_sort_onesweep_sort_config_static_selectorELNS0_4arch9wavefront6targetE0EEEvSI_,@function
_ZN7rocprim17ROCPRIM_400000_NS6detail17trampoline_kernelINS0_14default_configENS1_35radix_sort_onesweep_config_selectorIiiEEZZNS1_29radix_sort_onesweep_iterationIS3_Lb0EN6thrust23THRUST_200600_302600_NS6detail15normal_iteratorINS8_10device_ptrIiEEEESD_SD_SD_jNS0_19identity_decomposerENS1_16block_id_wrapperIjLb1EEEEE10hipError_tT1_PNSt15iterator_traitsISI_E10value_typeET2_T3_PNSJ_ISO_E10value_typeET4_T5_PST_SU_PNS1_23onesweep_lookback_stateEbbT6_jjT7_P12ihipStream_tbENKUlT_T0_SI_SN_E_clIPiSD_S15_SD_EEDaS11_S12_SI_SN_EUlS11_E_NS1_11comp_targetILNS1_3genE4ELNS1_11target_archE910ELNS1_3gpuE8ELNS1_3repE0EEENS1_47radix_sort_onesweep_sort_config_static_selectorELNS0_4arch9wavefront6targetE0EEEvSI_: ; @_ZN7rocprim17ROCPRIM_400000_NS6detail17trampoline_kernelINS0_14default_configENS1_35radix_sort_onesweep_config_selectorIiiEEZZNS1_29radix_sort_onesweep_iterationIS3_Lb0EN6thrust23THRUST_200600_302600_NS6detail15normal_iteratorINS8_10device_ptrIiEEEESD_SD_SD_jNS0_19identity_decomposerENS1_16block_id_wrapperIjLb1EEEEE10hipError_tT1_PNSt15iterator_traitsISI_E10value_typeET2_T3_PNSJ_ISO_E10value_typeET4_T5_PST_SU_PNS1_23onesweep_lookback_stateEbbT6_jjT7_P12ihipStream_tbENKUlT_T0_SI_SN_E_clIPiSD_S15_SD_EEDaS11_S12_SI_SN_EUlS11_E_NS1_11comp_targetILNS1_3genE4ELNS1_11target_archE910ELNS1_3gpuE8ELNS1_3repE0EEENS1_47radix_sort_onesweep_sort_config_static_selectorELNS0_4arch9wavefront6targetE0EEEvSI_
; %bb.0:
	.section	.rodata,"a",@progbits
	.p2align	6, 0x0
	.amdhsa_kernel _ZN7rocprim17ROCPRIM_400000_NS6detail17trampoline_kernelINS0_14default_configENS1_35radix_sort_onesweep_config_selectorIiiEEZZNS1_29radix_sort_onesweep_iterationIS3_Lb0EN6thrust23THRUST_200600_302600_NS6detail15normal_iteratorINS8_10device_ptrIiEEEESD_SD_SD_jNS0_19identity_decomposerENS1_16block_id_wrapperIjLb1EEEEE10hipError_tT1_PNSt15iterator_traitsISI_E10value_typeET2_T3_PNSJ_ISO_E10value_typeET4_T5_PST_SU_PNS1_23onesweep_lookback_stateEbbT6_jjT7_P12ihipStream_tbENKUlT_T0_SI_SN_E_clIPiSD_S15_SD_EEDaS11_S12_SI_SN_EUlS11_E_NS1_11comp_targetILNS1_3genE4ELNS1_11target_archE910ELNS1_3gpuE8ELNS1_3repE0EEENS1_47radix_sort_onesweep_sort_config_static_selectorELNS0_4arch9wavefront6targetE0EEEvSI_
		.amdhsa_group_segment_fixed_size 0
		.amdhsa_private_segment_fixed_size 0
		.amdhsa_kernarg_size 88
		.amdhsa_user_sgpr_count 6
		.amdhsa_user_sgpr_private_segment_buffer 1
		.amdhsa_user_sgpr_dispatch_ptr 0
		.amdhsa_user_sgpr_queue_ptr 0
		.amdhsa_user_sgpr_kernarg_segment_ptr 1
		.amdhsa_user_sgpr_dispatch_id 0
		.amdhsa_user_sgpr_flat_scratch_init 0
		.amdhsa_user_sgpr_private_segment_size 0
		.amdhsa_wavefront_size32 1
		.amdhsa_uses_dynamic_stack 0
		.amdhsa_system_sgpr_private_segment_wavefront_offset 0
		.amdhsa_system_sgpr_workgroup_id_x 1
		.amdhsa_system_sgpr_workgroup_id_y 0
		.amdhsa_system_sgpr_workgroup_id_z 0
		.amdhsa_system_sgpr_workgroup_info 0
		.amdhsa_system_vgpr_workitem_id 0
		.amdhsa_next_free_vgpr 1
		.amdhsa_next_free_sgpr 1
		.amdhsa_reserve_vcc 0
		.amdhsa_reserve_flat_scratch 0
		.amdhsa_float_round_mode_32 0
		.amdhsa_float_round_mode_16_64 0
		.amdhsa_float_denorm_mode_32 3
		.amdhsa_float_denorm_mode_16_64 3
		.amdhsa_dx10_clamp 1
		.amdhsa_ieee_mode 1
		.amdhsa_fp16_overflow 0
		.amdhsa_workgroup_processor_mode 1
		.amdhsa_memory_ordered 1
		.amdhsa_forward_progress 1
		.amdhsa_shared_vgpr_count 0
		.amdhsa_exception_fp_ieee_invalid_op 0
		.amdhsa_exception_fp_denorm_src 0
		.amdhsa_exception_fp_ieee_div_zero 0
		.amdhsa_exception_fp_ieee_overflow 0
		.amdhsa_exception_fp_ieee_underflow 0
		.amdhsa_exception_fp_ieee_inexact 0
		.amdhsa_exception_int_div_zero 0
	.end_amdhsa_kernel
	.section	.text._ZN7rocprim17ROCPRIM_400000_NS6detail17trampoline_kernelINS0_14default_configENS1_35radix_sort_onesweep_config_selectorIiiEEZZNS1_29radix_sort_onesweep_iterationIS3_Lb0EN6thrust23THRUST_200600_302600_NS6detail15normal_iteratorINS8_10device_ptrIiEEEESD_SD_SD_jNS0_19identity_decomposerENS1_16block_id_wrapperIjLb1EEEEE10hipError_tT1_PNSt15iterator_traitsISI_E10value_typeET2_T3_PNSJ_ISO_E10value_typeET4_T5_PST_SU_PNS1_23onesweep_lookback_stateEbbT6_jjT7_P12ihipStream_tbENKUlT_T0_SI_SN_E_clIPiSD_S15_SD_EEDaS11_S12_SI_SN_EUlS11_E_NS1_11comp_targetILNS1_3genE4ELNS1_11target_archE910ELNS1_3gpuE8ELNS1_3repE0EEENS1_47radix_sort_onesweep_sort_config_static_selectorELNS0_4arch9wavefront6targetE0EEEvSI_,"axG",@progbits,_ZN7rocprim17ROCPRIM_400000_NS6detail17trampoline_kernelINS0_14default_configENS1_35radix_sort_onesweep_config_selectorIiiEEZZNS1_29radix_sort_onesweep_iterationIS3_Lb0EN6thrust23THRUST_200600_302600_NS6detail15normal_iteratorINS8_10device_ptrIiEEEESD_SD_SD_jNS0_19identity_decomposerENS1_16block_id_wrapperIjLb1EEEEE10hipError_tT1_PNSt15iterator_traitsISI_E10value_typeET2_T3_PNSJ_ISO_E10value_typeET4_T5_PST_SU_PNS1_23onesweep_lookback_stateEbbT6_jjT7_P12ihipStream_tbENKUlT_T0_SI_SN_E_clIPiSD_S15_SD_EEDaS11_S12_SI_SN_EUlS11_E_NS1_11comp_targetILNS1_3genE4ELNS1_11target_archE910ELNS1_3gpuE8ELNS1_3repE0EEENS1_47radix_sort_onesweep_sort_config_static_selectorELNS0_4arch9wavefront6targetE0EEEvSI_,comdat
.Lfunc_end844:
	.size	_ZN7rocprim17ROCPRIM_400000_NS6detail17trampoline_kernelINS0_14default_configENS1_35radix_sort_onesweep_config_selectorIiiEEZZNS1_29radix_sort_onesweep_iterationIS3_Lb0EN6thrust23THRUST_200600_302600_NS6detail15normal_iteratorINS8_10device_ptrIiEEEESD_SD_SD_jNS0_19identity_decomposerENS1_16block_id_wrapperIjLb1EEEEE10hipError_tT1_PNSt15iterator_traitsISI_E10value_typeET2_T3_PNSJ_ISO_E10value_typeET4_T5_PST_SU_PNS1_23onesweep_lookback_stateEbbT6_jjT7_P12ihipStream_tbENKUlT_T0_SI_SN_E_clIPiSD_S15_SD_EEDaS11_S12_SI_SN_EUlS11_E_NS1_11comp_targetILNS1_3genE4ELNS1_11target_archE910ELNS1_3gpuE8ELNS1_3repE0EEENS1_47radix_sort_onesweep_sort_config_static_selectorELNS0_4arch9wavefront6targetE0EEEvSI_, .Lfunc_end844-_ZN7rocprim17ROCPRIM_400000_NS6detail17trampoline_kernelINS0_14default_configENS1_35radix_sort_onesweep_config_selectorIiiEEZZNS1_29radix_sort_onesweep_iterationIS3_Lb0EN6thrust23THRUST_200600_302600_NS6detail15normal_iteratorINS8_10device_ptrIiEEEESD_SD_SD_jNS0_19identity_decomposerENS1_16block_id_wrapperIjLb1EEEEE10hipError_tT1_PNSt15iterator_traitsISI_E10value_typeET2_T3_PNSJ_ISO_E10value_typeET4_T5_PST_SU_PNS1_23onesweep_lookback_stateEbbT6_jjT7_P12ihipStream_tbENKUlT_T0_SI_SN_E_clIPiSD_S15_SD_EEDaS11_S12_SI_SN_EUlS11_E_NS1_11comp_targetILNS1_3genE4ELNS1_11target_archE910ELNS1_3gpuE8ELNS1_3repE0EEENS1_47radix_sort_onesweep_sort_config_static_selectorELNS0_4arch9wavefront6targetE0EEEvSI_
                                        ; -- End function
	.set _ZN7rocprim17ROCPRIM_400000_NS6detail17trampoline_kernelINS0_14default_configENS1_35radix_sort_onesweep_config_selectorIiiEEZZNS1_29radix_sort_onesweep_iterationIS3_Lb0EN6thrust23THRUST_200600_302600_NS6detail15normal_iteratorINS8_10device_ptrIiEEEESD_SD_SD_jNS0_19identity_decomposerENS1_16block_id_wrapperIjLb1EEEEE10hipError_tT1_PNSt15iterator_traitsISI_E10value_typeET2_T3_PNSJ_ISO_E10value_typeET4_T5_PST_SU_PNS1_23onesweep_lookback_stateEbbT6_jjT7_P12ihipStream_tbENKUlT_T0_SI_SN_E_clIPiSD_S15_SD_EEDaS11_S12_SI_SN_EUlS11_E_NS1_11comp_targetILNS1_3genE4ELNS1_11target_archE910ELNS1_3gpuE8ELNS1_3repE0EEENS1_47radix_sort_onesweep_sort_config_static_selectorELNS0_4arch9wavefront6targetE0EEEvSI_.num_vgpr, 0
	.set _ZN7rocprim17ROCPRIM_400000_NS6detail17trampoline_kernelINS0_14default_configENS1_35radix_sort_onesweep_config_selectorIiiEEZZNS1_29radix_sort_onesweep_iterationIS3_Lb0EN6thrust23THRUST_200600_302600_NS6detail15normal_iteratorINS8_10device_ptrIiEEEESD_SD_SD_jNS0_19identity_decomposerENS1_16block_id_wrapperIjLb1EEEEE10hipError_tT1_PNSt15iterator_traitsISI_E10value_typeET2_T3_PNSJ_ISO_E10value_typeET4_T5_PST_SU_PNS1_23onesweep_lookback_stateEbbT6_jjT7_P12ihipStream_tbENKUlT_T0_SI_SN_E_clIPiSD_S15_SD_EEDaS11_S12_SI_SN_EUlS11_E_NS1_11comp_targetILNS1_3genE4ELNS1_11target_archE910ELNS1_3gpuE8ELNS1_3repE0EEENS1_47radix_sort_onesweep_sort_config_static_selectorELNS0_4arch9wavefront6targetE0EEEvSI_.num_agpr, 0
	.set _ZN7rocprim17ROCPRIM_400000_NS6detail17trampoline_kernelINS0_14default_configENS1_35radix_sort_onesweep_config_selectorIiiEEZZNS1_29radix_sort_onesweep_iterationIS3_Lb0EN6thrust23THRUST_200600_302600_NS6detail15normal_iteratorINS8_10device_ptrIiEEEESD_SD_SD_jNS0_19identity_decomposerENS1_16block_id_wrapperIjLb1EEEEE10hipError_tT1_PNSt15iterator_traitsISI_E10value_typeET2_T3_PNSJ_ISO_E10value_typeET4_T5_PST_SU_PNS1_23onesweep_lookback_stateEbbT6_jjT7_P12ihipStream_tbENKUlT_T0_SI_SN_E_clIPiSD_S15_SD_EEDaS11_S12_SI_SN_EUlS11_E_NS1_11comp_targetILNS1_3genE4ELNS1_11target_archE910ELNS1_3gpuE8ELNS1_3repE0EEENS1_47radix_sort_onesweep_sort_config_static_selectorELNS0_4arch9wavefront6targetE0EEEvSI_.numbered_sgpr, 0
	.set _ZN7rocprim17ROCPRIM_400000_NS6detail17trampoline_kernelINS0_14default_configENS1_35radix_sort_onesweep_config_selectorIiiEEZZNS1_29radix_sort_onesweep_iterationIS3_Lb0EN6thrust23THRUST_200600_302600_NS6detail15normal_iteratorINS8_10device_ptrIiEEEESD_SD_SD_jNS0_19identity_decomposerENS1_16block_id_wrapperIjLb1EEEEE10hipError_tT1_PNSt15iterator_traitsISI_E10value_typeET2_T3_PNSJ_ISO_E10value_typeET4_T5_PST_SU_PNS1_23onesweep_lookback_stateEbbT6_jjT7_P12ihipStream_tbENKUlT_T0_SI_SN_E_clIPiSD_S15_SD_EEDaS11_S12_SI_SN_EUlS11_E_NS1_11comp_targetILNS1_3genE4ELNS1_11target_archE910ELNS1_3gpuE8ELNS1_3repE0EEENS1_47radix_sort_onesweep_sort_config_static_selectorELNS0_4arch9wavefront6targetE0EEEvSI_.num_named_barrier, 0
	.set _ZN7rocprim17ROCPRIM_400000_NS6detail17trampoline_kernelINS0_14default_configENS1_35radix_sort_onesweep_config_selectorIiiEEZZNS1_29radix_sort_onesweep_iterationIS3_Lb0EN6thrust23THRUST_200600_302600_NS6detail15normal_iteratorINS8_10device_ptrIiEEEESD_SD_SD_jNS0_19identity_decomposerENS1_16block_id_wrapperIjLb1EEEEE10hipError_tT1_PNSt15iterator_traitsISI_E10value_typeET2_T3_PNSJ_ISO_E10value_typeET4_T5_PST_SU_PNS1_23onesweep_lookback_stateEbbT6_jjT7_P12ihipStream_tbENKUlT_T0_SI_SN_E_clIPiSD_S15_SD_EEDaS11_S12_SI_SN_EUlS11_E_NS1_11comp_targetILNS1_3genE4ELNS1_11target_archE910ELNS1_3gpuE8ELNS1_3repE0EEENS1_47radix_sort_onesweep_sort_config_static_selectorELNS0_4arch9wavefront6targetE0EEEvSI_.private_seg_size, 0
	.set _ZN7rocprim17ROCPRIM_400000_NS6detail17trampoline_kernelINS0_14default_configENS1_35radix_sort_onesweep_config_selectorIiiEEZZNS1_29radix_sort_onesweep_iterationIS3_Lb0EN6thrust23THRUST_200600_302600_NS6detail15normal_iteratorINS8_10device_ptrIiEEEESD_SD_SD_jNS0_19identity_decomposerENS1_16block_id_wrapperIjLb1EEEEE10hipError_tT1_PNSt15iterator_traitsISI_E10value_typeET2_T3_PNSJ_ISO_E10value_typeET4_T5_PST_SU_PNS1_23onesweep_lookback_stateEbbT6_jjT7_P12ihipStream_tbENKUlT_T0_SI_SN_E_clIPiSD_S15_SD_EEDaS11_S12_SI_SN_EUlS11_E_NS1_11comp_targetILNS1_3genE4ELNS1_11target_archE910ELNS1_3gpuE8ELNS1_3repE0EEENS1_47radix_sort_onesweep_sort_config_static_selectorELNS0_4arch9wavefront6targetE0EEEvSI_.uses_vcc, 0
	.set _ZN7rocprim17ROCPRIM_400000_NS6detail17trampoline_kernelINS0_14default_configENS1_35radix_sort_onesweep_config_selectorIiiEEZZNS1_29radix_sort_onesweep_iterationIS3_Lb0EN6thrust23THRUST_200600_302600_NS6detail15normal_iteratorINS8_10device_ptrIiEEEESD_SD_SD_jNS0_19identity_decomposerENS1_16block_id_wrapperIjLb1EEEEE10hipError_tT1_PNSt15iterator_traitsISI_E10value_typeET2_T3_PNSJ_ISO_E10value_typeET4_T5_PST_SU_PNS1_23onesweep_lookback_stateEbbT6_jjT7_P12ihipStream_tbENKUlT_T0_SI_SN_E_clIPiSD_S15_SD_EEDaS11_S12_SI_SN_EUlS11_E_NS1_11comp_targetILNS1_3genE4ELNS1_11target_archE910ELNS1_3gpuE8ELNS1_3repE0EEENS1_47radix_sort_onesweep_sort_config_static_selectorELNS0_4arch9wavefront6targetE0EEEvSI_.uses_flat_scratch, 0
	.set _ZN7rocprim17ROCPRIM_400000_NS6detail17trampoline_kernelINS0_14default_configENS1_35radix_sort_onesweep_config_selectorIiiEEZZNS1_29radix_sort_onesweep_iterationIS3_Lb0EN6thrust23THRUST_200600_302600_NS6detail15normal_iteratorINS8_10device_ptrIiEEEESD_SD_SD_jNS0_19identity_decomposerENS1_16block_id_wrapperIjLb1EEEEE10hipError_tT1_PNSt15iterator_traitsISI_E10value_typeET2_T3_PNSJ_ISO_E10value_typeET4_T5_PST_SU_PNS1_23onesweep_lookback_stateEbbT6_jjT7_P12ihipStream_tbENKUlT_T0_SI_SN_E_clIPiSD_S15_SD_EEDaS11_S12_SI_SN_EUlS11_E_NS1_11comp_targetILNS1_3genE4ELNS1_11target_archE910ELNS1_3gpuE8ELNS1_3repE0EEENS1_47radix_sort_onesweep_sort_config_static_selectorELNS0_4arch9wavefront6targetE0EEEvSI_.has_dyn_sized_stack, 0
	.set _ZN7rocprim17ROCPRIM_400000_NS6detail17trampoline_kernelINS0_14default_configENS1_35radix_sort_onesweep_config_selectorIiiEEZZNS1_29radix_sort_onesweep_iterationIS3_Lb0EN6thrust23THRUST_200600_302600_NS6detail15normal_iteratorINS8_10device_ptrIiEEEESD_SD_SD_jNS0_19identity_decomposerENS1_16block_id_wrapperIjLb1EEEEE10hipError_tT1_PNSt15iterator_traitsISI_E10value_typeET2_T3_PNSJ_ISO_E10value_typeET4_T5_PST_SU_PNS1_23onesweep_lookback_stateEbbT6_jjT7_P12ihipStream_tbENKUlT_T0_SI_SN_E_clIPiSD_S15_SD_EEDaS11_S12_SI_SN_EUlS11_E_NS1_11comp_targetILNS1_3genE4ELNS1_11target_archE910ELNS1_3gpuE8ELNS1_3repE0EEENS1_47radix_sort_onesweep_sort_config_static_selectorELNS0_4arch9wavefront6targetE0EEEvSI_.has_recursion, 0
	.set _ZN7rocprim17ROCPRIM_400000_NS6detail17trampoline_kernelINS0_14default_configENS1_35radix_sort_onesweep_config_selectorIiiEEZZNS1_29radix_sort_onesweep_iterationIS3_Lb0EN6thrust23THRUST_200600_302600_NS6detail15normal_iteratorINS8_10device_ptrIiEEEESD_SD_SD_jNS0_19identity_decomposerENS1_16block_id_wrapperIjLb1EEEEE10hipError_tT1_PNSt15iterator_traitsISI_E10value_typeET2_T3_PNSJ_ISO_E10value_typeET4_T5_PST_SU_PNS1_23onesweep_lookback_stateEbbT6_jjT7_P12ihipStream_tbENKUlT_T0_SI_SN_E_clIPiSD_S15_SD_EEDaS11_S12_SI_SN_EUlS11_E_NS1_11comp_targetILNS1_3genE4ELNS1_11target_archE910ELNS1_3gpuE8ELNS1_3repE0EEENS1_47radix_sort_onesweep_sort_config_static_selectorELNS0_4arch9wavefront6targetE0EEEvSI_.has_indirect_call, 0
	.section	.AMDGPU.csdata,"",@progbits
; Kernel info:
; codeLenInByte = 0
; TotalNumSgprs: 0
; NumVgprs: 0
; ScratchSize: 0
; MemoryBound: 0
; FloatMode: 240
; IeeeMode: 1
; LDSByteSize: 0 bytes/workgroup (compile time only)
; SGPRBlocks: 0
; VGPRBlocks: 0
; NumSGPRsForWavesPerEU: 1
; NumVGPRsForWavesPerEU: 1
; Occupancy: 16
; WaveLimiterHint : 0
; COMPUTE_PGM_RSRC2:SCRATCH_EN: 0
; COMPUTE_PGM_RSRC2:USER_SGPR: 6
; COMPUTE_PGM_RSRC2:TRAP_HANDLER: 0
; COMPUTE_PGM_RSRC2:TGID_X_EN: 1
; COMPUTE_PGM_RSRC2:TGID_Y_EN: 0
; COMPUTE_PGM_RSRC2:TGID_Z_EN: 0
; COMPUTE_PGM_RSRC2:TIDIG_COMP_CNT: 0
	.section	.text._ZN7rocprim17ROCPRIM_400000_NS6detail17trampoline_kernelINS0_14default_configENS1_35radix_sort_onesweep_config_selectorIiiEEZZNS1_29radix_sort_onesweep_iterationIS3_Lb0EN6thrust23THRUST_200600_302600_NS6detail15normal_iteratorINS8_10device_ptrIiEEEESD_SD_SD_jNS0_19identity_decomposerENS1_16block_id_wrapperIjLb1EEEEE10hipError_tT1_PNSt15iterator_traitsISI_E10value_typeET2_T3_PNSJ_ISO_E10value_typeET4_T5_PST_SU_PNS1_23onesweep_lookback_stateEbbT6_jjT7_P12ihipStream_tbENKUlT_T0_SI_SN_E_clIPiSD_S15_SD_EEDaS11_S12_SI_SN_EUlS11_E_NS1_11comp_targetILNS1_3genE3ELNS1_11target_archE908ELNS1_3gpuE7ELNS1_3repE0EEENS1_47radix_sort_onesweep_sort_config_static_selectorELNS0_4arch9wavefront6targetE0EEEvSI_,"axG",@progbits,_ZN7rocprim17ROCPRIM_400000_NS6detail17trampoline_kernelINS0_14default_configENS1_35radix_sort_onesweep_config_selectorIiiEEZZNS1_29radix_sort_onesweep_iterationIS3_Lb0EN6thrust23THRUST_200600_302600_NS6detail15normal_iteratorINS8_10device_ptrIiEEEESD_SD_SD_jNS0_19identity_decomposerENS1_16block_id_wrapperIjLb1EEEEE10hipError_tT1_PNSt15iterator_traitsISI_E10value_typeET2_T3_PNSJ_ISO_E10value_typeET4_T5_PST_SU_PNS1_23onesweep_lookback_stateEbbT6_jjT7_P12ihipStream_tbENKUlT_T0_SI_SN_E_clIPiSD_S15_SD_EEDaS11_S12_SI_SN_EUlS11_E_NS1_11comp_targetILNS1_3genE3ELNS1_11target_archE908ELNS1_3gpuE7ELNS1_3repE0EEENS1_47radix_sort_onesweep_sort_config_static_selectorELNS0_4arch9wavefront6targetE0EEEvSI_,comdat
	.protected	_ZN7rocprim17ROCPRIM_400000_NS6detail17trampoline_kernelINS0_14default_configENS1_35radix_sort_onesweep_config_selectorIiiEEZZNS1_29radix_sort_onesweep_iterationIS3_Lb0EN6thrust23THRUST_200600_302600_NS6detail15normal_iteratorINS8_10device_ptrIiEEEESD_SD_SD_jNS0_19identity_decomposerENS1_16block_id_wrapperIjLb1EEEEE10hipError_tT1_PNSt15iterator_traitsISI_E10value_typeET2_T3_PNSJ_ISO_E10value_typeET4_T5_PST_SU_PNS1_23onesweep_lookback_stateEbbT6_jjT7_P12ihipStream_tbENKUlT_T0_SI_SN_E_clIPiSD_S15_SD_EEDaS11_S12_SI_SN_EUlS11_E_NS1_11comp_targetILNS1_3genE3ELNS1_11target_archE908ELNS1_3gpuE7ELNS1_3repE0EEENS1_47radix_sort_onesweep_sort_config_static_selectorELNS0_4arch9wavefront6targetE0EEEvSI_ ; -- Begin function _ZN7rocprim17ROCPRIM_400000_NS6detail17trampoline_kernelINS0_14default_configENS1_35radix_sort_onesweep_config_selectorIiiEEZZNS1_29radix_sort_onesweep_iterationIS3_Lb0EN6thrust23THRUST_200600_302600_NS6detail15normal_iteratorINS8_10device_ptrIiEEEESD_SD_SD_jNS0_19identity_decomposerENS1_16block_id_wrapperIjLb1EEEEE10hipError_tT1_PNSt15iterator_traitsISI_E10value_typeET2_T3_PNSJ_ISO_E10value_typeET4_T5_PST_SU_PNS1_23onesweep_lookback_stateEbbT6_jjT7_P12ihipStream_tbENKUlT_T0_SI_SN_E_clIPiSD_S15_SD_EEDaS11_S12_SI_SN_EUlS11_E_NS1_11comp_targetILNS1_3genE3ELNS1_11target_archE908ELNS1_3gpuE7ELNS1_3repE0EEENS1_47radix_sort_onesweep_sort_config_static_selectorELNS0_4arch9wavefront6targetE0EEEvSI_
	.globl	_ZN7rocprim17ROCPRIM_400000_NS6detail17trampoline_kernelINS0_14default_configENS1_35radix_sort_onesweep_config_selectorIiiEEZZNS1_29radix_sort_onesweep_iterationIS3_Lb0EN6thrust23THRUST_200600_302600_NS6detail15normal_iteratorINS8_10device_ptrIiEEEESD_SD_SD_jNS0_19identity_decomposerENS1_16block_id_wrapperIjLb1EEEEE10hipError_tT1_PNSt15iterator_traitsISI_E10value_typeET2_T3_PNSJ_ISO_E10value_typeET4_T5_PST_SU_PNS1_23onesweep_lookback_stateEbbT6_jjT7_P12ihipStream_tbENKUlT_T0_SI_SN_E_clIPiSD_S15_SD_EEDaS11_S12_SI_SN_EUlS11_E_NS1_11comp_targetILNS1_3genE3ELNS1_11target_archE908ELNS1_3gpuE7ELNS1_3repE0EEENS1_47radix_sort_onesweep_sort_config_static_selectorELNS0_4arch9wavefront6targetE0EEEvSI_
	.p2align	8
	.type	_ZN7rocprim17ROCPRIM_400000_NS6detail17trampoline_kernelINS0_14default_configENS1_35radix_sort_onesweep_config_selectorIiiEEZZNS1_29radix_sort_onesweep_iterationIS3_Lb0EN6thrust23THRUST_200600_302600_NS6detail15normal_iteratorINS8_10device_ptrIiEEEESD_SD_SD_jNS0_19identity_decomposerENS1_16block_id_wrapperIjLb1EEEEE10hipError_tT1_PNSt15iterator_traitsISI_E10value_typeET2_T3_PNSJ_ISO_E10value_typeET4_T5_PST_SU_PNS1_23onesweep_lookback_stateEbbT6_jjT7_P12ihipStream_tbENKUlT_T0_SI_SN_E_clIPiSD_S15_SD_EEDaS11_S12_SI_SN_EUlS11_E_NS1_11comp_targetILNS1_3genE3ELNS1_11target_archE908ELNS1_3gpuE7ELNS1_3repE0EEENS1_47radix_sort_onesweep_sort_config_static_selectorELNS0_4arch9wavefront6targetE0EEEvSI_,@function
_ZN7rocprim17ROCPRIM_400000_NS6detail17trampoline_kernelINS0_14default_configENS1_35radix_sort_onesweep_config_selectorIiiEEZZNS1_29radix_sort_onesweep_iterationIS3_Lb0EN6thrust23THRUST_200600_302600_NS6detail15normal_iteratorINS8_10device_ptrIiEEEESD_SD_SD_jNS0_19identity_decomposerENS1_16block_id_wrapperIjLb1EEEEE10hipError_tT1_PNSt15iterator_traitsISI_E10value_typeET2_T3_PNSJ_ISO_E10value_typeET4_T5_PST_SU_PNS1_23onesweep_lookback_stateEbbT6_jjT7_P12ihipStream_tbENKUlT_T0_SI_SN_E_clIPiSD_S15_SD_EEDaS11_S12_SI_SN_EUlS11_E_NS1_11comp_targetILNS1_3genE3ELNS1_11target_archE908ELNS1_3gpuE7ELNS1_3repE0EEENS1_47radix_sort_onesweep_sort_config_static_selectorELNS0_4arch9wavefront6targetE0EEEvSI_: ; @_ZN7rocprim17ROCPRIM_400000_NS6detail17trampoline_kernelINS0_14default_configENS1_35radix_sort_onesweep_config_selectorIiiEEZZNS1_29radix_sort_onesweep_iterationIS3_Lb0EN6thrust23THRUST_200600_302600_NS6detail15normal_iteratorINS8_10device_ptrIiEEEESD_SD_SD_jNS0_19identity_decomposerENS1_16block_id_wrapperIjLb1EEEEE10hipError_tT1_PNSt15iterator_traitsISI_E10value_typeET2_T3_PNSJ_ISO_E10value_typeET4_T5_PST_SU_PNS1_23onesweep_lookback_stateEbbT6_jjT7_P12ihipStream_tbENKUlT_T0_SI_SN_E_clIPiSD_S15_SD_EEDaS11_S12_SI_SN_EUlS11_E_NS1_11comp_targetILNS1_3genE3ELNS1_11target_archE908ELNS1_3gpuE7ELNS1_3repE0EEENS1_47radix_sort_onesweep_sort_config_static_selectorELNS0_4arch9wavefront6targetE0EEEvSI_
; %bb.0:
	.section	.rodata,"a",@progbits
	.p2align	6, 0x0
	.amdhsa_kernel _ZN7rocprim17ROCPRIM_400000_NS6detail17trampoline_kernelINS0_14default_configENS1_35radix_sort_onesweep_config_selectorIiiEEZZNS1_29radix_sort_onesweep_iterationIS3_Lb0EN6thrust23THRUST_200600_302600_NS6detail15normal_iteratorINS8_10device_ptrIiEEEESD_SD_SD_jNS0_19identity_decomposerENS1_16block_id_wrapperIjLb1EEEEE10hipError_tT1_PNSt15iterator_traitsISI_E10value_typeET2_T3_PNSJ_ISO_E10value_typeET4_T5_PST_SU_PNS1_23onesweep_lookback_stateEbbT6_jjT7_P12ihipStream_tbENKUlT_T0_SI_SN_E_clIPiSD_S15_SD_EEDaS11_S12_SI_SN_EUlS11_E_NS1_11comp_targetILNS1_3genE3ELNS1_11target_archE908ELNS1_3gpuE7ELNS1_3repE0EEENS1_47radix_sort_onesweep_sort_config_static_selectorELNS0_4arch9wavefront6targetE0EEEvSI_
		.amdhsa_group_segment_fixed_size 0
		.amdhsa_private_segment_fixed_size 0
		.amdhsa_kernarg_size 88
		.amdhsa_user_sgpr_count 6
		.amdhsa_user_sgpr_private_segment_buffer 1
		.amdhsa_user_sgpr_dispatch_ptr 0
		.amdhsa_user_sgpr_queue_ptr 0
		.amdhsa_user_sgpr_kernarg_segment_ptr 1
		.amdhsa_user_sgpr_dispatch_id 0
		.amdhsa_user_sgpr_flat_scratch_init 0
		.amdhsa_user_sgpr_private_segment_size 0
		.amdhsa_wavefront_size32 1
		.amdhsa_uses_dynamic_stack 0
		.amdhsa_system_sgpr_private_segment_wavefront_offset 0
		.amdhsa_system_sgpr_workgroup_id_x 1
		.amdhsa_system_sgpr_workgroup_id_y 0
		.amdhsa_system_sgpr_workgroup_id_z 0
		.amdhsa_system_sgpr_workgroup_info 0
		.amdhsa_system_vgpr_workitem_id 0
		.amdhsa_next_free_vgpr 1
		.amdhsa_next_free_sgpr 1
		.amdhsa_reserve_vcc 0
		.amdhsa_reserve_flat_scratch 0
		.amdhsa_float_round_mode_32 0
		.amdhsa_float_round_mode_16_64 0
		.amdhsa_float_denorm_mode_32 3
		.amdhsa_float_denorm_mode_16_64 3
		.amdhsa_dx10_clamp 1
		.amdhsa_ieee_mode 1
		.amdhsa_fp16_overflow 0
		.amdhsa_workgroup_processor_mode 1
		.amdhsa_memory_ordered 1
		.amdhsa_forward_progress 1
		.amdhsa_shared_vgpr_count 0
		.amdhsa_exception_fp_ieee_invalid_op 0
		.amdhsa_exception_fp_denorm_src 0
		.amdhsa_exception_fp_ieee_div_zero 0
		.amdhsa_exception_fp_ieee_overflow 0
		.amdhsa_exception_fp_ieee_underflow 0
		.amdhsa_exception_fp_ieee_inexact 0
		.amdhsa_exception_int_div_zero 0
	.end_amdhsa_kernel
	.section	.text._ZN7rocprim17ROCPRIM_400000_NS6detail17trampoline_kernelINS0_14default_configENS1_35radix_sort_onesweep_config_selectorIiiEEZZNS1_29radix_sort_onesweep_iterationIS3_Lb0EN6thrust23THRUST_200600_302600_NS6detail15normal_iteratorINS8_10device_ptrIiEEEESD_SD_SD_jNS0_19identity_decomposerENS1_16block_id_wrapperIjLb1EEEEE10hipError_tT1_PNSt15iterator_traitsISI_E10value_typeET2_T3_PNSJ_ISO_E10value_typeET4_T5_PST_SU_PNS1_23onesweep_lookback_stateEbbT6_jjT7_P12ihipStream_tbENKUlT_T0_SI_SN_E_clIPiSD_S15_SD_EEDaS11_S12_SI_SN_EUlS11_E_NS1_11comp_targetILNS1_3genE3ELNS1_11target_archE908ELNS1_3gpuE7ELNS1_3repE0EEENS1_47radix_sort_onesweep_sort_config_static_selectorELNS0_4arch9wavefront6targetE0EEEvSI_,"axG",@progbits,_ZN7rocprim17ROCPRIM_400000_NS6detail17trampoline_kernelINS0_14default_configENS1_35radix_sort_onesweep_config_selectorIiiEEZZNS1_29radix_sort_onesweep_iterationIS3_Lb0EN6thrust23THRUST_200600_302600_NS6detail15normal_iteratorINS8_10device_ptrIiEEEESD_SD_SD_jNS0_19identity_decomposerENS1_16block_id_wrapperIjLb1EEEEE10hipError_tT1_PNSt15iterator_traitsISI_E10value_typeET2_T3_PNSJ_ISO_E10value_typeET4_T5_PST_SU_PNS1_23onesweep_lookback_stateEbbT6_jjT7_P12ihipStream_tbENKUlT_T0_SI_SN_E_clIPiSD_S15_SD_EEDaS11_S12_SI_SN_EUlS11_E_NS1_11comp_targetILNS1_3genE3ELNS1_11target_archE908ELNS1_3gpuE7ELNS1_3repE0EEENS1_47radix_sort_onesweep_sort_config_static_selectorELNS0_4arch9wavefront6targetE0EEEvSI_,comdat
.Lfunc_end845:
	.size	_ZN7rocprim17ROCPRIM_400000_NS6detail17trampoline_kernelINS0_14default_configENS1_35radix_sort_onesweep_config_selectorIiiEEZZNS1_29radix_sort_onesweep_iterationIS3_Lb0EN6thrust23THRUST_200600_302600_NS6detail15normal_iteratorINS8_10device_ptrIiEEEESD_SD_SD_jNS0_19identity_decomposerENS1_16block_id_wrapperIjLb1EEEEE10hipError_tT1_PNSt15iterator_traitsISI_E10value_typeET2_T3_PNSJ_ISO_E10value_typeET4_T5_PST_SU_PNS1_23onesweep_lookback_stateEbbT6_jjT7_P12ihipStream_tbENKUlT_T0_SI_SN_E_clIPiSD_S15_SD_EEDaS11_S12_SI_SN_EUlS11_E_NS1_11comp_targetILNS1_3genE3ELNS1_11target_archE908ELNS1_3gpuE7ELNS1_3repE0EEENS1_47radix_sort_onesweep_sort_config_static_selectorELNS0_4arch9wavefront6targetE0EEEvSI_, .Lfunc_end845-_ZN7rocprim17ROCPRIM_400000_NS6detail17trampoline_kernelINS0_14default_configENS1_35radix_sort_onesweep_config_selectorIiiEEZZNS1_29radix_sort_onesweep_iterationIS3_Lb0EN6thrust23THRUST_200600_302600_NS6detail15normal_iteratorINS8_10device_ptrIiEEEESD_SD_SD_jNS0_19identity_decomposerENS1_16block_id_wrapperIjLb1EEEEE10hipError_tT1_PNSt15iterator_traitsISI_E10value_typeET2_T3_PNSJ_ISO_E10value_typeET4_T5_PST_SU_PNS1_23onesweep_lookback_stateEbbT6_jjT7_P12ihipStream_tbENKUlT_T0_SI_SN_E_clIPiSD_S15_SD_EEDaS11_S12_SI_SN_EUlS11_E_NS1_11comp_targetILNS1_3genE3ELNS1_11target_archE908ELNS1_3gpuE7ELNS1_3repE0EEENS1_47radix_sort_onesweep_sort_config_static_selectorELNS0_4arch9wavefront6targetE0EEEvSI_
                                        ; -- End function
	.set _ZN7rocprim17ROCPRIM_400000_NS6detail17trampoline_kernelINS0_14default_configENS1_35radix_sort_onesweep_config_selectorIiiEEZZNS1_29radix_sort_onesweep_iterationIS3_Lb0EN6thrust23THRUST_200600_302600_NS6detail15normal_iteratorINS8_10device_ptrIiEEEESD_SD_SD_jNS0_19identity_decomposerENS1_16block_id_wrapperIjLb1EEEEE10hipError_tT1_PNSt15iterator_traitsISI_E10value_typeET2_T3_PNSJ_ISO_E10value_typeET4_T5_PST_SU_PNS1_23onesweep_lookback_stateEbbT6_jjT7_P12ihipStream_tbENKUlT_T0_SI_SN_E_clIPiSD_S15_SD_EEDaS11_S12_SI_SN_EUlS11_E_NS1_11comp_targetILNS1_3genE3ELNS1_11target_archE908ELNS1_3gpuE7ELNS1_3repE0EEENS1_47radix_sort_onesweep_sort_config_static_selectorELNS0_4arch9wavefront6targetE0EEEvSI_.num_vgpr, 0
	.set _ZN7rocprim17ROCPRIM_400000_NS6detail17trampoline_kernelINS0_14default_configENS1_35radix_sort_onesweep_config_selectorIiiEEZZNS1_29radix_sort_onesweep_iterationIS3_Lb0EN6thrust23THRUST_200600_302600_NS6detail15normal_iteratorINS8_10device_ptrIiEEEESD_SD_SD_jNS0_19identity_decomposerENS1_16block_id_wrapperIjLb1EEEEE10hipError_tT1_PNSt15iterator_traitsISI_E10value_typeET2_T3_PNSJ_ISO_E10value_typeET4_T5_PST_SU_PNS1_23onesweep_lookback_stateEbbT6_jjT7_P12ihipStream_tbENKUlT_T0_SI_SN_E_clIPiSD_S15_SD_EEDaS11_S12_SI_SN_EUlS11_E_NS1_11comp_targetILNS1_3genE3ELNS1_11target_archE908ELNS1_3gpuE7ELNS1_3repE0EEENS1_47radix_sort_onesweep_sort_config_static_selectorELNS0_4arch9wavefront6targetE0EEEvSI_.num_agpr, 0
	.set _ZN7rocprim17ROCPRIM_400000_NS6detail17trampoline_kernelINS0_14default_configENS1_35radix_sort_onesweep_config_selectorIiiEEZZNS1_29radix_sort_onesweep_iterationIS3_Lb0EN6thrust23THRUST_200600_302600_NS6detail15normal_iteratorINS8_10device_ptrIiEEEESD_SD_SD_jNS0_19identity_decomposerENS1_16block_id_wrapperIjLb1EEEEE10hipError_tT1_PNSt15iterator_traitsISI_E10value_typeET2_T3_PNSJ_ISO_E10value_typeET4_T5_PST_SU_PNS1_23onesweep_lookback_stateEbbT6_jjT7_P12ihipStream_tbENKUlT_T0_SI_SN_E_clIPiSD_S15_SD_EEDaS11_S12_SI_SN_EUlS11_E_NS1_11comp_targetILNS1_3genE3ELNS1_11target_archE908ELNS1_3gpuE7ELNS1_3repE0EEENS1_47radix_sort_onesweep_sort_config_static_selectorELNS0_4arch9wavefront6targetE0EEEvSI_.numbered_sgpr, 0
	.set _ZN7rocprim17ROCPRIM_400000_NS6detail17trampoline_kernelINS0_14default_configENS1_35radix_sort_onesweep_config_selectorIiiEEZZNS1_29radix_sort_onesweep_iterationIS3_Lb0EN6thrust23THRUST_200600_302600_NS6detail15normal_iteratorINS8_10device_ptrIiEEEESD_SD_SD_jNS0_19identity_decomposerENS1_16block_id_wrapperIjLb1EEEEE10hipError_tT1_PNSt15iterator_traitsISI_E10value_typeET2_T3_PNSJ_ISO_E10value_typeET4_T5_PST_SU_PNS1_23onesweep_lookback_stateEbbT6_jjT7_P12ihipStream_tbENKUlT_T0_SI_SN_E_clIPiSD_S15_SD_EEDaS11_S12_SI_SN_EUlS11_E_NS1_11comp_targetILNS1_3genE3ELNS1_11target_archE908ELNS1_3gpuE7ELNS1_3repE0EEENS1_47radix_sort_onesweep_sort_config_static_selectorELNS0_4arch9wavefront6targetE0EEEvSI_.num_named_barrier, 0
	.set _ZN7rocprim17ROCPRIM_400000_NS6detail17trampoline_kernelINS0_14default_configENS1_35radix_sort_onesweep_config_selectorIiiEEZZNS1_29radix_sort_onesweep_iterationIS3_Lb0EN6thrust23THRUST_200600_302600_NS6detail15normal_iteratorINS8_10device_ptrIiEEEESD_SD_SD_jNS0_19identity_decomposerENS1_16block_id_wrapperIjLb1EEEEE10hipError_tT1_PNSt15iterator_traitsISI_E10value_typeET2_T3_PNSJ_ISO_E10value_typeET4_T5_PST_SU_PNS1_23onesweep_lookback_stateEbbT6_jjT7_P12ihipStream_tbENKUlT_T0_SI_SN_E_clIPiSD_S15_SD_EEDaS11_S12_SI_SN_EUlS11_E_NS1_11comp_targetILNS1_3genE3ELNS1_11target_archE908ELNS1_3gpuE7ELNS1_3repE0EEENS1_47radix_sort_onesweep_sort_config_static_selectorELNS0_4arch9wavefront6targetE0EEEvSI_.private_seg_size, 0
	.set _ZN7rocprim17ROCPRIM_400000_NS6detail17trampoline_kernelINS0_14default_configENS1_35radix_sort_onesweep_config_selectorIiiEEZZNS1_29radix_sort_onesweep_iterationIS3_Lb0EN6thrust23THRUST_200600_302600_NS6detail15normal_iteratorINS8_10device_ptrIiEEEESD_SD_SD_jNS0_19identity_decomposerENS1_16block_id_wrapperIjLb1EEEEE10hipError_tT1_PNSt15iterator_traitsISI_E10value_typeET2_T3_PNSJ_ISO_E10value_typeET4_T5_PST_SU_PNS1_23onesweep_lookback_stateEbbT6_jjT7_P12ihipStream_tbENKUlT_T0_SI_SN_E_clIPiSD_S15_SD_EEDaS11_S12_SI_SN_EUlS11_E_NS1_11comp_targetILNS1_3genE3ELNS1_11target_archE908ELNS1_3gpuE7ELNS1_3repE0EEENS1_47radix_sort_onesweep_sort_config_static_selectorELNS0_4arch9wavefront6targetE0EEEvSI_.uses_vcc, 0
	.set _ZN7rocprim17ROCPRIM_400000_NS6detail17trampoline_kernelINS0_14default_configENS1_35radix_sort_onesweep_config_selectorIiiEEZZNS1_29radix_sort_onesweep_iterationIS3_Lb0EN6thrust23THRUST_200600_302600_NS6detail15normal_iteratorINS8_10device_ptrIiEEEESD_SD_SD_jNS0_19identity_decomposerENS1_16block_id_wrapperIjLb1EEEEE10hipError_tT1_PNSt15iterator_traitsISI_E10value_typeET2_T3_PNSJ_ISO_E10value_typeET4_T5_PST_SU_PNS1_23onesweep_lookback_stateEbbT6_jjT7_P12ihipStream_tbENKUlT_T0_SI_SN_E_clIPiSD_S15_SD_EEDaS11_S12_SI_SN_EUlS11_E_NS1_11comp_targetILNS1_3genE3ELNS1_11target_archE908ELNS1_3gpuE7ELNS1_3repE0EEENS1_47radix_sort_onesweep_sort_config_static_selectorELNS0_4arch9wavefront6targetE0EEEvSI_.uses_flat_scratch, 0
	.set _ZN7rocprim17ROCPRIM_400000_NS6detail17trampoline_kernelINS0_14default_configENS1_35radix_sort_onesweep_config_selectorIiiEEZZNS1_29radix_sort_onesweep_iterationIS3_Lb0EN6thrust23THRUST_200600_302600_NS6detail15normal_iteratorINS8_10device_ptrIiEEEESD_SD_SD_jNS0_19identity_decomposerENS1_16block_id_wrapperIjLb1EEEEE10hipError_tT1_PNSt15iterator_traitsISI_E10value_typeET2_T3_PNSJ_ISO_E10value_typeET4_T5_PST_SU_PNS1_23onesweep_lookback_stateEbbT6_jjT7_P12ihipStream_tbENKUlT_T0_SI_SN_E_clIPiSD_S15_SD_EEDaS11_S12_SI_SN_EUlS11_E_NS1_11comp_targetILNS1_3genE3ELNS1_11target_archE908ELNS1_3gpuE7ELNS1_3repE0EEENS1_47radix_sort_onesweep_sort_config_static_selectorELNS0_4arch9wavefront6targetE0EEEvSI_.has_dyn_sized_stack, 0
	.set _ZN7rocprim17ROCPRIM_400000_NS6detail17trampoline_kernelINS0_14default_configENS1_35radix_sort_onesweep_config_selectorIiiEEZZNS1_29radix_sort_onesweep_iterationIS3_Lb0EN6thrust23THRUST_200600_302600_NS6detail15normal_iteratorINS8_10device_ptrIiEEEESD_SD_SD_jNS0_19identity_decomposerENS1_16block_id_wrapperIjLb1EEEEE10hipError_tT1_PNSt15iterator_traitsISI_E10value_typeET2_T3_PNSJ_ISO_E10value_typeET4_T5_PST_SU_PNS1_23onesweep_lookback_stateEbbT6_jjT7_P12ihipStream_tbENKUlT_T0_SI_SN_E_clIPiSD_S15_SD_EEDaS11_S12_SI_SN_EUlS11_E_NS1_11comp_targetILNS1_3genE3ELNS1_11target_archE908ELNS1_3gpuE7ELNS1_3repE0EEENS1_47radix_sort_onesweep_sort_config_static_selectorELNS0_4arch9wavefront6targetE0EEEvSI_.has_recursion, 0
	.set _ZN7rocprim17ROCPRIM_400000_NS6detail17trampoline_kernelINS0_14default_configENS1_35radix_sort_onesweep_config_selectorIiiEEZZNS1_29radix_sort_onesweep_iterationIS3_Lb0EN6thrust23THRUST_200600_302600_NS6detail15normal_iteratorINS8_10device_ptrIiEEEESD_SD_SD_jNS0_19identity_decomposerENS1_16block_id_wrapperIjLb1EEEEE10hipError_tT1_PNSt15iterator_traitsISI_E10value_typeET2_T3_PNSJ_ISO_E10value_typeET4_T5_PST_SU_PNS1_23onesweep_lookback_stateEbbT6_jjT7_P12ihipStream_tbENKUlT_T0_SI_SN_E_clIPiSD_S15_SD_EEDaS11_S12_SI_SN_EUlS11_E_NS1_11comp_targetILNS1_3genE3ELNS1_11target_archE908ELNS1_3gpuE7ELNS1_3repE0EEENS1_47radix_sort_onesweep_sort_config_static_selectorELNS0_4arch9wavefront6targetE0EEEvSI_.has_indirect_call, 0
	.section	.AMDGPU.csdata,"",@progbits
; Kernel info:
; codeLenInByte = 0
; TotalNumSgprs: 0
; NumVgprs: 0
; ScratchSize: 0
; MemoryBound: 0
; FloatMode: 240
; IeeeMode: 1
; LDSByteSize: 0 bytes/workgroup (compile time only)
; SGPRBlocks: 0
; VGPRBlocks: 0
; NumSGPRsForWavesPerEU: 1
; NumVGPRsForWavesPerEU: 1
; Occupancy: 16
; WaveLimiterHint : 0
; COMPUTE_PGM_RSRC2:SCRATCH_EN: 0
; COMPUTE_PGM_RSRC2:USER_SGPR: 6
; COMPUTE_PGM_RSRC2:TRAP_HANDLER: 0
; COMPUTE_PGM_RSRC2:TGID_X_EN: 1
; COMPUTE_PGM_RSRC2:TGID_Y_EN: 0
; COMPUTE_PGM_RSRC2:TGID_Z_EN: 0
; COMPUTE_PGM_RSRC2:TIDIG_COMP_CNT: 0
	.section	.text._ZN7rocprim17ROCPRIM_400000_NS6detail17trampoline_kernelINS0_14default_configENS1_35radix_sort_onesweep_config_selectorIiiEEZZNS1_29radix_sort_onesweep_iterationIS3_Lb0EN6thrust23THRUST_200600_302600_NS6detail15normal_iteratorINS8_10device_ptrIiEEEESD_SD_SD_jNS0_19identity_decomposerENS1_16block_id_wrapperIjLb1EEEEE10hipError_tT1_PNSt15iterator_traitsISI_E10value_typeET2_T3_PNSJ_ISO_E10value_typeET4_T5_PST_SU_PNS1_23onesweep_lookback_stateEbbT6_jjT7_P12ihipStream_tbENKUlT_T0_SI_SN_E_clIPiSD_S15_SD_EEDaS11_S12_SI_SN_EUlS11_E_NS1_11comp_targetILNS1_3genE10ELNS1_11target_archE1201ELNS1_3gpuE5ELNS1_3repE0EEENS1_47radix_sort_onesweep_sort_config_static_selectorELNS0_4arch9wavefront6targetE0EEEvSI_,"axG",@progbits,_ZN7rocprim17ROCPRIM_400000_NS6detail17trampoline_kernelINS0_14default_configENS1_35radix_sort_onesweep_config_selectorIiiEEZZNS1_29radix_sort_onesweep_iterationIS3_Lb0EN6thrust23THRUST_200600_302600_NS6detail15normal_iteratorINS8_10device_ptrIiEEEESD_SD_SD_jNS0_19identity_decomposerENS1_16block_id_wrapperIjLb1EEEEE10hipError_tT1_PNSt15iterator_traitsISI_E10value_typeET2_T3_PNSJ_ISO_E10value_typeET4_T5_PST_SU_PNS1_23onesweep_lookback_stateEbbT6_jjT7_P12ihipStream_tbENKUlT_T0_SI_SN_E_clIPiSD_S15_SD_EEDaS11_S12_SI_SN_EUlS11_E_NS1_11comp_targetILNS1_3genE10ELNS1_11target_archE1201ELNS1_3gpuE5ELNS1_3repE0EEENS1_47radix_sort_onesweep_sort_config_static_selectorELNS0_4arch9wavefront6targetE0EEEvSI_,comdat
	.protected	_ZN7rocprim17ROCPRIM_400000_NS6detail17trampoline_kernelINS0_14default_configENS1_35radix_sort_onesweep_config_selectorIiiEEZZNS1_29radix_sort_onesweep_iterationIS3_Lb0EN6thrust23THRUST_200600_302600_NS6detail15normal_iteratorINS8_10device_ptrIiEEEESD_SD_SD_jNS0_19identity_decomposerENS1_16block_id_wrapperIjLb1EEEEE10hipError_tT1_PNSt15iterator_traitsISI_E10value_typeET2_T3_PNSJ_ISO_E10value_typeET4_T5_PST_SU_PNS1_23onesweep_lookback_stateEbbT6_jjT7_P12ihipStream_tbENKUlT_T0_SI_SN_E_clIPiSD_S15_SD_EEDaS11_S12_SI_SN_EUlS11_E_NS1_11comp_targetILNS1_3genE10ELNS1_11target_archE1201ELNS1_3gpuE5ELNS1_3repE0EEENS1_47radix_sort_onesweep_sort_config_static_selectorELNS0_4arch9wavefront6targetE0EEEvSI_ ; -- Begin function _ZN7rocprim17ROCPRIM_400000_NS6detail17trampoline_kernelINS0_14default_configENS1_35radix_sort_onesweep_config_selectorIiiEEZZNS1_29radix_sort_onesweep_iterationIS3_Lb0EN6thrust23THRUST_200600_302600_NS6detail15normal_iteratorINS8_10device_ptrIiEEEESD_SD_SD_jNS0_19identity_decomposerENS1_16block_id_wrapperIjLb1EEEEE10hipError_tT1_PNSt15iterator_traitsISI_E10value_typeET2_T3_PNSJ_ISO_E10value_typeET4_T5_PST_SU_PNS1_23onesweep_lookback_stateEbbT6_jjT7_P12ihipStream_tbENKUlT_T0_SI_SN_E_clIPiSD_S15_SD_EEDaS11_S12_SI_SN_EUlS11_E_NS1_11comp_targetILNS1_3genE10ELNS1_11target_archE1201ELNS1_3gpuE5ELNS1_3repE0EEENS1_47radix_sort_onesweep_sort_config_static_selectorELNS0_4arch9wavefront6targetE0EEEvSI_
	.globl	_ZN7rocprim17ROCPRIM_400000_NS6detail17trampoline_kernelINS0_14default_configENS1_35radix_sort_onesweep_config_selectorIiiEEZZNS1_29radix_sort_onesweep_iterationIS3_Lb0EN6thrust23THRUST_200600_302600_NS6detail15normal_iteratorINS8_10device_ptrIiEEEESD_SD_SD_jNS0_19identity_decomposerENS1_16block_id_wrapperIjLb1EEEEE10hipError_tT1_PNSt15iterator_traitsISI_E10value_typeET2_T3_PNSJ_ISO_E10value_typeET4_T5_PST_SU_PNS1_23onesweep_lookback_stateEbbT6_jjT7_P12ihipStream_tbENKUlT_T0_SI_SN_E_clIPiSD_S15_SD_EEDaS11_S12_SI_SN_EUlS11_E_NS1_11comp_targetILNS1_3genE10ELNS1_11target_archE1201ELNS1_3gpuE5ELNS1_3repE0EEENS1_47radix_sort_onesweep_sort_config_static_selectorELNS0_4arch9wavefront6targetE0EEEvSI_
	.p2align	8
	.type	_ZN7rocprim17ROCPRIM_400000_NS6detail17trampoline_kernelINS0_14default_configENS1_35radix_sort_onesweep_config_selectorIiiEEZZNS1_29radix_sort_onesweep_iterationIS3_Lb0EN6thrust23THRUST_200600_302600_NS6detail15normal_iteratorINS8_10device_ptrIiEEEESD_SD_SD_jNS0_19identity_decomposerENS1_16block_id_wrapperIjLb1EEEEE10hipError_tT1_PNSt15iterator_traitsISI_E10value_typeET2_T3_PNSJ_ISO_E10value_typeET4_T5_PST_SU_PNS1_23onesweep_lookback_stateEbbT6_jjT7_P12ihipStream_tbENKUlT_T0_SI_SN_E_clIPiSD_S15_SD_EEDaS11_S12_SI_SN_EUlS11_E_NS1_11comp_targetILNS1_3genE10ELNS1_11target_archE1201ELNS1_3gpuE5ELNS1_3repE0EEENS1_47radix_sort_onesweep_sort_config_static_selectorELNS0_4arch9wavefront6targetE0EEEvSI_,@function
_ZN7rocprim17ROCPRIM_400000_NS6detail17trampoline_kernelINS0_14default_configENS1_35radix_sort_onesweep_config_selectorIiiEEZZNS1_29radix_sort_onesweep_iterationIS3_Lb0EN6thrust23THRUST_200600_302600_NS6detail15normal_iteratorINS8_10device_ptrIiEEEESD_SD_SD_jNS0_19identity_decomposerENS1_16block_id_wrapperIjLb1EEEEE10hipError_tT1_PNSt15iterator_traitsISI_E10value_typeET2_T3_PNSJ_ISO_E10value_typeET4_T5_PST_SU_PNS1_23onesweep_lookback_stateEbbT6_jjT7_P12ihipStream_tbENKUlT_T0_SI_SN_E_clIPiSD_S15_SD_EEDaS11_S12_SI_SN_EUlS11_E_NS1_11comp_targetILNS1_3genE10ELNS1_11target_archE1201ELNS1_3gpuE5ELNS1_3repE0EEENS1_47radix_sort_onesweep_sort_config_static_selectorELNS0_4arch9wavefront6targetE0EEEvSI_: ; @_ZN7rocprim17ROCPRIM_400000_NS6detail17trampoline_kernelINS0_14default_configENS1_35radix_sort_onesweep_config_selectorIiiEEZZNS1_29radix_sort_onesweep_iterationIS3_Lb0EN6thrust23THRUST_200600_302600_NS6detail15normal_iteratorINS8_10device_ptrIiEEEESD_SD_SD_jNS0_19identity_decomposerENS1_16block_id_wrapperIjLb1EEEEE10hipError_tT1_PNSt15iterator_traitsISI_E10value_typeET2_T3_PNSJ_ISO_E10value_typeET4_T5_PST_SU_PNS1_23onesweep_lookback_stateEbbT6_jjT7_P12ihipStream_tbENKUlT_T0_SI_SN_E_clIPiSD_S15_SD_EEDaS11_S12_SI_SN_EUlS11_E_NS1_11comp_targetILNS1_3genE10ELNS1_11target_archE1201ELNS1_3gpuE5ELNS1_3repE0EEENS1_47radix_sort_onesweep_sort_config_static_selectorELNS0_4arch9wavefront6targetE0EEEvSI_
; %bb.0:
	.section	.rodata,"a",@progbits
	.p2align	6, 0x0
	.amdhsa_kernel _ZN7rocprim17ROCPRIM_400000_NS6detail17trampoline_kernelINS0_14default_configENS1_35radix_sort_onesweep_config_selectorIiiEEZZNS1_29radix_sort_onesweep_iterationIS3_Lb0EN6thrust23THRUST_200600_302600_NS6detail15normal_iteratorINS8_10device_ptrIiEEEESD_SD_SD_jNS0_19identity_decomposerENS1_16block_id_wrapperIjLb1EEEEE10hipError_tT1_PNSt15iterator_traitsISI_E10value_typeET2_T3_PNSJ_ISO_E10value_typeET4_T5_PST_SU_PNS1_23onesweep_lookback_stateEbbT6_jjT7_P12ihipStream_tbENKUlT_T0_SI_SN_E_clIPiSD_S15_SD_EEDaS11_S12_SI_SN_EUlS11_E_NS1_11comp_targetILNS1_3genE10ELNS1_11target_archE1201ELNS1_3gpuE5ELNS1_3repE0EEENS1_47radix_sort_onesweep_sort_config_static_selectorELNS0_4arch9wavefront6targetE0EEEvSI_
		.amdhsa_group_segment_fixed_size 0
		.amdhsa_private_segment_fixed_size 0
		.amdhsa_kernarg_size 88
		.amdhsa_user_sgpr_count 6
		.amdhsa_user_sgpr_private_segment_buffer 1
		.amdhsa_user_sgpr_dispatch_ptr 0
		.amdhsa_user_sgpr_queue_ptr 0
		.amdhsa_user_sgpr_kernarg_segment_ptr 1
		.amdhsa_user_sgpr_dispatch_id 0
		.amdhsa_user_sgpr_flat_scratch_init 0
		.amdhsa_user_sgpr_private_segment_size 0
		.amdhsa_wavefront_size32 1
		.amdhsa_uses_dynamic_stack 0
		.amdhsa_system_sgpr_private_segment_wavefront_offset 0
		.amdhsa_system_sgpr_workgroup_id_x 1
		.amdhsa_system_sgpr_workgroup_id_y 0
		.amdhsa_system_sgpr_workgroup_id_z 0
		.amdhsa_system_sgpr_workgroup_info 0
		.amdhsa_system_vgpr_workitem_id 0
		.amdhsa_next_free_vgpr 1
		.amdhsa_next_free_sgpr 1
		.amdhsa_reserve_vcc 0
		.amdhsa_reserve_flat_scratch 0
		.amdhsa_float_round_mode_32 0
		.amdhsa_float_round_mode_16_64 0
		.amdhsa_float_denorm_mode_32 3
		.amdhsa_float_denorm_mode_16_64 3
		.amdhsa_dx10_clamp 1
		.amdhsa_ieee_mode 1
		.amdhsa_fp16_overflow 0
		.amdhsa_workgroup_processor_mode 1
		.amdhsa_memory_ordered 1
		.amdhsa_forward_progress 1
		.amdhsa_shared_vgpr_count 0
		.amdhsa_exception_fp_ieee_invalid_op 0
		.amdhsa_exception_fp_denorm_src 0
		.amdhsa_exception_fp_ieee_div_zero 0
		.amdhsa_exception_fp_ieee_overflow 0
		.amdhsa_exception_fp_ieee_underflow 0
		.amdhsa_exception_fp_ieee_inexact 0
		.amdhsa_exception_int_div_zero 0
	.end_amdhsa_kernel
	.section	.text._ZN7rocprim17ROCPRIM_400000_NS6detail17trampoline_kernelINS0_14default_configENS1_35radix_sort_onesweep_config_selectorIiiEEZZNS1_29radix_sort_onesweep_iterationIS3_Lb0EN6thrust23THRUST_200600_302600_NS6detail15normal_iteratorINS8_10device_ptrIiEEEESD_SD_SD_jNS0_19identity_decomposerENS1_16block_id_wrapperIjLb1EEEEE10hipError_tT1_PNSt15iterator_traitsISI_E10value_typeET2_T3_PNSJ_ISO_E10value_typeET4_T5_PST_SU_PNS1_23onesweep_lookback_stateEbbT6_jjT7_P12ihipStream_tbENKUlT_T0_SI_SN_E_clIPiSD_S15_SD_EEDaS11_S12_SI_SN_EUlS11_E_NS1_11comp_targetILNS1_3genE10ELNS1_11target_archE1201ELNS1_3gpuE5ELNS1_3repE0EEENS1_47radix_sort_onesweep_sort_config_static_selectorELNS0_4arch9wavefront6targetE0EEEvSI_,"axG",@progbits,_ZN7rocprim17ROCPRIM_400000_NS6detail17trampoline_kernelINS0_14default_configENS1_35radix_sort_onesweep_config_selectorIiiEEZZNS1_29radix_sort_onesweep_iterationIS3_Lb0EN6thrust23THRUST_200600_302600_NS6detail15normal_iteratorINS8_10device_ptrIiEEEESD_SD_SD_jNS0_19identity_decomposerENS1_16block_id_wrapperIjLb1EEEEE10hipError_tT1_PNSt15iterator_traitsISI_E10value_typeET2_T3_PNSJ_ISO_E10value_typeET4_T5_PST_SU_PNS1_23onesweep_lookback_stateEbbT6_jjT7_P12ihipStream_tbENKUlT_T0_SI_SN_E_clIPiSD_S15_SD_EEDaS11_S12_SI_SN_EUlS11_E_NS1_11comp_targetILNS1_3genE10ELNS1_11target_archE1201ELNS1_3gpuE5ELNS1_3repE0EEENS1_47radix_sort_onesweep_sort_config_static_selectorELNS0_4arch9wavefront6targetE0EEEvSI_,comdat
.Lfunc_end846:
	.size	_ZN7rocprim17ROCPRIM_400000_NS6detail17trampoline_kernelINS0_14default_configENS1_35radix_sort_onesweep_config_selectorIiiEEZZNS1_29radix_sort_onesweep_iterationIS3_Lb0EN6thrust23THRUST_200600_302600_NS6detail15normal_iteratorINS8_10device_ptrIiEEEESD_SD_SD_jNS0_19identity_decomposerENS1_16block_id_wrapperIjLb1EEEEE10hipError_tT1_PNSt15iterator_traitsISI_E10value_typeET2_T3_PNSJ_ISO_E10value_typeET4_T5_PST_SU_PNS1_23onesweep_lookback_stateEbbT6_jjT7_P12ihipStream_tbENKUlT_T0_SI_SN_E_clIPiSD_S15_SD_EEDaS11_S12_SI_SN_EUlS11_E_NS1_11comp_targetILNS1_3genE10ELNS1_11target_archE1201ELNS1_3gpuE5ELNS1_3repE0EEENS1_47radix_sort_onesweep_sort_config_static_selectorELNS0_4arch9wavefront6targetE0EEEvSI_, .Lfunc_end846-_ZN7rocprim17ROCPRIM_400000_NS6detail17trampoline_kernelINS0_14default_configENS1_35radix_sort_onesweep_config_selectorIiiEEZZNS1_29radix_sort_onesweep_iterationIS3_Lb0EN6thrust23THRUST_200600_302600_NS6detail15normal_iteratorINS8_10device_ptrIiEEEESD_SD_SD_jNS0_19identity_decomposerENS1_16block_id_wrapperIjLb1EEEEE10hipError_tT1_PNSt15iterator_traitsISI_E10value_typeET2_T3_PNSJ_ISO_E10value_typeET4_T5_PST_SU_PNS1_23onesweep_lookback_stateEbbT6_jjT7_P12ihipStream_tbENKUlT_T0_SI_SN_E_clIPiSD_S15_SD_EEDaS11_S12_SI_SN_EUlS11_E_NS1_11comp_targetILNS1_3genE10ELNS1_11target_archE1201ELNS1_3gpuE5ELNS1_3repE0EEENS1_47radix_sort_onesweep_sort_config_static_selectorELNS0_4arch9wavefront6targetE0EEEvSI_
                                        ; -- End function
	.set _ZN7rocprim17ROCPRIM_400000_NS6detail17trampoline_kernelINS0_14default_configENS1_35radix_sort_onesweep_config_selectorIiiEEZZNS1_29radix_sort_onesweep_iterationIS3_Lb0EN6thrust23THRUST_200600_302600_NS6detail15normal_iteratorINS8_10device_ptrIiEEEESD_SD_SD_jNS0_19identity_decomposerENS1_16block_id_wrapperIjLb1EEEEE10hipError_tT1_PNSt15iterator_traitsISI_E10value_typeET2_T3_PNSJ_ISO_E10value_typeET4_T5_PST_SU_PNS1_23onesweep_lookback_stateEbbT6_jjT7_P12ihipStream_tbENKUlT_T0_SI_SN_E_clIPiSD_S15_SD_EEDaS11_S12_SI_SN_EUlS11_E_NS1_11comp_targetILNS1_3genE10ELNS1_11target_archE1201ELNS1_3gpuE5ELNS1_3repE0EEENS1_47radix_sort_onesweep_sort_config_static_selectorELNS0_4arch9wavefront6targetE0EEEvSI_.num_vgpr, 0
	.set _ZN7rocprim17ROCPRIM_400000_NS6detail17trampoline_kernelINS0_14default_configENS1_35radix_sort_onesweep_config_selectorIiiEEZZNS1_29radix_sort_onesweep_iterationIS3_Lb0EN6thrust23THRUST_200600_302600_NS6detail15normal_iteratorINS8_10device_ptrIiEEEESD_SD_SD_jNS0_19identity_decomposerENS1_16block_id_wrapperIjLb1EEEEE10hipError_tT1_PNSt15iterator_traitsISI_E10value_typeET2_T3_PNSJ_ISO_E10value_typeET4_T5_PST_SU_PNS1_23onesweep_lookback_stateEbbT6_jjT7_P12ihipStream_tbENKUlT_T0_SI_SN_E_clIPiSD_S15_SD_EEDaS11_S12_SI_SN_EUlS11_E_NS1_11comp_targetILNS1_3genE10ELNS1_11target_archE1201ELNS1_3gpuE5ELNS1_3repE0EEENS1_47radix_sort_onesweep_sort_config_static_selectorELNS0_4arch9wavefront6targetE0EEEvSI_.num_agpr, 0
	.set _ZN7rocprim17ROCPRIM_400000_NS6detail17trampoline_kernelINS0_14default_configENS1_35radix_sort_onesweep_config_selectorIiiEEZZNS1_29radix_sort_onesweep_iterationIS3_Lb0EN6thrust23THRUST_200600_302600_NS6detail15normal_iteratorINS8_10device_ptrIiEEEESD_SD_SD_jNS0_19identity_decomposerENS1_16block_id_wrapperIjLb1EEEEE10hipError_tT1_PNSt15iterator_traitsISI_E10value_typeET2_T3_PNSJ_ISO_E10value_typeET4_T5_PST_SU_PNS1_23onesweep_lookback_stateEbbT6_jjT7_P12ihipStream_tbENKUlT_T0_SI_SN_E_clIPiSD_S15_SD_EEDaS11_S12_SI_SN_EUlS11_E_NS1_11comp_targetILNS1_3genE10ELNS1_11target_archE1201ELNS1_3gpuE5ELNS1_3repE0EEENS1_47radix_sort_onesweep_sort_config_static_selectorELNS0_4arch9wavefront6targetE0EEEvSI_.numbered_sgpr, 0
	.set _ZN7rocprim17ROCPRIM_400000_NS6detail17trampoline_kernelINS0_14default_configENS1_35radix_sort_onesweep_config_selectorIiiEEZZNS1_29radix_sort_onesweep_iterationIS3_Lb0EN6thrust23THRUST_200600_302600_NS6detail15normal_iteratorINS8_10device_ptrIiEEEESD_SD_SD_jNS0_19identity_decomposerENS1_16block_id_wrapperIjLb1EEEEE10hipError_tT1_PNSt15iterator_traitsISI_E10value_typeET2_T3_PNSJ_ISO_E10value_typeET4_T5_PST_SU_PNS1_23onesweep_lookback_stateEbbT6_jjT7_P12ihipStream_tbENKUlT_T0_SI_SN_E_clIPiSD_S15_SD_EEDaS11_S12_SI_SN_EUlS11_E_NS1_11comp_targetILNS1_3genE10ELNS1_11target_archE1201ELNS1_3gpuE5ELNS1_3repE0EEENS1_47radix_sort_onesweep_sort_config_static_selectorELNS0_4arch9wavefront6targetE0EEEvSI_.num_named_barrier, 0
	.set _ZN7rocprim17ROCPRIM_400000_NS6detail17trampoline_kernelINS0_14default_configENS1_35radix_sort_onesweep_config_selectorIiiEEZZNS1_29radix_sort_onesweep_iterationIS3_Lb0EN6thrust23THRUST_200600_302600_NS6detail15normal_iteratorINS8_10device_ptrIiEEEESD_SD_SD_jNS0_19identity_decomposerENS1_16block_id_wrapperIjLb1EEEEE10hipError_tT1_PNSt15iterator_traitsISI_E10value_typeET2_T3_PNSJ_ISO_E10value_typeET4_T5_PST_SU_PNS1_23onesweep_lookback_stateEbbT6_jjT7_P12ihipStream_tbENKUlT_T0_SI_SN_E_clIPiSD_S15_SD_EEDaS11_S12_SI_SN_EUlS11_E_NS1_11comp_targetILNS1_3genE10ELNS1_11target_archE1201ELNS1_3gpuE5ELNS1_3repE0EEENS1_47radix_sort_onesweep_sort_config_static_selectorELNS0_4arch9wavefront6targetE0EEEvSI_.private_seg_size, 0
	.set _ZN7rocprim17ROCPRIM_400000_NS6detail17trampoline_kernelINS0_14default_configENS1_35radix_sort_onesweep_config_selectorIiiEEZZNS1_29radix_sort_onesweep_iterationIS3_Lb0EN6thrust23THRUST_200600_302600_NS6detail15normal_iteratorINS8_10device_ptrIiEEEESD_SD_SD_jNS0_19identity_decomposerENS1_16block_id_wrapperIjLb1EEEEE10hipError_tT1_PNSt15iterator_traitsISI_E10value_typeET2_T3_PNSJ_ISO_E10value_typeET4_T5_PST_SU_PNS1_23onesweep_lookback_stateEbbT6_jjT7_P12ihipStream_tbENKUlT_T0_SI_SN_E_clIPiSD_S15_SD_EEDaS11_S12_SI_SN_EUlS11_E_NS1_11comp_targetILNS1_3genE10ELNS1_11target_archE1201ELNS1_3gpuE5ELNS1_3repE0EEENS1_47radix_sort_onesweep_sort_config_static_selectorELNS0_4arch9wavefront6targetE0EEEvSI_.uses_vcc, 0
	.set _ZN7rocprim17ROCPRIM_400000_NS6detail17trampoline_kernelINS0_14default_configENS1_35radix_sort_onesweep_config_selectorIiiEEZZNS1_29radix_sort_onesweep_iterationIS3_Lb0EN6thrust23THRUST_200600_302600_NS6detail15normal_iteratorINS8_10device_ptrIiEEEESD_SD_SD_jNS0_19identity_decomposerENS1_16block_id_wrapperIjLb1EEEEE10hipError_tT1_PNSt15iterator_traitsISI_E10value_typeET2_T3_PNSJ_ISO_E10value_typeET4_T5_PST_SU_PNS1_23onesweep_lookback_stateEbbT6_jjT7_P12ihipStream_tbENKUlT_T0_SI_SN_E_clIPiSD_S15_SD_EEDaS11_S12_SI_SN_EUlS11_E_NS1_11comp_targetILNS1_3genE10ELNS1_11target_archE1201ELNS1_3gpuE5ELNS1_3repE0EEENS1_47radix_sort_onesweep_sort_config_static_selectorELNS0_4arch9wavefront6targetE0EEEvSI_.uses_flat_scratch, 0
	.set _ZN7rocprim17ROCPRIM_400000_NS6detail17trampoline_kernelINS0_14default_configENS1_35radix_sort_onesweep_config_selectorIiiEEZZNS1_29radix_sort_onesweep_iterationIS3_Lb0EN6thrust23THRUST_200600_302600_NS6detail15normal_iteratorINS8_10device_ptrIiEEEESD_SD_SD_jNS0_19identity_decomposerENS1_16block_id_wrapperIjLb1EEEEE10hipError_tT1_PNSt15iterator_traitsISI_E10value_typeET2_T3_PNSJ_ISO_E10value_typeET4_T5_PST_SU_PNS1_23onesweep_lookback_stateEbbT6_jjT7_P12ihipStream_tbENKUlT_T0_SI_SN_E_clIPiSD_S15_SD_EEDaS11_S12_SI_SN_EUlS11_E_NS1_11comp_targetILNS1_3genE10ELNS1_11target_archE1201ELNS1_3gpuE5ELNS1_3repE0EEENS1_47radix_sort_onesweep_sort_config_static_selectorELNS0_4arch9wavefront6targetE0EEEvSI_.has_dyn_sized_stack, 0
	.set _ZN7rocprim17ROCPRIM_400000_NS6detail17trampoline_kernelINS0_14default_configENS1_35radix_sort_onesweep_config_selectorIiiEEZZNS1_29radix_sort_onesweep_iterationIS3_Lb0EN6thrust23THRUST_200600_302600_NS6detail15normal_iteratorINS8_10device_ptrIiEEEESD_SD_SD_jNS0_19identity_decomposerENS1_16block_id_wrapperIjLb1EEEEE10hipError_tT1_PNSt15iterator_traitsISI_E10value_typeET2_T3_PNSJ_ISO_E10value_typeET4_T5_PST_SU_PNS1_23onesweep_lookback_stateEbbT6_jjT7_P12ihipStream_tbENKUlT_T0_SI_SN_E_clIPiSD_S15_SD_EEDaS11_S12_SI_SN_EUlS11_E_NS1_11comp_targetILNS1_3genE10ELNS1_11target_archE1201ELNS1_3gpuE5ELNS1_3repE0EEENS1_47radix_sort_onesweep_sort_config_static_selectorELNS0_4arch9wavefront6targetE0EEEvSI_.has_recursion, 0
	.set _ZN7rocprim17ROCPRIM_400000_NS6detail17trampoline_kernelINS0_14default_configENS1_35radix_sort_onesweep_config_selectorIiiEEZZNS1_29radix_sort_onesweep_iterationIS3_Lb0EN6thrust23THRUST_200600_302600_NS6detail15normal_iteratorINS8_10device_ptrIiEEEESD_SD_SD_jNS0_19identity_decomposerENS1_16block_id_wrapperIjLb1EEEEE10hipError_tT1_PNSt15iterator_traitsISI_E10value_typeET2_T3_PNSJ_ISO_E10value_typeET4_T5_PST_SU_PNS1_23onesweep_lookback_stateEbbT6_jjT7_P12ihipStream_tbENKUlT_T0_SI_SN_E_clIPiSD_S15_SD_EEDaS11_S12_SI_SN_EUlS11_E_NS1_11comp_targetILNS1_3genE10ELNS1_11target_archE1201ELNS1_3gpuE5ELNS1_3repE0EEENS1_47radix_sort_onesweep_sort_config_static_selectorELNS0_4arch9wavefront6targetE0EEEvSI_.has_indirect_call, 0
	.section	.AMDGPU.csdata,"",@progbits
; Kernel info:
; codeLenInByte = 0
; TotalNumSgprs: 0
; NumVgprs: 0
; ScratchSize: 0
; MemoryBound: 0
; FloatMode: 240
; IeeeMode: 1
; LDSByteSize: 0 bytes/workgroup (compile time only)
; SGPRBlocks: 0
; VGPRBlocks: 0
; NumSGPRsForWavesPerEU: 1
; NumVGPRsForWavesPerEU: 1
; Occupancy: 16
; WaveLimiterHint : 0
; COMPUTE_PGM_RSRC2:SCRATCH_EN: 0
; COMPUTE_PGM_RSRC2:USER_SGPR: 6
; COMPUTE_PGM_RSRC2:TRAP_HANDLER: 0
; COMPUTE_PGM_RSRC2:TGID_X_EN: 1
; COMPUTE_PGM_RSRC2:TGID_Y_EN: 0
; COMPUTE_PGM_RSRC2:TGID_Z_EN: 0
; COMPUTE_PGM_RSRC2:TIDIG_COMP_CNT: 0
	.section	.text._ZN7rocprim17ROCPRIM_400000_NS6detail17trampoline_kernelINS0_14default_configENS1_35radix_sort_onesweep_config_selectorIiiEEZZNS1_29radix_sort_onesweep_iterationIS3_Lb0EN6thrust23THRUST_200600_302600_NS6detail15normal_iteratorINS8_10device_ptrIiEEEESD_SD_SD_jNS0_19identity_decomposerENS1_16block_id_wrapperIjLb1EEEEE10hipError_tT1_PNSt15iterator_traitsISI_E10value_typeET2_T3_PNSJ_ISO_E10value_typeET4_T5_PST_SU_PNS1_23onesweep_lookback_stateEbbT6_jjT7_P12ihipStream_tbENKUlT_T0_SI_SN_E_clIPiSD_S15_SD_EEDaS11_S12_SI_SN_EUlS11_E_NS1_11comp_targetILNS1_3genE9ELNS1_11target_archE1100ELNS1_3gpuE3ELNS1_3repE0EEENS1_47radix_sort_onesweep_sort_config_static_selectorELNS0_4arch9wavefront6targetE0EEEvSI_,"axG",@progbits,_ZN7rocprim17ROCPRIM_400000_NS6detail17trampoline_kernelINS0_14default_configENS1_35radix_sort_onesweep_config_selectorIiiEEZZNS1_29radix_sort_onesweep_iterationIS3_Lb0EN6thrust23THRUST_200600_302600_NS6detail15normal_iteratorINS8_10device_ptrIiEEEESD_SD_SD_jNS0_19identity_decomposerENS1_16block_id_wrapperIjLb1EEEEE10hipError_tT1_PNSt15iterator_traitsISI_E10value_typeET2_T3_PNSJ_ISO_E10value_typeET4_T5_PST_SU_PNS1_23onesweep_lookback_stateEbbT6_jjT7_P12ihipStream_tbENKUlT_T0_SI_SN_E_clIPiSD_S15_SD_EEDaS11_S12_SI_SN_EUlS11_E_NS1_11comp_targetILNS1_3genE9ELNS1_11target_archE1100ELNS1_3gpuE3ELNS1_3repE0EEENS1_47radix_sort_onesweep_sort_config_static_selectorELNS0_4arch9wavefront6targetE0EEEvSI_,comdat
	.protected	_ZN7rocprim17ROCPRIM_400000_NS6detail17trampoline_kernelINS0_14default_configENS1_35radix_sort_onesweep_config_selectorIiiEEZZNS1_29radix_sort_onesweep_iterationIS3_Lb0EN6thrust23THRUST_200600_302600_NS6detail15normal_iteratorINS8_10device_ptrIiEEEESD_SD_SD_jNS0_19identity_decomposerENS1_16block_id_wrapperIjLb1EEEEE10hipError_tT1_PNSt15iterator_traitsISI_E10value_typeET2_T3_PNSJ_ISO_E10value_typeET4_T5_PST_SU_PNS1_23onesweep_lookback_stateEbbT6_jjT7_P12ihipStream_tbENKUlT_T0_SI_SN_E_clIPiSD_S15_SD_EEDaS11_S12_SI_SN_EUlS11_E_NS1_11comp_targetILNS1_3genE9ELNS1_11target_archE1100ELNS1_3gpuE3ELNS1_3repE0EEENS1_47radix_sort_onesweep_sort_config_static_selectorELNS0_4arch9wavefront6targetE0EEEvSI_ ; -- Begin function _ZN7rocprim17ROCPRIM_400000_NS6detail17trampoline_kernelINS0_14default_configENS1_35radix_sort_onesweep_config_selectorIiiEEZZNS1_29radix_sort_onesweep_iterationIS3_Lb0EN6thrust23THRUST_200600_302600_NS6detail15normal_iteratorINS8_10device_ptrIiEEEESD_SD_SD_jNS0_19identity_decomposerENS1_16block_id_wrapperIjLb1EEEEE10hipError_tT1_PNSt15iterator_traitsISI_E10value_typeET2_T3_PNSJ_ISO_E10value_typeET4_T5_PST_SU_PNS1_23onesweep_lookback_stateEbbT6_jjT7_P12ihipStream_tbENKUlT_T0_SI_SN_E_clIPiSD_S15_SD_EEDaS11_S12_SI_SN_EUlS11_E_NS1_11comp_targetILNS1_3genE9ELNS1_11target_archE1100ELNS1_3gpuE3ELNS1_3repE0EEENS1_47radix_sort_onesweep_sort_config_static_selectorELNS0_4arch9wavefront6targetE0EEEvSI_
	.globl	_ZN7rocprim17ROCPRIM_400000_NS6detail17trampoline_kernelINS0_14default_configENS1_35radix_sort_onesweep_config_selectorIiiEEZZNS1_29radix_sort_onesweep_iterationIS3_Lb0EN6thrust23THRUST_200600_302600_NS6detail15normal_iteratorINS8_10device_ptrIiEEEESD_SD_SD_jNS0_19identity_decomposerENS1_16block_id_wrapperIjLb1EEEEE10hipError_tT1_PNSt15iterator_traitsISI_E10value_typeET2_T3_PNSJ_ISO_E10value_typeET4_T5_PST_SU_PNS1_23onesweep_lookback_stateEbbT6_jjT7_P12ihipStream_tbENKUlT_T0_SI_SN_E_clIPiSD_S15_SD_EEDaS11_S12_SI_SN_EUlS11_E_NS1_11comp_targetILNS1_3genE9ELNS1_11target_archE1100ELNS1_3gpuE3ELNS1_3repE0EEENS1_47radix_sort_onesweep_sort_config_static_selectorELNS0_4arch9wavefront6targetE0EEEvSI_
	.p2align	8
	.type	_ZN7rocprim17ROCPRIM_400000_NS6detail17trampoline_kernelINS0_14default_configENS1_35radix_sort_onesweep_config_selectorIiiEEZZNS1_29radix_sort_onesweep_iterationIS3_Lb0EN6thrust23THRUST_200600_302600_NS6detail15normal_iteratorINS8_10device_ptrIiEEEESD_SD_SD_jNS0_19identity_decomposerENS1_16block_id_wrapperIjLb1EEEEE10hipError_tT1_PNSt15iterator_traitsISI_E10value_typeET2_T3_PNSJ_ISO_E10value_typeET4_T5_PST_SU_PNS1_23onesweep_lookback_stateEbbT6_jjT7_P12ihipStream_tbENKUlT_T0_SI_SN_E_clIPiSD_S15_SD_EEDaS11_S12_SI_SN_EUlS11_E_NS1_11comp_targetILNS1_3genE9ELNS1_11target_archE1100ELNS1_3gpuE3ELNS1_3repE0EEENS1_47radix_sort_onesweep_sort_config_static_selectorELNS0_4arch9wavefront6targetE0EEEvSI_,@function
_ZN7rocprim17ROCPRIM_400000_NS6detail17trampoline_kernelINS0_14default_configENS1_35radix_sort_onesweep_config_selectorIiiEEZZNS1_29radix_sort_onesweep_iterationIS3_Lb0EN6thrust23THRUST_200600_302600_NS6detail15normal_iteratorINS8_10device_ptrIiEEEESD_SD_SD_jNS0_19identity_decomposerENS1_16block_id_wrapperIjLb1EEEEE10hipError_tT1_PNSt15iterator_traitsISI_E10value_typeET2_T3_PNSJ_ISO_E10value_typeET4_T5_PST_SU_PNS1_23onesweep_lookback_stateEbbT6_jjT7_P12ihipStream_tbENKUlT_T0_SI_SN_E_clIPiSD_S15_SD_EEDaS11_S12_SI_SN_EUlS11_E_NS1_11comp_targetILNS1_3genE9ELNS1_11target_archE1100ELNS1_3gpuE3ELNS1_3repE0EEENS1_47radix_sort_onesweep_sort_config_static_selectorELNS0_4arch9wavefront6targetE0EEEvSI_: ; @_ZN7rocprim17ROCPRIM_400000_NS6detail17trampoline_kernelINS0_14default_configENS1_35radix_sort_onesweep_config_selectorIiiEEZZNS1_29radix_sort_onesweep_iterationIS3_Lb0EN6thrust23THRUST_200600_302600_NS6detail15normal_iteratorINS8_10device_ptrIiEEEESD_SD_SD_jNS0_19identity_decomposerENS1_16block_id_wrapperIjLb1EEEEE10hipError_tT1_PNSt15iterator_traitsISI_E10value_typeET2_T3_PNSJ_ISO_E10value_typeET4_T5_PST_SU_PNS1_23onesweep_lookback_stateEbbT6_jjT7_P12ihipStream_tbENKUlT_T0_SI_SN_E_clIPiSD_S15_SD_EEDaS11_S12_SI_SN_EUlS11_E_NS1_11comp_targetILNS1_3genE9ELNS1_11target_archE1100ELNS1_3gpuE3ELNS1_3repE0EEENS1_47radix_sort_onesweep_sort_config_static_selectorELNS0_4arch9wavefront6targetE0EEEvSI_
; %bb.0:
	.section	.rodata,"a",@progbits
	.p2align	6, 0x0
	.amdhsa_kernel _ZN7rocprim17ROCPRIM_400000_NS6detail17trampoline_kernelINS0_14default_configENS1_35radix_sort_onesweep_config_selectorIiiEEZZNS1_29radix_sort_onesweep_iterationIS3_Lb0EN6thrust23THRUST_200600_302600_NS6detail15normal_iteratorINS8_10device_ptrIiEEEESD_SD_SD_jNS0_19identity_decomposerENS1_16block_id_wrapperIjLb1EEEEE10hipError_tT1_PNSt15iterator_traitsISI_E10value_typeET2_T3_PNSJ_ISO_E10value_typeET4_T5_PST_SU_PNS1_23onesweep_lookback_stateEbbT6_jjT7_P12ihipStream_tbENKUlT_T0_SI_SN_E_clIPiSD_S15_SD_EEDaS11_S12_SI_SN_EUlS11_E_NS1_11comp_targetILNS1_3genE9ELNS1_11target_archE1100ELNS1_3gpuE3ELNS1_3repE0EEENS1_47radix_sort_onesweep_sort_config_static_selectorELNS0_4arch9wavefront6targetE0EEEvSI_
		.amdhsa_group_segment_fixed_size 0
		.amdhsa_private_segment_fixed_size 0
		.amdhsa_kernarg_size 88
		.amdhsa_user_sgpr_count 6
		.amdhsa_user_sgpr_private_segment_buffer 1
		.amdhsa_user_sgpr_dispatch_ptr 0
		.amdhsa_user_sgpr_queue_ptr 0
		.amdhsa_user_sgpr_kernarg_segment_ptr 1
		.amdhsa_user_sgpr_dispatch_id 0
		.amdhsa_user_sgpr_flat_scratch_init 0
		.amdhsa_user_sgpr_private_segment_size 0
		.amdhsa_wavefront_size32 1
		.amdhsa_uses_dynamic_stack 0
		.amdhsa_system_sgpr_private_segment_wavefront_offset 0
		.amdhsa_system_sgpr_workgroup_id_x 1
		.amdhsa_system_sgpr_workgroup_id_y 0
		.amdhsa_system_sgpr_workgroup_id_z 0
		.amdhsa_system_sgpr_workgroup_info 0
		.amdhsa_system_vgpr_workitem_id 0
		.amdhsa_next_free_vgpr 1
		.amdhsa_next_free_sgpr 1
		.amdhsa_reserve_vcc 0
		.amdhsa_reserve_flat_scratch 0
		.amdhsa_float_round_mode_32 0
		.amdhsa_float_round_mode_16_64 0
		.amdhsa_float_denorm_mode_32 3
		.amdhsa_float_denorm_mode_16_64 3
		.amdhsa_dx10_clamp 1
		.amdhsa_ieee_mode 1
		.amdhsa_fp16_overflow 0
		.amdhsa_workgroup_processor_mode 1
		.amdhsa_memory_ordered 1
		.amdhsa_forward_progress 1
		.amdhsa_shared_vgpr_count 0
		.amdhsa_exception_fp_ieee_invalid_op 0
		.amdhsa_exception_fp_denorm_src 0
		.amdhsa_exception_fp_ieee_div_zero 0
		.amdhsa_exception_fp_ieee_overflow 0
		.amdhsa_exception_fp_ieee_underflow 0
		.amdhsa_exception_fp_ieee_inexact 0
		.amdhsa_exception_int_div_zero 0
	.end_amdhsa_kernel
	.section	.text._ZN7rocprim17ROCPRIM_400000_NS6detail17trampoline_kernelINS0_14default_configENS1_35radix_sort_onesweep_config_selectorIiiEEZZNS1_29radix_sort_onesweep_iterationIS3_Lb0EN6thrust23THRUST_200600_302600_NS6detail15normal_iteratorINS8_10device_ptrIiEEEESD_SD_SD_jNS0_19identity_decomposerENS1_16block_id_wrapperIjLb1EEEEE10hipError_tT1_PNSt15iterator_traitsISI_E10value_typeET2_T3_PNSJ_ISO_E10value_typeET4_T5_PST_SU_PNS1_23onesweep_lookback_stateEbbT6_jjT7_P12ihipStream_tbENKUlT_T0_SI_SN_E_clIPiSD_S15_SD_EEDaS11_S12_SI_SN_EUlS11_E_NS1_11comp_targetILNS1_3genE9ELNS1_11target_archE1100ELNS1_3gpuE3ELNS1_3repE0EEENS1_47radix_sort_onesweep_sort_config_static_selectorELNS0_4arch9wavefront6targetE0EEEvSI_,"axG",@progbits,_ZN7rocprim17ROCPRIM_400000_NS6detail17trampoline_kernelINS0_14default_configENS1_35radix_sort_onesweep_config_selectorIiiEEZZNS1_29radix_sort_onesweep_iterationIS3_Lb0EN6thrust23THRUST_200600_302600_NS6detail15normal_iteratorINS8_10device_ptrIiEEEESD_SD_SD_jNS0_19identity_decomposerENS1_16block_id_wrapperIjLb1EEEEE10hipError_tT1_PNSt15iterator_traitsISI_E10value_typeET2_T3_PNSJ_ISO_E10value_typeET4_T5_PST_SU_PNS1_23onesweep_lookback_stateEbbT6_jjT7_P12ihipStream_tbENKUlT_T0_SI_SN_E_clIPiSD_S15_SD_EEDaS11_S12_SI_SN_EUlS11_E_NS1_11comp_targetILNS1_3genE9ELNS1_11target_archE1100ELNS1_3gpuE3ELNS1_3repE0EEENS1_47radix_sort_onesweep_sort_config_static_selectorELNS0_4arch9wavefront6targetE0EEEvSI_,comdat
.Lfunc_end847:
	.size	_ZN7rocprim17ROCPRIM_400000_NS6detail17trampoline_kernelINS0_14default_configENS1_35radix_sort_onesweep_config_selectorIiiEEZZNS1_29radix_sort_onesweep_iterationIS3_Lb0EN6thrust23THRUST_200600_302600_NS6detail15normal_iteratorINS8_10device_ptrIiEEEESD_SD_SD_jNS0_19identity_decomposerENS1_16block_id_wrapperIjLb1EEEEE10hipError_tT1_PNSt15iterator_traitsISI_E10value_typeET2_T3_PNSJ_ISO_E10value_typeET4_T5_PST_SU_PNS1_23onesweep_lookback_stateEbbT6_jjT7_P12ihipStream_tbENKUlT_T0_SI_SN_E_clIPiSD_S15_SD_EEDaS11_S12_SI_SN_EUlS11_E_NS1_11comp_targetILNS1_3genE9ELNS1_11target_archE1100ELNS1_3gpuE3ELNS1_3repE0EEENS1_47radix_sort_onesweep_sort_config_static_selectorELNS0_4arch9wavefront6targetE0EEEvSI_, .Lfunc_end847-_ZN7rocprim17ROCPRIM_400000_NS6detail17trampoline_kernelINS0_14default_configENS1_35radix_sort_onesweep_config_selectorIiiEEZZNS1_29radix_sort_onesweep_iterationIS3_Lb0EN6thrust23THRUST_200600_302600_NS6detail15normal_iteratorINS8_10device_ptrIiEEEESD_SD_SD_jNS0_19identity_decomposerENS1_16block_id_wrapperIjLb1EEEEE10hipError_tT1_PNSt15iterator_traitsISI_E10value_typeET2_T3_PNSJ_ISO_E10value_typeET4_T5_PST_SU_PNS1_23onesweep_lookback_stateEbbT6_jjT7_P12ihipStream_tbENKUlT_T0_SI_SN_E_clIPiSD_S15_SD_EEDaS11_S12_SI_SN_EUlS11_E_NS1_11comp_targetILNS1_3genE9ELNS1_11target_archE1100ELNS1_3gpuE3ELNS1_3repE0EEENS1_47radix_sort_onesweep_sort_config_static_selectorELNS0_4arch9wavefront6targetE0EEEvSI_
                                        ; -- End function
	.set _ZN7rocprim17ROCPRIM_400000_NS6detail17trampoline_kernelINS0_14default_configENS1_35radix_sort_onesweep_config_selectorIiiEEZZNS1_29radix_sort_onesweep_iterationIS3_Lb0EN6thrust23THRUST_200600_302600_NS6detail15normal_iteratorINS8_10device_ptrIiEEEESD_SD_SD_jNS0_19identity_decomposerENS1_16block_id_wrapperIjLb1EEEEE10hipError_tT1_PNSt15iterator_traitsISI_E10value_typeET2_T3_PNSJ_ISO_E10value_typeET4_T5_PST_SU_PNS1_23onesweep_lookback_stateEbbT6_jjT7_P12ihipStream_tbENKUlT_T0_SI_SN_E_clIPiSD_S15_SD_EEDaS11_S12_SI_SN_EUlS11_E_NS1_11comp_targetILNS1_3genE9ELNS1_11target_archE1100ELNS1_3gpuE3ELNS1_3repE0EEENS1_47radix_sort_onesweep_sort_config_static_selectorELNS0_4arch9wavefront6targetE0EEEvSI_.num_vgpr, 0
	.set _ZN7rocprim17ROCPRIM_400000_NS6detail17trampoline_kernelINS0_14default_configENS1_35radix_sort_onesweep_config_selectorIiiEEZZNS1_29radix_sort_onesweep_iterationIS3_Lb0EN6thrust23THRUST_200600_302600_NS6detail15normal_iteratorINS8_10device_ptrIiEEEESD_SD_SD_jNS0_19identity_decomposerENS1_16block_id_wrapperIjLb1EEEEE10hipError_tT1_PNSt15iterator_traitsISI_E10value_typeET2_T3_PNSJ_ISO_E10value_typeET4_T5_PST_SU_PNS1_23onesweep_lookback_stateEbbT6_jjT7_P12ihipStream_tbENKUlT_T0_SI_SN_E_clIPiSD_S15_SD_EEDaS11_S12_SI_SN_EUlS11_E_NS1_11comp_targetILNS1_3genE9ELNS1_11target_archE1100ELNS1_3gpuE3ELNS1_3repE0EEENS1_47radix_sort_onesweep_sort_config_static_selectorELNS0_4arch9wavefront6targetE0EEEvSI_.num_agpr, 0
	.set _ZN7rocprim17ROCPRIM_400000_NS6detail17trampoline_kernelINS0_14default_configENS1_35radix_sort_onesweep_config_selectorIiiEEZZNS1_29radix_sort_onesweep_iterationIS3_Lb0EN6thrust23THRUST_200600_302600_NS6detail15normal_iteratorINS8_10device_ptrIiEEEESD_SD_SD_jNS0_19identity_decomposerENS1_16block_id_wrapperIjLb1EEEEE10hipError_tT1_PNSt15iterator_traitsISI_E10value_typeET2_T3_PNSJ_ISO_E10value_typeET4_T5_PST_SU_PNS1_23onesweep_lookback_stateEbbT6_jjT7_P12ihipStream_tbENKUlT_T0_SI_SN_E_clIPiSD_S15_SD_EEDaS11_S12_SI_SN_EUlS11_E_NS1_11comp_targetILNS1_3genE9ELNS1_11target_archE1100ELNS1_3gpuE3ELNS1_3repE0EEENS1_47radix_sort_onesweep_sort_config_static_selectorELNS0_4arch9wavefront6targetE0EEEvSI_.numbered_sgpr, 0
	.set _ZN7rocprim17ROCPRIM_400000_NS6detail17trampoline_kernelINS0_14default_configENS1_35radix_sort_onesweep_config_selectorIiiEEZZNS1_29radix_sort_onesweep_iterationIS3_Lb0EN6thrust23THRUST_200600_302600_NS6detail15normal_iteratorINS8_10device_ptrIiEEEESD_SD_SD_jNS0_19identity_decomposerENS1_16block_id_wrapperIjLb1EEEEE10hipError_tT1_PNSt15iterator_traitsISI_E10value_typeET2_T3_PNSJ_ISO_E10value_typeET4_T5_PST_SU_PNS1_23onesweep_lookback_stateEbbT6_jjT7_P12ihipStream_tbENKUlT_T0_SI_SN_E_clIPiSD_S15_SD_EEDaS11_S12_SI_SN_EUlS11_E_NS1_11comp_targetILNS1_3genE9ELNS1_11target_archE1100ELNS1_3gpuE3ELNS1_3repE0EEENS1_47radix_sort_onesweep_sort_config_static_selectorELNS0_4arch9wavefront6targetE0EEEvSI_.num_named_barrier, 0
	.set _ZN7rocprim17ROCPRIM_400000_NS6detail17trampoline_kernelINS0_14default_configENS1_35radix_sort_onesweep_config_selectorIiiEEZZNS1_29radix_sort_onesweep_iterationIS3_Lb0EN6thrust23THRUST_200600_302600_NS6detail15normal_iteratorINS8_10device_ptrIiEEEESD_SD_SD_jNS0_19identity_decomposerENS1_16block_id_wrapperIjLb1EEEEE10hipError_tT1_PNSt15iterator_traitsISI_E10value_typeET2_T3_PNSJ_ISO_E10value_typeET4_T5_PST_SU_PNS1_23onesweep_lookback_stateEbbT6_jjT7_P12ihipStream_tbENKUlT_T0_SI_SN_E_clIPiSD_S15_SD_EEDaS11_S12_SI_SN_EUlS11_E_NS1_11comp_targetILNS1_3genE9ELNS1_11target_archE1100ELNS1_3gpuE3ELNS1_3repE0EEENS1_47radix_sort_onesweep_sort_config_static_selectorELNS0_4arch9wavefront6targetE0EEEvSI_.private_seg_size, 0
	.set _ZN7rocprim17ROCPRIM_400000_NS6detail17trampoline_kernelINS0_14default_configENS1_35radix_sort_onesweep_config_selectorIiiEEZZNS1_29radix_sort_onesweep_iterationIS3_Lb0EN6thrust23THRUST_200600_302600_NS6detail15normal_iteratorINS8_10device_ptrIiEEEESD_SD_SD_jNS0_19identity_decomposerENS1_16block_id_wrapperIjLb1EEEEE10hipError_tT1_PNSt15iterator_traitsISI_E10value_typeET2_T3_PNSJ_ISO_E10value_typeET4_T5_PST_SU_PNS1_23onesweep_lookback_stateEbbT6_jjT7_P12ihipStream_tbENKUlT_T0_SI_SN_E_clIPiSD_S15_SD_EEDaS11_S12_SI_SN_EUlS11_E_NS1_11comp_targetILNS1_3genE9ELNS1_11target_archE1100ELNS1_3gpuE3ELNS1_3repE0EEENS1_47radix_sort_onesweep_sort_config_static_selectorELNS0_4arch9wavefront6targetE0EEEvSI_.uses_vcc, 0
	.set _ZN7rocprim17ROCPRIM_400000_NS6detail17trampoline_kernelINS0_14default_configENS1_35radix_sort_onesweep_config_selectorIiiEEZZNS1_29radix_sort_onesweep_iterationIS3_Lb0EN6thrust23THRUST_200600_302600_NS6detail15normal_iteratorINS8_10device_ptrIiEEEESD_SD_SD_jNS0_19identity_decomposerENS1_16block_id_wrapperIjLb1EEEEE10hipError_tT1_PNSt15iterator_traitsISI_E10value_typeET2_T3_PNSJ_ISO_E10value_typeET4_T5_PST_SU_PNS1_23onesweep_lookback_stateEbbT6_jjT7_P12ihipStream_tbENKUlT_T0_SI_SN_E_clIPiSD_S15_SD_EEDaS11_S12_SI_SN_EUlS11_E_NS1_11comp_targetILNS1_3genE9ELNS1_11target_archE1100ELNS1_3gpuE3ELNS1_3repE0EEENS1_47radix_sort_onesweep_sort_config_static_selectorELNS0_4arch9wavefront6targetE0EEEvSI_.uses_flat_scratch, 0
	.set _ZN7rocprim17ROCPRIM_400000_NS6detail17trampoline_kernelINS0_14default_configENS1_35radix_sort_onesweep_config_selectorIiiEEZZNS1_29radix_sort_onesweep_iterationIS3_Lb0EN6thrust23THRUST_200600_302600_NS6detail15normal_iteratorINS8_10device_ptrIiEEEESD_SD_SD_jNS0_19identity_decomposerENS1_16block_id_wrapperIjLb1EEEEE10hipError_tT1_PNSt15iterator_traitsISI_E10value_typeET2_T3_PNSJ_ISO_E10value_typeET4_T5_PST_SU_PNS1_23onesweep_lookback_stateEbbT6_jjT7_P12ihipStream_tbENKUlT_T0_SI_SN_E_clIPiSD_S15_SD_EEDaS11_S12_SI_SN_EUlS11_E_NS1_11comp_targetILNS1_3genE9ELNS1_11target_archE1100ELNS1_3gpuE3ELNS1_3repE0EEENS1_47radix_sort_onesweep_sort_config_static_selectorELNS0_4arch9wavefront6targetE0EEEvSI_.has_dyn_sized_stack, 0
	.set _ZN7rocprim17ROCPRIM_400000_NS6detail17trampoline_kernelINS0_14default_configENS1_35radix_sort_onesweep_config_selectorIiiEEZZNS1_29radix_sort_onesweep_iterationIS3_Lb0EN6thrust23THRUST_200600_302600_NS6detail15normal_iteratorINS8_10device_ptrIiEEEESD_SD_SD_jNS0_19identity_decomposerENS1_16block_id_wrapperIjLb1EEEEE10hipError_tT1_PNSt15iterator_traitsISI_E10value_typeET2_T3_PNSJ_ISO_E10value_typeET4_T5_PST_SU_PNS1_23onesweep_lookback_stateEbbT6_jjT7_P12ihipStream_tbENKUlT_T0_SI_SN_E_clIPiSD_S15_SD_EEDaS11_S12_SI_SN_EUlS11_E_NS1_11comp_targetILNS1_3genE9ELNS1_11target_archE1100ELNS1_3gpuE3ELNS1_3repE0EEENS1_47radix_sort_onesweep_sort_config_static_selectorELNS0_4arch9wavefront6targetE0EEEvSI_.has_recursion, 0
	.set _ZN7rocprim17ROCPRIM_400000_NS6detail17trampoline_kernelINS0_14default_configENS1_35radix_sort_onesweep_config_selectorIiiEEZZNS1_29radix_sort_onesweep_iterationIS3_Lb0EN6thrust23THRUST_200600_302600_NS6detail15normal_iteratorINS8_10device_ptrIiEEEESD_SD_SD_jNS0_19identity_decomposerENS1_16block_id_wrapperIjLb1EEEEE10hipError_tT1_PNSt15iterator_traitsISI_E10value_typeET2_T3_PNSJ_ISO_E10value_typeET4_T5_PST_SU_PNS1_23onesweep_lookback_stateEbbT6_jjT7_P12ihipStream_tbENKUlT_T0_SI_SN_E_clIPiSD_S15_SD_EEDaS11_S12_SI_SN_EUlS11_E_NS1_11comp_targetILNS1_3genE9ELNS1_11target_archE1100ELNS1_3gpuE3ELNS1_3repE0EEENS1_47radix_sort_onesweep_sort_config_static_selectorELNS0_4arch9wavefront6targetE0EEEvSI_.has_indirect_call, 0
	.section	.AMDGPU.csdata,"",@progbits
; Kernel info:
; codeLenInByte = 0
; TotalNumSgprs: 0
; NumVgprs: 0
; ScratchSize: 0
; MemoryBound: 0
; FloatMode: 240
; IeeeMode: 1
; LDSByteSize: 0 bytes/workgroup (compile time only)
; SGPRBlocks: 0
; VGPRBlocks: 0
; NumSGPRsForWavesPerEU: 1
; NumVGPRsForWavesPerEU: 1
; Occupancy: 16
; WaveLimiterHint : 0
; COMPUTE_PGM_RSRC2:SCRATCH_EN: 0
; COMPUTE_PGM_RSRC2:USER_SGPR: 6
; COMPUTE_PGM_RSRC2:TRAP_HANDLER: 0
; COMPUTE_PGM_RSRC2:TGID_X_EN: 1
; COMPUTE_PGM_RSRC2:TGID_Y_EN: 0
; COMPUTE_PGM_RSRC2:TGID_Z_EN: 0
; COMPUTE_PGM_RSRC2:TIDIG_COMP_CNT: 0
	.section	.text._ZN7rocprim17ROCPRIM_400000_NS6detail17trampoline_kernelINS0_14default_configENS1_35radix_sort_onesweep_config_selectorIiiEEZZNS1_29radix_sort_onesweep_iterationIS3_Lb0EN6thrust23THRUST_200600_302600_NS6detail15normal_iteratorINS8_10device_ptrIiEEEESD_SD_SD_jNS0_19identity_decomposerENS1_16block_id_wrapperIjLb1EEEEE10hipError_tT1_PNSt15iterator_traitsISI_E10value_typeET2_T3_PNSJ_ISO_E10value_typeET4_T5_PST_SU_PNS1_23onesweep_lookback_stateEbbT6_jjT7_P12ihipStream_tbENKUlT_T0_SI_SN_E_clIPiSD_S15_SD_EEDaS11_S12_SI_SN_EUlS11_E_NS1_11comp_targetILNS1_3genE8ELNS1_11target_archE1030ELNS1_3gpuE2ELNS1_3repE0EEENS1_47radix_sort_onesweep_sort_config_static_selectorELNS0_4arch9wavefront6targetE0EEEvSI_,"axG",@progbits,_ZN7rocprim17ROCPRIM_400000_NS6detail17trampoline_kernelINS0_14default_configENS1_35radix_sort_onesweep_config_selectorIiiEEZZNS1_29radix_sort_onesweep_iterationIS3_Lb0EN6thrust23THRUST_200600_302600_NS6detail15normal_iteratorINS8_10device_ptrIiEEEESD_SD_SD_jNS0_19identity_decomposerENS1_16block_id_wrapperIjLb1EEEEE10hipError_tT1_PNSt15iterator_traitsISI_E10value_typeET2_T3_PNSJ_ISO_E10value_typeET4_T5_PST_SU_PNS1_23onesweep_lookback_stateEbbT6_jjT7_P12ihipStream_tbENKUlT_T0_SI_SN_E_clIPiSD_S15_SD_EEDaS11_S12_SI_SN_EUlS11_E_NS1_11comp_targetILNS1_3genE8ELNS1_11target_archE1030ELNS1_3gpuE2ELNS1_3repE0EEENS1_47radix_sort_onesweep_sort_config_static_selectorELNS0_4arch9wavefront6targetE0EEEvSI_,comdat
	.protected	_ZN7rocprim17ROCPRIM_400000_NS6detail17trampoline_kernelINS0_14default_configENS1_35radix_sort_onesweep_config_selectorIiiEEZZNS1_29radix_sort_onesweep_iterationIS3_Lb0EN6thrust23THRUST_200600_302600_NS6detail15normal_iteratorINS8_10device_ptrIiEEEESD_SD_SD_jNS0_19identity_decomposerENS1_16block_id_wrapperIjLb1EEEEE10hipError_tT1_PNSt15iterator_traitsISI_E10value_typeET2_T3_PNSJ_ISO_E10value_typeET4_T5_PST_SU_PNS1_23onesweep_lookback_stateEbbT6_jjT7_P12ihipStream_tbENKUlT_T0_SI_SN_E_clIPiSD_S15_SD_EEDaS11_S12_SI_SN_EUlS11_E_NS1_11comp_targetILNS1_3genE8ELNS1_11target_archE1030ELNS1_3gpuE2ELNS1_3repE0EEENS1_47radix_sort_onesweep_sort_config_static_selectorELNS0_4arch9wavefront6targetE0EEEvSI_ ; -- Begin function _ZN7rocprim17ROCPRIM_400000_NS6detail17trampoline_kernelINS0_14default_configENS1_35radix_sort_onesweep_config_selectorIiiEEZZNS1_29radix_sort_onesweep_iterationIS3_Lb0EN6thrust23THRUST_200600_302600_NS6detail15normal_iteratorINS8_10device_ptrIiEEEESD_SD_SD_jNS0_19identity_decomposerENS1_16block_id_wrapperIjLb1EEEEE10hipError_tT1_PNSt15iterator_traitsISI_E10value_typeET2_T3_PNSJ_ISO_E10value_typeET4_T5_PST_SU_PNS1_23onesweep_lookback_stateEbbT6_jjT7_P12ihipStream_tbENKUlT_T0_SI_SN_E_clIPiSD_S15_SD_EEDaS11_S12_SI_SN_EUlS11_E_NS1_11comp_targetILNS1_3genE8ELNS1_11target_archE1030ELNS1_3gpuE2ELNS1_3repE0EEENS1_47radix_sort_onesweep_sort_config_static_selectorELNS0_4arch9wavefront6targetE0EEEvSI_
	.globl	_ZN7rocprim17ROCPRIM_400000_NS6detail17trampoline_kernelINS0_14default_configENS1_35radix_sort_onesweep_config_selectorIiiEEZZNS1_29radix_sort_onesweep_iterationIS3_Lb0EN6thrust23THRUST_200600_302600_NS6detail15normal_iteratorINS8_10device_ptrIiEEEESD_SD_SD_jNS0_19identity_decomposerENS1_16block_id_wrapperIjLb1EEEEE10hipError_tT1_PNSt15iterator_traitsISI_E10value_typeET2_T3_PNSJ_ISO_E10value_typeET4_T5_PST_SU_PNS1_23onesweep_lookback_stateEbbT6_jjT7_P12ihipStream_tbENKUlT_T0_SI_SN_E_clIPiSD_S15_SD_EEDaS11_S12_SI_SN_EUlS11_E_NS1_11comp_targetILNS1_3genE8ELNS1_11target_archE1030ELNS1_3gpuE2ELNS1_3repE0EEENS1_47radix_sort_onesweep_sort_config_static_selectorELNS0_4arch9wavefront6targetE0EEEvSI_
	.p2align	8
	.type	_ZN7rocprim17ROCPRIM_400000_NS6detail17trampoline_kernelINS0_14default_configENS1_35radix_sort_onesweep_config_selectorIiiEEZZNS1_29radix_sort_onesweep_iterationIS3_Lb0EN6thrust23THRUST_200600_302600_NS6detail15normal_iteratorINS8_10device_ptrIiEEEESD_SD_SD_jNS0_19identity_decomposerENS1_16block_id_wrapperIjLb1EEEEE10hipError_tT1_PNSt15iterator_traitsISI_E10value_typeET2_T3_PNSJ_ISO_E10value_typeET4_T5_PST_SU_PNS1_23onesweep_lookback_stateEbbT6_jjT7_P12ihipStream_tbENKUlT_T0_SI_SN_E_clIPiSD_S15_SD_EEDaS11_S12_SI_SN_EUlS11_E_NS1_11comp_targetILNS1_3genE8ELNS1_11target_archE1030ELNS1_3gpuE2ELNS1_3repE0EEENS1_47radix_sort_onesweep_sort_config_static_selectorELNS0_4arch9wavefront6targetE0EEEvSI_,@function
_ZN7rocprim17ROCPRIM_400000_NS6detail17trampoline_kernelINS0_14default_configENS1_35radix_sort_onesweep_config_selectorIiiEEZZNS1_29radix_sort_onesweep_iterationIS3_Lb0EN6thrust23THRUST_200600_302600_NS6detail15normal_iteratorINS8_10device_ptrIiEEEESD_SD_SD_jNS0_19identity_decomposerENS1_16block_id_wrapperIjLb1EEEEE10hipError_tT1_PNSt15iterator_traitsISI_E10value_typeET2_T3_PNSJ_ISO_E10value_typeET4_T5_PST_SU_PNS1_23onesweep_lookback_stateEbbT6_jjT7_P12ihipStream_tbENKUlT_T0_SI_SN_E_clIPiSD_S15_SD_EEDaS11_S12_SI_SN_EUlS11_E_NS1_11comp_targetILNS1_3genE8ELNS1_11target_archE1030ELNS1_3gpuE2ELNS1_3repE0EEENS1_47radix_sort_onesweep_sort_config_static_selectorELNS0_4arch9wavefront6targetE0EEEvSI_: ; @_ZN7rocprim17ROCPRIM_400000_NS6detail17trampoline_kernelINS0_14default_configENS1_35radix_sort_onesweep_config_selectorIiiEEZZNS1_29radix_sort_onesweep_iterationIS3_Lb0EN6thrust23THRUST_200600_302600_NS6detail15normal_iteratorINS8_10device_ptrIiEEEESD_SD_SD_jNS0_19identity_decomposerENS1_16block_id_wrapperIjLb1EEEEE10hipError_tT1_PNSt15iterator_traitsISI_E10value_typeET2_T3_PNSJ_ISO_E10value_typeET4_T5_PST_SU_PNS1_23onesweep_lookback_stateEbbT6_jjT7_P12ihipStream_tbENKUlT_T0_SI_SN_E_clIPiSD_S15_SD_EEDaS11_S12_SI_SN_EUlS11_E_NS1_11comp_targetILNS1_3genE8ELNS1_11target_archE1030ELNS1_3gpuE2ELNS1_3repE0EEENS1_47radix_sort_onesweep_sort_config_static_selectorELNS0_4arch9wavefront6targetE0EEEvSI_
; %bb.0:
	s_clause 0x2
	s_load_dwordx4 s[28:31], s[4:5], 0x28
	s_load_dwordx2 s[26:27], s[4:5], 0x38
	s_load_dwordx4 s[44:47], s[4:5], 0x44
	s_add_u32 s0, s0, s7
	v_cmp_eq_u32_e64 s7, 0, v0
	s_addc_u32 s1, s1, 0
	s_and_saveexec_b32 s8, s7
	s_cbranch_execz .LBB848_4
; %bb.1:
	s_mov_b32 s10, exec_lo
	s_mov_b32 s9, exec_lo
	v_mbcnt_lo_u32_b32 v3, s10, 0
                                        ; implicit-def: $vgpr4
	v_cmpx_eq_u32_e32 0, v3
	s_cbranch_execz .LBB848_3
; %bb.2:
	s_load_dwordx2 s[12:13], s[4:5], 0x50
	s_bcnt1_i32_b32 s10, s10
	v_mov_b32_e32 v4, 0
	v_mov_b32_e32 v5, s10
	s_waitcnt lgkmcnt(0)
	global_atomic_add v4, v4, v5, s[12:13] glc
.LBB848_3:
	s_or_b32 exec_lo, exec_lo, s9
	s_waitcnt vmcnt(0)
	v_readfirstlane_b32 s9, v4
	v_mov_b32_e32 v4, 0
	v_add_nc_u32_e32 v3, s9, v3
	ds_write_b32 v4, v3 offset:36992
.LBB848_4:
	s_or_b32 exec_lo, exec_lo, s8
	v_mov_b32_e32 v3, 0
	s_clause 0x1
	s_load_dwordx8 s[36:43], s[4:5], 0x0
	s_load_dword s8, s[4:5], 0x20
	s_waitcnt lgkmcnt(0)
	s_barrier
	buffer_gl0_inv
	ds_read_b32 v3, v3 offset:36992
	v_mbcnt_lo_u32_b32 v11, -1, 0
	v_and_b32_e32 v12, 0x3e0, v0
	s_mov_b32 s9, -1
	s_waitcnt lgkmcnt(0)
	s_barrier
	buffer_gl0_inv
	v_readfirstlane_b32 s33, v3
	v_cmp_le_u32_e32 vcc_lo, s46, v3
	s_mul_i32 s34, s33, 0x3000
	s_cbranch_vccz .LBB848_136
; %bb.5:
	s_mov_b32 s35, 0
	s_mul_i32 s48, s46, 0xffffd000
	v_mul_u32_u24_e32 v3, 12, v12
	v_lshlrev_b32_e32 v13, 2, v11
	s_lshl_b64 s[46:47], s[34:35], 2
	s_add_i32 s48, s48, s8
	s_add_u32 s8, s36, s46
	s_addc_u32 s9, s37, s47
	v_lshlrev_b32_e32 v14, 2, v3
	v_add_co_u32 v4, s8, s8, v13
	v_add_co_ci_u32_e64 v6, null, s9, 0, s8
	v_or_b32_e32 v5, v11, v3
	v_add_co_u32 v3, vcc_lo, v4, v14
	v_mov_b32_e32 v15, -1
	v_add_co_ci_u32_e64 v4, null, 0, v6, vcc_lo
	v_cmp_gt_u32_e64 s8, s48, v5
	v_mov_b32_e32 v16, -1
	s_and_saveexec_b32 s9, s8
	s_cbranch_execz .LBB848_7
; %bb.6:
	global_load_dword v6, v[3:4], off
	s_waitcnt vmcnt(0)
	v_xor_b32_e32 v16, 0x80000000, v6
.LBB848_7:
	s_or_b32 exec_lo, exec_lo, s9
	v_or_b32_e32 v6, 32, v5
	v_cmp_gt_u32_e64 s9, s48, v6
	s_and_saveexec_b32 s10, s9
	s_cbranch_execz .LBB848_9
; %bb.8:
	global_load_dword v6, v[3:4], off offset:128
	s_waitcnt vmcnt(0)
	v_xor_b32_e32 v15, 0x80000000, v6
.LBB848_9:
	s_or_b32 exec_lo, exec_lo, s10
	v_or_b32_e32 v6, 64, v5
	v_mov_b32_e32 v17, -1
	v_mov_b32_e32 v18, -1
	v_cmp_gt_u32_e64 s10, s48, v6
	s_and_saveexec_b32 s11, s10
	s_cbranch_execz .LBB848_11
; %bb.10:
	global_load_dword v6, v[3:4], off offset:256
	s_waitcnt vmcnt(0)
	v_xor_b32_e32 v18, 0x80000000, v6
.LBB848_11:
	s_or_b32 exec_lo, exec_lo, s11
	v_or_b32_e32 v6, 0x60, v5
	v_cmp_gt_u32_e64 s11, s48, v6
	s_and_saveexec_b32 s12, s11
	s_cbranch_execz .LBB848_13
; %bb.12:
	global_load_dword v6, v[3:4], off offset:384
	s_waitcnt vmcnt(0)
	v_xor_b32_e32 v17, 0x80000000, v6
.LBB848_13:
	s_or_b32 exec_lo, exec_lo, s12
	v_add_nc_u32_e32 v6, 0x80, v5
	v_mov_b32_e32 v19, -1
	v_mov_b32_e32 v20, -1
	v_cmp_gt_u32_e64 s12, s48, v6
	s_and_saveexec_b32 s13, s12
	s_cbranch_execz .LBB848_15
; %bb.14:
	global_load_dword v6, v[3:4], off offset:512
	s_waitcnt vmcnt(0)
	v_xor_b32_e32 v20, 0x80000000, v6
.LBB848_15:
	s_or_b32 exec_lo, exec_lo, s13
	v_add_nc_u32_e32 v6, 0xa0, v5
	v_cmp_gt_u32_e64 s13, s48, v6
	s_and_saveexec_b32 s14, s13
	s_cbranch_execz .LBB848_17
; %bb.16:
	global_load_dword v6, v[3:4], off offset:640
	s_waitcnt vmcnt(0)
	v_xor_b32_e32 v19, 0x80000000, v6
.LBB848_17:
	s_or_b32 exec_lo, exec_lo, s14
	v_add_nc_u32_e32 v6, 0xc0, v5
	v_mov_b32_e32 v21, -1
	v_mov_b32_e32 v22, -1
	v_cmp_gt_u32_e64 s14, s48, v6
	s_and_saveexec_b32 s15, s14
	s_cbranch_execz .LBB848_19
; %bb.18:
	global_load_dword v6, v[3:4], off offset:768
	s_waitcnt vmcnt(0)
	v_xor_b32_e32 v22, 0x80000000, v6
.LBB848_19:
	s_or_b32 exec_lo, exec_lo, s15
	v_add_nc_u32_e32 v6, 0xe0, v5
	;; [unrolled: 22-line block ×4, first 2 shown]
	v_cmp_gt_u32_e64 s19, s48, v5
	s_and_saveexec_b32 s20, s19
	s_cbranch_execz .LBB848_29
; %bb.28:
	global_load_dword v3, v[3:4], off offset:1408
	s_waitcnt vmcnt(0)
	v_xor_b32_e32 v25, 0x80000000, v3
.LBB848_29:
	s_or_b32 exec_lo, exec_lo, s20
	s_clause 0x1
	s_load_dword s20, s[4:5], 0x64
	s_load_dword s35, s[4:5], 0x58
	s_add_u32 s21, s4, 0x58
	s_addc_u32 s22, s5, 0
	v_mov_b32_e32 v5, 0
	v_lshrrev_b32_e32 v4, s44, v16
	s_waitcnt lgkmcnt(0)
	s_lshr_b32 s23, s20, 16
	s_cmp_lt_u32 s6, s35
	s_cselect_b32 s20, 12, 18
	s_add_u32 s20, s21, s20
	s_addc_u32 s21, s22, 0
	global_load_ushort v3, v5, s[20:21]
	s_lshl_b32 s20, -1, s45
	s_not_b32 s49, s20
	v_and_b32_e32 v6, s49, v4
	v_and_b32_e32 v4, 1, v6
	v_lshlrev_b32_e32 v7, 30, v6
	v_lshlrev_b32_e32 v8, 29, v6
	;; [unrolled: 1-line block ×4, first 2 shown]
	v_add_co_u32 v4, s20, v4, -1
	v_cndmask_b32_e64 v10, 0, 1, s20
	v_not_b32_e32 v30, v7
	v_cmp_gt_i32_e64 s20, 0, v7
	v_not_b32_e32 v7, v8
	v_lshlrev_b32_e32 v28, 26, v6
	v_cmp_ne_u32_e32 vcc_lo, 0, v10
	v_ashrrev_i32_e32 v30, 31, v30
	v_lshlrev_b32_e32 v29, 25, v6
	v_ashrrev_i32_e32 v7, 31, v7
	v_lshlrev_b32_e32 v10, 24, v6
	v_xor_b32_e32 v4, vcc_lo, v4
	v_cmp_gt_i32_e32 vcc_lo, 0, v8
	v_not_b32_e32 v8, v9
	v_xor_b32_e32 v30, s20, v30
	v_cmp_gt_i32_e64 s20, 0, v9
	v_and_b32_e32 v4, exec_lo, v4
	v_not_b32_e32 v9, v27
	v_ashrrev_i32_e32 v8, 31, v8
	v_xor_b32_e32 v7, vcc_lo, v7
	v_cmp_gt_i32_e32 vcc_lo, 0, v27
	v_and_b32_e32 v4, v4, v30
	v_not_b32_e32 v27, v28
	v_ashrrev_i32_e32 v9, 31, v9
	v_xor_b32_e32 v8, s20, v8
	v_cmp_gt_i32_e64 s20, 0, v28
	v_and_b32_e32 v4, v4, v7
	v_not_b32_e32 v7, v29
	v_ashrrev_i32_e32 v27, 31, v27
	v_xor_b32_e32 v9, vcc_lo, v9
	v_cmp_gt_i32_e32 vcc_lo, 0, v29
	v_and_b32_e32 v4, v4, v8
	v_not_b32_e32 v8, v10
	v_ashrrev_i32_e32 v7, 31, v7
	v_xor_b32_e32 v27, s20, v27
	v_cmp_gt_i32_e64 s20, 0, v10
	v_and_b32_e32 v4, v4, v9
	v_ashrrev_i32_e32 v8, 31, v8
	v_xor_b32_e32 v7, vcc_lo, v7
	v_mad_u32_u24 v9, v2, s23, v1
	v_mul_lo_u32 v6, 0x84, v6
	v_and_b32_e32 v4, v4, v27
	v_xor_b32_e32 v8, s20, v8
	v_mul_u32_u24_e32 v30, 36, v0
	ds_write2_b32 v30, v5, v5 offset0:32 offset1:33
	ds_write2_b32 v30, v5, v5 offset0:34 offset1:35
	ds_write2_b32 v30, v5, v5 offset0:36 offset1:37
	v_and_b32_e32 v7, v4, v7
	ds_write2_b32 v30, v5, v5 offset0:38 offset1:39
	ds_write_b32 v30, v5 offset:160
	s_waitcnt vmcnt(0) lgkmcnt(0)
	s_barrier
	buffer_gl0_inv
	; wave barrier
	v_mad_u64_u32 v[3:4], null, v9, v3, v[0:1]
	v_and_b32_e32 v4, v7, v8
	v_mbcnt_lo_u32_b32 v27, v4, 0
	v_lshrrev_b32_e32 v3, 5, v3
	v_cmp_ne_u32_e64 s20, 0, v4
	v_cmp_eq_u32_e32 vcc_lo, 0, v27
	v_lshl_add_u32 v31, v3, 2, v6
	s_and_b32 s21, s20, vcc_lo
	s_and_saveexec_b32 s20, s21
; %bb.30:
	v_bcnt_u32_b32 v4, v4, 0
	ds_write_b32 v31, v4 offset:128
; %bb.31:
	s_or_b32 exec_lo, exec_lo, s20
	v_lshrrev_b32_e32 v4, s44, v15
	; wave barrier
	v_and_b32_e32 v4, s49, v4
	v_and_b32_e32 v6, 1, v4
	v_lshlrev_b32_e32 v7, 30, v4
	v_lshlrev_b32_e32 v8, 29, v4
	;; [unrolled: 1-line block ×4, first 2 shown]
	v_add_co_u32 v6, s20, v6, -1
	v_cndmask_b32_e64 v10, 0, 1, s20
	v_not_b32_e32 v33, v7
	v_cmp_gt_i32_e64 s20, 0, v7
	v_not_b32_e32 v7, v8
	v_lshlrev_b32_e32 v29, 26, v4
	v_cmp_ne_u32_e32 vcc_lo, 0, v10
	v_ashrrev_i32_e32 v10, 31, v33
	v_lshlrev_b32_e32 v32, 25, v4
	v_ashrrev_i32_e32 v7, 31, v7
	v_mul_lo_u32 v5, 0x84, v4
	v_xor_b32_e32 v6, vcc_lo, v6
	v_cmp_gt_i32_e32 vcc_lo, 0, v8
	v_not_b32_e32 v8, v9
	v_xor_b32_e32 v10, s20, v10
	v_cmp_gt_i32_e64 s20, 0, v9
	v_and_b32_e32 v6, exec_lo, v6
	v_not_b32_e32 v9, v28
	v_ashrrev_i32_e32 v8, 31, v8
	v_xor_b32_e32 v7, vcc_lo, v7
	v_cmp_gt_i32_e32 vcc_lo, 0, v28
	v_and_b32_e32 v6, v6, v10
	v_not_b32_e32 v10, v29
	v_ashrrev_i32_e32 v9, 31, v9
	v_xor_b32_e32 v8, s20, v8
	v_lshlrev_b32_e32 v4, 24, v4
	v_and_b32_e32 v6, v6, v7
	v_cmp_gt_i32_e64 s20, 0, v29
	v_not_b32_e32 v7, v32
	v_ashrrev_i32_e32 v10, 31, v10
	v_xor_b32_e32 v9, vcc_lo, v9
	v_and_b32_e32 v6, v6, v8
	v_cmp_gt_i32_e32 vcc_lo, 0, v32
	v_not_b32_e32 v8, v4
	v_ashrrev_i32_e32 v7, 31, v7
	v_xor_b32_e32 v10, s20, v10
	v_and_b32_e32 v6, v6, v9
	v_cmp_gt_i32_e64 s20, 0, v4
	v_ashrrev_i32_e32 v4, 31, v8
	v_xor_b32_e32 v7, vcc_lo, v7
	v_lshl_add_u32 v34, v3, 2, v5
	v_and_b32_e32 v6, v6, v10
	v_xor_b32_e32 v4, s20, v4
	ds_read_b32 v28, v34 offset:128
	v_and_b32_e32 v5, v6, v7
	; wave barrier
	v_and_b32_e32 v4, v5, v4
	v_mbcnt_lo_u32_b32 v29, v4, 0
	v_cmp_ne_u32_e64 s20, 0, v4
	v_cmp_eq_u32_e32 vcc_lo, 0, v29
	s_and_b32 s21, s20, vcc_lo
	s_and_saveexec_b32 s20, s21
	s_cbranch_execz .LBB848_33
; %bb.32:
	s_waitcnt lgkmcnt(0)
	v_bcnt_u32_b32 v4, v4, v28
	ds_write_b32 v34, v4 offset:128
.LBB848_33:
	s_or_b32 exec_lo, exec_lo, s20
	v_lshrrev_b32_e32 v4, s44, v18
	; wave barrier
	v_and_b32_e32 v4, s49, v4
	v_and_b32_e32 v6, 1, v4
	v_lshlrev_b32_e32 v7, 30, v4
	v_lshlrev_b32_e32 v8, 29, v4
	;; [unrolled: 1-line block ×4, first 2 shown]
	v_add_co_u32 v6, s20, v6, -1
	v_cndmask_b32_e64 v10, 0, 1, s20
	v_not_b32_e32 v36, v7
	v_cmp_gt_i32_e64 s20, 0, v7
	v_not_b32_e32 v7, v8
	v_lshlrev_b32_e32 v33, 26, v4
	v_cmp_ne_u32_e32 vcc_lo, 0, v10
	v_ashrrev_i32_e32 v10, 31, v36
	v_lshlrev_b32_e32 v35, 25, v4
	v_ashrrev_i32_e32 v7, 31, v7
	v_mul_lo_u32 v5, 0x84, v4
	v_xor_b32_e32 v6, vcc_lo, v6
	v_cmp_gt_i32_e32 vcc_lo, 0, v8
	v_not_b32_e32 v8, v9
	v_xor_b32_e32 v10, s20, v10
	v_cmp_gt_i32_e64 s20, 0, v9
	v_and_b32_e32 v6, exec_lo, v6
	v_not_b32_e32 v9, v32
	v_ashrrev_i32_e32 v8, 31, v8
	v_xor_b32_e32 v7, vcc_lo, v7
	v_cmp_gt_i32_e32 vcc_lo, 0, v32
	v_and_b32_e32 v6, v6, v10
	v_not_b32_e32 v10, v33
	v_ashrrev_i32_e32 v9, 31, v9
	v_xor_b32_e32 v8, s20, v8
	v_lshlrev_b32_e32 v4, 24, v4
	v_and_b32_e32 v6, v6, v7
	v_cmp_gt_i32_e64 s20, 0, v33
	v_not_b32_e32 v7, v35
	v_ashrrev_i32_e32 v10, 31, v10
	v_xor_b32_e32 v9, vcc_lo, v9
	v_and_b32_e32 v6, v6, v8
	v_cmp_gt_i32_e32 vcc_lo, 0, v35
	v_not_b32_e32 v8, v4
	v_ashrrev_i32_e32 v7, 31, v7
	v_xor_b32_e32 v10, s20, v10
	v_and_b32_e32 v6, v6, v9
	v_cmp_gt_i32_e64 s20, 0, v4
	v_ashrrev_i32_e32 v4, 31, v8
	v_xor_b32_e32 v7, vcc_lo, v7
	v_lshl_add_u32 v37, v3, 2, v5
	v_and_b32_e32 v6, v6, v10
	v_xor_b32_e32 v4, s20, v4
	ds_read_b32 v32, v37 offset:128
	v_and_b32_e32 v5, v6, v7
	; wave barrier
	v_and_b32_e32 v4, v5, v4
	v_mbcnt_lo_u32_b32 v33, v4, 0
	v_cmp_ne_u32_e64 s20, 0, v4
	v_cmp_eq_u32_e32 vcc_lo, 0, v33
	s_and_b32 s21, s20, vcc_lo
	s_and_saveexec_b32 s20, s21
	s_cbranch_execz .LBB848_35
; %bb.34:
	s_waitcnt lgkmcnt(0)
	v_bcnt_u32_b32 v4, v4, v32
	ds_write_b32 v37, v4 offset:128
.LBB848_35:
	s_or_b32 exec_lo, exec_lo, s20
	v_lshrrev_b32_e32 v4, s44, v17
	; wave barrier
	v_and_b32_e32 v4, s49, v4
	v_and_b32_e32 v6, 1, v4
	v_lshlrev_b32_e32 v7, 30, v4
	v_lshlrev_b32_e32 v8, 29, v4
	v_lshlrev_b32_e32 v9, 28, v4
	v_lshlrev_b32_e32 v35, 27, v4
	v_add_co_u32 v6, s20, v6, -1
	v_cndmask_b32_e64 v10, 0, 1, s20
	v_not_b32_e32 v39, v7
	v_cmp_gt_i32_e64 s20, 0, v7
	v_not_b32_e32 v7, v8
	v_lshlrev_b32_e32 v36, 26, v4
	v_cmp_ne_u32_e32 vcc_lo, 0, v10
	v_ashrrev_i32_e32 v10, 31, v39
	v_lshlrev_b32_e32 v38, 25, v4
	v_ashrrev_i32_e32 v7, 31, v7
	v_mul_lo_u32 v5, 0x84, v4
	v_xor_b32_e32 v6, vcc_lo, v6
	v_cmp_gt_i32_e32 vcc_lo, 0, v8
	v_not_b32_e32 v8, v9
	v_xor_b32_e32 v10, s20, v10
	v_cmp_gt_i32_e64 s20, 0, v9
	v_and_b32_e32 v6, exec_lo, v6
	v_not_b32_e32 v9, v35
	v_ashrrev_i32_e32 v8, 31, v8
	v_xor_b32_e32 v7, vcc_lo, v7
	v_cmp_gt_i32_e32 vcc_lo, 0, v35
	v_and_b32_e32 v6, v6, v10
	v_not_b32_e32 v10, v36
	v_ashrrev_i32_e32 v9, 31, v9
	v_xor_b32_e32 v8, s20, v8
	v_lshlrev_b32_e32 v4, 24, v4
	v_and_b32_e32 v6, v6, v7
	v_cmp_gt_i32_e64 s20, 0, v36
	v_not_b32_e32 v7, v38
	v_ashrrev_i32_e32 v10, 31, v10
	v_xor_b32_e32 v9, vcc_lo, v9
	v_and_b32_e32 v6, v6, v8
	v_cmp_gt_i32_e32 vcc_lo, 0, v38
	v_not_b32_e32 v8, v4
	v_ashrrev_i32_e32 v7, 31, v7
	v_xor_b32_e32 v10, s20, v10
	v_and_b32_e32 v6, v6, v9
	v_cmp_gt_i32_e64 s20, 0, v4
	v_ashrrev_i32_e32 v4, 31, v8
	v_xor_b32_e32 v7, vcc_lo, v7
	v_lshl_add_u32 v40, v3, 2, v5
	v_and_b32_e32 v6, v6, v10
	v_xor_b32_e32 v4, s20, v4
	ds_read_b32 v35, v40 offset:128
	v_and_b32_e32 v5, v6, v7
	; wave barrier
	v_and_b32_e32 v4, v5, v4
	v_mbcnt_lo_u32_b32 v36, v4, 0
	v_cmp_ne_u32_e64 s20, 0, v4
	v_cmp_eq_u32_e32 vcc_lo, 0, v36
	s_and_b32 s21, s20, vcc_lo
	s_and_saveexec_b32 s20, s21
	s_cbranch_execz .LBB848_37
; %bb.36:
	s_waitcnt lgkmcnt(0)
	v_bcnt_u32_b32 v4, v4, v35
	ds_write_b32 v40, v4 offset:128
.LBB848_37:
	s_or_b32 exec_lo, exec_lo, s20
	v_lshrrev_b32_e32 v4, s44, v20
	; wave barrier
	v_and_b32_e32 v4, s49, v4
	v_and_b32_e32 v6, 1, v4
	v_lshlrev_b32_e32 v7, 30, v4
	v_lshlrev_b32_e32 v8, 29, v4
	;; [unrolled: 1-line block ×4, first 2 shown]
	v_add_co_u32 v6, s20, v6, -1
	v_cndmask_b32_e64 v10, 0, 1, s20
	v_not_b32_e32 v42, v7
	v_cmp_gt_i32_e64 s20, 0, v7
	v_not_b32_e32 v7, v8
	v_lshlrev_b32_e32 v39, 26, v4
	v_cmp_ne_u32_e32 vcc_lo, 0, v10
	v_ashrrev_i32_e32 v10, 31, v42
	v_lshlrev_b32_e32 v41, 25, v4
	v_ashrrev_i32_e32 v7, 31, v7
	v_mul_lo_u32 v5, 0x84, v4
	v_xor_b32_e32 v6, vcc_lo, v6
	v_cmp_gt_i32_e32 vcc_lo, 0, v8
	v_not_b32_e32 v8, v9
	v_xor_b32_e32 v10, s20, v10
	v_cmp_gt_i32_e64 s20, 0, v9
	v_and_b32_e32 v6, exec_lo, v6
	v_not_b32_e32 v9, v38
	v_ashrrev_i32_e32 v8, 31, v8
	v_xor_b32_e32 v7, vcc_lo, v7
	v_cmp_gt_i32_e32 vcc_lo, 0, v38
	v_and_b32_e32 v6, v6, v10
	v_not_b32_e32 v10, v39
	v_ashrrev_i32_e32 v9, 31, v9
	v_xor_b32_e32 v8, s20, v8
	v_lshlrev_b32_e32 v4, 24, v4
	v_and_b32_e32 v6, v6, v7
	v_cmp_gt_i32_e64 s20, 0, v39
	v_not_b32_e32 v7, v41
	v_ashrrev_i32_e32 v10, 31, v10
	v_xor_b32_e32 v9, vcc_lo, v9
	v_and_b32_e32 v6, v6, v8
	v_cmp_gt_i32_e32 vcc_lo, 0, v41
	v_not_b32_e32 v8, v4
	v_ashrrev_i32_e32 v7, 31, v7
	v_xor_b32_e32 v10, s20, v10
	v_and_b32_e32 v6, v6, v9
	v_cmp_gt_i32_e64 s20, 0, v4
	v_ashrrev_i32_e32 v4, 31, v8
	v_xor_b32_e32 v7, vcc_lo, v7
	v_lshl_add_u32 v43, v3, 2, v5
	v_and_b32_e32 v6, v6, v10
	v_xor_b32_e32 v4, s20, v4
	ds_read_b32 v38, v43 offset:128
	v_and_b32_e32 v5, v6, v7
	; wave barrier
	v_and_b32_e32 v4, v5, v4
	v_mbcnt_lo_u32_b32 v39, v4, 0
	v_cmp_ne_u32_e64 s20, 0, v4
	v_cmp_eq_u32_e32 vcc_lo, 0, v39
	s_and_b32 s21, s20, vcc_lo
	s_and_saveexec_b32 s20, s21
	s_cbranch_execz .LBB848_39
; %bb.38:
	s_waitcnt lgkmcnt(0)
	v_bcnt_u32_b32 v4, v4, v38
	ds_write_b32 v43, v4 offset:128
.LBB848_39:
	s_or_b32 exec_lo, exec_lo, s20
	v_lshrrev_b32_e32 v4, s44, v19
	; wave barrier
	v_and_b32_e32 v4, s49, v4
	v_and_b32_e32 v6, 1, v4
	v_lshlrev_b32_e32 v7, 30, v4
	v_lshlrev_b32_e32 v8, 29, v4
	;; [unrolled: 1-line block ×4, first 2 shown]
	v_add_co_u32 v6, s20, v6, -1
	v_cndmask_b32_e64 v10, 0, 1, s20
	v_not_b32_e32 v45, v7
	v_cmp_gt_i32_e64 s20, 0, v7
	v_not_b32_e32 v7, v8
	v_lshlrev_b32_e32 v42, 26, v4
	v_cmp_ne_u32_e32 vcc_lo, 0, v10
	v_ashrrev_i32_e32 v10, 31, v45
	v_lshlrev_b32_e32 v44, 25, v4
	v_ashrrev_i32_e32 v7, 31, v7
	v_mul_lo_u32 v5, 0x84, v4
	v_xor_b32_e32 v6, vcc_lo, v6
	v_cmp_gt_i32_e32 vcc_lo, 0, v8
	v_not_b32_e32 v8, v9
	v_xor_b32_e32 v10, s20, v10
	v_cmp_gt_i32_e64 s20, 0, v9
	v_and_b32_e32 v6, exec_lo, v6
	v_not_b32_e32 v9, v41
	v_ashrrev_i32_e32 v8, 31, v8
	v_xor_b32_e32 v7, vcc_lo, v7
	v_cmp_gt_i32_e32 vcc_lo, 0, v41
	v_and_b32_e32 v6, v6, v10
	v_not_b32_e32 v10, v42
	v_ashrrev_i32_e32 v9, 31, v9
	v_xor_b32_e32 v8, s20, v8
	v_lshlrev_b32_e32 v4, 24, v4
	v_and_b32_e32 v6, v6, v7
	v_cmp_gt_i32_e64 s20, 0, v42
	v_not_b32_e32 v7, v44
	v_ashrrev_i32_e32 v10, 31, v10
	v_xor_b32_e32 v9, vcc_lo, v9
	v_and_b32_e32 v6, v6, v8
	v_cmp_gt_i32_e32 vcc_lo, 0, v44
	v_not_b32_e32 v8, v4
	v_ashrrev_i32_e32 v7, 31, v7
	v_xor_b32_e32 v10, s20, v10
	v_and_b32_e32 v6, v6, v9
	v_cmp_gt_i32_e64 s20, 0, v4
	v_ashrrev_i32_e32 v4, 31, v8
	v_xor_b32_e32 v7, vcc_lo, v7
	v_lshl_add_u32 v46, v3, 2, v5
	v_and_b32_e32 v6, v6, v10
	v_xor_b32_e32 v4, s20, v4
	ds_read_b32 v41, v46 offset:128
	v_and_b32_e32 v5, v6, v7
	; wave barrier
	v_and_b32_e32 v4, v5, v4
	v_mbcnt_lo_u32_b32 v42, v4, 0
	v_cmp_ne_u32_e64 s20, 0, v4
	v_cmp_eq_u32_e32 vcc_lo, 0, v42
	s_and_b32 s21, s20, vcc_lo
	s_and_saveexec_b32 s20, s21
	s_cbranch_execz .LBB848_41
; %bb.40:
	s_waitcnt lgkmcnt(0)
	v_bcnt_u32_b32 v4, v4, v41
	ds_write_b32 v46, v4 offset:128
.LBB848_41:
	s_or_b32 exec_lo, exec_lo, s20
	v_lshrrev_b32_e32 v4, s44, v22
	; wave barrier
	v_and_b32_e32 v4, s49, v4
	v_and_b32_e32 v6, 1, v4
	v_lshlrev_b32_e32 v7, 30, v4
	v_lshlrev_b32_e32 v8, 29, v4
	;; [unrolled: 1-line block ×4, first 2 shown]
	v_add_co_u32 v6, s20, v6, -1
	v_cndmask_b32_e64 v10, 0, 1, s20
	v_not_b32_e32 v48, v7
	v_cmp_gt_i32_e64 s20, 0, v7
	v_not_b32_e32 v7, v8
	v_lshlrev_b32_e32 v45, 26, v4
	v_cmp_ne_u32_e32 vcc_lo, 0, v10
	v_ashrrev_i32_e32 v10, 31, v48
	v_lshlrev_b32_e32 v47, 25, v4
	v_ashrrev_i32_e32 v7, 31, v7
	v_mul_lo_u32 v5, 0x84, v4
	v_xor_b32_e32 v6, vcc_lo, v6
	v_cmp_gt_i32_e32 vcc_lo, 0, v8
	v_not_b32_e32 v8, v9
	v_xor_b32_e32 v10, s20, v10
	v_cmp_gt_i32_e64 s20, 0, v9
	v_and_b32_e32 v6, exec_lo, v6
	v_not_b32_e32 v9, v44
	v_ashrrev_i32_e32 v8, 31, v8
	v_xor_b32_e32 v7, vcc_lo, v7
	v_cmp_gt_i32_e32 vcc_lo, 0, v44
	v_and_b32_e32 v6, v6, v10
	v_not_b32_e32 v10, v45
	v_ashrrev_i32_e32 v9, 31, v9
	v_xor_b32_e32 v8, s20, v8
	v_lshlrev_b32_e32 v4, 24, v4
	v_and_b32_e32 v6, v6, v7
	v_cmp_gt_i32_e64 s20, 0, v45
	v_not_b32_e32 v7, v47
	v_ashrrev_i32_e32 v10, 31, v10
	v_xor_b32_e32 v9, vcc_lo, v9
	v_and_b32_e32 v6, v6, v8
	v_cmp_gt_i32_e32 vcc_lo, 0, v47
	v_not_b32_e32 v8, v4
	v_ashrrev_i32_e32 v7, 31, v7
	v_xor_b32_e32 v10, s20, v10
	v_and_b32_e32 v6, v6, v9
	v_cmp_gt_i32_e64 s20, 0, v4
	v_ashrrev_i32_e32 v4, 31, v8
	v_xor_b32_e32 v7, vcc_lo, v7
	v_lshl_add_u32 v49, v3, 2, v5
	v_and_b32_e32 v6, v6, v10
	v_xor_b32_e32 v4, s20, v4
	ds_read_b32 v44, v49 offset:128
	v_and_b32_e32 v5, v6, v7
	; wave barrier
	v_and_b32_e32 v4, v5, v4
	v_mbcnt_lo_u32_b32 v45, v4, 0
	v_cmp_ne_u32_e64 s20, 0, v4
	v_cmp_eq_u32_e32 vcc_lo, 0, v45
	s_and_b32 s21, s20, vcc_lo
	s_and_saveexec_b32 s20, s21
	s_cbranch_execz .LBB848_43
; %bb.42:
	s_waitcnt lgkmcnt(0)
	v_bcnt_u32_b32 v4, v4, v44
	ds_write_b32 v49, v4 offset:128
.LBB848_43:
	s_or_b32 exec_lo, exec_lo, s20
	v_lshrrev_b32_e32 v4, s44, v21
	; wave barrier
	v_and_b32_e32 v4, s49, v4
	v_and_b32_e32 v6, 1, v4
	v_lshlrev_b32_e32 v7, 30, v4
	v_lshlrev_b32_e32 v8, 29, v4
	;; [unrolled: 1-line block ×4, first 2 shown]
	v_add_co_u32 v6, s20, v6, -1
	v_cndmask_b32_e64 v10, 0, 1, s20
	v_not_b32_e32 v51, v7
	v_cmp_gt_i32_e64 s20, 0, v7
	v_not_b32_e32 v7, v8
	v_lshlrev_b32_e32 v48, 26, v4
	v_cmp_ne_u32_e32 vcc_lo, 0, v10
	v_ashrrev_i32_e32 v10, 31, v51
	v_lshlrev_b32_e32 v50, 25, v4
	v_ashrrev_i32_e32 v7, 31, v7
	v_mul_lo_u32 v5, 0x84, v4
	v_xor_b32_e32 v6, vcc_lo, v6
	v_cmp_gt_i32_e32 vcc_lo, 0, v8
	v_not_b32_e32 v8, v9
	v_xor_b32_e32 v10, s20, v10
	v_cmp_gt_i32_e64 s20, 0, v9
	v_and_b32_e32 v6, exec_lo, v6
	v_not_b32_e32 v9, v47
	v_ashrrev_i32_e32 v8, 31, v8
	v_xor_b32_e32 v7, vcc_lo, v7
	v_cmp_gt_i32_e32 vcc_lo, 0, v47
	v_and_b32_e32 v6, v6, v10
	v_not_b32_e32 v10, v48
	v_ashrrev_i32_e32 v9, 31, v9
	v_xor_b32_e32 v8, s20, v8
	v_lshlrev_b32_e32 v4, 24, v4
	v_and_b32_e32 v6, v6, v7
	v_cmp_gt_i32_e64 s20, 0, v48
	v_not_b32_e32 v7, v50
	v_ashrrev_i32_e32 v10, 31, v10
	v_xor_b32_e32 v9, vcc_lo, v9
	v_and_b32_e32 v6, v6, v8
	v_cmp_gt_i32_e32 vcc_lo, 0, v50
	v_not_b32_e32 v8, v4
	v_ashrrev_i32_e32 v7, 31, v7
	v_xor_b32_e32 v10, s20, v10
	v_and_b32_e32 v6, v6, v9
	v_cmp_gt_i32_e64 s20, 0, v4
	v_ashrrev_i32_e32 v4, 31, v8
	v_xor_b32_e32 v7, vcc_lo, v7
	v_lshl_add_u32 v52, v3, 2, v5
	v_and_b32_e32 v6, v6, v10
	v_xor_b32_e32 v4, s20, v4
	ds_read_b32 v47, v52 offset:128
	v_and_b32_e32 v5, v6, v7
	; wave barrier
	v_and_b32_e32 v4, v5, v4
	v_mbcnt_lo_u32_b32 v48, v4, 0
	v_cmp_ne_u32_e64 s20, 0, v4
	v_cmp_eq_u32_e32 vcc_lo, 0, v48
	s_and_b32 s21, s20, vcc_lo
	s_and_saveexec_b32 s20, s21
	s_cbranch_execz .LBB848_45
; %bb.44:
	s_waitcnt lgkmcnt(0)
	v_bcnt_u32_b32 v4, v4, v47
	ds_write_b32 v52, v4 offset:128
.LBB848_45:
	s_or_b32 exec_lo, exec_lo, s20
	v_lshrrev_b32_e32 v4, s44, v24
	; wave barrier
	v_and_b32_e32 v4, s49, v4
	v_and_b32_e32 v6, 1, v4
	v_lshlrev_b32_e32 v7, 30, v4
	v_lshlrev_b32_e32 v8, 29, v4
	;; [unrolled: 1-line block ×4, first 2 shown]
	v_add_co_u32 v6, s20, v6, -1
	v_cndmask_b32_e64 v10, 0, 1, s20
	v_not_b32_e32 v54, v7
	v_cmp_gt_i32_e64 s20, 0, v7
	v_not_b32_e32 v7, v8
	v_lshlrev_b32_e32 v51, 26, v4
	v_cmp_ne_u32_e32 vcc_lo, 0, v10
	v_ashrrev_i32_e32 v10, 31, v54
	v_lshlrev_b32_e32 v53, 25, v4
	v_ashrrev_i32_e32 v7, 31, v7
	v_mul_lo_u32 v5, 0x84, v4
	v_xor_b32_e32 v6, vcc_lo, v6
	v_cmp_gt_i32_e32 vcc_lo, 0, v8
	v_not_b32_e32 v8, v9
	v_xor_b32_e32 v10, s20, v10
	v_cmp_gt_i32_e64 s20, 0, v9
	v_and_b32_e32 v6, exec_lo, v6
	v_not_b32_e32 v9, v50
	v_ashrrev_i32_e32 v8, 31, v8
	v_xor_b32_e32 v7, vcc_lo, v7
	v_cmp_gt_i32_e32 vcc_lo, 0, v50
	v_and_b32_e32 v6, v6, v10
	v_not_b32_e32 v10, v51
	v_ashrrev_i32_e32 v9, 31, v9
	v_xor_b32_e32 v8, s20, v8
	v_lshlrev_b32_e32 v4, 24, v4
	v_and_b32_e32 v6, v6, v7
	v_cmp_gt_i32_e64 s20, 0, v51
	v_not_b32_e32 v7, v53
	v_ashrrev_i32_e32 v10, 31, v10
	v_xor_b32_e32 v9, vcc_lo, v9
	v_and_b32_e32 v6, v6, v8
	v_cmp_gt_i32_e32 vcc_lo, 0, v53
	v_not_b32_e32 v8, v4
	v_ashrrev_i32_e32 v7, 31, v7
	v_xor_b32_e32 v10, s20, v10
	v_and_b32_e32 v6, v6, v9
	v_cmp_gt_i32_e64 s20, 0, v4
	v_ashrrev_i32_e32 v4, 31, v8
	v_xor_b32_e32 v7, vcc_lo, v7
	v_lshl_add_u32 v55, v3, 2, v5
	v_and_b32_e32 v6, v6, v10
	v_xor_b32_e32 v4, s20, v4
	ds_read_b32 v50, v55 offset:128
	v_and_b32_e32 v5, v6, v7
	; wave barrier
	v_and_b32_e32 v4, v5, v4
	v_mbcnt_lo_u32_b32 v51, v4, 0
	v_cmp_ne_u32_e64 s20, 0, v4
	v_cmp_eq_u32_e32 vcc_lo, 0, v51
	s_and_b32 s21, s20, vcc_lo
	s_and_saveexec_b32 s20, s21
	s_cbranch_execz .LBB848_47
; %bb.46:
	s_waitcnt lgkmcnt(0)
	v_bcnt_u32_b32 v4, v4, v50
	ds_write_b32 v55, v4 offset:128
.LBB848_47:
	s_or_b32 exec_lo, exec_lo, s20
	v_lshrrev_b32_e32 v4, s44, v23
	; wave barrier
	v_and_b32_e32 v4, s49, v4
	v_and_b32_e32 v6, 1, v4
	v_lshlrev_b32_e32 v7, 30, v4
	v_lshlrev_b32_e32 v8, 29, v4
	;; [unrolled: 1-line block ×4, first 2 shown]
	v_add_co_u32 v6, s20, v6, -1
	v_cndmask_b32_e64 v10, 0, 1, s20
	v_not_b32_e32 v57, v7
	v_cmp_gt_i32_e64 s20, 0, v7
	v_not_b32_e32 v7, v8
	v_lshlrev_b32_e32 v54, 26, v4
	v_cmp_ne_u32_e32 vcc_lo, 0, v10
	v_ashrrev_i32_e32 v10, 31, v57
	v_lshlrev_b32_e32 v56, 25, v4
	v_ashrrev_i32_e32 v7, 31, v7
	v_mul_lo_u32 v5, 0x84, v4
	v_xor_b32_e32 v6, vcc_lo, v6
	v_cmp_gt_i32_e32 vcc_lo, 0, v8
	v_not_b32_e32 v8, v9
	v_xor_b32_e32 v10, s20, v10
	v_cmp_gt_i32_e64 s20, 0, v9
	v_and_b32_e32 v6, exec_lo, v6
	v_not_b32_e32 v9, v53
	v_ashrrev_i32_e32 v8, 31, v8
	v_xor_b32_e32 v7, vcc_lo, v7
	v_cmp_gt_i32_e32 vcc_lo, 0, v53
	v_and_b32_e32 v6, v6, v10
	v_not_b32_e32 v10, v54
	v_ashrrev_i32_e32 v9, 31, v9
	v_xor_b32_e32 v8, s20, v8
	v_lshlrev_b32_e32 v4, 24, v4
	v_and_b32_e32 v6, v6, v7
	v_cmp_gt_i32_e64 s20, 0, v54
	v_not_b32_e32 v7, v56
	v_ashrrev_i32_e32 v10, 31, v10
	v_xor_b32_e32 v9, vcc_lo, v9
	v_and_b32_e32 v6, v6, v8
	v_cmp_gt_i32_e32 vcc_lo, 0, v56
	v_not_b32_e32 v8, v4
	v_ashrrev_i32_e32 v7, 31, v7
	v_xor_b32_e32 v10, s20, v10
	v_and_b32_e32 v6, v6, v9
	v_cmp_gt_i32_e64 s20, 0, v4
	v_ashrrev_i32_e32 v4, 31, v8
	v_xor_b32_e32 v7, vcc_lo, v7
	v_lshl_add_u32 v58, v3, 2, v5
	v_and_b32_e32 v6, v6, v10
	v_xor_b32_e32 v4, s20, v4
	ds_read_b32 v53, v58 offset:128
	v_and_b32_e32 v5, v6, v7
	; wave barrier
	v_and_b32_e32 v4, v5, v4
	v_mbcnt_lo_u32_b32 v54, v4, 0
	v_cmp_ne_u32_e64 s20, 0, v4
	v_cmp_eq_u32_e32 vcc_lo, 0, v54
	s_and_b32 s21, s20, vcc_lo
	s_and_saveexec_b32 s20, s21
	s_cbranch_execz .LBB848_49
; %bb.48:
	s_waitcnt lgkmcnt(0)
	v_bcnt_u32_b32 v4, v4, v53
	ds_write_b32 v58, v4 offset:128
.LBB848_49:
	s_or_b32 exec_lo, exec_lo, s20
	v_lshrrev_b32_e32 v4, s44, v26
	; wave barrier
	v_and_b32_e32 v4, s49, v4
	v_and_b32_e32 v6, 1, v4
	v_lshlrev_b32_e32 v7, 30, v4
	v_lshlrev_b32_e32 v8, 29, v4
	v_lshlrev_b32_e32 v9, 28, v4
	v_lshlrev_b32_e32 v56, 27, v4
	v_add_co_u32 v6, s20, v6, -1
	v_cndmask_b32_e64 v10, 0, 1, s20
	v_not_b32_e32 v60, v7
	v_cmp_gt_i32_e64 s20, 0, v7
	v_not_b32_e32 v7, v8
	v_lshlrev_b32_e32 v57, 26, v4
	v_cmp_ne_u32_e32 vcc_lo, 0, v10
	v_ashrrev_i32_e32 v10, 31, v60
	v_lshlrev_b32_e32 v59, 25, v4
	v_ashrrev_i32_e32 v7, 31, v7
	v_mul_lo_u32 v5, 0x84, v4
	v_xor_b32_e32 v6, vcc_lo, v6
	v_cmp_gt_i32_e32 vcc_lo, 0, v8
	v_not_b32_e32 v8, v9
	v_xor_b32_e32 v10, s20, v10
	v_cmp_gt_i32_e64 s20, 0, v9
	v_and_b32_e32 v6, exec_lo, v6
	v_not_b32_e32 v9, v56
	v_ashrrev_i32_e32 v8, 31, v8
	v_xor_b32_e32 v7, vcc_lo, v7
	v_cmp_gt_i32_e32 vcc_lo, 0, v56
	v_and_b32_e32 v6, v6, v10
	v_not_b32_e32 v10, v57
	v_ashrrev_i32_e32 v9, 31, v9
	v_xor_b32_e32 v8, s20, v8
	v_lshlrev_b32_e32 v4, 24, v4
	v_and_b32_e32 v6, v6, v7
	v_cmp_gt_i32_e64 s20, 0, v57
	v_not_b32_e32 v7, v59
	v_ashrrev_i32_e32 v10, 31, v10
	v_xor_b32_e32 v9, vcc_lo, v9
	v_and_b32_e32 v6, v6, v8
	v_cmp_gt_i32_e32 vcc_lo, 0, v59
	v_not_b32_e32 v8, v4
	v_ashrrev_i32_e32 v7, 31, v7
	v_xor_b32_e32 v10, s20, v10
	v_and_b32_e32 v6, v6, v9
	v_cmp_gt_i32_e64 s20, 0, v4
	v_ashrrev_i32_e32 v4, 31, v8
	v_xor_b32_e32 v7, vcc_lo, v7
	v_lshl_add_u32 v61, v3, 2, v5
	v_and_b32_e32 v6, v6, v10
	v_xor_b32_e32 v4, s20, v4
	ds_read_b32 v56, v61 offset:128
	v_and_b32_e32 v5, v6, v7
	; wave barrier
	v_and_b32_e32 v4, v5, v4
	v_mbcnt_lo_u32_b32 v57, v4, 0
	v_cmp_ne_u32_e64 s20, 0, v4
	v_cmp_eq_u32_e32 vcc_lo, 0, v57
	s_and_b32 s21, s20, vcc_lo
	s_and_saveexec_b32 s20, s21
	s_cbranch_execz .LBB848_51
; %bb.50:
	s_waitcnt lgkmcnt(0)
	v_bcnt_u32_b32 v4, v4, v56
	ds_write_b32 v61, v4 offset:128
.LBB848_51:
	s_or_b32 exec_lo, exec_lo, s20
	v_lshrrev_b32_e32 v4, s44, v25
	; wave barrier
	v_and_b32_e32 v4, s49, v4
	v_and_b32_e32 v6, 1, v4
	v_lshlrev_b32_e32 v7, 30, v4
	v_lshlrev_b32_e32 v8, 29, v4
	;; [unrolled: 1-line block ×4, first 2 shown]
	v_add_co_u32 v6, s20, v6, -1
	v_cndmask_b32_e64 v10, 0, 1, s20
	v_not_b32_e32 v63, v7
	v_cmp_gt_i32_e64 s20, 0, v7
	v_not_b32_e32 v7, v8
	v_lshlrev_b32_e32 v60, 26, v4
	v_cmp_ne_u32_e32 vcc_lo, 0, v10
	v_ashrrev_i32_e32 v10, 31, v63
	v_lshlrev_b32_e32 v62, 25, v4
	v_ashrrev_i32_e32 v7, 31, v7
	v_mul_lo_u32 v5, 0x84, v4
	v_xor_b32_e32 v6, vcc_lo, v6
	v_cmp_gt_i32_e32 vcc_lo, 0, v8
	v_not_b32_e32 v8, v9
	v_xor_b32_e32 v10, s20, v10
	v_cmp_gt_i32_e64 s20, 0, v9
	v_and_b32_e32 v6, exec_lo, v6
	v_not_b32_e32 v9, v59
	v_ashrrev_i32_e32 v8, 31, v8
	v_xor_b32_e32 v7, vcc_lo, v7
	v_cmp_gt_i32_e32 vcc_lo, 0, v59
	v_and_b32_e32 v6, v6, v10
	v_not_b32_e32 v10, v60
	v_ashrrev_i32_e32 v9, 31, v9
	v_xor_b32_e32 v8, s20, v8
	v_lshlrev_b32_e32 v4, 24, v4
	v_and_b32_e32 v6, v6, v7
	v_cmp_gt_i32_e64 s20, 0, v60
	v_not_b32_e32 v7, v62
	v_ashrrev_i32_e32 v10, 31, v10
	v_xor_b32_e32 v9, vcc_lo, v9
	v_and_b32_e32 v6, v6, v8
	v_cmp_gt_i32_e32 vcc_lo, 0, v62
	v_not_b32_e32 v8, v4
	v_ashrrev_i32_e32 v7, 31, v7
	v_xor_b32_e32 v10, s20, v10
	v_and_b32_e32 v6, v6, v9
	v_cmp_gt_i32_e64 s20, 0, v4
	v_ashrrev_i32_e32 v4, 31, v8
	v_xor_b32_e32 v7, vcc_lo, v7
	v_lshl_add_u32 v62, v3, 2, v5
	v_and_b32_e32 v6, v6, v10
	v_xor_b32_e32 v3, s20, v4
	ds_read_b32 v59, v62 offset:128
	v_and_b32_e32 v4, v6, v7
	; wave barrier
	v_and_b32_e32 v3, v4, v3
	v_mbcnt_lo_u32_b32 v60, v3, 0
	v_cmp_ne_u32_e64 s20, 0, v3
	v_cmp_eq_u32_e32 vcc_lo, 0, v60
	s_and_b32 s21, s20, vcc_lo
	s_and_saveexec_b32 s20, s21
	s_cbranch_execz .LBB848_53
; %bb.52:
	s_waitcnt lgkmcnt(0)
	v_bcnt_u32_b32 v3, v3, v59
	ds_write_b32 v62, v3 offset:128
.LBB848_53:
	s_or_b32 exec_lo, exec_lo, s20
	; wave barrier
	s_waitcnt lgkmcnt(0)
	s_barrier
	buffer_gl0_inv
	ds_read2_b32 v[9:10], v30 offset0:32 offset1:33
	ds_read2_b32 v[7:8], v30 offset0:34 offset1:35
	;; [unrolled: 1-line block ×4, first 2 shown]
	ds_read_b32 v63, v30 offset:160
	v_and_b32_e32 v66, 16, v11
	v_and_b32_e32 v67, 31, v0
	s_mov_b32 s25, exec_lo
	v_cmp_eq_u32_e64 s23, 0, v66
	s_waitcnt lgkmcnt(3)
	v_add3_u32 v64, v10, v9, v7
	s_waitcnt lgkmcnt(2)
	v_add3_u32 v64, v64, v8, v5
	;; [unrolled: 2-line block ×4, first 2 shown]
	v_and_b32_e32 v64, 15, v11
	v_mov_b32_dpp v65, v63 row_shr:1 row_mask:0xf bank_mask:0xf
	v_cmp_eq_u32_e32 vcc_lo, 0, v64
	v_cmp_lt_u32_e64 s20, 1, v64
	v_cmp_lt_u32_e64 s21, 3, v64
	;; [unrolled: 1-line block ×3, first 2 shown]
	v_cndmask_b32_e64 v65, v65, 0, vcc_lo
	v_add_nc_u32_e32 v63, v65, v63
	v_mov_b32_dpp v65, v63 row_shr:2 row_mask:0xf bank_mask:0xf
	v_cndmask_b32_e64 v65, 0, v65, s20
	v_add_nc_u32_e32 v63, v63, v65
	v_mov_b32_dpp v65, v63 row_shr:4 row_mask:0xf bank_mask:0xf
	v_cndmask_b32_e64 v65, 0, v65, s21
	v_add_nc_u32_e32 v63, v63, v65
	v_mov_b32_dpp v65, v63 row_shr:8 row_mask:0xf bank_mask:0xf
	v_cndmask_b32_e64 v64, 0, v65, s22
	v_bfe_i32 v65, v11, 4, 1
	v_add_nc_u32_e32 v63, v63, v64
	ds_swizzle_b32 v64, v63 offset:swizzle(BROADCAST,32,15)
	s_waitcnt lgkmcnt(0)
	v_and_b32_e32 v65, v65, v64
	v_lshrrev_b32_e32 v64, 5, v0
	v_add_nc_u32_e32 v63, v63, v65
	v_cmpx_eq_u32_e32 31, v67
; %bb.54:
	v_lshlrev_b32_e32 v65, 2, v64
	ds_write_b32 v65, v63
; %bb.55:
	s_or_b32 exec_lo, exec_lo, s25
	v_cmp_lt_u32_e64 s24, 31, v0
	s_mov_b32 s50, exec_lo
	s_waitcnt lgkmcnt(0)
	s_barrier
	buffer_gl0_inv
	v_cmpx_gt_u32_e32 32, v0
	s_cbranch_execz .LBB848_57
; %bb.56:
	v_lshlrev_b32_e32 v65, 2, v0
	ds_read_b32 v66, v65
	s_waitcnt lgkmcnt(0)
	v_mov_b32_dpp v67, v66 row_shr:1 row_mask:0xf bank_mask:0xf
	v_cndmask_b32_e64 v67, v67, 0, vcc_lo
	v_add_nc_u32_e32 v66, v67, v66
	v_mov_b32_dpp v67, v66 row_shr:2 row_mask:0xf bank_mask:0xf
	v_cndmask_b32_e64 v67, 0, v67, s20
	v_add_nc_u32_e32 v66, v66, v67
	v_mov_b32_dpp v67, v66 row_shr:4 row_mask:0xf bank_mask:0xf
	v_cndmask_b32_e64 v67, 0, v67, s21
	;; [unrolled: 3-line block ×3, first 2 shown]
	v_add_nc_u32_e32 v66, v66, v67
	ds_swizzle_b32 v67, v66 offset:swizzle(BROADCAST,32,15)
	s_waitcnt lgkmcnt(0)
	v_cndmask_b32_e64 v67, v67, 0, s23
	v_add_nc_u32_e32 v66, v66, v67
	ds_write_b32 v65, v66
.LBB848_57:
	s_or_b32 exec_lo, exec_lo, s50
	v_mov_b32_e32 v65, 0
	s_waitcnt lgkmcnt(0)
	s_barrier
	buffer_gl0_inv
	s_and_saveexec_b32 s20, s24
; %bb.58:
	v_lshl_add_u32 v64, v64, 2, -4
	ds_read_b32 v65, v64
; %bb.59:
	s_or_b32 exec_lo, exec_lo, s20
	v_sub_co_u32 v64, vcc_lo, v11, 1
	s_waitcnt lgkmcnt(0)
	v_add_nc_u32_e32 v63, v65, v63
	v_cmp_gt_i32_e64 s20, 0, v64
	v_cndmask_b32_e64 v64, v64, v11, s20
	v_cmp_lt_u32_e64 s20, 0xff, v0
	v_lshlrev_b32_e32 v64, 2, v64
	ds_bpermute_b32 v63, v64, v63
	s_waitcnt lgkmcnt(0)
	v_cndmask_b32_e32 v63, v63, v65, vcc_lo
	v_cmp_gt_u32_e32 vcc_lo, 0x100, v0
	v_cndmask_b32_e64 v63, v63, 0, s7
	v_add_nc_u32_e32 v9, v63, v9
	v_add_nc_u32_e32 v10, v9, v10
	;; [unrolled: 1-line block ×8, first 2 shown]
	ds_write2_b32 v30, v63, v9 offset0:32 offset1:33
	ds_write2_b32 v30, v10, v7 offset0:34 offset1:35
	;; [unrolled: 1-line block ×4, first 2 shown]
	ds_write_b32 v30, v4 offset:160
	s_waitcnt lgkmcnt(0)
	s_barrier
	buffer_gl0_inv
	ds_read_b32 v31, v31 offset:128
	ds_read_b32 v34, v34 offset:128
	;; [unrolled: 1-line block ×12, first 2 shown]
                                        ; implicit-def: $vgpr9
                                        ; implicit-def: $vgpr10
	s_and_saveexec_b32 s22, vcc_lo
	s_cbranch_execz .LBB848_63
; %bb.60:
	v_mul_u32_u24_e32 v3, 0x84, v0
	v_add_nc_u32_e32 v4, 1, v0
	s_mov_b32 s23, exec_lo
	ds_read_b32 v9, v3 offset:128
	v_mov_b32_e32 v3, 0x3000
	v_cmpx_ne_u32_e32 0x100, v4
; %bb.61:
	v_mul_u32_u24_e32 v3, 0x84, v4
	ds_read_b32 v3, v3 offset:128
; %bb.62:
	s_or_b32 exec_lo, exec_lo, s23
	s_waitcnt lgkmcnt(0)
	v_sub_nc_u32_e32 v10, v3, v9
.LBB848_63:
	s_or_b32 exec_lo, exec_lo, s22
	v_mov_b32_e32 v4, 0
	v_lshlrev_b32_e32 v30, 2, v0
	s_waitcnt lgkmcnt(0)
	s_barrier
	buffer_gl0_inv
	s_and_saveexec_b32 s21, vcc_lo
	s_cbranch_execz .LBB848_73
; %bb.64:
	v_lshl_add_u32 v3, s33, 8, v0
	v_mov_b32_e32 v63, 0
	s_mov_b32 s22, 0
	s_mov_b32 s23, s33
                                        ; implicit-def: $sgpr24
	v_lshlrev_b64 v[5:6], 2, v[3:4]
	v_or_b32_e32 v3, 2.0, v10
	v_add_co_u32 v5, vcc_lo, s26, v5
	v_add_co_ci_u32_e64 v6, null, s27, v6, vcc_lo
	global_store_dword v[5:6], v3, off
	s_branch .LBB848_67
	.p2align	6
.LBB848_65:                             ;   in Loop: Header=BB848_67 Depth=1
	s_or_b32 exec_lo, exec_lo, s25
.LBB848_66:                             ;   in Loop: Header=BB848_67 Depth=1
	s_or_b32 exec_lo, exec_lo, s24
	v_and_b32_e32 v7, 0x3fffffff, v3
	v_cmp_gt_i32_e64 s24, -2.0, v3
	v_add_nc_u32_e32 v63, v7, v63
	s_and_b32 s25, exec_lo, s24
	s_or_b32 s22, s25, s22
	s_andn2_b32 exec_lo, exec_lo, s22
	s_cbranch_execz .LBB848_72
.LBB848_67:                             ; =>This Loop Header: Depth=1
                                        ;     Child Loop BB848_70 Depth 2
	s_or_b32 s24, s24, exec_lo
	s_cmp_eq_u32 s23, 0
	s_cbranch_scc1 .LBB848_71
; %bb.68:                               ;   in Loop: Header=BB848_67 Depth=1
	s_add_i32 s23, s23, -1
	s_mov_b32 s24, exec_lo
	v_lshl_or_b32 v3, s23, 8, v0
	v_lshlrev_b64 v[7:8], 2, v[3:4]
	v_add_co_u32 v7, vcc_lo, s26, v7
	v_add_co_ci_u32_e64 v8, null, s27, v8, vcc_lo
	global_load_dword v3, v[7:8], off glc dlc
	s_waitcnt vmcnt(0)
	v_cmpx_gt_u32_e32 2.0, v3
	s_cbranch_execz .LBB848_66
; %bb.69:                               ;   in Loop: Header=BB848_67 Depth=1
	s_mov_b32 s25, 0
.LBB848_70:                             ;   Parent Loop BB848_67 Depth=1
                                        ; =>  This Inner Loop Header: Depth=2
	global_load_dword v3, v[7:8], off glc dlc
	s_waitcnt vmcnt(0)
	v_cmp_lt_u32_e32 vcc_lo, 0x3fffffff, v3
	s_or_b32 s25, vcc_lo, s25
	s_andn2_b32 exec_lo, exec_lo, s25
	s_cbranch_execnz .LBB848_70
	s_branch .LBB848_65
.LBB848_71:                             ;   in Loop: Header=BB848_67 Depth=1
                                        ; implicit-def: $sgpr23
	s_and_b32 s25, exec_lo, s24
	s_or_b32 s22, s25, s22
	s_andn2_b32 exec_lo, exec_lo, s22
	s_cbranch_execnz .LBB848_67
.LBB848_72:
	s_or_b32 exec_lo, exec_lo, s22
	v_add_nc_u32_e32 v3, v63, v10
	v_sub_nc_u32_e32 v4, v63, v9
	v_or_b32_e32 v3, 0x80000000, v3
	global_store_dword v[5:6], v3, off
	global_load_dword v3, v30, s[28:29]
	s_waitcnt vmcnt(0)
	v_add_nc_u32_e32 v3, v4, v3
	ds_write_b32 v30, v3
.LBB848_73:
	s_or_b32 exec_lo, exec_lo, s21
	v_add_nc_u32_e32 v5, v31, v27
	v_add3_u32 v6, v29, v28, v34
	v_add3_u32 v7, v33, v32, v37
	;; [unrolled: 1-line block ×11, first 2 shown]
	v_mov_b32_e32 v4, 0
	v_mov_b32_e32 v36, v5
	;; [unrolled: 1-line block ×14, first 2 shown]
	s_mov_b32 s21, 32
	s_mov_b32 s23, 0
	s_mov_b32 s22, -1
	s_branch .LBB848_75
.LBB848_74:                             ;   in Loop: Header=BB848_75 Depth=1
	s_or_b32 exec_lo, exec_lo, s24
	v_add_nc_u32_e32 v48, 0x2000, v48
	v_add_nc_u32_e32 v47, 0xffffe000, v47
	;; [unrolled: 1-line block ×13, first 2 shown]
	s_xor_b32 s23, s22, -1
	s_mov_b32 s22, 0
	s_and_b32 vcc_lo, exec_lo, s23
	s_mov_b32 s23, s21
	s_waitcnt_vscnt null, 0x0
	s_barrier
	buffer_gl0_inv
	s_cbranch_vccnz .LBB848_91
.LBB848_75:                             ; =>This Inner Loop Header: Depth=1
	v_min_u32_e32 v3, 0x2000, v36
	v_min_u32_e32 v49, 0x2000, v37
	;; [unrolled: 1-line block ×5, first 2 shown]
	v_lshlrev_b32_e32 v3, 2, v3
	v_lshlrev_b32_e32 v49, 2, v49
	v_min_u32_e32 v53, 0x2000, v41
	v_lshlrev_b32_e32 v50, 2, v50
	s_mov_b32 s24, exec_lo
	ds_write_b32 v3, v16 offset:1024
	ds_write_b32 v49, v15 offset:1024
	v_min_u32_e32 v3, 0x2000, v42
	v_lshlrev_b32_e32 v49, 2, v51
	v_lshlrev_b32_e32 v51, 2, v52
	;; [unrolled: 1-line block ×3, first 2 shown]
	ds_write_b32 v50, v18 offset:1024
	v_lshlrev_b32_e32 v3, 2, v3
	ds_write_b32 v49, v17 offset:1024
	ds_write_b32 v51, v20 offset:1024
	;; [unrolled: 1-line block ×3, first 2 shown]
	v_min_u32_e32 v49, 0x2000, v43
	v_min_u32_e32 v50, 0x2000, v45
	;; [unrolled: 1-line block ×3, first 2 shown]
	ds_write_b32 v3, v22 offset:1024
	v_min_u32_e32 v3, 0x2000, v44
	v_lshlrev_b32_e32 v49, 2, v49
	v_min_u32_e32 v52, 0x2000, v47
	v_lshlrev_b32_e32 v50, 2, v50
	v_lshlrev_b32_e32 v51, 2, v51
	;; [unrolled: 1-line block ×3, first 2 shown]
	ds_write_b32 v49, v21 offset:1024
	v_lshlrev_b32_e32 v49, 2, v52
	ds_write_b32 v3, v24 offset:1024
	ds_write_b32 v50, v23 offset:1024
	;; [unrolled: 1-line block ×4, first 2 shown]
	s_waitcnt lgkmcnt(0)
	s_waitcnt_vscnt null, 0x0
	s_barrier
	buffer_gl0_inv
	v_cmpx_gt_u32_e64 s48, v48
	s_cbranch_execz .LBB848_77
; %bb.76:                               ;   in Loop: Header=BB848_75 Depth=1
	ds_read_b32 v51, v30 offset:1024
	s_waitcnt lgkmcnt(0)
	v_lshrrev_b32_e32 v3, s44, v51
	v_and_b32_e32 v52, s49, v3
	v_lshlrev_b32_e32 v3, 2, v52
	ds_read_b32 v3, v3
	s_waitcnt lgkmcnt(0)
	v_add_nc_u32_e32 v3, v48, v3
	v_lshlrev_b64 v[49:50], 2, v[3:4]
	v_xor_b32_e32 v3, 0x80000000, v51
	v_mov_b32_e32 v51, s23
	v_add_co_u32 v49, vcc_lo, s38, v49
	v_add_co_ci_u32_e64 v50, null, s39, v50, vcc_lo
	buffer_store_dword v52, v51, s[0:3], 0 offen
	global_store_dword v[49:50], v3, off
.LBB848_77:                             ;   in Loop: Header=BB848_75 Depth=1
	s_or_b32 exec_lo, exec_lo, s24
	v_add_nc_u32_e32 v3, 0x400, v48
	s_mov_b32 s24, exec_lo
	v_cmpx_gt_u32_e64 s48, v3
	s_cbranch_execz .LBB848_79
; %bb.78:                               ;   in Loop: Header=BB848_75 Depth=1
	ds_read_b32 v51, v30 offset:5120
	s_waitcnt lgkmcnt(0)
	v_lshrrev_b32_e32 v3, s44, v51
	v_and_b32_e32 v52, s49, v3
	v_lshlrev_b32_e32 v3, 2, v52
	ds_read_b32 v3, v3
	s_waitcnt lgkmcnt(0)
	v_add3_u32 v3, v48, v3, 0x400
	v_lshlrev_b64 v[49:50], 2, v[3:4]
	v_xor_b32_e32 v3, 0x80000000, v51
	v_mov_b32_e32 v51, s23
	v_add_co_u32 v49, vcc_lo, s38, v49
	v_add_co_ci_u32_e64 v50, null, s39, v50, vcc_lo
	buffer_store_dword v52, v51, s[0:3], 0 offen offset:4
	global_store_dword v[49:50], v3, off
.LBB848_79:                             ;   in Loop: Header=BB848_75 Depth=1
	s_or_b32 exec_lo, exec_lo, s24
	v_add_nc_u32_e32 v3, 0x800, v48
	s_mov_b32 s24, exec_lo
	v_cmpx_gt_u32_e64 s48, v3
	s_cbranch_execz .LBB848_81
; %bb.80:                               ;   in Loop: Header=BB848_75 Depth=1
	ds_read_b32 v51, v30 offset:9216
	s_waitcnt lgkmcnt(0)
	v_lshrrev_b32_e32 v3, s44, v51
	v_and_b32_e32 v52, s49, v3
	v_lshlrev_b32_e32 v3, 2, v52
	ds_read_b32 v3, v3
	s_waitcnt lgkmcnt(0)
	v_add3_u32 v3, v48, v3, 0x800
	v_lshlrev_b64 v[49:50], 2, v[3:4]
	v_xor_b32_e32 v3, 0x80000000, v51
	v_mov_b32_e32 v51, s23
	v_add_co_u32 v49, vcc_lo, s38, v49
	v_add_co_ci_u32_e64 v50, null, s39, v50, vcc_lo
	buffer_store_dword v52, v51, s[0:3], 0 offen offset:8
	global_store_dword v[49:50], v3, off
.LBB848_81:                             ;   in Loop: Header=BB848_75 Depth=1
	;; [unrolled: 22-line block ×6, first 2 shown]
	s_or_b32 exec_lo, exec_lo, s24
	v_add_nc_u32_e32 v3, 0x1c00, v48
	s_mov_b32 s24, exec_lo
	v_cmpx_gt_u32_e64 s48, v3
	s_cbranch_execz .LBB848_74
; %bb.90:                               ;   in Loop: Header=BB848_75 Depth=1
	ds_read_b32 v51, v30 offset:29696
	s_waitcnt lgkmcnt(0)
	v_lshrrev_b32_e32 v3, s44, v51
	v_and_b32_e32 v52, s49, v3
	v_lshlrev_b32_e32 v3, 2, v52
	ds_read_b32 v3, v3
	s_waitcnt lgkmcnt(0)
	v_add3_u32 v3, v48, v3, 0x1c00
	v_lshlrev_b64 v[49:50], 2, v[3:4]
	v_xor_b32_e32 v3, 0x80000000, v51
	v_mov_b32_e32 v51, s23
	v_add_co_u32 v49, vcc_lo, s38, v49
	v_add_co_ci_u32_e64 v50, null, s39, v50, vcc_lo
	buffer_store_dword v52, v51, s[0:3], 0 offen offset:28
	global_store_dword v[49:50], v3, off
	s_branch .LBB848_74
.LBB848_91:
	s_add_u32 s22, s40, s46
	s_addc_u32 s23, s41, s47
	v_add_co_u32 v3, s22, s22, v13
	v_add_co_ci_u32_e64 v4, null, s23, 0, s22
                                        ; implicit-def: $vgpr13
	v_add_co_u32 v3, vcc_lo, v3, v14
	v_add_co_ci_u32_e64 v4, null, 0, v4, vcc_lo
	s_and_saveexec_b32 s22, s8
	s_cbranch_execz .LBB848_103
; %bb.92:
	global_load_dword v13, v[3:4], off
	s_or_b32 exec_lo, exec_lo, s22
                                        ; implicit-def: $vgpr14
	s_and_saveexec_b32 s8, s9
	s_cbranch_execnz .LBB848_104
.LBB848_93:
	s_or_b32 exec_lo, exec_lo, s8
                                        ; implicit-def: $vgpr15
	s_and_saveexec_b32 s8, s10
	s_cbranch_execz .LBB848_105
.LBB848_94:
	global_load_dword v15, v[3:4], off offset:256
	s_or_b32 exec_lo, exec_lo, s8
                                        ; implicit-def: $vgpr16
	s_and_saveexec_b32 s8, s11
	s_cbranch_execnz .LBB848_106
.LBB848_95:
	s_or_b32 exec_lo, exec_lo, s8
                                        ; implicit-def: $vgpr17
	s_and_saveexec_b32 s8, s12
	s_cbranch_execz .LBB848_107
.LBB848_96:
	global_load_dword v17, v[3:4], off offset:512
	s_or_b32 exec_lo, exec_lo, s8
                                        ; implicit-def: $vgpr18
	s_and_saveexec_b32 s8, s13
	s_cbranch_execnz .LBB848_108
.LBB848_97:
	s_or_b32 exec_lo, exec_lo, s8
                                        ; implicit-def: $vgpr19
	s_and_saveexec_b32 s8, s14
	s_cbranch_execz .LBB848_109
.LBB848_98:
	global_load_dword v19, v[3:4], off offset:768
	s_or_b32 exec_lo, exec_lo, s8
                                        ; implicit-def: $vgpr20
	s_and_saveexec_b32 s8, s15
	s_cbranch_execnz .LBB848_110
.LBB848_99:
	s_or_b32 exec_lo, exec_lo, s8
                                        ; implicit-def: $vgpr21
	s_and_saveexec_b32 s8, s16
	s_cbranch_execz .LBB848_111
.LBB848_100:
	global_load_dword v21, v[3:4], off offset:1024
	s_or_b32 exec_lo, exec_lo, s8
                                        ; implicit-def: $vgpr22
	s_and_saveexec_b32 s8, s17
	s_cbranch_execnz .LBB848_112
.LBB848_101:
	s_or_b32 exec_lo, exec_lo, s8
                                        ; implicit-def: $vgpr23
	s_and_saveexec_b32 s8, s18
	s_cbranch_execz .LBB848_113
.LBB848_102:
	global_load_dword v23, v[3:4], off offset:1280
	s_or_b32 exec_lo, exec_lo, s8
                                        ; implicit-def: $vgpr24
	s_and_saveexec_b32 s8, s19
	s_cbranch_execnz .LBB848_114
	s_branch .LBB848_115
.LBB848_103:
	s_or_b32 exec_lo, exec_lo, s22
                                        ; implicit-def: $vgpr14
	s_and_saveexec_b32 s8, s9
	s_cbranch_execz .LBB848_93
.LBB848_104:
	global_load_dword v14, v[3:4], off offset:128
	s_or_b32 exec_lo, exec_lo, s8
                                        ; implicit-def: $vgpr15
	s_and_saveexec_b32 s8, s10
	s_cbranch_execnz .LBB848_94
.LBB848_105:
	s_or_b32 exec_lo, exec_lo, s8
                                        ; implicit-def: $vgpr16
	s_and_saveexec_b32 s8, s11
	s_cbranch_execz .LBB848_95
.LBB848_106:
	global_load_dword v16, v[3:4], off offset:384
	s_or_b32 exec_lo, exec_lo, s8
                                        ; implicit-def: $vgpr17
	s_and_saveexec_b32 s8, s12
	s_cbranch_execnz .LBB848_96
.LBB848_107:
	s_or_b32 exec_lo, exec_lo, s8
                                        ; implicit-def: $vgpr18
	s_and_saveexec_b32 s8, s13
	s_cbranch_execz .LBB848_97
.LBB848_108:
	global_load_dword v18, v[3:4], off offset:640
	s_or_b32 exec_lo, exec_lo, s8
                                        ; implicit-def: $vgpr19
	s_and_saveexec_b32 s8, s14
	s_cbranch_execnz .LBB848_98
.LBB848_109:
	s_or_b32 exec_lo, exec_lo, s8
                                        ; implicit-def: $vgpr20
	s_and_saveexec_b32 s8, s15
	s_cbranch_execz .LBB848_99
.LBB848_110:
	global_load_dword v20, v[3:4], off offset:896
	s_or_b32 exec_lo, exec_lo, s8
                                        ; implicit-def: $vgpr21
	s_and_saveexec_b32 s8, s16
	s_cbranch_execnz .LBB848_100
.LBB848_111:
	s_or_b32 exec_lo, exec_lo, s8
                                        ; implicit-def: $vgpr22
	s_and_saveexec_b32 s8, s17
	s_cbranch_execz .LBB848_101
.LBB848_112:
	global_load_dword v22, v[3:4], off offset:1152
	s_or_b32 exec_lo, exec_lo, s8
                                        ; implicit-def: $vgpr23
	s_and_saveexec_b32 s8, s18
	s_cbranch_execnz .LBB848_102
.LBB848_113:
	s_or_b32 exec_lo, exec_lo, s8
                                        ; implicit-def: $vgpr24
	s_and_saveexec_b32 s8, s19
	s_cbranch_execz .LBB848_115
.LBB848_114:
	global_load_dword v24, v[3:4], off offset:1408
.LBB848_115:
	s_or_b32 exec_lo, exec_lo, s8
	v_mov_b32_e32 v4, 0
	v_mov_b32_e32 v25, v0
	s_mov_b32 s9, 0
	s_mov_b32 s8, -1
	s_branch .LBB848_117
.LBB848_116:                            ;   in Loop: Header=BB848_117 Depth=1
	s_or_b32 exec_lo, exec_lo, s10
	v_add_nc_u32_e32 v25, 0x2000, v25
	v_add_nc_u32_e32 v35, 0xffffe000, v35
	;; [unrolled: 1-line block ×13, first 2 shown]
	s_xor_b32 s9, s8, -1
	s_mov_b32 s8, 0
	s_and_b32 vcc_lo, exec_lo, s9
	s_mov_b32 s9, s21
	s_waitcnt_vscnt null, 0x0
	s_barrier
	buffer_gl0_inv
	s_cbranch_vccnz .LBB848_133
.LBB848_117:                            ; =>This Inner Loop Header: Depth=1
	v_min_u32_e32 v3, 0x2000, v5
	v_min_u32_e32 v26, 0x2000, v6
	;; [unrolled: 1-line block ×5, first 2 shown]
	v_lshlrev_b32_e32 v3, 2, v3
	v_lshlrev_b32_e32 v26, 2, v26
	v_min_u32_e32 v39, 0x2000, v28
	v_lshlrev_b32_e32 v36, 2, v36
	s_mov_b32 s10, exec_lo
	s_waitcnt vmcnt(0)
	ds_write_b32 v3, v13 offset:1024
	ds_write_b32 v26, v14 offset:1024
	v_min_u32_e32 v3, 0x2000, v29
	v_lshlrev_b32_e32 v26, 2, v37
	v_lshlrev_b32_e32 v37, 2, v38
	;; [unrolled: 1-line block ×3, first 2 shown]
	ds_write_b32 v36, v15 offset:1024
	v_lshlrev_b32_e32 v3, 2, v3
	ds_write_b32 v26, v16 offset:1024
	ds_write_b32 v37, v17 offset:1024
	;; [unrolled: 1-line block ×3, first 2 shown]
	v_min_u32_e32 v26, 0x2000, v31
	v_min_u32_e32 v36, 0x2000, v33
	;; [unrolled: 1-line block ×3, first 2 shown]
	ds_write_b32 v3, v19 offset:1024
	v_min_u32_e32 v3, 0x2000, v32
	v_lshlrev_b32_e32 v26, 2, v26
	v_min_u32_e32 v38, 0x2000, v35
	v_lshlrev_b32_e32 v36, 2, v36
	v_lshlrev_b32_e32 v37, 2, v37
	;; [unrolled: 1-line block ×3, first 2 shown]
	ds_write_b32 v26, v20 offset:1024
	v_lshlrev_b32_e32 v26, 2, v38
	ds_write_b32 v3, v21 offset:1024
	ds_write_b32 v36, v22 offset:1024
	;; [unrolled: 1-line block ×4, first 2 shown]
	s_waitcnt lgkmcnt(0)
	s_barrier
	buffer_gl0_inv
	v_cmpx_gt_u32_e64 s48, v25
	s_cbranch_execz .LBB848_119
; %bb.118:                              ;   in Loop: Header=BB848_117 Depth=1
	v_mov_b32_e32 v3, s9
	buffer_load_dword v3, v3, s[0:3], 0 offen
	s_waitcnt vmcnt(0)
	v_lshlrev_b32_e32 v3, 2, v3
	ds_read_b32 v3, v3
	ds_read_b32 v26, v30 offset:1024
	s_waitcnt lgkmcnt(1)
	v_add_nc_u32_e32 v3, v25, v3
	v_lshlrev_b64 v[36:37], 2, v[3:4]
	v_add_co_u32 v36, vcc_lo, s42, v36
	v_add_co_ci_u32_e64 v37, null, s43, v37, vcc_lo
	s_waitcnt lgkmcnt(0)
	global_store_dword v[36:37], v26, off
.LBB848_119:                            ;   in Loop: Header=BB848_117 Depth=1
	s_or_b32 exec_lo, exec_lo, s10
	v_add_nc_u32_e32 v3, 0x400, v25
	s_mov_b32 s10, exec_lo
	v_cmpx_gt_u32_e64 s48, v3
	s_cbranch_execz .LBB848_121
; %bb.120:                              ;   in Loop: Header=BB848_117 Depth=1
	v_mov_b32_e32 v3, s9
	buffer_load_dword v3, v3, s[0:3], 0 offen offset:4
	s_waitcnt vmcnt(0)
	v_lshlrev_b32_e32 v3, 2, v3
	ds_read_b32 v3, v3
	ds_read_b32 v26, v30 offset:5120
	s_waitcnt lgkmcnt(1)
	v_add3_u32 v3, v25, v3, 0x400
	v_lshlrev_b64 v[36:37], 2, v[3:4]
	v_add_co_u32 v36, vcc_lo, s42, v36
	v_add_co_ci_u32_e64 v37, null, s43, v37, vcc_lo
	s_waitcnt lgkmcnt(0)
	global_store_dword v[36:37], v26, off
.LBB848_121:                            ;   in Loop: Header=BB848_117 Depth=1
	s_or_b32 exec_lo, exec_lo, s10
	v_add_nc_u32_e32 v3, 0x800, v25
	s_mov_b32 s10, exec_lo
	v_cmpx_gt_u32_e64 s48, v3
	s_cbranch_execz .LBB848_123
; %bb.122:                              ;   in Loop: Header=BB848_117 Depth=1
	v_mov_b32_e32 v3, s9
	buffer_load_dword v3, v3, s[0:3], 0 offen offset:8
	s_waitcnt vmcnt(0)
	v_lshlrev_b32_e32 v3, 2, v3
	ds_read_b32 v3, v3
	ds_read_b32 v26, v30 offset:9216
	s_waitcnt lgkmcnt(1)
	v_add3_u32 v3, v25, v3, 0x800
	v_lshlrev_b64 v[36:37], 2, v[3:4]
	v_add_co_u32 v36, vcc_lo, s42, v36
	v_add_co_ci_u32_e64 v37, null, s43, v37, vcc_lo
	s_waitcnt lgkmcnt(0)
	global_store_dword v[36:37], v26, off
.LBB848_123:                            ;   in Loop: Header=BB848_117 Depth=1
	;; [unrolled: 20-line block ×6, first 2 shown]
	s_or_b32 exec_lo, exec_lo, s10
	v_add_nc_u32_e32 v3, 0x1c00, v25
	s_mov_b32 s10, exec_lo
	v_cmpx_gt_u32_e64 s48, v3
	s_cbranch_execz .LBB848_116
; %bb.132:                              ;   in Loop: Header=BB848_117 Depth=1
	v_mov_b32_e32 v3, s9
	buffer_load_dword v3, v3, s[0:3], 0 offen offset:28
	s_waitcnt vmcnt(0)
	v_lshlrev_b32_e32 v3, 2, v3
	ds_read_b32 v3, v3
	ds_read_b32 v26, v30 offset:29696
	s_waitcnt lgkmcnt(1)
	v_add3_u32 v3, v25, v3, 0x1c00
	v_lshlrev_b64 v[36:37], 2, v[3:4]
	v_add_co_u32 v36, vcc_lo, s42, v36
	v_add_co_ci_u32_e64 v37, null, s43, v37, vcc_lo
	s_waitcnt lgkmcnt(0)
	global_store_dword v[36:37], v26, off
	s_branch .LBB848_116
.LBB848_133:
	s_add_i32 s35, s35, -1
	s_cmp_eq_u32 s33, s35
	s_cselect_b32 s8, -1, 0
	s_xor_b32 s9, s20, -1
	s_and_b32 s9, s9, s8
	s_and_saveexec_b32 s8, s9
	s_cbranch_execz .LBB848_135
; %bb.134:
	ds_read_b32 v3, v30
	s_waitcnt lgkmcnt(0)
	v_add3_u32 v3, v9, v10, v3
	global_store_dword v30, v3, s[30:31]
.LBB848_135:
	s_or_b32 exec_lo, exec_lo, s8
	s_mov_b32 s9, 0
.LBB848_136:
	s_and_b32 vcc_lo, exec_lo, s9
	s_cbranch_vccz .LBB848_203
; %bb.137:
	s_mov_b32 s35, 0
	v_mul_u32_u24_e32 v3, 12, v12
	v_lshlrev_b32_e32 v9, 2, v11
	s_lshl_b64 s[12:13], s[34:35], 2
	v_mov_b32_e32 v22, 0
	s_add_u32 s8, s36, s12
	s_addc_u32 s9, s37, s13
	v_lshlrev_b32_e32 v10, 2, v3
	v_add_co_u32 v3, s8, s8, v9
	v_add_co_ci_u32_e64 v4, null, s9, 0, s8
	v_add_co_u32 v18, vcc_lo, v3, v10
	v_add_co_ci_u32_e64 v19, null, 0, v4, vcc_lo
	global_load_dword v12, v[18:19], off
	s_clause 0x1
	s_load_dword s8, s[4:5], 0x64
	s_load_dword s11, s[4:5], 0x58
	s_add_u32 s4, s4, 0x58
	s_addc_u32 s5, s5, 0
	s_waitcnt lgkmcnt(0)
	s_lshr_b32 s8, s8, 16
	s_cmp_lt_u32 s6, s11
	v_mad_u32_u24 v1, v2, s8, v1
	s_cselect_b32 s6, 12, 18
	s_add_u32 s4, s4, s6
	s_addc_u32 s5, s5, 0
	global_load_ushort v16, v22, s[4:5]
	s_clause 0xa
	global_load_dword v13, v[18:19], off offset:128
	global_load_dword v14, v[18:19], off offset:256
	;; [unrolled: 1-line block ×11, first 2 shown]
	s_lshl_b32 s4, -1, s45
	s_not_b32 s14, s4
	s_waitcnt vmcnt(12)
	v_xor_b32_e32 v12, 0x80000000, v12
	v_lshrrev_b32_e32 v18, s44, v12
	v_and_b32_e32 v18, s14, v18
	v_and_b32_e32 v19, 1, v18
	v_lshlrev_b32_e32 v21, 30, v18
	v_lshlrev_b32_e32 v23, 29, v18
	;; [unrolled: 1-line block ×4, first 2 shown]
	v_add_co_u32 v19, s4, v19, -1
	v_cndmask_b32_e64 v25, 0, 1, s4
	v_not_b32_e32 v29, v21
	v_cmp_gt_i32_e64 s4, 0, v21
	v_not_b32_e32 v21, v23
	v_lshlrev_b32_e32 v27, 26, v18
	v_cmp_ne_u32_e32 vcc_lo, 0, v25
	v_ashrrev_i32_e32 v29, 31, v29
	v_lshlrev_b32_e32 v28, 25, v18
	v_ashrrev_i32_e32 v21, 31, v21
	v_lshlrev_b32_e32 v25, 24, v18
	v_xor_b32_e32 v19, vcc_lo, v19
	v_cmp_gt_i32_e32 vcc_lo, 0, v23
	v_not_b32_e32 v23, v24
	v_xor_b32_e32 v29, s4, v29
	v_cmp_gt_i32_e64 s4, 0, v24
	v_and_b32_e32 v19, exec_lo, v19
	v_not_b32_e32 v24, v26
	v_ashrrev_i32_e32 v23, 31, v23
	v_xor_b32_e32 v21, vcc_lo, v21
	v_cmp_gt_i32_e32 vcc_lo, 0, v26
	v_and_b32_e32 v19, v19, v29
	v_not_b32_e32 v26, v27
	v_ashrrev_i32_e32 v24, 31, v24
	v_xor_b32_e32 v23, s4, v23
	v_cmp_gt_i32_e64 s4, 0, v27
	v_and_b32_e32 v19, v19, v21
	v_not_b32_e32 v21, v28
	v_ashrrev_i32_e32 v26, 31, v26
	v_xor_b32_e32 v24, vcc_lo, v24
	v_cmp_gt_i32_e32 vcc_lo, 0, v28
	v_and_b32_e32 v19, v19, v23
	v_not_b32_e32 v23, v25
	v_ashrrev_i32_e32 v21, 31, v21
	v_xor_b32_e32 v26, s4, v26
	v_cmp_gt_i32_e64 s4, 0, v25
	v_and_b32_e32 v19, v19, v24
	v_ashrrev_i32_e32 v23, 31, v23
	v_xor_b32_e32 v21, vcc_lo, v21
	s_waitcnt vmcnt(11)
	v_mad_u64_u32 v[1:2], null, v1, v16, v[0:1]
	v_and_b32_e32 v19, v19, v26
	v_xor_b32_e32 v23, s4, v23
	v_mul_lo_u32 v18, 0x84, v18
	v_and_b32_e32 v19, v19, v21
	v_mul_u32_u24_e32 v21, 36, v0
	v_lshrrev_b32_e32 v1, 5, v1
	ds_write2_b32 v21, v22, v22 offset0:32 offset1:33
	ds_write2_b32 v21, v22, v22 offset0:34 offset1:35
	ds_write2_b32 v21, v22, v22 offset0:36 offset1:37
	v_and_b32_e32 v2, v19, v23
	ds_write2_b32 v21, v22, v22 offset0:38 offset1:39
	ds_write_b32 v21, v22 offset:160
	v_lshl_add_u32 v22, v1, 2, v18
	s_waitcnt vmcnt(0) lgkmcnt(0)
	s_waitcnt_vscnt null, 0x0
	s_barrier
	v_mbcnt_lo_u32_b32 v16, v2, 0
	v_cmp_ne_u32_e64 s4, 0, v2
	buffer_gl0_inv
	; wave barrier
	v_cmp_eq_u32_e32 vcc_lo, 0, v16
	s_and_b32 s5, s4, vcc_lo
	s_and_saveexec_b32 s4, s5
; %bb.138:
	v_bcnt_u32_b32 v2, v2, 0
	ds_write_b32 v22, v2 offset:128
; %bb.139:
	s_or_b32 exec_lo, exec_lo, s4
	v_xor_b32_e32 v13, 0x80000000, v13
	; wave barrier
	v_lshrrev_b32_e32 v2, s44, v13
	v_and_b32_e32 v2, s14, v2
	v_and_b32_e32 v19, 1, v2
	v_lshlrev_b32_e32 v23, 30, v2
	v_lshlrev_b32_e32 v24, 29, v2
	;; [unrolled: 1-line block ×4, first 2 shown]
	v_add_co_u32 v19, s4, v19, -1
	v_cndmask_b32_e64 v26, 0, 1, s4
	v_not_b32_e32 v30, v23
	v_cmp_gt_i32_e64 s4, 0, v23
	v_not_b32_e32 v23, v24
	v_lshlrev_b32_e32 v28, 26, v2
	v_cmp_ne_u32_e32 vcc_lo, 0, v26
	v_ashrrev_i32_e32 v26, 31, v30
	v_lshlrev_b32_e32 v29, 25, v2
	v_ashrrev_i32_e32 v23, 31, v23
	v_mul_lo_u32 v18, 0x84, v2
	v_xor_b32_e32 v19, vcc_lo, v19
	v_cmp_gt_i32_e32 vcc_lo, 0, v24
	v_not_b32_e32 v24, v25
	v_xor_b32_e32 v26, s4, v26
	v_cmp_gt_i32_e64 s4, 0, v25
	v_and_b32_e32 v19, exec_lo, v19
	v_not_b32_e32 v25, v27
	v_ashrrev_i32_e32 v24, 31, v24
	v_xor_b32_e32 v23, vcc_lo, v23
	v_cmp_gt_i32_e32 vcc_lo, 0, v27
	v_and_b32_e32 v19, v19, v26
	v_not_b32_e32 v26, v28
	v_ashrrev_i32_e32 v25, 31, v25
	v_xor_b32_e32 v24, s4, v24
	v_lshlrev_b32_e32 v2, 24, v2
	v_and_b32_e32 v19, v19, v23
	v_cmp_gt_i32_e64 s4, 0, v28
	v_not_b32_e32 v23, v29
	v_ashrrev_i32_e32 v26, 31, v26
	v_xor_b32_e32 v25, vcc_lo, v25
	v_and_b32_e32 v19, v19, v24
	v_cmp_gt_i32_e32 vcc_lo, 0, v29
	v_not_b32_e32 v24, v2
	v_ashrrev_i32_e32 v23, 31, v23
	v_xor_b32_e32 v26, s4, v26
	v_and_b32_e32 v19, v19, v25
	v_cmp_gt_i32_e64 s4, 0, v2
	v_ashrrev_i32_e32 v2, 31, v24
	v_xor_b32_e32 v23, vcc_lo, v23
	v_and_b32_e32 v19, v19, v26
	v_lshl_add_u32 v26, v1, 2, v18
	v_xor_b32_e32 v2, s4, v2
	v_and_b32_e32 v19, v19, v23
	ds_read_b32 v18, v26 offset:128
	; wave barrier
	v_and_b32_e32 v2, v19, v2
	v_mbcnt_lo_u32_b32 v19, v2, 0
	v_cmp_ne_u32_e64 s4, 0, v2
	v_cmp_eq_u32_e32 vcc_lo, 0, v19
	s_and_b32 s5, s4, vcc_lo
	s_and_saveexec_b32 s4, s5
	s_cbranch_execz .LBB848_141
; %bb.140:
	s_waitcnt lgkmcnt(0)
	v_bcnt_u32_b32 v2, v2, v18
	ds_write_b32 v26, v2 offset:128
.LBB848_141:
	s_or_b32 exec_lo, exec_lo, s4
	v_xor_b32_e32 v14, 0x80000000, v14
	; wave barrier
	v_lshrrev_b32_e32 v2, s44, v14
	v_and_b32_e32 v2, s14, v2
	v_and_b32_e32 v24, 1, v2
	v_lshlrev_b32_e32 v25, 30, v2
	v_lshlrev_b32_e32 v27, 29, v2
	;; [unrolled: 1-line block ×4, first 2 shown]
	v_add_co_u32 v24, s4, v24, -1
	v_cndmask_b32_e64 v29, 0, 1, s4
	v_not_b32_e32 v33, v25
	v_cmp_gt_i32_e64 s4, 0, v25
	v_not_b32_e32 v25, v27
	v_lshlrev_b32_e32 v31, 26, v2
	v_cmp_ne_u32_e32 vcc_lo, 0, v29
	v_ashrrev_i32_e32 v29, 31, v33
	v_lshlrev_b32_e32 v32, 25, v2
	v_ashrrev_i32_e32 v25, 31, v25
	v_mul_lo_u32 v23, 0x84, v2
	v_xor_b32_e32 v24, vcc_lo, v24
	v_cmp_gt_i32_e32 vcc_lo, 0, v27
	v_not_b32_e32 v27, v28
	v_xor_b32_e32 v29, s4, v29
	v_cmp_gt_i32_e64 s4, 0, v28
	v_and_b32_e32 v24, exec_lo, v24
	v_not_b32_e32 v28, v30
	v_ashrrev_i32_e32 v27, 31, v27
	v_xor_b32_e32 v25, vcc_lo, v25
	v_cmp_gt_i32_e32 vcc_lo, 0, v30
	v_and_b32_e32 v24, v24, v29
	v_not_b32_e32 v29, v31
	v_ashrrev_i32_e32 v28, 31, v28
	v_xor_b32_e32 v27, s4, v27
	v_lshlrev_b32_e32 v2, 24, v2
	v_and_b32_e32 v24, v24, v25
	v_cmp_gt_i32_e64 s4, 0, v31
	v_not_b32_e32 v25, v32
	v_ashrrev_i32_e32 v29, 31, v29
	v_xor_b32_e32 v28, vcc_lo, v28
	v_and_b32_e32 v24, v24, v27
	v_cmp_gt_i32_e32 vcc_lo, 0, v32
	v_not_b32_e32 v27, v2
	v_ashrrev_i32_e32 v25, 31, v25
	v_xor_b32_e32 v29, s4, v29
	v_and_b32_e32 v24, v24, v28
	v_cmp_gt_i32_e64 s4, 0, v2
	v_ashrrev_i32_e32 v2, 31, v27
	v_xor_b32_e32 v25, vcc_lo, v25
	v_lshl_add_u32 v30, v1, 2, v23
	v_and_b32_e32 v24, v24, v29
	v_xor_b32_e32 v2, s4, v2
	ds_read_b32 v23, v30 offset:128
	v_and_b32_e32 v24, v24, v25
	; wave barrier
	v_and_b32_e32 v2, v24, v2
	v_mbcnt_lo_u32_b32 v24, v2, 0
	v_cmp_ne_u32_e64 s4, 0, v2
	v_cmp_eq_u32_e32 vcc_lo, 0, v24
	s_and_b32 s5, s4, vcc_lo
	s_and_saveexec_b32 s4, s5
	s_cbranch_execz .LBB848_143
; %bb.142:
	s_waitcnt lgkmcnt(0)
	v_bcnt_u32_b32 v2, v2, v23
	ds_write_b32 v30, v2 offset:128
.LBB848_143:
	s_or_b32 exec_lo, exec_lo, s4
	v_xor_b32_e32 v15, 0x80000000, v15
	; wave barrier
	v_lshrrev_b32_e32 v2, s44, v15
	v_and_b32_e32 v2, s14, v2
	v_and_b32_e32 v27, 1, v2
	v_lshlrev_b32_e32 v28, 30, v2
	v_lshlrev_b32_e32 v29, 29, v2
	;; [unrolled: 1-line block ×4, first 2 shown]
	v_add_co_u32 v27, s4, v27, -1
	v_cndmask_b32_e64 v32, 0, 1, s4
	v_not_b32_e32 v36, v28
	v_cmp_gt_i32_e64 s4, 0, v28
	v_not_b32_e32 v28, v29
	v_lshlrev_b32_e32 v34, 26, v2
	v_cmp_ne_u32_e32 vcc_lo, 0, v32
	v_ashrrev_i32_e32 v32, 31, v36
	v_lshlrev_b32_e32 v35, 25, v2
	v_ashrrev_i32_e32 v28, 31, v28
	v_mul_lo_u32 v25, 0x84, v2
	v_xor_b32_e32 v27, vcc_lo, v27
	v_cmp_gt_i32_e32 vcc_lo, 0, v29
	v_not_b32_e32 v29, v31
	v_xor_b32_e32 v32, s4, v32
	v_cmp_gt_i32_e64 s4, 0, v31
	v_and_b32_e32 v27, exec_lo, v27
	v_not_b32_e32 v31, v33
	v_ashrrev_i32_e32 v29, 31, v29
	v_xor_b32_e32 v28, vcc_lo, v28
	v_cmp_gt_i32_e32 vcc_lo, 0, v33
	v_and_b32_e32 v27, v27, v32
	v_not_b32_e32 v32, v34
	v_ashrrev_i32_e32 v31, 31, v31
	v_xor_b32_e32 v29, s4, v29
	v_lshlrev_b32_e32 v2, 24, v2
	v_and_b32_e32 v27, v27, v28
	v_cmp_gt_i32_e64 s4, 0, v34
	v_not_b32_e32 v28, v35
	v_ashrrev_i32_e32 v32, 31, v32
	v_xor_b32_e32 v31, vcc_lo, v31
	v_and_b32_e32 v27, v27, v29
	v_cmp_gt_i32_e32 vcc_lo, 0, v35
	v_not_b32_e32 v29, v2
	v_ashrrev_i32_e32 v28, 31, v28
	v_xor_b32_e32 v32, s4, v32
	v_and_b32_e32 v27, v27, v31
	v_cmp_gt_i32_e64 s4, 0, v2
	v_ashrrev_i32_e32 v2, 31, v29
	v_xor_b32_e32 v28, vcc_lo, v28
	v_lshl_add_u32 v34, v1, 2, v25
	v_and_b32_e32 v27, v27, v32
	v_xor_b32_e32 v2, s4, v2
	v_and_b32_e32 v25, v27, v28
	ds_read_b32 v27, v34 offset:128
	; wave barrier
	v_and_b32_e32 v2, v25, v2
	v_mbcnt_lo_u32_b32 v28, v2, 0
	v_cmp_ne_u32_e64 s4, 0, v2
	v_cmp_eq_u32_e32 vcc_lo, 0, v28
	s_and_b32 s5, s4, vcc_lo
	s_and_saveexec_b32 s4, s5
	s_cbranch_execz .LBB848_145
; %bb.144:
	s_waitcnt lgkmcnt(0)
	v_bcnt_u32_b32 v2, v2, v27
	ds_write_b32 v34, v2 offset:128
.LBB848_145:
	s_or_b32 exec_lo, exec_lo, s4
	v_xor_b32_e32 v17, 0x80000000, v17
	; wave barrier
	v_lshrrev_b32_e32 v2, s44, v17
	v_and_b32_e32 v2, s14, v2
	v_and_b32_e32 v29, 1, v2
	v_lshlrev_b32_e32 v31, 30, v2
	v_lshlrev_b32_e32 v32, 29, v2
	;; [unrolled: 1-line block ×4, first 2 shown]
	v_add_co_u32 v29, s4, v29, -1
	v_cndmask_b32_e64 v35, 0, 1, s4
	v_not_b32_e32 v39, v31
	v_cmp_gt_i32_e64 s4, 0, v31
	v_not_b32_e32 v31, v32
	v_lshlrev_b32_e32 v37, 26, v2
	v_cmp_ne_u32_e32 vcc_lo, 0, v35
	v_ashrrev_i32_e32 v35, 31, v39
	v_lshlrev_b32_e32 v38, 25, v2
	v_ashrrev_i32_e32 v31, 31, v31
	v_mul_lo_u32 v25, 0x84, v2
	v_xor_b32_e32 v29, vcc_lo, v29
	v_cmp_gt_i32_e32 vcc_lo, 0, v32
	v_not_b32_e32 v32, v33
	v_xor_b32_e32 v35, s4, v35
	v_cmp_gt_i32_e64 s4, 0, v33
	v_and_b32_e32 v29, exec_lo, v29
	v_not_b32_e32 v33, v36
	v_ashrrev_i32_e32 v32, 31, v32
	v_xor_b32_e32 v31, vcc_lo, v31
	v_cmp_gt_i32_e32 vcc_lo, 0, v36
	v_and_b32_e32 v29, v29, v35
	v_not_b32_e32 v35, v37
	v_ashrrev_i32_e32 v33, 31, v33
	v_xor_b32_e32 v32, s4, v32
	v_lshlrev_b32_e32 v2, 24, v2
	v_and_b32_e32 v29, v29, v31
	v_cmp_gt_i32_e64 s4, 0, v37
	v_not_b32_e32 v31, v38
	v_ashrrev_i32_e32 v35, 31, v35
	v_xor_b32_e32 v33, vcc_lo, v33
	v_and_b32_e32 v29, v29, v32
	v_cmp_gt_i32_e32 vcc_lo, 0, v38
	v_not_b32_e32 v32, v2
	v_ashrrev_i32_e32 v31, 31, v31
	v_xor_b32_e32 v35, s4, v35
	v_and_b32_e32 v29, v29, v33
	v_cmp_gt_i32_e64 s4, 0, v2
	v_ashrrev_i32_e32 v2, 31, v32
	v_xor_b32_e32 v31, vcc_lo, v31
	v_lshl_add_u32 v38, v1, 2, v25
	v_and_b32_e32 v29, v29, v35
	v_xor_b32_e32 v2, s4, v2
	v_and_b32_e32 v25, v29, v31
	ds_read_b32 v31, v38 offset:128
	; wave barrier
	v_and_b32_e32 v2, v25, v2
	v_mbcnt_lo_u32_b32 v32, v2, 0
	v_cmp_ne_u32_e64 s4, 0, v2
	v_cmp_eq_u32_e32 vcc_lo, 0, v32
	s_and_b32 s5, s4, vcc_lo
	s_and_saveexec_b32 s4, s5
	s_cbranch_execz .LBB848_147
; %bb.146:
	s_waitcnt lgkmcnt(0)
	v_bcnt_u32_b32 v2, v2, v31
	ds_write_b32 v38, v2 offset:128
.LBB848_147:
	s_or_b32 exec_lo, exec_lo, s4
	v_xor_b32_e32 v20, 0x80000000, v20
	; wave barrier
	v_lshrrev_b32_e32 v2, s44, v20
	v_and_b32_e32 v2, s14, v2
	v_and_b32_e32 v29, 1, v2
	v_lshlrev_b32_e32 v33, 30, v2
	v_lshlrev_b32_e32 v35, 29, v2
	v_lshlrev_b32_e32 v36, 28, v2
	v_lshlrev_b32_e32 v39, 27, v2
	v_add_co_u32 v29, s4, v29, -1
	v_cndmask_b32_e64 v37, 0, 1, s4
	v_not_b32_e32 v42, v33
	v_cmp_gt_i32_e64 s4, 0, v33
	v_not_b32_e32 v33, v35
	v_lshlrev_b32_e32 v40, 26, v2
	v_cmp_ne_u32_e32 vcc_lo, 0, v37
	v_ashrrev_i32_e32 v37, 31, v42
	v_lshlrev_b32_e32 v41, 25, v2
	v_ashrrev_i32_e32 v33, 31, v33
	v_mul_lo_u32 v25, 0x84, v2
	v_xor_b32_e32 v29, vcc_lo, v29
	v_cmp_gt_i32_e32 vcc_lo, 0, v35
	v_not_b32_e32 v35, v36
	v_xor_b32_e32 v37, s4, v37
	v_cmp_gt_i32_e64 s4, 0, v36
	v_and_b32_e32 v29, exec_lo, v29
	v_not_b32_e32 v36, v39
	v_ashrrev_i32_e32 v35, 31, v35
	v_xor_b32_e32 v33, vcc_lo, v33
	v_cmp_gt_i32_e32 vcc_lo, 0, v39
	v_and_b32_e32 v29, v29, v37
	v_not_b32_e32 v37, v40
	v_ashrrev_i32_e32 v36, 31, v36
	v_xor_b32_e32 v35, s4, v35
	v_lshlrev_b32_e32 v2, 24, v2
	v_and_b32_e32 v29, v29, v33
	v_cmp_gt_i32_e64 s4, 0, v40
	v_not_b32_e32 v33, v41
	v_ashrrev_i32_e32 v37, 31, v37
	v_xor_b32_e32 v36, vcc_lo, v36
	v_and_b32_e32 v29, v29, v35
	v_cmp_gt_i32_e32 vcc_lo, 0, v41
	v_not_b32_e32 v35, v2
	v_ashrrev_i32_e32 v33, 31, v33
	v_xor_b32_e32 v37, s4, v37
	v_and_b32_e32 v29, v29, v36
	v_cmp_gt_i32_e64 s4, 0, v2
	v_ashrrev_i32_e32 v2, 31, v35
	v_xor_b32_e32 v33, vcc_lo, v33
	v_lshl_add_u32 v43, v1, 2, v25
	v_and_b32_e32 v29, v29, v37
	v_xor_b32_e32 v2, s4, v2
	ds_read_b32 v35, v43 offset:128
	v_and_b32_e32 v25, v29, v33
	; wave barrier
	v_and_b32_e32 v2, v25, v2
	v_mbcnt_lo_u32_b32 v36, v2, 0
	v_cmp_ne_u32_e64 s4, 0, v2
	v_cmp_eq_u32_e32 vcc_lo, 0, v36
	s_and_b32 s5, s4, vcc_lo
	s_and_saveexec_b32 s4, s5
	s_cbranch_execz .LBB848_149
; %bb.148:
	s_waitcnt lgkmcnt(0)
	v_bcnt_u32_b32 v2, v2, v35
	ds_write_b32 v43, v2 offset:128
.LBB848_149:
	s_or_b32 exec_lo, exec_lo, s4
	v_xor_b32_e32 v25, 0x80000000, v8
	; wave barrier
	v_lshrrev_b32_e32 v2, s44, v25
	v_and_b32_e32 v2, s14, v2
	v_and_b32_e32 v29, 1, v2
	v_lshlrev_b32_e32 v33, 30, v2
	v_lshlrev_b32_e32 v37, 29, v2
	;; [unrolled: 1-line block ×4, first 2 shown]
	v_add_co_u32 v29, s4, v29, -1
	v_cndmask_b32_e64 v40, 0, 1, s4
	v_not_b32_e32 v45, v33
	v_cmp_gt_i32_e64 s4, 0, v33
	v_not_b32_e32 v33, v37
	v_lshlrev_b32_e32 v42, 26, v2
	v_cmp_ne_u32_e32 vcc_lo, 0, v40
	v_ashrrev_i32_e32 v40, 31, v45
	v_lshlrev_b32_e32 v44, 25, v2
	v_ashrrev_i32_e32 v33, 31, v33
	v_mul_lo_u32 v8, 0x84, v2
	v_xor_b32_e32 v29, vcc_lo, v29
	v_cmp_gt_i32_e32 vcc_lo, 0, v37
	v_not_b32_e32 v37, v39
	v_xor_b32_e32 v40, s4, v40
	v_cmp_gt_i32_e64 s4, 0, v39
	v_and_b32_e32 v29, exec_lo, v29
	v_not_b32_e32 v39, v41
	v_ashrrev_i32_e32 v37, 31, v37
	v_xor_b32_e32 v33, vcc_lo, v33
	v_cmp_gt_i32_e32 vcc_lo, 0, v41
	v_and_b32_e32 v29, v29, v40
	v_not_b32_e32 v40, v42
	v_ashrrev_i32_e32 v39, 31, v39
	v_xor_b32_e32 v37, s4, v37
	v_lshlrev_b32_e32 v2, 24, v2
	v_and_b32_e32 v29, v29, v33
	v_cmp_gt_i32_e64 s4, 0, v42
	v_not_b32_e32 v33, v44
	v_ashrrev_i32_e32 v40, 31, v40
	v_xor_b32_e32 v39, vcc_lo, v39
	v_and_b32_e32 v29, v29, v37
	v_cmp_gt_i32_e32 vcc_lo, 0, v44
	v_not_b32_e32 v37, v2
	v_ashrrev_i32_e32 v33, 31, v33
	v_xor_b32_e32 v40, s4, v40
	v_and_b32_e32 v29, v29, v39
	v_cmp_gt_i32_e64 s4, 0, v2
	v_ashrrev_i32_e32 v2, 31, v37
	v_xor_b32_e32 v33, vcc_lo, v33
	v_lshl_add_u32 v47, v1, 2, v8
	v_and_b32_e32 v29, v29, v40
	v_xor_b32_e32 v2, s4, v2
	ds_read_b32 v39, v47 offset:128
	v_and_b32_e32 v8, v29, v33
	; wave barrier
	v_and_b32_e32 v2, v8, v2
	v_mbcnt_lo_u32_b32 v41, v2, 0
	v_cmp_ne_u32_e64 s4, 0, v2
	v_cmp_eq_u32_e32 vcc_lo, 0, v41
	s_and_b32 s5, s4, vcc_lo
	s_and_saveexec_b32 s4, s5
	s_cbranch_execz .LBB848_151
; %bb.150:
	s_waitcnt lgkmcnt(0)
	v_bcnt_u32_b32 v2, v2, v39
	ds_write_b32 v47, v2 offset:128
.LBB848_151:
	s_or_b32 exec_lo, exec_lo, s4
	v_xor_b32_e32 v29, 0x80000000, v7
	; wave barrier
	v_lshrrev_b32_e32 v2, s44, v29
	v_and_b32_e32 v2, s14, v2
	v_and_b32_e32 v8, 1, v2
	v_lshlrev_b32_e32 v33, 30, v2
	v_lshlrev_b32_e32 v37, 29, v2
	;; [unrolled: 1-line block ×4, first 2 shown]
	v_add_co_u32 v8, s4, v8, -1
	v_cndmask_b32_e64 v42, 0, 1, s4
	v_not_b32_e32 v48, v33
	v_cmp_gt_i32_e64 s4, 0, v33
	v_not_b32_e32 v33, v37
	v_lshlrev_b32_e32 v45, 26, v2
	v_cmp_ne_u32_e32 vcc_lo, 0, v42
	v_ashrrev_i32_e32 v42, 31, v48
	v_lshlrev_b32_e32 v46, 25, v2
	v_ashrrev_i32_e32 v33, 31, v33
	v_mul_lo_u32 v7, 0x84, v2
	v_xor_b32_e32 v8, vcc_lo, v8
	v_cmp_gt_i32_e32 vcc_lo, 0, v37
	v_not_b32_e32 v37, v40
	v_xor_b32_e32 v42, s4, v42
	v_cmp_gt_i32_e64 s4, 0, v40
	v_and_b32_e32 v8, exec_lo, v8
	v_not_b32_e32 v40, v44
	v_ashrrev_i32_e32 v37, 31, v37
	v_xor_b32_e32 v33, vcc_lo, v33
	v_cmp_gt_i32_e32 vcc_lo, 0, v44
	v_and_b32_e32 v8, v8, v42
	v_not_b32_e32 v42, v45
	v_ashrrev_i32_e32 v40, 31, v40
	v_xor_b32_e32 v37, s4, v37
	v_lshlrev_b32_e32 v2, 24, v2
	v_and_b32_e32 v8, v8, v33
	v_cmp_gt_i32_e64 s4, 0, v45
	v_not_b32_e32 v33, v46
	v_ashrrev_i32_e32 v42, 31, v42
	v_xor_b32_e32 v40, vcc_lo, v40
	v_and_b32_e32 v8, v8, v37
	v_cmp_gt_i32_e32 vcc_lo, 0, v46
	v_not_b32_e32 v37, v2
	v_ashrrev_i32_e32 v33, 31, v33
	v_xor_b32_e32 v42, s4, v42
	v_and_b32_e32 v8, v8, v40
	v_cmp_gt_i32_e64 s4, 0, v2
	v_ashrrev_i32_e32 v2, 31, v37
	v_xor_b32_e32 v33, vcc_lo, v33
	v_lshl_add_u32 v50, v1, 2, v7
	v_and_b32_e32 v8, v8, v42
	v_xor_b32_e32 v2, s4, v2
	ds_read_b32 v44, v50 offset:128
	v_and_b32_e32 v7, v8, v33
	; wave barrier
	v_and_b32_e32 v2, v7, v2
	v_mbcnt_lo_u32_b32 v45, v2, 0
	v_cmp_ne_u32_e64 s4, 0, v2
	v_cmp_eq_u32_e32 vcc_lo, 0, v45
	s_and_b32 s5, s4, vcc_lo
	s_and_saveexec_b32 s4, s5
	s_cbranch_execz .LBB848_153
; %bb.152:
	s_waitcnt lgkmcnt(0)
	v_bcnt_u32_b32 v2, v2, v44
	ds_write_b32 v50, v2 offset:128
.LBB848_153:
	s_or_b32 exec_lo, exec_lo, s4
	v_xor_b32_e32 v33, 0x80000000, v6
	; wave barrier
	v_lshrrev_b32_e32 v2, s44, v33
	v_and_b32_e32 v2, s14, v2
	v_and_b32_e32 v7, 1, v2
	v_lshlrev_b32_e32 v8, 30, v2
	v_lshlrev_b32_e32 v37, 29, v2
	;; [unrolled: 1-line block ×4, first 2 shown]
	v_add_co_u32 v7, s4, v7, -1
	v_cndmask_b32_e64 v42, 0, 1, s4
	v_not_b32_e32 v51, v8
	v_cmp_gt_i32_e64 s4, 0, v8
	v_not_b32_e32 v8, v37
	v_lshlrev_b32_e32 v48, 26, v2
	v_cmp_ne_u32_e32 vcc_lo, 0, v42
	v_ashrrev_i32_e32 v42, 31, v51
	v_lshlrev_b32_e32 v49, 25, v2
	v_ashrrev_i32_e32 v8, 31, v8
	v_mul_lo_u32 v6, 0x84, v2
	v_xor_b32_e32 v7, vcc_lo, v7
	v_cmp_gt_i32_e32 vcc_lo, 0, v37
	v_not_b32_e32 v37, v40
	v_xor_b32_e32 v42, s4, v42
	v_cmp_gt_i32_e64 s4, 0, v40
	v_and_b32_e32 v7, exec_lo, v7
	v_not_b32_e32 v40, v46
	v_ashrrev_i32_e32 v37, 31, v37
	v_xor_b32_e32 v8, vcc_lo, v8
	v_cmp_gt_i32_e32 vcc_lo, 0, v46
	v_and_b32_e32 v7, v7, v42
	v_not_b32_e32 v42, v48
	v_ashrrev_i32_e32 v40, 31, v40
	v_xor_b32_e32 v37, s4, v37
	v_lshlrev_b32_e32 v2, 24, v2
	v_and_b32_e32 v7, v7, v8
	v_cmp_gt_i32_e64 s4, 0, v48
	v_not_b32_e32 v8, v49
	v_ashrrev_i32_e32 v42, 31, v42
	v_xor_b32_e32 v40, vcc_lo, v40
	v_and_b32_e32 v7, v7, v37
	v_cmp_gt_i32_e32 vcc_lo, 0, v49
	v_not_b32_e32 v37, v2
	v_ashrrev_i32_e32 v8, 31, v8
	v_xor_b32_e32 v42, s4, v42
	v_and_b32_e32 v7, v7, v40
	v_cmp_gt_i32_e64 s4, 0, v2
	v_ashrrev_i32_e32 v2, 31, v37
	v_xor_b32_e32 v8, vcc_lo, v8
	v_lshl_add_u32 v53, v1, 2, v6
	v_and_b32_e32 v7, v7, v42
	v_xor_b32_e32 v2, s4, v2
	ds_read_b32 v48, v53 offset:128
	v_and_b32_e32 v6, v7, v8
	; wave barrier
	v_and_b32_e32 v2, v6, v2
	v_mbcnt_lo_u32_b32 v49, v2, 0
	v_cmp_ne_u32_e64 s4, 0, v2
	v_cmp_eq_u32_e32 vcc_lo, 0, v49
	s_and_b32 s5, s4, vcc_lo
	s_and_saveexec_b32 s4, s5
	s_cbranch_execz .LBB848_155
; %bb.154:
	s_waitcnt lgkmcnt(0)
	v_bcnt_u32_b32 v2, v2, v48
	ds_write_b32 v53, v2 offset:128
.LBB848_155:
	s_or_b32 exec_lo, exec_lo, s4
	v_xor_b32_e32 v37, 0x80000000, v5
	; wave barrier
	v_lshrrev_b32_e32 v2, s44, v37
	v_and_b32_e32 v2, s14, v2
	v_and_b32_e32 v6, 1, v2
	v_lshlrev_b32_e32 v7, 30, v2
	v_lshlrev_b32_e32 v8, 29, v2
	;; [unrolled: 1-line block ×4, first 2 shown]
	v_add_co_u32 v6, s4, v6, -1
	v_cndmask_b32_e64 v42, 0, 1, s4
	v_not_b32_e32 v54, v7
	v_cmp_gt_i32_e64 s4, 0, v7
	v_not_b32_e32 v7, v8
	v_lshlrev_b32_e32 v51, 26, v2
	v_cmp_ne_u32_e32 vcc_lo, 0, v42
	v_ashrrev_i32_e32 v42, 31, v54
	v_lshlrev_b32_e32 v52, 25, v2
	v_ashrrev_i32_e32 v7, 31, v7
	v_mul_lo_u32 v5, 0x84, v2
	v_xor_b32_e32 v6, vcc_lo, v6
	v_cmp_gt_i32_e32 vcc_lo, 0, v8
	v_not_b32_e32 v8, v40
	v_xor_b32_e32 v42, s4, v42
	v_cmp_gt_i32_e64 s4, 0, v40
	v_and_b32_e32 v6, exec_lo, v6
	v_not_b32_e32 v40, v46
	v_ashrrev_i32_e32 v8, 31, v8
	v_xor_b32_e32 v7, vcc_lo, v7
	v_cmp_gt_i32_e32 vcc_lo, 0, v46
	v_and_b32_e32 v6, v6, v42
	v_not_b32_e32 v42, v51
	v_ashrrev_i32_e32 v40, 31, v40
	v_xor_b32_e32 v8, s4, v8
	v_lshlrev_b32_e32 v2, 24, v2
	v_and_b32_e32 v6, v6, v7
	v_cmp_gt_i32_e64 s4, 0, v51
	v_not_b32_e32 v7, v52
	v_ashrrev_i32_e32 v42, 31, v42
	v_xor_b32_e32 v40, vcc_lo, v40
	v_and_b32_e32 v6, v6, v8
	v_cmp_gt_i32_e32 vcc_lo, 0, v52
	v_not_b32_e32 v8, v2
	v_ashrrev_i32_e32 v7, 31, v7
	v_xor_b32_e32 v42, s4, v42
	v_and_b32_e32 v6, v6, v40
	v_cmp_gt_i32_e64 s4, 0, v2
	v_ashrrev_i32_e32 v2, 31, v8
	v_xor_b32_e32 v7, vcc_lo, v7
	v_lshl_add_u32 v56, v1, 2, v5
	v_and_b32_e32 v6, v6, v42
	v_xor_b32_e32 v2, s4, v2
	ds_read_b32 v51, v56 offset:128
	v_and_b32_e32 v5, v6, v7
	; wave barrier
	v_and_b32_e32 v2, v5, v2
	v_mbcnt_lo_u32_b32 v52, v2, 0
	v_cmp_ne_u32_e64 s4, 0, v2
	v_cmp_eq_u32_e32 vcc_lo, 0, v52
	s_and_b32 s5, s4, vcc_lo
	s_and_saveexec_b32 s4, s5
	s_cbranch_execz .LBB848_157
; %bb.156:
	s_waitcnt lgkmcnt(0)
	v_bcnt_u32_b32 v2, v2, v51
	ds_write_b32 v56, v2 offset:128
.LBB848_157:
	s_or_b32 exec_lo, exec_lo, s4
	v_xor_b32_e32 v42, 0x80000000, v4
	; wave barrier
	v_lshrrev_b32_e32 v2, s44, v42
	v_and_b32_e32 v2, s14, v2
	v_and_b32_e32 v5, 1, v2
	v_lshlrev_b32_e32 v6, 30, v2
	v_lshlrev_b32_e32 v7, 29, v2
	;; [unrolled: 1-line block ×4, first 2 shown]
	v_add_co_u32 v5, s4, v5, -1
	v_cndmask_b32_e64 v40, 0, 1, s4
	v_not_b32_e32 v57, v6
	v_cmp_gt_i32_e64 s4, 0, v6
	v_not_b32_e32 v6, v7
	v_lshlrev_b32_e32 v54, 26, v2
	v_cmp_ne_u32_e32 vcc_lo, 0, v40
	v_ashrrev_i32_e32 v40, 31, v57
	v_lshlrev_b32_e32 v55, 25, v2
	v_ashrrev_i32_e32 v6, 31, v6
	v_mul_lo_u32 v4, 0x84, v2
	v_xor_b32_e32 v5, vcc_lo, v5
	v_cmp_gt_i32_e32 vcc_lo, 0, v7
	v_not_b32_e32 v7, v8
	v_xor_b32_e32 v40, s4, v40
	v_cmp_gt_i32_e64 s4, 0, v8
	v_and_b32_e32 v5, exec_lo, v5
	v_not_b32_e32 v8, v46
	v_ashrrev_i32_e32 v7, 31, v7
	v_xor_b32_e32 v6, vcc_lo, v6
	v_cmp_gt_i32_e32 vcc_lo, 0, v46
	v_and_b32_e32 v5, v5, v40
	v_not_b32_e32 v40, v54
	v_ashrrev_i32_e32 v8, 31, v8
	v_xor_b32_e32 v7, s4, v7
	v_lshlrev_b32_e32 v2, 24, v2
	v_and_b32_e32 v5, v5, v6
	v_cmp_gt_i32_e64 s4, 0, v54
	v_not_b32_e32 v6, v55
	v_ashrrev_i32_e32 v40, 31, v40
	v_xor_b32_e32 v8, vcc_lo, v8
	v_and_b32_e32 v5, v5, v7
	v_cmp_gt_i32_e32 vcc_lo, 0, v55
	v_not_b32_e32 v7, v2
	v_ashrrev_i32_e32 v6, 31, v6
	v_xor_b32_e32 v40, s4, v40
	v_and_b32_e32 v5, v5, v8
	v_cmp_gt_i32_e64 s4, 0, v2
	v_ashrrev_i32_e32 v2, 31, v7
	v_xor_b32_e32 v6, vcc_lo, v6
	v_lshl_add_u32 v59, v1, 2, v4
	v_and_b32_e32 v5, v5, v40
	v_xor_b32_e32 v2, s4, v2
	ds_read_b32 v54, v59 offset:128
	v_and_b32_e32 v4, v5, v6
	; wave barrier
	v_and_b32_e32 v2, v4, v2
	v_mbcnt_lo_u32_b32 v55, v2, 0
	v_cmp_ne_u32_e64 s4, 0, v2
	v_cmp_eq_u32_e32 vcc_lo, 0, v55
	s_and_b32 s5, s4, vcc_lo
	s_and_saveexec_b32 s4, s5
	s_cbranch_execz .LBB848_159
; %bb.158:
	s_waitcnt lgkmcnt(0)
	v_bcnt_u32_b32 v2, v2, v54
	ds_write_b32 v59, v2 offset:128
.LBB848_159:
	s_or_b32 exec_lo, exec_lo, s4
	v_xor_b32_e32 v46, 0x80000000, v3
	; wave barrier
	v_lshrrev_b32_e32 v2, s44, v46
	v_and_b32_e32 v2, s14, v2
	v_and_b32_e32 v4, 1, v2
	v_lshlrev_b32_e32 v5, 30, v2
	v_lshlrev_b32_e32 v6, 29, v2
	;; [unrolled: 1-line block ×4, first 2 shown]
	v_add_co_u32 v4, s4, v4, -1
	v_cndmask_b32_e64 v8, 0, 1, s4
	v_not_b32_e32 v60, v5
	v_cmp_gt_i32_e64 s4, 0, v5
	v_not_b32_e32 v5, v6
	v_lshlrev_b32_e32 v57, 26, v2
	v_cmp_ne_u32_e32 vcc_lo, 0, v8
	v_ashrrev_i32_e32 v8, 31, v60
	v_lshlrev_b32_e32 v58, 25, v2
	v_ashrrev_i32_e32 v5, 31, v5
	v_mul_lo_u32 v3, 0x84, v2
	v_xor_b32_e32 v4, vcc_lo, v4
	v_cmp_gt_i32_e32 vcc_lo, 0, v6
	v_not_b32_e32 v6, v7
	v_xor_b32_e32 v8, s4, v8
	v_cmp_gt_i32_e64 s4, 0, v7
	v_and_b32_e32 v4, exec_lo, v4
	v_not_b32_e32 v7, v40
	v_ashrrev_i32_e32 v6, 31, v6
	v_xor_b32_e32 v5, vcc_lo, v5
	v_cmp_gt_i32_e32 vcc_lo, 0, v40
	v_and_b32_e32 v4, v4, v8
	v_not_b32_e32 v8, v57
	v_ashrrev_i32_e32 v7, 31, v7
	v_xor_b32_e32 v6, s4, v6
	v_lshlrev_b32_e32 v2, 24, v2
	v_and_b32_e32 v4, v4, v5
	v_cmp_gt_i32_e64 s4, 0, v57
	v_not_b32_e32 v5, v58
	v_ashrrev_i32_e32 v8, 31, v8
	v_xor_b32_e32 v7, vcc_lo, v7
	v_and_b32_e32 v4, v4, v6
	v_cmp_gt_i32_e32 vcc_lo, 0, v58
	v_not_b32_e32 v6, v2
	v_ashrrev_i32_e32 v5, 31, v5
	v_xor_b32_e32 v8, s4, v8
	v_and_b32_e32 v4, v4, v7
	v_cmp_gt_i32_e64 s4, 0, v2
	v_ashrrev_i32_e32 v2, 31, v6
	v_xor_b32_e32 v5, vcc_lo, v5
	v_lshl_add_u32 v60, v1, 2, v3
	v_and_b32_e32 v4, v4, v8
	v_xor_b32_e32 v1, s4, v2
	ds_read_b32 v57, v60 offset:128
	v_and_b32_e32 v2, v4, v5
	; wave barrier
	v_and_b32_e32 v1, v2, v1
	v_mbcnt_lo_u32_b32 v58, v1, 0
	v_cmp_ne_u32_e64 s4, 0, v1
	v_cmp_eq_u32_e32 vcc_lo, 0, v58
	s_and_b32 s5, s4, vcc_lo
	s_and_saveexec_b32 s4, s5
	s_cbranch_execz .LBB848_161
; %bb.160:
	s_waitcnt lgkmcnt(0)
	v_bcnt_u32_b32 v1, v1, v57
	ds_write_b32 v60, v1 offset:128
.LBB848_161:
	s_or_b32 exec_lo, exec_lo, s4
	; wave barrier
	s_waitcnt lgkmcnt(0)
	s_barrier
	buffer_gl0_inv
	ds_read2_b32 v[7:8], v21 offset0:32 offset1:33
	ds_read2_b32 v[5:6], v21 offset0:34 offset1:35
	;; [unrolled: 1-line block ×4, first 2 shown]
	ds_read_b32 v40, v21 offset:160
	v_and_b32_e32 v63, 16, v11
	v_and_b32_e32 v64, 31, v0
	s_mov_b32 s10, exec_lo
	v_cmp_eq_u32_e64 s8, 0, v63
	s_waitcnt lgkmcnt(3)
	v_add3_u32 v61, v8, v7, v5
	s_waitcnt lgkmcnt(2)
	v_add3_u32 v61, v61, v6, v3
	;; [unrolled: 2-line block ×4, first 2 shown]
	v_and_b32_e32 v61, 15, v11
	v_mov_b32_dpp v62, v40 row_shr:1 row_mask:0xf bank_mask:0xf
	v_cmp_eq_u32_e32 vcc_lo, 0, v61
	v_cmp_lt_u32_e64 s4, 1, v61
	v_cmp_lt_u32_e64 s5, 3, v61
	;; [unrolled: 1-line block ×3, first 2 shown]
	v_cndmask_b32_e64 v62, v62, 0, vcc_lo
	v_add_nc_u32_e32 v40, v62, v40
	v_mov_b32_dpp v62, v40 row_shr:2 row_mask:0xf bank_mask:0xf
	v_cndmask_b32_e64 v62, 0, v62, s4
	v_add_nc_u32_e32 v40, v40, v62
	v_mov_b32_dpp v62, v40 row_shr:4 row_mask:0xf bank_mask:0xf
	v_cndmask_b32_e64 v62, 0, v62, s5
	;; [unrolled: 3-line block ×3, first 2 shown]
	v_bfe_i32 v62, v11, 4, 1
	v_add_nc_u32_e32 v40, v40, v61
	ds_swizzle_b32 v61, v40 offset:swizzle(BROADCAST,32,15)
	s_waitcnt lgkmcnt(0)
	v_and_b32_e32 v61, v62, v61
	v_lshrrev_b32_e32 v62, 5, v0
	v_add_nc_u32_e32 v61, v40, v61
	v_cmpx_eq_u32_e32 31, v64
; %bb.162:
	v_lshlrev_b32_e32 v40, 2, v62
	ds_write_b32 v40, v61
; %bb.163:
	s_or_b32 exec_lo, exec_lo, s10
	v_cmp_lt_u32_e64 s9, 31, v0
	v_lshlrev_b32_e32 v40, 2, v0
	s_mov_b32 s15, exec_lo
	s_waitcnt lgkmcnt(0)
	s_barrier
	buffer_gl0_inv
	v_cmpx_gt_u32_e32 32, v0
	s_cbranch_execz .LBB848_165
; %bb.164:
	ds_read_b32 v63, v40
	s_waitcnt lgkmcnt(0)
	v_mov_b32_dpp v64, v63 row_shr:1 row_mask:0xf bank_mask:0xf
	v_cndmask_b32_e64 v64, v64, 0, vcc_lo
	v_add_nc_u32_e32 v63, v64, v63
	v_mov_b32_dpp v64, v63 row_shr:2 row_mask:0xf bank_mask:0xf
	v_cndmask_b32_e64 v64, 0, v64, s4
	v_add_nc_u32_e32 v63, v63, v64
	v_mov_b32_dpp v64, v63 row_shr:4 row_mask:0xf bank_mask:0xf
	v_cndmask_b32_e64 v64, 0, v64, s5
	;; [unrolled: 3-line block ×3, first 2 shown]
	v_add_nc_u32_e32 v63, v63, v64
	ds_swizzle_b32 v64, v63 offset:swizzle(BROADCAST,32,15)
	s_waitcnt lgkmcnt(0)
	v_cndmask_b32_e64 v64, v64, 0, s8
	v_add_nc_u32_e32 v63, v63, v64
	ds_write_b32 v40, v63
.LBB848_165:
	s_or_b32 exec_lo, exec_lo, s15
	v_mov_b32_e32 v63, 0
	s_waitcnt lgkmcnt(0)
	s_barrier
	buffer_gl0_inv
	s_and_saveexec_b32 s4, s9
; %bb.166:
	v_lshl_add_u32 v62, v62, 2, -4
	ds_read_b32 v63, v62
; %bb.167:
	s_or_b32 exec_lo, exec_lo, s4
	v_sub_co_u32 v62, vcc_lo, v11, 1
	s_waitcnt lgkmcnt(0)
	v_add_nc_u32_e32 v61, v63, v61
	v_cmp_gt_i32_e64 s4, 0, v62
	v_cndmask_b32_e64 v11, v62, v11, s4
	v_cmp_lt_u32_e64 s4, 0xff, v0
	v_lshlrev_b32_e32 v11, 2, v11
	ds_bpermute_b32 v11, v11, v61
	s_waitcnt lgkmcnt(0)
	v_cndmask_b32_e32 v11, v11, v63, vcc_lo
	v_cmp_gt_u32_e32 vcc_lo, 0x100, v0
	v_cndmask_b32_e64 v11, v11, 0, s7
	v_add_nc_u32_e32 v7, v11, v7
	v_add_nc_u32_e32 v8, v7, v8
	;; [unrolled: 1-line block ×8, first 2 shown]
	ds_write2_b32 v21, v11, v7 offset0:32 offset1:33
	ds_write2_b32 v21, v8, v5 offset0:34 offset1:35
	;; [unrolled: 1-line block ×4, first 2 shown]
	ds_write_b32 v21, v2 offset:160
	s_waitcnt lgkmcnt(0)
	s_barrier
	buffer_gl0_inv
	ds_read_b32 v11, v22 offset:128
	ds_read_b32 v21, v26 offset:128
	;; [unrolled: 1-line block ×12, first 2 shown]
                                        ; implicit-def: $vgpr7
                                        ; implicit-def: $vgpr8
	s_and_saveexec_b32 s6, vcc_lo
	s_cbranch_execz .LBB848_171
; %bb.168:
	v_mul_u32_u24_e32 v1, 0x84, v0
	v_add_nc_u32_e32 v2, 1, v0
	s_mov_b32 s7, exec_lo
	ds_read_b32 v7, v1 offset:128
	v_mov_b32_e32 v1, 0x3000
	v_cmpx_ne_u32_e32 0x100, v2
; %bb.169:
	v_mul_u32_u24_e32 v1, 0x84, v2
	ds_read_b32 v1, v1 offset:128
; %bb.170:
	s_or_b32 exec_lo, exec_lo, s7
	s_waitcnt lgkmcnt(0)
	v_sub_nc_u32_e32 v8, v1, v7
.LBB848_171:
	s_or_b32 exec_lo, exec_lo, s6
	v_mov_b32_e32 v2, 0
	s_waitcnt lgkmcnt(0)
	s_barrier
	buffer_gl0_inv
	s_and_saveexec_b32 s5, vcc_lo
	s_cbranch_execz .LBB848_181
; %bb.172:
	v_lshl_add_u32 v1, s33, 8, v0
	v_mov_b32_e32 v59, 0
	s_mov_b32 s6, 0
	s_mov_b32 s7, s33
                                        ; implicit-def: $sgpr8
	v_lshlrev_b64 v[3:4], 2, v[1:2]
	v_or_b32_e32 v1, 2.0, v8
	v_add_co_u32 v3, vcc_lo, s26, v3
	v_add_co_ci_u32_e64 v4, null, s27, v4, vcc_lo
	global_store_dword v[3:4], v1, off
	s_branch .LBB848_175
	.p2align	6
.LBB848_173:                            ;   in Loop: Header=BB848_175 Depth=1
	s_or_b32 exec_lo, exec_lo, s9
.LBB848_174:                            ;   in Loop: Header=BB848_175 Depth=1
	s_or_b32 exec_lo, exec_lo, s8
	v_and_b32_e32 v5, 0x3fffffff, v1
	v_cmp_gt_i32_e64 s8, -2.0, v1
	v_add_nc_u32_e32 v59, v5, v59
	s_and_b32 s9, exec_lo, s8
	s_or_b32 s6, s9, s6
	s_andn2_b32 exec_lo, exec_lo, s6
	s_cbranch_execz .LBB848_180
.LBB848_175:                            ; =>This Loop Header: Depth=1
                                        ;     Child Loop BB848_178 Depth 2
	s_or_b32 s8, s8, exec_lo
	s_cmp_eq_u32 s7, 0
	s_cbranch_scc1 .LBB848_179
; %bb.176:                              ;   in Loop: Header=BB848_175 Depth=1
	s_add_i32 s7, s7, -1
	s_mov_b32 s8, exec_lo
	v_lshl_or_b32 v1, s7, 8, v0
	v_lshlrev_b64 v[5:6], 2, v[1:2]
	v_add_co_u32 v5, vcc_lo, s26, v5
	v_add_co_ci_u32_e64 v6, null, s27, v6, vcc_lo
	global_load_dword v1, v[5:6], off glc dlc
	s_waitcnt vmcnt(0)
	v_cmpx_gt_u32_e32 2.0, v1
	s_cbranch_execz .LBB848_174
; %bb.177:                              ;   in Loop: Header=BB848_175 Depth=1
	s_mov_b32 s9, 0
.LBB848_178:                            ;   Parent Loop BB848_175 Depth=1
                                        ; =>  This Inner Loop Header: Depth=2
	global_load_dword v1, v[5:6], off glc dlc
	s_waitcnt vmcnt(0)
	v_cmp_lt_u32_e32 vcc_lo, 0x3fffffff, v1
	s_or_b32 s9, vcc_lo, s9
	s_andn2_b32 exec_lo, exec_lo, s9
	s_cbranch_execnz .LBB848_178
	s_branch .LBB848_173
.LBB848_179:                            ;   in Loop: Header=BB848_175 Depth=1
                                        ; implicit-def: $sgpr7
	s_and_b32 s9, exec_lo, s8
	s_or_b32 s6, s9, s6
	s_andn2_b32 exec_lo, exec_lo, s6
	s_cbranch_execnz .LBB848_175
.LBB848_180:
	s_or_b32 exec_lo, exec_lo, s6
	v_add_nc_u32_e32 v1, v59, v8
	v_sub_nc_u32_e32 v2, v59, v7
	v_or_b32_e32 v1, 0x80000000, v1
	global_store_dword v[3:4], v1, off
	global_load_dword v1, v40, s[28:29]
	s_waitcnt vmcnt(0)
	v_add_nc_u32_e32 v1, v2, v1
	ds_write_b32 v40, v1
.LBB848_181:
	s_or_b32 exec_lo, exec_lo, s5
	v_add_nc_u32_e32 v3, v11, v16
	v_add3_u32 v4, v19, v18, v21
	v_add3_u32 v5, v24, v23, v22
	;; [unrolled: 1-line block ×11, first 2 shown]
	v_mov_b32_e32 v2, 0
	v_mov_b32_e32 v26, v3
	;; [unrolled: 1-line block ×13, first 2 shown]
	s_mov_b32 s5, 32
	s_mov_b32 s8, 0
	;; [unrolled: 1-line block ×3, first 2 shown]
	s_mov_b32 s7, -1
	s_branch .LBB848_183
.LBB848_182:                            ;   in Loop: Header=BB848_183 Depth=1
	v_add_nc_u32_e32 v41, 0xffffe000, v41
	v_add_nc_u32_e32 v39, 0xffffe000, v39
	;; [unrolled: 1-line block ×12, first 2 shown]
	s_xor_b32 s8, s7, -1
	s_addk_i32 s6, 0x2000
	s_mov_b32 s7, 0
	s_and_b32 vcc_lo, exec_lo, s8
	s_mov_b32 s8, s5
	s_waitcnt_vscnt null, 0x0
	s_barrier
	buffer_gl0_inv
	s_cbranch_vccnz .LBB848_191
.LBB848_183:                            ; =>This Inner Loop Header: Depth=1
	v_min_u32_e32 v1, 0x2000, v26
	v_min_u32_e32 v43, 0x2000, v27
	;; [unrolled: 1-line block ×5, first 2 shown]
	v_lshlrev_b32_e32 v1, 2, v1
	v_lshlrev_b32_e32 v43, 2, v43
	v_min_u32_e32 v48, 0x2000, v32
	v_min_u32_e32 v49, 0x2000, v34
	v_mov_b32_e32 v57, s8
	ds_write_b32 v1, v12 offset:1024
	ds_write_b32 v43, v13 offset:1024
	v_lshlrev_b32_e32 v1, 2, v44
	v_lshlrev_b32_e32 v43, 2, v45
	;; [unrolled: 1-line block ×5, first 2 shown]
	ds_write_b32 v1, v14 offset:1024
	ds_write_b32 v43, v15 offset:1024
	;; [unrolled: 1-line block ×5, first 2 shown]
	v_min_u32_e32 v1, 0x2000, v35
	v_min_u32_e32 v43, 0x2000, v36
	;; [unrolled: 1-line block ×5, first 2 shown]
	v_lshlrev_b32_e32 v1, 2, v1
	v_lshlrev_b32_e32 v43, 2, v43
	v_lshlrev_b32_e32 v44, 2, v44
	v_lshlrev_b32_e32 v45, 2, v45
	v_lshlrev_b32_e32 v47, 2, v47
	ds_write_b32 v1, v29 offset:1024
	ds_write_b32 v43, v33 offset:1024
	;; [unrolled: 1-line block ×5, first 2 shown]
	s_waitcnt lgkmcnt(0)
	s_waitcnt_vscnt null, 0x0
	s_barrier
	buffer_gl0_inv
	ds_read2st64_b32 v[44:45], v40 offset0:4 offset1:20
	ds_read2st64_b32 v[47:48], v40 offset0:36 offset1:52
	s_add_i32 s9, s6, 0x1000
	s_cmpk_lt_u32 s9, 0x3000
	s_waitcnt lgkmcnt(1)
	v_lshrrev_b32_e32 v1, s44, v44
	v_xor_b32_e32 v58, 0x80000000, v44
	v_xor_b32_e32 v59, 0x80000000, v45
	s_waitcnt lgkmcnt(0)
	v_xor_b32_e32 v60, 0x80000000, v47
	v_xor_b32_e32 v61, 0x80000000, v48
	v_and_b32_e32 v49, s14, v1
	v_lshrrev_b32_e32 v1, s44, v45
	v_lshlrev_b32_e32 v43, 2, v49
	v_and_b32_e32 v50, s14, v1
	v_lshrrev_b32_e32 v1, s44, v47
	ds_read_b32 v51, v43
	v_and_b32_e32 v53, s14, v1
	v_lshrrev_b32_e32 v1, s44, v48
	v_and_b32_e32 v54, s14, v1
	v_lshlrev_b32_e32 v1, 2, v54
	ds_read_b32 v56, v1
	v_lshlrev_b32_e32 v43, 2, v50
	ds_read_b32 v52, v43
	;; [unrolled: 2-line block ×3, first 2 shown]
	v_add_nc_u32_e32 v43, s6, v0
	buffer_store_dword v49, v57, s[0:3], 0 offen
	buffer_store_dword v50, v57, s[0:3], 0 offen offset:4
	buffer_store_dword v53, v57, s[0:3], 0 offen offset:8
	s_waitcnt lgkmcnt(3)
	v_add_nc_u32_e32 v1, v43, v51
	v_lshlrev_b64 v[44:45], 2, v[1:2]
	s_waitcnt lgkmcnt(1)
	v_add3_u32 v1, v43, v52, 0x400
	v_add_co_u32 v44, vcc_lo, s38, v44
	v_lshlrev_b64 v[47:48], 2, v[1:2]
	s_waitcnt lgkmcnt(0)
	v_add3_u32 v1, v43, v55, 0x800
	v_add_co_ci_u32_e64 v45, null, s39, v45, vcc_lo
	v_lshlrev_b64 v[49:50], 2, v[1:2]
	v_add3_u32 v1, v43, v56, 0xc00
	v_add_co_u32 v47, vcc_lo, s38, v47
	v_add_co_ci_u32_e64 v48, null, s39, v48, vcc_lo
	v_lshlrev_b64 v[51:52], 2, v[1:2]
	v_add_co_u32 v49, vcc_lo, s38, v49
	v_add_co_ci_u32_e64 v50, null, s39, v50, vcc_lo
	v_add_co_u32 v51, vcc_lo, s38, v51
	v_add_co_ci_u32_e64 v52, null, s39, v52, vcc_lo
	global_store_dword v[44:45], v58, off
	global_store_dword v[47:48], v59, off
	;; [unrolled: 1-line block ×4, first 2 shown]
	buffer_store_dword v54, v57, s[0:3], 0 offen offset:12
	s_cbranch_scc0 .LBB848_187
; %bb.184:                              ;   in Loop: Header=BB848_183 Depth=1
	ds_read_b32 v47, v40 offset:17408
	s_waitcnt lgkmcnt(0)
	v_lshrrev_b32_e32 v1, s44, v47
	v_and_b32_e32 v48, s14, v1
	v_lshlrev_b32_e32 v1, 2, v48
	ds_read_b32 v1, v1
	s_waitcnt lgkmcnt(0)
	v_add3_u32 v1, v43, v1, 0x1000
	v_lshlrev_b64 v[44:45], 2, v[1:2]
	v_xor_b32_e32 v1, 0x80000000, v47
	v_mov_b32_e32 v47, s8
	v_add_co_u32 v44, vcc_lo, s38, v44
	v_add_co_ci_u32_e64 v45, null, s39, v45, vcc_lo
	buffer_store_dword v48, v47, s[0:3], 0 offen offset:16
	global_store_dword v[44:45], v1, off
	s_add_i32 s9, s6, 0x1400
	s_cmpk_gt_u32 s9, 0x2fff
	s_cbranch_scc0 .LBB848_188
.LBB848_185:                            ;   in Loop: Header=BB848_183 Depth=1
	s_add_i32 s9, s6, 0x1800
	s_cmpk_gt_u32 s9, 0x2fff
	s_cbranch_scc1 .LBB848_189
.LBB848_186:                            ;   in Loop: Header=BB848_183 Depth=1
	ds_read_b32 v47, v40 offset:25600
	s_waitcnt lgkmcnt(0)
	v_lshrrev_b32_e32 v1, s44, v47
	v_and_b32_e32 v48, s14, v1
	v_lshlrev_b32_e32 v1, 2, v48
	ds_read_b32 v1, v1
	s_waitcnt lgkmcnt(0)
	v_add3_u32 v1, v43, v1, 0x1800
	v_lshlrev_b64 v[44:45], 2, v[1:2]
	v_xor_b32_e32 v1, 0x80000000, v47
	v_mov_b32_e32 v47, s8
	v_add_co_u32 v44, vcc_lo, s38, v44
	v_add_co_ci_u32_e64 v45, null, s39, v45, vcc_lo
	buffer_store_dword v48, v47, s[0:3], 0 offen offset:24
	global_store_dword v[44:45], v1, off
	s_add_i32 s9, s6, 0x1c00
	s_cmpk_gt_u32 s9, 0x2fff
	s_cbranch_scc1 .LBB848_182
	s_branch .LBB848_190
.LBB848_187:                            ;   in Loop: Header=BB848_183 Depth=1
	s_add_i32 s9, s6, 0x1400
	s_cmpk_gt_u32 s9, 0x2fff
	s_cbranch_scc1 .LBB848_185
.LBB848_188:                            ;   in Loop: Header=BB848_183 Depth=1
	ds_read_b32 v47, v40 offset:21504
	s_waitcnt lgkmcnt(0)
	v_lshrrev_b32_e32 v1, s44, v47
	v_and_b32_e32 v48, s14, v1
	v_lshlrev_b32_e32 v1, 2, v48
	ds_read_b32 v1, v1
	s_waitcnt lgkmcnt(0)
	v_add3_u32 v1, v43, v1, 0x1400
	v_lshlrev_b64 v[44:45], 2, v[1:2]
	v_xor_b32_e32 v1, 0x80000000, v47
	v_mov_b32_e32 v47, s8
	v_add_co_u32 v44, vcc_lo, s38, v44
	v_add_co_ci_u32_e64 v45, null, s39, v45, vcc_lo
	buffer_store_dword v48, v47, s[0:3], 0 offen offset:20
	global_store_dword v[44:45], v1, off
	s_add_i32 s9, s6, 0x1800
	s_cmpk_gt_u32 s9, 0x2fff
	s_cbranch_scc0 .LBB848_186
.LBB848_189:                            ;   in Loop: Header=BB848_183 Depth=1
	s_add_i32 s9, s6, 0x1c00
	s_cmpk_gt_u32 s9, 0x2fff
	s_cbranch_scc1 .LBB848_182
.LBB848_190:                            ;   in Loop: Header=BB848_183 Depth=1
	ds_read_b32 v45, v40 offset:29696
	s_waitcnt lgkmcnt(0)
	v_lshrrev_b32_e32 v1, s44, v45
	v_and_b32_e32 v47, s14, v1
	v_lshlrev_b32_e32 v1, 2, v47
	ds_read_b32 v1, v1
	s_waitcnt lgkmcnt(0)
	v_add3_u32 v1, v43, v1, 0x1c00
	v_lshlrev_b64 v[43:44], 2, v[1:2]
	v_xor_b32_e32 v1, 0x80000000, v45
	v_mov_b32_e32 v45, s8
	v_add_co_u32 v43, vcc_lo, s38, v43
	v_add_co_ci_u32_e64 v44, null, s39, v44, vcc_lo
	buffer_store_dword v47, v45, s[0:3], 0 offen offset:28
	global_store_dword v[43:44], v1, off
	s_branch .LBB848_182
.LBB848_191:
	s_add_u32 s6, s40, s12
	s_addc_u32 s7, s41, s13
	v_add_co_u32 v1, s6, s6, v9
	v_add_co_ci_u32_e64 v2, null, s7, 0, s6
	s_mov_b32 s8, 0
	v_add_co_u32 v1, vcc_lo, v1, v10
	v_add_co_ci_u32_e64 v2, null, 0, v2, vcc_lo
	s_mov_b32 s7, -1
	s_mov_b32 s6, 0
	s_clause 0xb
	global_load_dword v9, v[1:2], off
	global_load_dword v10, v[1:2], off offset:128
	global_load_dword v12, v[1:2], off offset:256
	;; [unrolled: 1-line block ×11, first 2 shown]
	v_mov_b32_e32 v2, 0
	s_branch .LBB848_193
.LBB848_192:                            ;   in Loop: Header=BB848_193 Depth=1
	v_add_nc_u32_e32 v24, 0xffffe000, v24
	v_add_nc_u32_e32 v23, 0xffffe000, v23
	;; [unrolled: 1-line block ×12, first 2 shown]
	s_xor_b32 s8, s7, -1
	s_addk_i32 s6, 0x2000
	s_mov_b32 s7, 0
	s_and_b32 vcc_lo, exec_lo, s8
	s_mov_b32 s8, s5
	s_waitcnt_vscnt null, 0x0
	s_barrier
	buffer_gl0_inv
	s_cbranch_vccnz .LBB848_201
.LBB848_193:                            ; =>This Inner Loop Header: Depth=1
	v_min_u32_e32 v1, 0x2000, v3
	v_min_u32_e32 v29, 0x2000, v4
	;; [unrolled: 1-line block ×5, first 2 shown]
	v_lshlrev_b32_e32 v1, 2, v1
	v_lshlrev_b32_e32 v29, 2, v29
	v_min_u32_e32 v33, 0x2000, v16
	v_lshlrev_b32_e32 v30, 2, v30
	s_add_i32 s9, s6, 0x1000
	s_waitcnt vmcnt(11)
	ds_write_b32 v1, v9 offset:1024
	s_waitcnt vmcnt(10)
	ds_write_b32 v29, v10 offset:1024
	v_min_u32_e32 v1, 0x2000, v18
	v_lshlrev_b32_e32 v29, 2, v31
	v_lshlrev_b32_e32 v31, 2, v32
	;; [unrolled: 1-line block ×3, first 2 shown]
	s_waitcnt vmcnt(9)
	ds_write_b32 v30, v12 offset:1024
	v_lshlrev_b32_e32 v1, 2, v1
	s_waitcnt vmcnt(8)
	ds_write_b32 v29, v13 offset:1024
	s_waitcnt vmcnt(7)
	ds_write_b32 v31, v14 offset:1024
	;; [unrolled: 2-line block ×3, first 2 shown]
	v_min_u32_e32 v29, 0x2000, v19
	v_min_u32_e32 v30, 0x2000, v22
	;; [unrolled: 1-line block ×3, first 2 shown]
	s_waitcnt vmcnt(5)
	ds_write_b32 v1, v17 offset:1024
	v_min_u32_e32 v1, 0x2000, v21
	v_lshlrev_b32_e32 v29, 2, v29
	v_min_u32_e32 v32, 0x2000, v24
	v_lshlrev_b32_e32 v30, 2, v30
	v_lshlrev_b32_e32 v31, 2, v31
	;; [unrolled: 1-line block ×3, first 2 shown]
	s_waitcnt vmcnt(4)
	ds_write_b32 v29, v20 offset:1024
	v_lshlrev_b32_e32 v29, 2, v32
	s_waitcnt vmcnt(3)
	ds_write_b32 v1, v25 offset:1024
	s_waitcnt vmcnt(2)
	ds_write_b32 v30, v26 offset:1024
	;; [unrolled: 2-line block ×3, first 2 shown]
	v_mov_b32_e32 v1, s8
	s_waitcnt vmcnt(0)
	ds_write_b32 v29, v28 offset:1024
	s_waitcnt lgkmcnt(0)
	s_barrier
	buffer_gl0_inv
	s_clause 0x3
	buffer_load_dword v29, v1, s[0:3], 0 offen
	buffer_load_dword v30, v1, s[0:3], 0 offen offset:4
	buffer_load_dword v31, v1, s[0:3], 0 offen offset:8
	;; [unrolled: 1-line block ×3, first 2 shown]
	s_cmpk_lt_u32 s9, 0x3000
	s_waitcnt vmcnt(3)
	v_lshlrev_b32_e32 v29, 2, v29
	s_waitcnt vmcnt(0)
	v_lshlrev_b32_e32 v1, 2, v1
	ds_read_b32 v32, v29
	ds_read_b32 v41, v1
	v_lshlrev_b32_e32 v29, 2, v30
	ds_read_b32 v34, v29
	v_lshlrev_b32_e32 v29, 2, v31
	ds_read2st64_b32 v[30:31], v40 offset0:4 offset1:20
	ds_read_b32 v36, v29
	v_add_nc_u32_e32 v29, s6, v0
	s_waitcnt lgkmcnt(4)
	v_add_nc_u32_e32 v1, v29, v32
	v_lshlrev_b64 v[32:33], 2, v[1:2]
	s_waitcnt lgkmcnt(2)
	v_add3_u32 v1, v29, v34, 0x400
	v_add_co_u32 v32, vcc_lo, s42, v32
	v_lshlrev_b64 v[34:35], 2, v[1:2]
	s_waitcnt lgkmcnt(0)
	v_add3_u32 v1, v29, v36, 0x800
	ds_read2st64_b32 v[36:37], v40 offset0:36 offset1:52
	v_add_co_ci_u32_e64 v33, null, s43, v33, vcc_lo
	v_lshlrev_b64 v[38:39], 2, v[1:2]
	v_add3_u32 v1, v29, v41, 0xc00
	global_store_dword v[32:33], v30, off
	v_add_co_u32 v32, vcc_lo, s42, v34
	v_add_co_ci_u32_e64 v33, null, s43, v35, vcc_lo
	v_lshlrev_b64 v[34:35], 2, v[1:2]
	v_add_co_u32 v38, vcc_lo, s42, v38
	v_add_co_ci_u32_e64 v39, null, s43, v39, vcc_lo
	global_store_dword v[32:33], v31, off
	v_add_co_u32 v34, vcc_lo, s42, v34
	v_add_co_ci_u32_e64 v35, null, s43, v35, vcc_lo
	s_waitcnt lgkmcnt(0)
	global_store_dword v[38:39], v36, off
	global_store_dword v[34:35], v37, off
	s_cbranch_scc0 .LBB848_197
; %bb.194:                              ;   in Loop: Header=BB848_193 Depth=1
	v_mov_b32_e32 v1, s8
	buffer_load_dword v1, v1, s[0:3], 0 offen offset:16
	s_waitcnt vmcnt(0)
	v_lshlrev_b32_e32 v1, 2, v1
	ds_read_b32 v1, v1
	ds_read_b32 v32, v40 offset:17408
	s_waitcnt lgkmcnt(1)
	v_add3_u32 v1, v29, v1, 0x1000
	v_lshlrev_b64 v[30:31], 2, v[1:2]
	v_add_co_u32 v30, vcc_lo, s42, v30
	v_add_co_ci_u32_e64 v31, null, s43, v31, vcc_lo
	s_waitcnt lgkmcnt(0)
	global_store_dword v[30:31], v32, off
	s_add_i32 s9, s6, 0x1400
	s_cmpk_gt_u32 s9, 0x2fff
	s_cbranch_scc0 .LBB848_198
.LBB848_195:                            ;   in Loop: Header=BB848_193 Depth=1
	s_add_i32 s9, s6, 0x1800
	s_cmpk_gt_u32 s9, 0x2fff
	s_cbranch_scc1 .LBB848_199
.LBB848_196:                            ;   in Loop: Header=BB848_193 Depth=1
	v_mov_b32_e32 v1, s8
	buffer_load_dword v1, v1, s[0:3], 0 offen offset:24
	s_waitcnt vmcnt(0)
	v_lshlrev_b32_e32 v1, 2, v1
	ds_read_b32 v1, v1
	ds_read_b32 v32, v40 offset:25600
	s_waitcnt lgkmcnt(1)
	v_add3_u32 v1, v29, v1, 0x1800
	v_lshlrev_b64 v[30:31], 2, v[1:2]
	v_add_co_u32 v30, vcc_lo, s42, v30
	v_add_co_ci_u32_e64 v31, null, s43, v31, vcc_lo
	s_waitcnt lgkmcnt(0)
	global_store_dword v[30:31], v32, off
	s_add_i32 s9, s6, 0x1c00
	s_cmpk_gt_u32 s9, 0x2fff
	s_cbranch_scc1 .LBB848_192
	s_branch .LBB848_200
.LBB848_197:                            ;   in Loop: Header=BB848_193 Depth=1
	s_add_i32 s9, s6, 0x1400
	s_cmpk_gt_u32 s9, 0x2fff
	s_cbranch_scc1 .LBB848_195
.LBB848_198:                            ;   in Loop: Header=BB848_193 Depth=1
	v_mov_b32_e32 v1, s8
	buffer_load_dword v1, v1, s[0:3], 0 offen offset:20
	s_waitcnt vmcnt(0)
	v_lshlrev_b32_e32 v1, 2, v1
	ds_read_b32 v1, v1
	ds_read_b32 v32, v40 offset:21504
	s_waitcnt lgkmcnt(1)
	v_add3_u32 v1, v29, v1, 0x1400
	v_lshlrev_b64 v[30:31], 2, v[1:2]
	v_add_co_u32 v30, vcc_lo, s42, v30
	v_add_co_ci_u32_e64 v31, null, s43, v31, vcc_lo
	s_waitcnt lgkmcnt(0)
	global_store_dword v[30:31], v32, off
	s_add_i32 s9, s6, 0x1800
	s_cmpk_gt_u32 s9, 0x2fff
	s_cbranch_scc0 .LBB848_196
.LBB848_199:                            ;   in Loop: Header=BB848_193 Depth=1
	s_add_i32 s9, s6, 0x1c00
	s_cmpk_gt_u32 s9, 0x2fff
	s_cbranch_scc1 .LBB848_192
.LBB848_200:                            ;   in Loop: Header=BB848_193 Depth=1
	v_mov_b32_e32 v1, s8
	buffer_load_dword v1, v1, s[0:3], 0 offen offset:28
	s_waitcnt vmcnt(0)
	v_lshlrev_b32_e32 v1, 2, v1
	ds_read_b32 v1, v1
	ds_read_b32 v31, v40 offset:29696
	s_waitcnt lgkmcnt(1)
	v_add3_u32 v1, v29, v1, 0x1c00
	v_lshlrev_b64 v[29:30], 2, v[1:2]
	v_add_co_u32 v29, vcc_lo, s42, v29
	v_add_co_ci_u32_e64 v30, null, s43, v30, vcc_lo
	s_waitcnt lgkmcnt(0)
	global_store_dword v[29:30], v31, off
	s_branch .LBB848_192
.LBB848_201:
	s_add_i32 s11, s11, -1
	s_cmp_eq_u32 s33, s11
	s_cselect_b32 s5, -1, 0
	s_xor_b32 s4, s4, -1
	s_and_b32 s4, s4, s5
	s_and_saveexec_b32 s5, s4
	s_cbranch_execz .LBB848_203
; %bb.202:
	ds_read_b32 v0, v40
	s_waitcnt lgkmcnt(0)
	v_add3_u32 v0, v7, v8, v0
	global_store_dword v40, v0, s[30:31]
.LBB848_203:
	s_endpgm
	.section	.rodata,"a",@progbits
	.p2align	6, 0x0
	.amdhsa_kernel _ZN7rocprim17ROCPRIM_400000_NS6detail17trampoline_kernelINS0_14default_configENS1_35radix_sort_onesweep_config_selectorIiiEEZZNS1_29radix_sort_onesweep_iterationIS3_Lb0EN6thrust23THRUST_200600_302600_NS6detail15normal_iteratorINS8_10device_ptrIiEEEESD_SD_SD_jNS0_19identity_decomposerENS1_16block_id_wrapperIjLb1EEEEE10hipError_tT1_PNSt15iterator_traitsISI_E10value_typeET2_T3_PNSJ_ISO_E10value_typeET4_T5_PST_SU_PNS1_23onesweep_lookback_stateEbbT6_jjT7_P12ihipStream_tbENKUlT_T0_SI_SN_E_clIPiSD_S15_SD_EEDaS11_S12_SI_SN_EUlS11_E_NS1_11comp_targetILNS1_3genE8ELNS1_11target_archE1030ELNS1_3gpuE2ELNS1_3repE0EEENS1_47radix_sort_onesweep_sort_config_static_selectorELNS0_4arch9wavefront6targetE0EEEvSI_
		.amdhsa_group_segment_fixed_size 37000
		.amdhsa_private_segment_fixed_size 64
		.amdhsa_kernarg_size 344
		.amdhsa_user_sgpr_count 6
		.amdhsa_user_sgpr_private_segment_buffer 1
		.amdhsa_user_sgpr_dispatch_ptr 0
		.amdhsa_user_sgpr_queue_ptr 0
		.amdhsa_user_sgpr_kernarg_segment_ptr 1
		.amdhsa_user_sgpr_dispatch_id 0
		.amdhsa_user_sgpr_flat_scratch_init 0
		.amdhsa_user_sgpr_private_segment_size 0
		.amdhsa_wavefront_size32 1
		.amdhsa_uses_dynamic_stack 0
		.amdhsa_system_sgpr_private_segment_wavefront_offset 1
		.amdhsa_system_sgpr_workgroup_id_x 1
		.amdhsa_system_sgpr_workgroup_id_y 0
		.amdhsa_system_sgpr_workgroup_id_z 0
		.amdhsa_system_sgpr_workgroup_info 0
		.amdhsa_system_vgpr_workitem_id 2
		.amdhsa_next_free_vgpr 68
		.amdhsa_next_free_sgpr 51
		.amdhsa_reserve_vcc 1
		.amdhsa_reserve_flat_scratch 0
		.amdhsa_float_round_mode_32 0
		.amdhsa_float_round_mode_16_64 0
		.amdhsa_float_denorm_mode_32 3
		.amdhsa_float_denorm_mode_16_64 3
		.amdhsa_dx10_clamp 1
		.amdhsa_ieee_mode 1
		.amdhsa_fp16_overflow 0
		.amdhsa_workgroup_processor_mode 1
		.amdhsa_memory_ordered 1
		.amdhsa_forward_progress 1
		.amdhsa_shared_vgpr_count 0
		.amdhsa_exception_fp_ieee_invalid_op 0
		.amdhsa_exception_fp_denorm_src 0
		.amdhsa_exception_fp_ieee_div_zero 0
		.amdhsa_exception_fp_ieee_overflow 0
		.amdhsa_exception_fp_ieee_underflow 0
		.amdhsa_exception_fp_ieee_inexact 0
		.amdhsa_exception_int_div_zero 0
	.end_amdhsa_kernel
	.section	.text._ZN7rocprim17ROCPRIM_400000_NS6detail17trampoline_kernelINS0_14default_configENS1_35radix_sort_onesweep_config_selectorIiiEEZZNS1_29radix_sort_onesweep_iterationIS3_Lb0EN6thrust23THRUST_200600_302600_NS6detail15normal_iteratorINS8_10device_ptrIiEEEESD_SD_SD_jNS0_19identity_decomposerENS1_16block_id_wrapperIjLb1EEEEE10hipError_tT1_PNSt15iterator_traitsISI_E10value_typeET2_T3_PNSJ_ISO_E10value_typeET4_T5_PST_SU_PNS1_23onesweep_lookback_stateEbbT6_jjT7_P12ihipStream_tbENKUlT_T0_SI_SN_E_clIPiSD_S15_SD_EEDaS11_S12_SI_SN_EUlS11_E_NS1_11comp_targetILNS1_3genE8ELNS1_11target_archE1030ELNS1_3gpuE2ELNS1_3repE0EEENS1_47radix_sort_onesweep_sort_config_static_selectorELNS0_4arch9wavefront6targetE0EEEvSI_,"axG",@progbits,_ZN7rocprim17ROCPRIM_400000_NS6detail17trampoline_kernelINS0_14default_configENS1_35radix_sort_onesweep_config_selectorIiiEEZZNS1_29radix_sort_onesweep_iterationIS3_Lb0EN6thrust23THRUST_200600_302600_NS6detail15normal_iteratorINS8_10device_ptrIiEEEESD_SD_SD_jNS0_19identity_decomposerENS1_16block_id_wrapperIjLb1EEEEE10hipError_tT1_PNSt15iterator_traitsISI_E10value_typeET2_T3_PNSJ_ISO_E10value_typeET4_T5_PST_SU_PNS1_23onesweep_lookback_stateEbbT6_jjT7_P12ihipStream_tbENKUlT_T0_SI_SN_E_clIPiSD_S15_SD_EEDaS11_S12_SI_SN_EUlS11_E_NS1_11comp_targetILNS1_3genE8ELNS1_11target_archE1030ELNS1_3gpuE2ELNS1_3repE0EEENS1_47radix_sort_onesweep_sort_config_static_selectorELNS0_4arch9wavefront6targetE0EEEvSI_,comdat
.Lfunc_end848:
	.size	_ZN7rocprim17ROCPRIM_400000_NS6detail17trampoline_kernelINS0_14default_configENS1_35radix_sort_onesweep_config_selectorIiiEEZZNS1_29radix_sort_onesweep_iterationIS3_Lb0EN6thrust23THRUST_200600_302600_NS6detail15normal_iteratorINS8_10device_ptrIiEEEESD_SD_SD_jNS0_19identity_decomposerENS1_16block_id_wrapperIjLb1EEEEE10hipError_tT1_PNSt15iterator_traitsISI_E10value_typeET2_T3_PNSJ_ISO_E10value_typeET4_T5_PST_SU_PNS1_23onesweep_lookback_stateEbbT6_jjT7_P12ihipStream_tbENKUlT_T0_SI_SN_E_clIPiSD_S15_SD_EEDaS11_S12_SI_SN_EUlS11_E_NS1_11comp_targetILNS1_3genE8ELNS1_11target_archE1030ELNS1_3gpuE2ELNS1_3repE0EEENS1_47radix_sort_onesweep_sort_config_static_selectorELNS0_4arch9wavefront6targetE0EEEvSI_, .Lfunc_end848-_ZN7rocprim17ROCPRIM_400000_NS6detail17trampoline_kernelINS0_14default_configENS1_35radix_sort_onesweep_config_selectorIiiEEZZNS1_29radix_sort_onesweep_iterationIS3_Lb0EN6thrust23THRUST_200600_302600_NS6detail15normal_iteratorINS8_10device_ptrIiEEEESD_SD_SD_jNS0_19identity_decomposerENS1_16block_id_wrapperIjLb1EEEEE10hipError_tT1_PNSt15iterator_traitsISI_E10value_typeET2_T3_PNSJ_ISO_E10value_typeET4_T5_PST_SU_PNS1_23onesweep_lookback_stateEbbT6_jjT7_P12ihipStream_tbENKUlT_T0_SI_SN_E_clIPiSD_S15_SD_EEDaS11_S12_SI_SN_EUlS11_E_NS1_11comp_targetILNS1_3genE8ELNS1_11target_archE1030ELNS1_3gpuE2ELNS1_3repE0EEENS1_47radix_sort_onesweep_sort_config_static_selectorELNS0_4arch9wavefront6targetE0EEEvSI_
                                        ; -- End function
	.set _ZN7rocprim17ROCPRIM_400000_NS6detail17trampoline_kernelINS0_14default_configENS1_35radix_sort_onesweep_config_selectorIiiEEZZNS1_29radix_sort_onesweep_iterationIS3_Lb0EN6thrust23THRUST_200600_302600_NS6detail15normal_iteratorINS8_10device_ptrIiEEEESD_SD_SD_jNS0_19identity_decomposerENS1_16block_id_wrapperIjLb1EEEEE10hipError_tT1_PNSt15iterator_traitsISI_E10value_typeET2_T3_PNSJ_ISO_E10value_typeET4_T5_PST_SU_PNS1_23onesweep_lookback_stateEbbT6_jjT7_P12ihipStream_tbENKUlT_T0_SI_SN_E_clIPiSD_S15_SD_EEDaS11_S12_SI_SN_EUlS11_E_NS1_11comp_targetILNS1_3genE8ELNS1_11target_archE1030ELNS1_3gpuE2ELNS1_3repE0EEENS1_47radix_sort_onesweep_sort_config_static_selectorELNS0_4arch9wavefront6targetE0EEEvSI_.num_vgpr, 68
	.set _ZN7rocprim17ROCPRIM_400000_NS6detail17trampoline_kernelINS0_14default_configENS1_35radix_sort_onesweep_config_selectorIiiEEZZNS1_29radix_sort_onesweep_iterationIS3_Lb0EN6thrust23THRUST_200600_302600_NS6detail15normal_iteratorINS8_10device_ptrIiEEEESD_SD_SD_jNS0_19identity_decomposerENS1_16block_id_wrapperIjLb1EEEEE10hipError_tT1_PNSt15iterator_traitsISI_E10value_typeET2_T3_PNSJ_ISO_E10value_typeET4_T5_PST_SU_PNS1_23onesweep_lookback_stateEbbT6_jjT7_P12ihipStream_tbENKUlT_T0_SI_SN_E_clIPiSD_S15_SD_EEDaS11_S12_SI_SN_EUlS11_E_NS1_11comp_targetILNS1_3genE8ELNS1_11target_archE1030ELNS1_3gpuE2ELNS1_3repE0EEENS1_47radix_sort_onesweep_sort_config_static_selectorELNS0_4arch9wavefront6targetE0EEEvSI_.num_agpr, 0
	.set _ZN7rocprim17ROCPRIM_400000_NS6detail17trampoline_kernelINS0_14default_configENS1_35radix_sort_onesweep_config_selectorIiiEEZZNS1_29radix_sort_onesweep_iterationIS3_Lb0EN6thrust23THRUST_200600_302600_NS6detail15normal_iteratorINS8_10device_ptrIiEEEESD_SD_SD_jNS0_19identity_decomposerENS1_16block_id_wrapperIjLb1EEEEE10hipError_tT1_PNSt15iterator_traitsISI_E10value_typeET2_T3_PNSJ_ISO_E10value_typeET4_T5_PST_SU_PNS1_23onesweep_lookback_stateEbbT6_jjT7_P12ihipStream_tbENKUlT_T0_SI_SN_E_clIPiSD_S15_SD_EEDaS11_S12_SI_SN_EUlS11_E_NS1_11comp_targetILNS1_3genE8ELNS1_11target_archE1030ELNS1_3gpuE2ELNS1_3repE0EEENS1_47radix_sort_onesweep_sort_config_static_selectorELNS0_4arch9wavefront6targetE0EEEvSI_.numbered_sgpr, 51
	.set _ZN7rocprim17ROCPRIM_400000_NS6detail17trampoline_kernelINS0_14default_configENS1_35radix_sort_onesweep_config_selectorIiiEEZZNS1_29radix_sort_onesweep_iterationIS3_Lb0EN6thrust23THRUST_200600_302600_NS6detail15normal_iteratorINS8_10device_ptrIiEEEESD_SD_SD_jNS0_19identity_decomposerENS1_16block_id_wrapperIjLb1EEEEE10hipError_tT1_PNSt15iterator_traitsISI_E10value_typeET2_T3_PNSJ_ISO_E10value_typeET4_T5_PST_SU_PNS1_23onesweep_lookback_stateEbbT6_jjT7_P12ihipStream_tbENKUlT_T0_SI_SN_E_clIPiSD_S15_SD_EEDaS11_S12_SI_SN_EUlS11_E_NS1_11comp_targetILNS1_3genE8ELNS1_11target_archE1030ELNS1_3gpuE2ELNS1_3repE0EEENS1_47radix_sort_onesweep_sort_config_static_selectorELNS0_4arch9wavefront6targetE0EEEvSI_.num_named_barrier, 0
	.set _ZN7rocprim17ROCPRIM_400000_NS6detail17trampoline_kernelINS0_14default_configENS1_35radix_sort_onesweep_config_selectorIiiEEZZNS1_29radix_sort_onesweep_iterationIS3_Lb0EN6thrust23THRUST_200600_302600_NS6detail15normal_iteratorINS8_10device_ptrIiEEEESD_SD_SD_jNS0_19identity_decomposerENS1_16block_id_wrapperIjLb1EEEEE10hipError_tT1_PNSt15iterator_traitsISI_E10value_typeET2_T3_PNSJ_ISO_E10value_typeET4_T5_PST_SU_PNS1_23onesweep_lookback_stateEbbT6_jjT7_P12ihipStream_tbENKUlT_T0_SI_SN_E_clIPiSD_S15_SD_EEDaS11_S12_SI_SN_EUlS11_E_NS1_11comp_targetILNS1_3genE8ELNS1_11target_archE1030ELNS1_3gpuE2ELNS1_3repE0EEENS1_47radix_sort_onesweep_sort_config_static_selectorELNS0_4arch9wavefront6targetE0EEEvSI_.private_seg_size, 64
	.set _ZN7rocprim17ROCPRIM_400000_NS6detail17trampoline_kernelINS0_14default_configENS1_35radix_sort_onesweep_config_selectorIiiEEZZNS1_29radix_sort_onesweep_iterationIS3_Lb0EN6thrust23THRUST_200600_302600_NS6detail15normal_iteratorINS8_10device_ptrIiEEEESD_SD_SD_jNS0_19identity_decomposerENS1_16block_id_wrapperIjLb1EEEEE10hipError_tT1_PNSt15iterator_traitsISI_E10value_typeET2_T3_PNSJ_ISO_E10value_typeET4_T5_PST_SU_PNS1_23onesweep_lookback_stateEbbT6_jjT7_P12ihipStream_tbENKUlT_T0_SI_SN_E_clIPiSD_S15_SD_EEDaS11_S12_SI_SN_EUlS11_E_NS1_11comp_targetILNS1_3genE8ELNS1_11target_archE1030ELNS1_3gpuE2ELNS1_3repE0EEENS1_47radix_sort_onesweep_sort_config_static_selectorELNS0_4arch9wavefront6targetE0EEEvSI_.uses_vcc, 1
	.set _ZN7rocprim17ROCPRIM_400000_NS6detail17trampoline_kernelINS0_14default_configENS1_35radix_sort_onesweep_config_selectorIiiEEZZNS1_29radix_sort_onesweep_iterationIS3_Lb0EN6thrust23THRUST_200600_302600_NS6detail15normal_iteratorINS8_10device_ptrIiEEEESD_SD_SD_jNS0_19identity_decomposerENS1_16block_id_wrapperIjLb1EEEEE10hipError_tT1_PNSt15iterator_traitsISI_E10value_typeET2_T3_PNSJ_ISO_E10value_typeET4_T5_PST_SU_PNS1_23onesweep_lookback_stateEbbT6_jjT7_P12ihipStream_tbENKUlT_T0_SI_SN_E_clIPiSD_S15_SD_EEDaS11_S12_SI_SN_EUlS11_E_NS1_11comp_targetILNS1_3genE8ELNS1_11target_archE1030ELNS1_3gpuE2ELNS1_3repE0EEENS1_47radix_sort_onesweep_sort_config_static_selectorELNS0_4arch9wavefront6targetE0EEEvSI_.uses_flat_scratch, 0
	.set _ZN7rocprim17ROCPRIM_400000_NS6detail17trampoline_kernelINS0_14default_configENS1_35radix_sort_onesweep_config_selectorIiiEEZZNS1_29radix_sort_onesweep_iterationIS3_Lb0EN6thrust23THRUST_200600_302600_NS6detail15normal_iteratorINS8_10device_ptrIiEEEESD_SD_SD_jNS0_19identity_decomposerENS1_16block_id_wrapperIjLb1EEEEE10hipError_tT1_PNSt15iterator_traitsISI_E10value_typeET2_T3_PNSJ_ISO_E10value_typeET4_T5_PST_SU_PNS1_23onesweep_lookback_stateEbbT6_jjT7_P12ihipStream_tbENKUlT_T0_SI_SN_E_clIPiSD_S15_SD_EEDaS11_S12_SI_SN_EUlS11_E_NS1_11comp_targetILNS1_3genE8ELNS1_11target_archE1030ELNS1_3gpuE2ELNS1_3repE0EEENS1_47radix_sort_onesweep_sort_config_static_selectorELNS0_4arch9wavefront6targetE0EEEvSI_.has_dyn_sized_stack, 0
	.set _ZN7rocprim17ROCPRIM_400000_NS6detail17trampoline_kernelINS0_14default_configENS1_35radix_sort_onesweep_config_selectorIiiEEZZNS1_29radix_sort_onesweep_iterationIS3_Lb0EN6thrust23THRUST_200600_302600_NS6detail15normal_iteratorINS8_10device_ptrIiEEEESD_SD_SD_jNS0_19identity_decomposerENS1_16block_id_wrapperIjLb1EEEEE10hipError_tT1_PNSt15iterator_traitsISI_E10value_typeET2_T3_PNSJ_ISO_E10value_typeET4_T5_PST_SU_PNS1_23onesweep_lookback_stateEbbT6_jjT7_P12ihipStream_tbENKUlT_T0_SI_SN_E_clIPiSD_S15_SD_EEDaS11_S12_SI_SN_EUlS11_E_NS1_11comp_targetILNS1_3genE8ELNS1_11target_archE1030ELNS1_3gpuE2ELNS1_3repE0EEENS1_47radix_sort_onesweep_sort_config_static_selectorELNS0_4arch9wavefront6targetE0EEEvSI_.has_recursion, 0
	.set _ZN7rocprim17ROCPRIM_400000_NS6detail17trampoline_kernelINS0_14default_configENS1_35radix_sort_onesweep_config_selectorIiiEEZZNS1_29radix_sort_onesweep_iterationIS3_Lb0EN6thrust23THRUST_200600_302600_NS6detail15normal_iteratorINS8_10device_ptrIiEEEESD_SD_SD_jNS0_19identity_decomposerENS1_16block_id_wrapperIjLb1EEEEE10hipError_tT1_PNSt15iterator_traitsISI_E10value_typeET2_T3_PNSJ_ISO_E10value_typeET4_T5_PST_SU_PNS1_23onesweep_lookback_stateEbbT6_jjT7_P12ihipStream_tbENKUlT_T0_SI_SN_E_clIPiSD_S15_SD_EEDaS11_S12_SI_SN_EUlS11_E_NS1_11comp_targetILNS1_3genE8ELNS1_11target_archE1030ELNS1_3gpuE2ELNS1_3repE0EEENS1_47radix_sort_onesweep_sort_config_static_selectorELNS0_4arch9wavefront6targetE0EEEvSI_.has_indirect_call, 0
	.section	.AMDGPU.csdata,"",@progbits
; Kernel info:
; codeLenInByte = 17560
; TotalNumSgprs: 53
; NumVgprs: 68
; ScratchSize: 64
; MemoryBound: 0
; FloatMode: 240
; IeeeMode: 1
; LDSByteSize: 37000 bytes/workgroup (compile time only)
; SGPRBlocks: 0
; VGPRBlocks: 8
; NumSGPRsForWavesPerEU: 53
; NumVGPRsForWavesPerEU: 68
; Occupancy: 12
; WaveLimiterHint : 1
; COMPUTE_PGM_RSRC2:SCRATCH_EN: 1
; COMPUTE_PGM_RSRC2:USER_SGPR: 6
; COMPUTE_PGM_RSRC2:TRAP_HANDLER: 0
; COMPUTE_PGM_RSRC2:TGID_X_EN: 1
; COMPUTE_PGM_RSRC2:TGID_Y_EN: 0
; COMPUTE_PGM_RSRC2:TGID_Z_EN: 0
; COMPUTE_PGM_RSRC2:TIDIG_COMP_CNT: 2
	.section	.text._ZN7rocprim17ROCPRIM_400000_NS6detail17trampoline_kernelINS0_14default_configENS1_35radix_sort_onesweep_config_selectorIiiEEZZNS1_29radix_sort_onesweep_iterationIS3_Lb0EN6thrust23THRUST_200600_302600_NS6detail15normal_iteratorINS8_10device_ptrIiEEEESD_SD_SD_jNS0_19identity_decomposerENS1_16block_id_wrapperIjLb0EEEEE10hipError_tT1_PNSt15iterator_traitsISI_E10value_typeET2_T3_PNSJ_ISO_E10value_typeET4_T5_PST_SU_PNS1_23onesweep_lookback_stateEbbT6_jjT7_P12ihipStream_tbENKUlT_T0_SI_SN_E_clISD_SD_SD_SD_EEDaS11_S12_SI_SN_EUlS11_E_NS1_11comp_targetILNS1_3genE0ELNS1_11target_archE4294967295ELNS1_3gpuE0ELNS1_3repE0EEENS1_47radix_sort_onesweep_sort_config_static_selectorELNS0_4arch9wavefront6targetE0EEEvSI_,"axG",@progbits,_ZN7rocprim17ROCPRIM_400000_NS6detail17trampoline_kernelINS0_14default_configENS1_35radix_sort_onesweep_config_selectorIiiEEZZNS1_29radix_sort_onesweep_iterationIS3_Lb0EN6thrust23THRUST_200600_302600_NS6detail15normal_iteratorINS8_10device_ptrIiEEEESD_SD_SD_jNS0_19identity_decomposerENS1_16block_id_wrapperIjLb0EEEEE10hipError_tT1_PNSt15iterator_traitsISI_E10value_typeET2_T3_PNSJ_ISO_E10value_typeET4_T5_PST_SU_PNS1_23onesweep_lookback_stateEbbT6_jjT7_P12ihipStream_tbENKUlT_T0_SI_SN_E_clISD_SD_SD_SD_EEDaS11_S12_SI_SN_EUlS11_E_NS1_11comp_targetILNS1_3genE0ELNS1_11target_archE4294967295ELNS1_3gpuE0ELNS1_3repE0EEENS1_47radix_sort_onesweep_sort_config_static_selectorELNS0_4arch9wavefront6targetE0EEEvSI_,comdat
	.protected	_ZN7rocprim17ROCPRIM_400000_NS6detail17trampoline_kernelINS0_14default_configENS1_35radix_sort_onesweep_config_selectorIiiEEZZNS1_29radix_sort_onesweep_iterationIS3_Lb0EN6thrust23THRUST_200600_302600_NS6detail15normal_iteratorINS8_10device_ptrIiEEEESD_SD_SD_jNS0_19identity_decomposerENS1_16block_id_wrapperIjLb0EEEEE10hipError_tT1_PNSt15iterator_traitsISI_E10value_typeET2_T3_PNSJ_ISO_E10value_typeET4_T5_PST_SU_PNS1_23onesweep_lookback_stateEbbT6_jjT7_P12ihipStream_tbENKUlT_T0_SI_SN_E_clISD_SD_SD_SD_EEDaS11_S12_SI_SN_EUlS11_E_NS1_11comp_targetILNS1_3genE0ELNS1_11target_archE4294967295ELNS1_3gpuE0ELNS1_3repE0EEENS1_47radix_sort_onesweep_sort_config_static_selectorELNS0_4arch9wavefront6targetE0EEEvSI_ ; -- Begin function _ZN7rocprim17ROCPRIM_400000_NS6detail17trampoline_kernelINS0_14default_configENS1_35radix_sort_onesweep_config_selectorIiiEEZZNS1_29radix_sort_onesweep_iterationIS3_Lb0EN6thrust23THRUST_200600_302600_NS6detail15normal_iteratorINS8_10device_ptrIiEEEESD_SD_SD_jNS0_19identity_decomposerENS1_16block_id_wrapperIjLb0EEEEE10hipError_tT1_PNSt15iterator_traitsISI_E10value_typeET2_T3_PNSJ_ISO_E10value_typeET4_T5_PST_SU_PNS1_23onesweep_lookback_stateEbbT6_jjT7_P12ihipStream_tbENKUlT_T0_SI_SN_E_clISD_SD_SD_SD_EEDaS11_S12_SI_SN_EUlS11_E_NS1_11comp_targetILNS1_3genE0ELNS1_11target_archE4294967295ELNS1_3gpuE0ELNS1_3repE0EEENS1_47radix_sort_onesweep_sort_config_static_selectorELNS0_4arch9wavefront6targetE0EEEvSI_
	.globl	_ZN7rocprim17ROCPRIM_400000_NS6detail17trampoline_kernelINS0_14default_configENS1_35radix_sort_onesweep_config_selectorIiiEEZZNS1_29radix_sort_onesweep_iterationIS3_Lb0EN6thrust23THRUST_200600_302600_NS6detail15normal_iteratorINS8_10device_ptrIiEEEESD_SD_SD_jNS0_19identity_decomposerENS1_16block_id_wrapperIjLb0EEEEE10hipError_tT1_PNSt15iterator_traitsISI_E10value_typeET2_T3_PNSJ_ISO_E10value_typeET4_T5_PST_SU_PNS1_23onesweep_lookback_stateEbbT6_jjT7_P12ihipStream_tbENKUlT_T0_SI_SN_E_clISD_SD_SD_SD_EEDaS11_S12_SI_SN_EUlS11_E_NS1_11comp_targetILNS1_3genE0ELNS1_11target_archE4294967295ELNS1_3gpuE0ELNS1_3repE0EEENS1_47radix_sort_onesweep_sort_config_static_selectorELNS0_4arch9wavefront6targetE0EEEvSI_
	.p2align	8
	.type	_ZN7rocprim17ROCPRIM_400000_NS6detail17trampoline_kernelINS0_14default_configENS1_35radix_sort_onesweep_config_selectorIiiEEZZNS1_29radix_sort_onesweep_iterationIS3_Lb0EN6thrust23THRUST_200600_302600_NS6detail15normal_iteratorINS8_10device_ptrIiEEEESD_SD_SD_jNS0_19identity_decomposerENS1_16block_id_wrapperIjLb0EEEEE10hipError_tT1_PNSt15iterator_traitsISI_E10value_typeET2_T3_PNSJ_ISO_E10value_typeET4_T5_PST_SU_PNS1_23onesweep_lookback_stateEbbT6_jjT7_P12ihipStream_tbENKUlT_T0_SI_SN_E_clISD_SD_SD_SD_EEDaS11_S12_SI_SN_EUlS11_E_NS1_11comp_targetILNS1_3genE0ELNS1_11target_archE4294967295ELNS1_3gpuE0ELNS1_3repE0EEENS1_47radix_sort_onesweep_sort_config_static_selectorELNS0_4arch9wavefront6targetE0EEEvSI_,@function
_ZN7rocprim17ROCPRIM_400000_NS6detail17trampoline_kernelINS0_14default_configENS1_35radix_sort_onesweep_config_selectorIiiEEZZNS1_29radix_sort_onesweep_iterationIS3_Lb0EN6thrust23THRUST_200600_302600_NS6detail15normal_iteratorINS8_10device_ptrIiEEEESD_SD_SD_jNS0_19identity_decomposerENS1_16block_id_wrapperIjLb0EEEEE10hipError_tT1_PNSt15iterator_traitsISI_E10value_typeET2_T3_PNSJ_ISO_E10value_typeET4_T5_PST_SU_PNS1_23onesweep_lookback_stateEbbT6_jjT7_P12ihipStream_tbENKUlT_T0_SI_SN_E_clISD_SD_SD_SD_EEDaS11_S12_SI_SN_EUlS11_E_NS1_11comp_targetILNS1_3genE0ELNS1_11target_archE4294967295ELNS1_3gpuE0ELNS1_3repE0EEENS1_47radix_sort_onesweep_sort_config_static_selectorELNS0_4arch9wavefront6targetE0EEEvSI_: ; @_ZN7rocprim17ROCPRIM_400000_NS6detail17trampoline_kernelINS0_14default_configENS1_35radix_sort_onesweep_config_selectorIiiEEZZNS1_29radix_sort_onesweep_iterationIS3_Lb0EN6thrust23THRUST_200600_302600_NS6detail15normal_iteratorINS8_10device_ptrIiEEEESD_SD_SD_jNS0_19identity_decomposerENS1_16block_id_wrapperIjLb0EEEEE10hipError_tT1_PNSt15iterator_traitsISI_E10value_typeET2_T3_PNSJ_ISO_E10value_typeET4_T5_PST_SU_PNS1_23onesweep_lookback_stateEbbT6_jjT7_P12ihipStream_tbENKUlT_T0_SI_SN_E_clISD_SD_SD_SD_EEDaS11_S12_SI_SN_EUlS11_E_NS1_11comp_targetILNS1_3genE0ELNS1_11target_archE4294967295ELNS1_3gpuE0ELNS1_3repE0EEENS1_47radix_sort_onesweep_sort_config_static_selectorELNS0_4arch9wavefront6targetE0EEEvSI_
; %bb.0:
	.section	.rodata,"a",@progbits
	.p2align	6, 0x0
	.amdhsa_kernel _ZN7rocprim17ROCPRIM_400000_NS6detail17trampoline_kernelINS0_14default_configENS1_35radix_sort_onesweep_config_selectorIiiEEZZNS1_29radix_sort_onesweep_iterationIS3_Lb0EN6thrust23THRUST_200600_302600_NS6detail15normal_iteratorINS8_10device_ptrIiEEEESD_SD_SD_jNS0_19identity_decomposerENS1_16block_id_wrapperIjLb0EEEEE10hipError_tT1_PNSt15iterator_traitsISI_E10value_typeET2_T3_PNSJ_ISO_E10value_typeET4_T5_PST_SU_PNS1_23onesweep_lookback_stateEbbT6_jjT7_P12ihipStream_tbENKUlT_T0_SI_SN_E_clISD_SD_SD_SD_EEDaS11_S12_SI_SN_EUlS11_E_NS1_11comp_targetILNS1_3genE0ELNS1_11target_archE4294967295ELNS1_3gpuE0ELNS1_3repE0EEENS1_47radix_sort_onesweep_sort_config_static_selectorELNS0_4arch9wavefront6targetE0EEEvSI_
		.amdhsa_group_segment_fixed_size 0
		.amdhsa_private_segment_fixed_size 0
		.amdhsa_kernarg_size 88
		.amdhsa_user_sgpr_count 6
		.amdhsa_user_sgpr_private_segment_buffer 1
		.amdhsa_user_sgpr_dispatch_ptr 0
		.amdhsa_user_sgpr_queue_ptr 0
		.amdhsa_user_sgpr_kernarg_segment_ptr 1
		.amdhsa_user_sgpr_dispatch_id 0
		.amdhsa_user_sgpr_flat_scratch_init 0
		.amdhsa_user_sgpr_private_segment_size 0
		.amdhsa_wavefront_size32 1
		.amdhsa_uses_dynamic_stack 0
		.amdhsa_system_sgpr_private_segment_wavefront_offset 0
		.amdhsa_system_sgpr_workgroup_id_x 1
		.amdhsa_system_sgpr_workgroup_id_y 0
		.amdhsa_system_sgpr_workgroup_id_z 0
		.amdhsa_system_sgpr_workgroup_info 0
		.amdhsa_system_vgpr_workitem_id 0
		.amdhsa_next_free_vgpr 1
		.amdhsa_next_free_sgpr 1
		.amdhsa_reserve_vcc 0
		.amdhsa_reserve_flat_scratch 0
		.amdhsa_float_round_mode_32 0
		.amdhsa_float_round_mode_16_64 0
		.amdhsa_float_denorm_mode_32 3
		.amdhsa_float_denorm_mode_16_64 3
		.amdhsa_dx10_clamp 1
		.amdhsa_ieee_mode 1
		.amdhsa_fp16_overflow 0
		.amdhsa_workgroup_processor_mode 1
		.amdhsa_memory_ordered 1
		.amdhsa_forward_progress 1
		.amdhsa_shared_vgpr_count 0
		.amdhsa_exception_fp_ieee_invalid_op 0
		.amdhsa_exception_fp_denorm_src 0
		.amdhsa_exception_fp_ieee_div_zero 0
		.amdhsa_exception_fp_ieee_overflow 0
		.amdhsa_exception_fp_ieee_underflow 0
		.amdhsa_exception_fp_ieee_inexact 0
		.amdhsa_exception_int_div_zero 0
	.end_amdhsa_kernel
	.section	.text._ZN7rocprim17ROCPRIM_400000_NS6detail17trampoline_kernelINS0_14default_configENS1_35radix_sort_onesweep_config_selectorIiiEEZZNS1_29radix_sort_onesweep_iterationIS3_Lb0EN6thrust23THRUST_200600_302600_NS6detail15normal_iteratorINS8_10device_ptrIiEEEESD_SD_SD_jNS0_19identity_decomposerENS1_16block_id_wrapperIjLb0EEEEE10hipError_tT1_PNSt15iterator_traitsISI_E10value_typeET2_T3_PNSJ_ISO_E10value_typeET4_T5_PST_SU_PNS1_23onesweep_lookback_stateEbbT6_jjT7_P12ihipStream_tbENKUlT_T0_SI_SN_E_clISD_SD_SD_SD_EEDaS11_S12_SI_SN_EUlS11_E_NS1_11comp_targetILNS1_3genE0ELNS1_11target_archE4294967295ELNS1_3gpuE0ELNS1_3repE0EEENS1_47radix_sort_onesweep_sort_config_static_selectorELNS0_4arch9wavefront6targetE0EEEvSI_,"axG",@progbits,_ZN7rocprim17ROCPRIM_400000_NS6detail17trampoline_kernelINS0_14default_configENS1_35radix_sort_onesweep_config_selectorIiiEEZZNS1_29radix_sort_onesweep_iterationIS3_Lb0EN6thrust23THRUST_200600_302600_NS6detail15normal_iteratorINS8_10device_ptrIiEEEESD_SD_SD_jNS0_19identity_decomposerENS1_16block_id_wrapperIjLb0EEEEE10hipError_tT1_PNSt15iterator_traitsISI_E10value_typeET2_T3_PNSJ_ISO_E10value_typeET4_T5_PST_SU_PNS1_23onesweep_lookback_stateEbbT6_jjT7_P12ihipStream_tbENKUlT_T0_SI_SN_E_clISD_SD_SD_SD_EEDaS11_S12_SI_SN_EUlS11_E_NS1_11comp_targetILNS1_3genE0ELNS1_11target_archE4294967295ELNS1_3gpuE0ELNS1_3repE0EEENS1_47radix_sort_onesweep_sort_config_static_selectorELNS0_4arch9wavefront6targetE0EEEvSI_,comdat
.Lfunc_end849:
	.size	_ZN7rocprim17ROCPRIM_400000_NS6detail17trampoline_kernelINS0_14default_configENS1_35radix_sort_onesweep_config_selectorIiiEEZZNS1_29radix_sort_onesweep_iterationIS3_Lb0EN6thrust23THRUST_200600_302600_NS6detail15normal_iteratorINS8_10device_ptrIiEEEESD_SD_SD_jNS0_19identity_decomposerENS1_16block_id_wrapperIjLb0EEEEE10hipError_tT1_PNSt15iterator_traitsISI_E10value_typeET2_T3_PNSJ_ISO_E10value_typeET4_T5_PST_SU_PNS1_23onesweep_lookback_stateEbbT6_jjT7_P12ihipStream_tbENKUlT_T0_SI_SN_E_clISD_SD_SD_SD_EEDaS11_S12_SI_SN_EUlS11_E_NS1_11comp_targetILNS1_3genE0ELNS1_11target_archE4294967295ELNS1_3gpuE0ELNS1_3repE0EEENS1_47radix_sort_onesweep_sort_config_static_selectorELNS0_4arch9wavefront6targetE0EEEvSI_, .Lfunc_end849-_ZN7rocprim17ROCPRIM_400000_NS6detail17trampoline_kernelINS0_14default_configENS1_35radix_sort_onesweep_config_selectorIiiEEZZNS1_29radix_sort_onesweep_iterationIS3_Lb0EN6thrust23THRUST_200600_302600_NS6detail15normal_iteratorINS8_10device_ptrIiEEEESD_SD_SD_jNS0_19identity_decomposerENS1_16block_id_wrapperIjLb0EEEEE10hipError_tT1_PNSt15iterator_traitsISI_E10value_typeET2_T3_PNSJ_ISO_E10value_typeET4_T5_PST_SU_PNS1_23onesweep_lookback_stateEbbT6_jjT7_P12ihipStream_tbENKUlT_T0_SI_SN_E_clISD_SD_SD_SD_EEDaS11_S12_SI_SN_EUlS11_E_NS1_11comp_targetILNS1_3genE0ELNS1_11target_archE4294967295ELNS1_3gpuE0ELNS1_3repE0EEENS1_47radix_sort_onesweep_sort_config_static_selectorELNS0_4arch9wavefront6targetE0EEEvSI_
                                        ; -- End function
	.set _ZN7rocprim17ROCPRIM_400000_NS6detail17trampoline_kernelINS0_14default_configENS1_35radix_sort_onesweep_config_selectorIiiEEZZNS1_29radix_sort_onesweep_iterationIS3_Lb0EN6thrust23THRUST_200600_302600_NS6detail15normal_iteratorINS8_10device_ptrIiEEEESD_SD_SD_jNS0_19identity_decomposerENS1_16block_id_wrapperIjLb0EEEEE10hipError_tT1_PNSt15iterator_traitsISI_E10value_typeET2_T3_PNSJ_ISO_E10value_typeET4_T5_PST_SU_PNS1_23onesweep_lookback_stateEbbT6_jjT7_P12ihipStream_tbENKUlT_T0_SI_SN_E_clISD_SD_SD_SD_EEDaS11_S12_SI_SN_EUlS11_E_NS1_11comp_targetILNS1_3genE0ELNS1_11target_archE4294967295ELNS1_3gpuE0ELNS1_3repE0EEENS1_47radix_sort_onesweep_sort_config_static_selectorELNS0_4arch9wavefront6targetE0EEEvSI_.num_vgpr, 0
	.set _ZN7rocprim17ROCPRIM_400000_NS6detail17trampoline_kernelINS0_14default_configENS1_35radix_sort_onesweep_config_selectorIiiEEZZNS1_29radix_sort_onesweep_iterationIS3_Lb0EN6thrust23THRUST_200600_302600_NS6detail15normal_iteratorINS8_10device_ptrIiEEEESD_SD_SD_jNS0_19identity_decomposerENS1_16block_id_wrapperIjLb0EEEEE10hipError_tT1_PNSt15iterator_traitsISI_E10value_typeET2_T3_PNSJ_ISO_E10value_typeET4_T5_PST_SU_PNS1_23onesweep_lookback_stateEbbT6_jjT7_P12ihipStream_tbENKUlT_T0_SI_SN_E_clISD_SD_SD_SD_EEDaS11_S12_SI_SN_EUlS11_E_NS1_11comp_targetILNS1_3genE0ELNS1_11target_archE4294967295ELNS1_3gpuE0ELNS1_3repE0EEENS1_47radix_sort_onesweep_sort_config_static_selectorELNS0_4arch9wavefront6targetE0EEEvSI_.num_agpr, 0
	.set _ZN7rocprim17ROCPRIM_400000_NS6detail17trampoline_kernelINS0_14default_configENS1_35radix_sort_onesweep_config_selectorIiiEEZZNS1_29radix_sort_onesweep_iterationIS3_Lb0EN6thrust23THRUST_200600_302600_NS6detail15normal_iteratorINS8_10device_ptrIiEEEESD_SD_SD_jNS0_19identity_decomposerENS1_16block_id_wrapperIjLb0EEEEE10hipError_tT1_PNSt15iterator_traitsISI_E10value_typeET2_T3_PNSJ_ISO_E10value_typeET4_T5_PST_SU_PNS1_23onesweep_lookback_stateEbbT6_jjT7_P12ihipStream_tbENKUlT_T0_SI_SN_E_clISD_SD_SD_SD_EEDaS11_S12_SI_SN_EUlS11_E_NS1_11comp_targetILNS1_3genE0ELNS1_11target_archE4294967295ELNS1_3gpuE0ELNS1_3repE0EEENS1_47radix_sort_onesweep_sort_config_static_selectorELNS0_4arch9wavefront6targetE0EEEvSI_.numbered_sgpr, 0
	.set _ZN7rocprim17ROCPRIM_400000_NS6detail17trampoline_kernelINS0_14default_configENS1_35radix_sort_onesweep_config_selectorIiiEEZZNS1_29radix_sort_onesweep_iterationIS3_Lb0EN6thrust23THRUST_200600_302600_NS6detail15normal_iteratorINS8_10device_ptrIiEEEESD_SD_SD_jNS0_19identity_decomposerENS1_16block_id_wrapperIjLb0EEEEE10hipError_tT1_PNSt15iterator_traitsISI_E10value_typeET2_T3_PNSJ_ISO_E10value_typeET4_T5_PST_SU_PNS1_23onesweep_lookback_stateEbbT6_jjT7_P12ihipStream_tbENKUlT_T0_SI_SN_E_clISD_SD_SD_SD_EEDaS11_S12_SI_SN_EUlS11_E_NS1_11comp_targetILNS1_3genE0ELNS1_11target_archE4294967295ELNS1_3gpuE0ELNS1_3repE0EEENS1_47radix_sort_onesweep_sort_config_static_selectorELNS0_4arch9wavefront6targetE0EEEvSI_.num_named_barrier, 0
	.set _ZN7rocprim17ROCPRIM_400000_NS6detail17trampoline_kernelINS0_14default_configENS1_35radix_sort_onesweep_config_selectorIiiEEZZNS1_29radix_sort_onesweep_iterationIS3_Lb0EN6thrust23THRUST_200600_302600_NS6detail15normal_iteratorINS8_10device_ptrIiEEEESD_SD_SD_jNS0_19identity_decomposerENS1_16block_id_wrapperIjLb0EEEEE10hipError_tT1_PNSt15iterator_traitsISI_E10value_typeET2_T3_PNSJ_ISO_E10value_typeET4_T5_PST_SU_PNS1_23onesweep_lookback_stateEbbT6_jjT7_P12ihipStream_tbENKUlT_T0_SI_SN_E_clISD_SD_SD_SD_EEDaS11_S12_SI_SN_EUlS11_E_NS1_11comp_targetILNS1_3genE0ELNS1_11target_archE4294967295ELNS1_3gpuE0ELNS1_3repE0EEENS1_47radix_sort_onesweep_sort_config_static_selectorELNS0_4arch9wavefront6targetE0EEEvSI_.private_seg_size, 0
	.set _ZN7rocprim17ROCPRIM_400000_NS6detail17trampoline_kernelINS0_14default_configENS1_35radix_sort_onesweep_config_selectorIiiEEZZNS1_29radix_sort_onesweep_iterationIS3_Lb0EN6thrust23THRUST_200600_302600_NS6detail15normal_iteratorINS8_10device_ptrIiEEEESD_SD_SD_jNS0_19identity_decomposerENS1_16block_id_wrapperIjLb0EEEEE10hipError_tT1_PNSt15iterator_traitsISI_E10value_typeET2_T3_PNSJ_ISO_E10value_typeET4_T5_PST_SU_PNS1_23onesweep_lookback_stateEbbT6_jjT7_P12ihipStream_tbENKUlT_T0_SI_SN_E_clISD_SD_SD_SD_EEDaS11_S12_SI_SN_EUlS11_E_NS1_11comp_targetILNS1_3genE0ELNS1_11target_archE4294967295ELNS1_3gpuE0ELNS1_3repE0EEENS1_47radix_sort_onesweep_sort_config_static_selectorELNS0_4arch9wavefront6targetE0EEEvSI_.uses_vcc, 0
	.set _ZN7rocprim17ROCPRIM_400000_NS6detail17trampoline_kernelINS0_14default_configENS1_35radix_sort_onesweep_config_selectorIiiEEZZNS1_29radix_sort_onesweep_iterationIS3_Lb0EN6thrust23THRUST_200600_302600_NS6detail15normal_iteratorINS8_10device_ptrIiEEEESD_SD_SD_jNS0_19identity_decomposerENS1_16block_id_wrapperIjLb0EEEEE10hipError_tT1_PNSt15iterator_traitsISI_E10value_typeET2_T3_PNSJ_ISO_E10value_typeET4_T5_PST_SU_PNS1_23onesweep_lookback_stateEbbT6_jjT7_P12ihipStream_tbENKUlT_T0_SI_SN_E_clISD_SD_SD_SD_EEDaS11_S12_SI_SN_EUlS11_E_NS1_11comp_targetILNS1_3genE0ELNS1_11target_archE4294967295ELNS1_3gpuE0ELNS1_3repE0EEENS1_47radix_sort_onesweep_sort_config_static_selectorELNS0_4arch9wavefront6targetE0EEEvSI_.uses_flat_scratch, 0
	.set _ZN7rocprim17ROCPRIM_400000_NS6detail17trampoline_kernelINS0_14default_configENS1_35radix_sort_onesweep_config_selectorIiiEEZZNS1_29radix_sort_onesweep_iterationIS3_Lb0EN6thrust23THRUST_200600_302600_NS6detail15normal_iteratorINS8_10device_ptrIiEEEESD_SD_SD_jNS0_19identity_decomposerENS1_16block_id_wrapperIjLb0EEEEE10hipError_tT1_PNSt15iterator_traitsISI_E10value_typeET2_T3_PNSJ_ISO_E10value_typeET4_T5_PST_SU_PNS1_23onesweep_lookback_stateEbbT6_jjT7_P12ihipStream_tbENKUlT_T0_SI_SN_E_clISD_SD_SD_SD_EEDaS11_S12_SI_SN_EUlS11_E_NS1_11comp_targetILNS1_3genE0ELNS1_11target_archE4294967295ELNS1_3gpuE0ELNS1_3repE0EEENS1_47radix_sort_onesweep_sort_config_static_selectorELNS0_4arch9wavefront6targetE0EEEvSI_.has_dyn_sized_stack, 0
	.set _ZN7rocprim17ROCPRIM_400000_NS6detail17trampoline_kernelINS0_14default_configENS1_35radix_sort_onesweep_config_selectorIiiEEZZNS1_29radix_sort_onesweep_iterationIS3_Lb0EN6thrust23THRUST_200600_302600_NS6detail15normal_iteratorINS8_10device_ptrIiEEEESD_SD_SD_jNS0_19identity_decomposerENS1_16block_id_wrapperIjLb0EEEEE10hipError_tT1_PNSt15iterator_traitsISI_E10value_typeET2_T3_PNSJ_ISO_E10value_typeET4_T5_PST_SU_PNS1_23onesweep_lookback_stateEbbT6_jjT7_P12ihipStream_tbENKUlT_T0_SI_SN_E_clISD_SD_SD_SD_EEDaS11_S12_SI_SN_EUlS11_E_NS1_11comp_targetILNS1_3genE0ELNS1_11target_archE4294967295ELNS1_3gpuE0ELNS1_3repE0EEENS1_47radix_sort_onesweep_sort_config_static_selectorELNS0_4arch9wavefront6targetE0EEEvSI_.has_recursion, 0
	.set _ZN7rocprim17ROCPRIM_400000_NS6detail17trampoline_kernelINS0_14default_configENS1_35radix_sort_onesweep_config_selectorIiiEEZZNS1_29radix_sort_onesweep_iterationIS3_Lb0EN6thrust23THRUST_200600_302600_NS6detail15normal_iteratorINS8_10device_ptrIiEEEESD_SD_SD_jNS0_19identity_decomposerENS1_16block_id_wrapperIjLb0EEEEE10hipError_tT1_PNSt15iterator_traitsISI_E10value_typeET2_T3_PNSJ_ISO_E10value_typeET4_T5_PST_SU_PNS1_23onesweep_lookback_stateEbbT6_jjT7_P12ihipStream_tbENKUlT_T0_SI_SN_E_clISD_SD_SD_SD_EEDaS11_S12_SI_SN_EUlS11_E_NS1_11comp_targetILNS1_3genE0ELNS1_11target_archE4294967295ELNS1_3gpuE0ELNS1_3repE0EEENS1_47radix_sort_onesweep_sort_config_static_selectorELNS0_4arch9wavefront6targetE0EEEvSI_.has_indirect_call, 0
	.section	.AMDGPU.csdata,"",@progbits
; Kernel info:
; codeLenInByte = 0
; TotalNumSgprs: 0
; NumVgprs: 0
; ScratchSize: 0
; MemoryBound: 0
; FloatMode: 240
; IeeeMode: 1
; LDSByteSize: 0 bytes/workgroup (compile time only)
; SGPRBlocks: 0
; VGPRBlocks: 0
; NumSGPRsForWavesPerEU: 1
; NumVGPRsForWavesPerEU: 1
; Occupancy: 16
; WaveLimiterHint : 0
; COMPUTE_PGM_RSRC2:SCRATCH_EN: 0
; COMPUTE_PGM_RSRC2:USER_SGPR: 6
; COMPUTE_PGM_RSRC2:TRAP_HANDLER: 0
; COMPUTE_PGM_RSRC2:TGID_X_EN: 1
; COMPUTE_PGM_RSRC2:TGID_Y_EN: 0
; COMPUTE_PGM_RSRC2:TGID_Z_EN: 0
; COMPUTE_PGM_RSRC2:TIDIG_COMP_CNT: 0
	.section	.text._ZN7rocprim17ROCPRIM_400000_NS6detail17trampoline_kernelINS0_14default_configENS1_35radix_sort_onesweep_config_selectorIiiEEZZNS1_29radix_sort_onesweep_iterationIS3_Lb0EN6thrust23THRUST_200600_302600_NS6detail15normal_iteratorINS8_10device_ptrIiEEEESD_SD_SD_jNS0_19identity_decomposerENS1_16block_id_wrapperIjLb0EEEEE10hipError_tT1_PNSt15iterator_traitsISI_E10value_typeET2_T3_PNSJ_ISO_E10value_typeET4_T5_PST_SU_PNS1_23onesweep_lookback_stateEbbT6_jjT7_P12ihipStream_tbENKUlT_T0_SI_SN_E_clISD_SD_SD_SD_EEDaS11_S12_SI_SN_EUlS11_E_NS1_11comp_targetILNS1_3genE6ELNS1_11target_archE950ELNS1_3gpuE13ELNS1_3repE0EEENS1_47radix_sort_onesweep_sort_config_static_selectorELNS0_4arch9wavefront6targetE0EEEvSI_,"axG",@progbits,_ZN7rocprim17ROCPRIM_400000_NS6detail17trampoline_kernelINS0_14default_configENS1_35radix_sort_onesweep_config_selectorIiiEEZZNS1_29radix_sort_onesweep_iterationIS3_Lb0EN6thrust23THRUST_200600_302600_NS6detail15normal_iteratorINS8_10device_ptrIiEEEESD_SD_SD_jNS0_19identity_decomposerENS1_16block_id_wrapperIjLb0EEEEE10hipError_tT1_PNSt15iterator_traitsISI_E10value_typeET2_T3_PNSJ_ISO_E10value_typeET4_T5_PST_SU_PNS1_23onesweep_lookback_stateEbbT6_jjT7_P12ihipStream_tbENKUlT_T0_SI_SN_E_clISD_SD_SD_SD_EEDaS11_S12_SI_SN_EUlS11_E_NS1_11comp_targetILNS1_3genE6ELNS1_11target_archE950ELNS1_3gpuE13ELNS1_3repE0EEENS1_47radix_sort_onesweep_sort_config_static_selectorELNS0_4arch9wavefront6targetE0EEEvSI_,comdat
	.protected	_ZN7rocprim17ROCPRIM_400000_NS6detail17trampoline_kernelINS0_14default_configENS1_35radix_sort_onesweep_config_selectorIiiEEZZNS1_29radix_sort_onesweep_iterationIS3_Lb0EN6thrust23THRUST_200600_302600_NS6detail15normal_iteratorINS8_10device_ptrIiEEEESD_SD_SD_jNS0_19identity_decomposerENS1_16block_id_wrapperIjLb0EEEEE10hipError_tT1_PNSt15iterator_traitsISI_E10value_typeET2_T3_PNSJ_ISO_E10value_typeET4_T5_PST_SU_PNS1_23onesweep_lookback_stateEbbT6_jjT7_P12ihipStream_tbENKUlT_T0_SI_SN_E_clISD_SD_SD_SD_EEDaS11_S12_SI_SN_EUlS11_E_NS1_11comp_targetILNS1_3genE6ELNS1_11target_archE950ELNS1_3gpuE13ELNS1_3repE0EEENS1_47radix_sort_onesweep_sort_config_static_selectorELNS0_4arch9wavefront6targetE0EEEvSI_ ; -- Begin function _ZN7rocprim17ROCPRIM_400000_NS6detail17trampoline_kernelINS0_14default_configENS1_35radix_sort_onesweep_config_selectorIiiEEZZNS1_29radix_sort_onesweep_iterationIS3_Lb0EN6thrust23THRUST_200600_302600_NS6detail15normal_iteratorINS8_10device_ptrIiEEEESD_SD_SD_jNS0_19identity_decomposerENS1_16block_id_wrapperIjLb0EEEEE10hipError_tT1_PNSt15iterator_traitsISI_E10value_typeET2_T3_PNSJ_ISO_E10value_typeET4_T5_PST_SU_PNS1_23onesweep_lookback_stateEbbT6_jjT7_P12ihipStream_tbENKUlT_T0_SI_SN_E_clISD_SD_SD_SD_EEDaS11_S12_SI_SN_EUlS11_E_NS1_11comp_targetILNS1_3genE6ELNS1_11target_archE950ELNS1_3gpuE13ELNS1_3repE0EEENS1_47radix_sort_onesweep_sort_config_static_selectorELNS0_4arch9wavefront6targetE0EEEvSI_
	.globl	_ZN7rocprim17ROCPRIM_400000_NS6detail17trampoline_kernelINS0_14default_configENS1_35radix_sort_onesweep_config_selectorIiiEEZZNS1_29radix_sort_onesweep_iterationIS3_Lb0EN6thrust23THRUST_200600_302600_NS6detail15normal_iteratorINS8_10device_ptrIiEEEESD_SD_SD_jNS0_19identity_decomposerENS1_16block_id_wrapperIjLb0EEEEE10hipError_tT1_PNSt15iterator_traitsISI_E10value_typeET2_T3_PNSJ_ISO_E10value_typeET4_T5_PST_SU_PNS1_23onesweep_lookback_stateEbbT6_jjT7_P12ihipStream_tbENKUlT_T0_SI_SN_E_clISD_SD_SD_SD_EEDaS11_S12_SI_SN_EUlS11_E_NS1_11comp_targetILNS1_3genE6ELNS1_11target_archE950ELNS1_3gpuE13ELNS1_3repE0EEENS1_47radix_sort_onesweep_sort_config_static_selectorELNS0_4arch9wavefront6targetE0EEEvSI_
	.p2align	8
	.type	_ZN7rocprim17ROCPRIM_400000_NS6detail17trampoline_kernelINS0_14default_configENS1_35radix_sort_onesweep_config_selectorIiiEEZZNS1_29radix_sort_onesweep_iterationIS3_Lb0EN6thrust23THRUST_200600_302600_NS6detail15normal_iteratorINS8_10device_ptrIiEEEESD_SD_SD_jNS0_19identity_decomposerENS1_16block_id_wrapperIjLb0EEEEE10hipError_tT1_PNSt15iterator_traitsISI_E10value_typeET2_T3_PNSJ_ISO_E10value_typeET4_T5_PST_SU_PNS1_23onesweep_lookback_stateEbbT6_jjT7_P12ihipStream_tbENKUlT_T0_SI_SN_E_clISD_SD_SD_SD_EEDaS11_S12_SI_SN_EUlS11_E_NS1_11comp_targetILNS1_3genE6ELNS1_11target_archE950ELNS1_3gpuE13ELNS1_3repE0EEENS1_47radix_sort_onesweep_sort_config_static_selectorELNS0_4arch9wavefront6targetE0EEEvSI_,@function
_ZN7rocprim17ROCPRIM_400000_NS6detail17trampoline_kernelINS0_14default_configENS1_35radix_sort_onesweep_config_selectorIiiEEZZNS1_29radix_sort_onesweep_iterationIS3_Lb0EN6thrust23THRUST_200600_302600_NS6detail15normal_iteratorINS8_10device_ptrIiEEEESD_SD_SD_jNS0_19identity_decomposerENS1_16block_id_wrapperIjLb0EEEEE10hipError_tT1_PNSt15iterator_traitsISI_E10value_typeET2_T3_PNSJ_ISO_E10value_typeET4_T5_PST_SU_PNS1_23onesweep_lookback_stateEbbT6_jjT7_P12ihipStream_tbENKUlT_T0_SI_SN_E_clISD_SD_SD_SD_EEDaS11_S12_SI_SN_EUlS11_E_NS1_11comp_targetILNS1_3genE6ELNS1_11target_archE950ELNS1_3gpuE13ELNS1_3repE0EEENS1_47radix_sort_onesweep_sort_config_static_selectorELNS0_4arch9wavefront6targetE0EEEvSI_: ; @_ZN7rocprim17ROCPRIM_400000_NS6detail17trampoline_kernelINS0_14default_configENS1_35radix_sort_onesweep_config_selectorIiiEEZZNS1_29radix_sort_onesweep_iterationIS3_Lb0EN6thrust23THRUST_200600_302600_NS6detail15normal_iteratorINS8_10device_ptrIiEEEESD_SD_SD_jNS0_19identity_decomposerENS1_16block_id_wrapperIjLb0EEEEE10hipError_tT1_PNSt15iterator_traitsISI_E10value_typeET2_T3_PNSJ_ISO_E10value_typeET4_T5_PST_SU_PNS1_23onesweep_lookback_stateEbbT6_jjT7_P12ihipStream_tbENKUlT_T0_SI_SN_E_clISD_SD_SD_SD_EEDaS11_S12_SI_SN_EUlS11_E_NS1_11comp_targetILNS1_3genE6ELNS1_11target_archE950ELNS1_3gpuE13ELNS1_3repE0EEENS1_47radix_sort_onesweep_sort_config_static_selectorELNS0_4arch9wavefront6targetE0EEEvSI_
; %bb.0:
	.section	.rodata,"a",@progbits
	.p2align	6, 0x0
	.amdhsa_kernel _ZN7rocprim17ROCPRIM_400000_NS6detail17trampoline_kernelINS0_14default_configENS1_35radix_sort_onesweep_config_selectorIiiEEZZNS1_29radix_sort_onesweep_iterationIS3_Lb0EN6thrust23THRUST_200600_302600_NS6detail15normal_iteratorINS8_10device_ptrIiEEEESD_SD_SD_jNS0_19identity_decomposerENS1_16block_id_wrapperIjLb0EEEEE10hipError_tT1_PNSt15iterator_traitsISI_E10value_typeET2_T3_PNSJ_ISO_E10value_typeET4_T5_PST_SU_PNS1_23onesweep_lookback_stateEbbT6_jjT7_P12ihipStream_tbENKUlT_T0_SI_SN_E_clISD_SD_SD_SD_EEDaS11_S12_SI_SN_EUlS11_E_NS1_11comp_targetILNS1_3genE6ELNS1_11target_archE950ELNS1_3gpuE13ELNS1_3repE0EEENS1_47radix_sort_onesweep_sort_config_static_selectorELNS0_4arch9wavefront6targetE0EEEvSI_
		.amdhsa_group_segment_fixed_size 0
		.amdhsa_private_segment_fixed_size 0
		.amdhsa_kernarg_size 88
		.amdhsa_user_sgpr_count 6
		.amdhsa_user_sgpr_private_segment_buffer 1
		.amdhsa_user_sgpr_dispatch_ptr 0
		.amdhsa_user_sgpr_queue_ptr 0
		.amdhsa_user_sgpr_kernarg_segment_ptr 1
		.amdhsa_user_sgpr_dispatch_id 0
		.amdhsa_user_sgpr_flat_scratch_init 0
		.amdhsa_user_sgpr_private_segment_size 0
		.amdhsa_wavefront_size32 1
		.amdhsa_uses_dynamic_stack 0
		.amdhsa_system_sgpr_private_segment_wavefront_offset 0
		.amdhsa_system_sgpr_workgroup_id_x 1
		.amdhsa_system_sgpr_workgroup_id_y 0
		.amdhsa_system_sgpr_workgroup_id_z 0
		.amdhsa_system_sgpr_workgroup_info 0
		.amdhsa_system_vgpr_workitem_id 0
		.amdhsa_next_free_vgpr 1
		.amdhsa_next_free_sgpr 1
		.amdhsa_reserve_vcc 0
		.amdhsa_reserve_flat_scratch 0
		.amdhsa_float_round_mode_32 0
		.amdhsa_float_round_mode_16_64 0
		.amdhsa_float_denorm_mode_32 3
		.amdhsa_float_denorm_mode_16_64 3
		.amdhsa_dx10_clamp 1
		.amdhsa_ieee_mode 1
		.amdhsa_fp16_overflow 0
		.amdhsa_workgroup_processor_mode 1
		.amdhsa_memory_ordered 1
		.amdhsa_forward_progress 1
		.amdhsa_shared_vgpr_count 0
		.amdhsa_exception_fp_ieee_invalid_op 0
		.amdhsa_exception_fp_denorm_src 0
		.amdhsa_exception_fp_ieee_div_zero 0
		.amdhsa_exception_fp_ieee_overflow 0
		.amdhsa_exception_fp_ieee_underflow 0
		.amdhsa_exception_fp_ieee_inexact 0
		.amdhsa_exception_int_div_zero 0
	.end_amdhsa_kernel
	.section	.text._ZN7rocprim17ROCPRIM_400000_NS6detail17trampoline_kernelINS0_14default_configENS1_35radix_sort_onesweep_config_selectorIiiEEZZNS1_29radix_sort_onesweep_iterationIS3_Lb0EN6thrust23THRUST_200600_302600_NS6detail15normal_iteratorINS8_10device_ptrIiEEEESD_SD_SD_jNS0_19identity_decomposerENS1_16block_id_wrapperIjLb0EEEEE10hipError_tT1_PNSt15iterator_traitsISI_E10value_typeET2_T3_PNSJ_ISO_E10value_typeET4_T5_PST_SU_PNS1_23onesweep_lookback_stateEbbT6_jjT7_P12ihipStream_tbENKUlT_T0_SI_SN_E_clISD_SD_SD_SD_EEDaS11_S12_SI_SN_EUlS11_E_NS1_11comp_targetILNS1_3genE6ELNS1_11target_archE950ELNS1_3gpuE13ELNS1_3repE0EEENS1_47radix_sort_onesweep_sort_config_static_selectorELNS0_4arch9wavefront6targetE0EEEvSI_,"axG",@progbits,_ZN7rocprim17ROCPRIM_400000_NS6detail17trampoline_kernelINS0_14default_configENS1_35radix_sort_onesweep_config_selectorIiiEEZZNS1_29radix_sort_onesweep_iterationIS3_Lb0EN6thrust23THRUST_200600_302600_NS6detail15normal_iteratorINS8_10device_ptrIiEEEESD_SD_SD_jNS0_19identity_decomposerENS1_16block_id_wrapperIjLb0EEEEE10hipError_tT1_PNSt15iterator_traitsISI_E10value_typeET2_T3_PNSJ_ISO_E10value_typeET4_T5_PST_SU_PNS1_23onesweep_lookback_stateEbbT6_jjT7_P12ihipStream_tbENKUlT_T0_SI_SN_E_clISD_SD_SD_SD_EEDaS11_S12_SI_SN_EUlS11_E_NS1_11comp_targetILNS1_3genE6ELNS1_11target_archE950ELNS1_3gpuE13ELNS1_3repE0EEENS1_47radix_sort_onesweep_sort_config_static_selectorELNS0_4arch9wavefront6targetE0EEEvSI_,comdat
.Lfunc_end850:
	.size	_ZN7rocprim17ROCPRIM_400000_NS6detail17trampoline_kernelINS0_14default_configENS1_35radix_sort_onesweep_config_selectorIiiEEZZNS1_29radix_sort_onesweep_iterationIS3_Lb0EN6thrust23THRUST_200600_302600_NS6detail15normal_iteratorINS8_10device_ptrIiEEEESD_SD_SD_jNS0_19identity_decomposerENS1_16block_id_wrapperIjLb0EEEEE10hipError_tT1_PNSt15iterator_traitsISI_E10value_typeET2_T3_PNSJ_ISO_E10value_typeET4_T5_PST_SU_PNS1_23onesweep_lookback_stateEbbT6_jjT7_P12ihipStream_tbENKUlT_T0_SI_SN_E_clISD_SD_SD_SD_EEDaS11_S12_SI_SN_EUlS11_E_NS1_11comp_targetILNS1_3genE6ELNS1_11target_archE950ELNS1_3gpuE13ELNS1_3repE0EEENS1_47radix_sort_onesweep_sort_config_static_selectorELNS0_4arch9wavefront6targetE0EEEvSI_, .Lfunc_end850-_ZN7rocprim17ROCPRIM_400000_NS6detail17trampoline_kernelINS0_14default_configENS1_35radix_sort_onesweep_config_selectorIiiEEZZNS1_29radix_sort_onesweep_iterationIS3_Lb0EN6thrust23THRUST_200600_302600_NS6detail15normal_iteratorINS8_10device_ptrIiEEEESD_SD_SD_jNS0_19identity_decomposerENS1_16block_id_wrapperIjLb0EEEEE10hipError_tT1_PNSt15iterator_traitsISI_E10value_typeET2_T3_PNSJ_ISO_E10value_typeET4_T5_PST_SU_PNS1_23onesweep_lookback_stateEbbT6_jjT7_P12ihipStream_tbENKUlT_T0_SI_SN_E_clISD_SD_SD_SD_EEDaS11_S12_SI_SN_EUlS11_E_NS1_11comp_targetILNS1_3genE6ELNS1_11target_archE950ELNS1_3gpuE13ELNS1_3repE0EEENS1_47radix_sort_onesweep_sort_config_static_selectorELNS0_4arch9wavefront6targetE0EEEvSI_
                                        ; -- End function
	.set _ZN7rocprim17ROCPRIM_400000_NS6detail17trampoline_kernelINS0_14default_configENS1_35radix_sort_onesweep_config_selectorIiiEEZZNS1_29radix_sort_onesweep_iterationIS3_Lb0EN6thrust23THRUST_200600_302600_NS6detail15normal_iteratorINS8_10device_ptrIiEEEESD_SD_SD_jNS0_19identity_decomposerENS1_16block_id_wrapperIjLb0EEEEE10hipError_tT1_PNSt15iterator_traitsISI_E10value_typeET2_T3_PNSJ_ISO_E10value_typeET4_T5_PST_SU_PNS1_23onesweep_lookback_stateEbbT6_jjT7_P12ihipStream_tbENKUlT_T0_SI_SN_E_clISD_SD_SD_SD_EEDaS11_S12_SI_SN_EUlS11_E_NS1_11comp_targetILNS1_3genE6ELNS1_11target_archE950ELNS1_3gpuE13ELNS1_3repE0EEENS1_47radix_sort_onesweep_sort_config_static_selectorELNS0_4arch9wavefront6targetE0EEEvSI_.num_vgpr, 0
	.set _ZN7rocprim17ROCPRIM_400000_NS6detail17trampoline_kernelINS0_14default_configENS1_35radix_sort_onesweep_config_selectorIiiEEZZNS1_29radix_sort_onesweep_iterationIS3_Lb0EN6thrust23THRUST_200600_302600_NS6detail15normal_iteratorINS8_10device_ptrIiEEEESD_SD_SD_jNS0_19identity_decomposerENS1_16block_id_wrapperIjLb0EEEEE10hipError_tT1_PNSt15iterator_traitsISI_E10value_typeET2_T3_PNSJ_ISO_E10value_typeET4_T5_PST_SU_PNS1_23onesweep_lookback_stateEbbT6_jjT7_P12ihipStream_tbENKUlT_T0_SI_SN_E_clISD_SD_SD_SD_EEDaS11_S12_SI_SN_EUlS11_E_NS1_11comp_targetILNS1_3genE6ELNS1_11target_archE950ELNS1_3gpuE13ELNS1_3repE0EEENS1_47radix_sort_onesweep_sort_config_static_selectorELNS0_4arch9wavefront6targetE0EEEvSI_.num_agpr, 0
	.set _ZN7rocprim17ROCPRIM_400000_NS6detail17trampoline_kernelINS0_14default_configENS1_35radix_sort_onesweep_config_selectorIiiEEZZNS1_29radix_sort_onesweep_iterationIS3_Lb0EN6thrust23THRUST_200600_302600_NS6detail15normal_iteratorINS8_10device_ptrIiEEEESD_SD_SD_jNS0_19identity_decomposerENS1_16block_id_wrapperIjLb0EEEEE10hipError_tT1_PNSt15iterator_traitsISI_E10value_typeET2_T3_PNSJ_ISO_E10value_typeET4_T5_PST_SU_PNS1_23onesweep_lookback_stateEbbT6_jjT7_P12ihipStream_tbENKUlT_T0_SI_SN_E_clISD_SD_SD_SD_EEDaS11_S12_SI_SN_EUlS11_E_NS1_11comp_targetILNS1_3genE6ELNS1_11target_archE950ELNS1_3gpuE13ELNS1_3repE0EEENS1_47radix_sort_onesweep_sort_config_static_selectorELNS0_4arch9wavefront6targetE0EEEvSI_.numbered_sgpr, 0
	.set _ZN7rocprim17ROCPRIM_400000_NS6detail17trampoline_kernelINS0_14default_configENS1_35radix_sort_onesweep_config_selectorIiiEEZZNS1_29radix_sort_onesweep_iterationIS3_Lb0EN6thrust23THRUST_200600_302600_NS6detail15normal_iteratorINS8_10device_ptrIiEEEESD_SD_SD_jNS0_19identity_decomposerENS1_16block_id_wrapperIjLb0EEEEE10hipError_tT1_PNSt15iterator_traitsISI_E10value_typeET2_T3_PNSJ_ISO_E10value_typeET4_T5_PST_SU_PNS1_23onesweep_lookback_stateEbbT6_jjT7_P12ihipStream_tbENKUlT_T0_SI_SN_E_clISD_SD_SD_SD_EEDaS11_S12_SI_SN_EUlS11_E_NS1_11comp_targetILNS1_3genE6ELNS1_11target_archE950ELNS1_3gpuE13ELNS1_3repE0EEENS1_47radix_sort_onesweep_sort_config_static_selectorELNS0_4arch9wavefront6targetE0EEEvSI_.num_named_barrier, 0
	.set _ZN7rocprim17ROCPRIM_400000_NS6detail17trampoline_kernelINS0_14default_configENS1_35radix_sort_onesweep_config_selectorIiiEEZZNS1_29radix_sort_onesweep_iterationIS3_Lb0EN6thrust23THRUST_200600_302600_NS6detail15normal_iteratorINS8_10device_ptrIiEEEESD_SD_SD_jNS0_19identity_decomposerENS1_16block_id_wrapperIjLb0EEEEE10hipError_tT1_PNSt15iterator_traitsISI_E10value_typeET2_T3_PNSJ_ISO_E10value_typeET4_T5_PST_SU_PNS1_23onesweep_lookback_stateEbbT6_jjT7_P12ihipStream_tbENKUlT_T0_SI_SN_E_clISD_SD_SD_SD_EEDaS11_S12_SI_SN_EUlS11_E_NS1_11comp_targetILNS1_3genE6ELNS1_11target_archE950ELNS1_3gpuE13ELNS1_3repE0EEENS1_47radix_sort_onesweep_sort_config_static_selectorELNS0_4arch9wavefront6targetE0EEEvSI_.private_seg_size, 0
	.set _ZN7rocprim17ROCPRIM_400000_NS6detail17trampoline_kernelINS0_14default_configENS1_35radix_sort_onesweep_config_selectorIiiEEZZNS1_29radix_sort_onesweep_iterationIS3_Lb0EN6thrust23THRUST_200600_302600_NS6detail15normal_iteratorINS8_10device_ptrIiEEEESD_SD_SD_jNS0_19identity_decomposerENS1_16block_id_wrapperIjLb0EEEEE10hipError_tT1_PNSt15iterator_traitsISI_E10value_typeET2_T3_PNSJ_ISO_E10value_typeET4_T5_PST_SU_PNS1_23onesweep_lookback_stateEbbT6_jjT7_P12ihipStream_tbENKUlT_T0_SI_SN_E_clISD_SD_SD_SD_EEDaS11_S12_SI_SN_EUlS11_E_NS1_11comp_targetILNS1_3genE6ELNS1_11target_archE950ELNS1_3gpuE13ELNS1_3repE0EEENS1_47radix_sort_onesweep_sort_config_static_selectorELNS0_4arch9wavefront6targetE0EEEvSI_.uses_vcc, 0
	.set _ZN7rocprim17ROCPRIM_400000_NS6detail17trampoline_kernelINS0_14default_configENS1_35radix_sort_onesweep_config_selectorIiiEEZZNS1_29radix_sort_onesweep_iterationIS3_Lb0EN6thrust23THRUST_200600_302600_NS6detail15normal_iteratorINS8_10device_ptrIiEEEESD_SD_SD_jNS0_19identity_decomposerENS1_16block_id_wrapperIjLb0EEEEE10hipError_tT1_PNSt15iterator_traitsISI_E10value_typeET2_T3_PNSJ_ISO_E10value_typeET4_T5_PST_SU_PNS1_23onesweep_lookback_stateEbbT6_jjT7_P12ihipStream_tbENKUlT_T0_SI_SN_E_clISD_SD_SD_SD_EEDaS11_S12_SI_SN_EUlS11_E_NS1_11comp_targetILNS1_3genE6ELNS1_11target_archE950ELNS1_3gpuE13ELNS1_3repE0EEENS1_47radix_sort_onesweep_sort_config_static_selectorELNS0_4arch9wavefront6targetE0EEEvSI_.uses_flat_scratch, 0
	.set _ZN7rocprim17ROCPRIM_400000_NS6detail17trampoline_kernelINS0_14default_configENS1_35radix_sort_onesweep_config_selectorIiiEEZZNS1_29radix_sort_onesweep_iterationIS3_Lb0EN6thrust23THRUST_200600_302600_NS6detail15normal_iteratorINS8_10device_ptrIiEEEESD_SD_SD_jNS0_19identity_decomposerENS1_16block_id_wrapperIjLb0EEEEE10hipError_tT1_PNSt15iterator_traitsISI_E10value_typeET2_T3_PNSJ_ISO_E10value_typeET4_T5_PST_SU_PNS1_23onesweep_lookback_stateEbbT6_jjT7_P12ihipStream_tbENKUlT_T0_SI_SN_E_clISD_SD_SD_SD_EEDaS11_S12_SI_SN_EUlS11_E_NS1_11comp_targetILNS1_3genE6ELNS1_11target_archE950ELNS1_3gpuE13ELNS1_3repE0EEENS1_47radix_sort_onesweep_sort_config_static_selectorELNS0_4arch9wavefront6targetE0EEEvSI_.has_dyn_sized_stack, 0
	.set _ZN7rocprim17ROCPRIM_400000_NS6detail17trampoline_kernelINS0_14default_configENS1_35radix_sort_onesweep_config_selectorIiiEEZZNS1_29radix_sort_onesweep_iterationIS3_Lb0EN6thrust23THRUST_200600_302600_NS6detail15normal_iteratorINS8_10device_ptrIiEEEESD_SD_SD_jNS0_19identity_decomposerENS1_16block_id_wrapperIjLb0EEEEE10hipError_tT1_PNSt15iterator_traitsISI_E10value_typeET2_T3_PNSJ_ISO_E10value_typeET4_T5_PST_SU_PNS1_23onesweep_lookback_stateEbbT6_jjT7_P12ihipStream_tbENKUlT_T0_SI_SN_E_clISD_SD_SD_SD_EEDaS11_S12_SI_SN_EUlS11_E_NS1_11comp_targetILNS1_3genE6ELNS1_11target_archE950ELNS1_3gpuE13ELNS1_3repE0EEENS1_47radix_sort_onesweep_sort_config_static_selectorELNS0_4arch9wavefront6targetE0EEEvSI_.has_recursion, 0
	.set _ZN7rocprim17ROCPRIM_400000_NS6detail17trampoline_kernelINS0_14default_configENS1_35radix_sort_onesweep_config_selectorIiiEEZZNS1_29radix_sort_onesweep_iterationIS3_Lb0EN6thrust23THRUST_200600_302600_NS6detail15normal_iteratorINS8_10device_ptrIiEEEESD_SD_SD_jNS0_19identity_decomposerENS1_16block_id_wrapperIjLb0EEEEE10hipError_tT1_PNSt15iterator_traitsISI_E10value_typeET2_T3_PNSJ_ISO_E10value_typeET4_T5_PST_SU_PNS1_23onesweep_lookback_stateEbbT6_jjT7_P12ihipStream_tbENKUlT_T0_SI_SN_E_clISD_SD_SD_SD_EEDaS11_S12_SI_SN_EUlS11_E_NS1_11comp_targetILNS1_3genE6ELNS1_11target_archE950ELNS1_3gpuE13ELNS1_3repE0EEENS1_47radix_sort_onesweep_sort_config_static_selectorELNS0_4arch9wavefront6targetE0EEEvSI_.has_indirect_call, 0
	.section	.AMDGPU.csdata,"",@progbits
; Kernel info:
; codeLenInByte = 0
; TotalNumSgprs: 0
; NumVgprs: 0
; ScratchSize: 0
; MemoryBound: 0
; FloatMode: 240
; IeeeMode: 1
; LDSByteSize: 0 bytes/workgroup (compile time only)
; SGPRBlocks: 0
; VGPRBlocks: 0
; NumSGPRsForWavesPerEU: 1
; NumVGPRsForWavesPerEU: 1
; Occupancy: 16
; WaveLimiterHint : 0
; COMPUTE_PGM_RSRC2:SCRATCH_EN: 0
; COMPUTE_PGM_RSRC2:USER_SGPR: 6
; COMPUTE_PGM_RSRC2:TRAP_HANDLER: 0
; COMPUTE_PGM_RSRC2:TGID_X_EN: 1
; COMPUTE_PGM_RSRC2:TGID_Y_EN: 0
; COMPUTE_PGM_RSRC2:TGID_Z_EN: 0
; COMPUTE_PGM_RSRC2:TIDIG_COMP_CNT: 0
	.section	.text._ZN7rocprim17ROCPRIM_400000_NS6detail17trampoline_kernelINS0_14default_configENS1_35radix_sort_onesweep_config_selectorIiiEEZZNS1_29radix_sort_onesweep_iterationIS3_Lb0EN6thrust23THRUST_200600_302600_NS6detail15normal_iteratorINS8_10device_ptrIiEEEESD_SD_SD_jNS0_19identity_decomposerENS1_16block_id_wrapperIjLb0EEEEE10hipError_tT1_PNSt15iterator_traitsISI_E10value_typeET2_T3_PNSJ_ISO_E10value_typeET4_T5_PST_SU_PNS1_23onesweep_lookback_stateEbbT6_jjT7_P12ihipStream_tbENKUlT_T0_SI_SN_E_clISD_SD_SD_SD_EEDaS11_S12_SI_SN_EUlS11_E_NS1_11comp_targetILNS1_3genE5ELNS1_11target_archE942ELNS1_3gpuE9ELNS1_3repE0EEENS1_47radix_sort_onesweep_sort_config_static_selectorELNS0_4arch9wavefront6targetE0EEEvSI_,"axG",@progbits,_ZN7rocprim17ROCPRIM_400000_NS6detail17trampoline_kernelINS0_14default_configENS1_35radix_sort_onesweep_config_selectorIiiEEZZNS1_29radix_sort_onesweep_iterationIS3_Lb0EN6thrust23THRUST_200600_302600_NS6detail15normal_iteratorINS8_10device_ptrIiEEEESD_SD_SD_jNS0_19identity_decomposerENS1_16block_id_wrapperIjLb0EEEEE10hipError_tT1_PNSt15iterator_traitsISI_E10value_typeET2_T3_PNSJ_ISO_E10value_typeET4_T5_PST_SU_PNS1_23onesweep_lookback_stateEbbT6_jjT7_P12ihipStream_tbENKUlT_T0_SI_SN_E_clISD_SD_SD_SD_EEDaS11_S12_SI_SN_EUlS11_E_NS1_11comp_targetILNS1_3genE5ELNS1_11target_archE942ELNS1_3gpuE9ELNS1_3repE0EEENS1_47radix_sort_onesweep_sort_config_static_selectorELNS0_4arch9wavefront6targetE0EEEvSI_,comdat
	.protected	_ZN7rocprim17ROCPRIM_400000_NS6detail17trampoline_kernelINS0_14default_configENS1_35radix_sort_onesweep_config_selectorIiiEEZZNS1_29radix_sort_onesweep_iterationIS3_Lb0EN6thrust23THRUST_200600_302600_NS6detail15normal_iteratorINS8_10device_ptrIiEEEESD_SD_SD_jNS0_19identity_decomposerENS1_16block_id_wrapperIjLb0EEEEE10hipError_tT1_PNSt15iterator_traitsISI_E10value_typeET2_T3_PNSJ_ISO_E10value_typeET4_T5_PST_SU_PNS1_23onesweep_lookback_stateEbbT6_jjT7_P12ihipStream_tbENKUlT_T0_SI_SN_E_clISD_SD_SD_SD_EEDaS11_S12_SI_SN_EUlS11_E_NS1_11comp_targetILNS1_3genE5ELNS1_11target_archE942ELNS1_3gpuE9ELNS1_3repE0EEENS1_47radix_sort_onesweep_sort_config_static_selectorELNS0_4arch9wavefront6targetE0EEEvSI_ ; -- Begin function _ZN7rocprim17ROCPRIM_400000_NS6detail17trampoline_kernelINS0_14default_configENS1_35radix_sort_onesweep_config_selectorIiiEEZZNS1_29radix_sort_onesweep_iterationIS3_Lb0EN6thrust23THRUST_200600_302600_NS6detail15normal_iteratorINS8_10device_ptrIiEEEESD_SD_SD_jNS0_19identity_decomposerENS1_16block_id_wrapperIjLb0EEEEE10hipError_tT1_PNSt15iterator_traitsISI_E10value_typeET2_T3_PNSJ_ISO_E10value_typeET4_T5_PST_SU_PNS1_23onesweep_lookback_stateEbbT6_jjT7_P12ihipStream_tbENKUlT_T0_SI_SN_E_clISD_SD_SD_SD_EEDaS11_S12_SI_SN_EUlS11_E_NS1_11comp_targetILNS1_3genE5ELNS1_11target_archE942ELNS1_3gpuE9ELNS1_3repE0EEENS1_47radix_sort_onesweep_sort_config_static_selectorELNS0_4arch9wavefront6targetE0EEEvSI_
	.globl	_ZN7rocprim17ROCPRIM_400000_NS6detail17trampoline_kernelINS0_14default_configENS1_35radix_sort_onesweep_config_selectorIiiEEZZNS1_29radix_sort_onesweep_iterationIS3_Lb0EN6thrust23THRUST_200600_302600_NS6detail15normal_iteratorINS8_10device_ptrIiEEEESD_SD_SD_jNS0_19identity_decomposerENS1_16block_id_wrapperIjLb0EEEEE10hipError_tT1_PNSt15iterator_traitsISI_E10value_typeET2_T3_PNSJ_ISO_E10value_typeET4_T5_PST_SU_PNS1_23onesweep_lookback_stateEbbT6_jjT7_P12ihipStream_tbENKUlT_T0_SI_SN_E_clISD_SD_SD_SD_EEDaS11_S12_SI_SN_EUlS11_E_NS1_11comp_targetILNS1_3genE5ELNS1_11target_archE942ELNS1_3gpuE9ELNS1_3repE0EEENS1_47radix_sort_onesweep_sort_config_static_selectorELNS0_4arch9wavefront6targetE0EEEvSI_
	.p2align	8
	.type	_ZN7rocprim17ROCPRIM_400000_NS6detail17trampoline_kernelINS0_14default_configENS1_35radix_sort_onesweep_config_selectorIiiEEZZNS1_29radix_sort_onesweep_iterationIS3_Lb0EN6thrust23THRUST_200600_302600_NS6detail15normal_iteratorINS8_10device_ptrIiEEEESD_SD_SD_jNS0_19identity_decomposerENS1_16block_id_wrapperIjLb0EEEEE10hipError_tT1_PNSt15iterator_traitsISI_E10value_typeET2_T3_PNSJ_ISO_E10value_typeET4_T5_PST_SU_PNS1_23onesweep_lookback_stateEbbT6_jjT7_P12ihipStream_tbENKUlT_T0_SI_SN_E_clISD_SD_SD_SD_EEDaS11_S12_SI_SN_EUlS11_E_NS1_11comp_targetILNS1_3genE5ELNS1_11target_archE942ELNS1_3gpuE9ELNS1_3repE0EEENS1_47radix_sort_onesweep_sort_config_static_selectorELNS0_4arch9wavefront6targetE0EEEvSI_,@function
_ZN7rocprim17ROCPRIM_400000_NS6detail17trampoline_kernelINS0_14default_configENS1_35radix_sort_onesweep_config_selectorIiiEEZZNS1_29radix_sort_onesweep_iterationIS3_Lb0EN6thrust23THRUST_200600_302600_NS6detail15normal_iteratorINS8_10device_ptrIiEEEESD_SD_SD_jNS0_19identity_decomposerENS1_16block_id_wrapperIjLb0EEEEE10hipError_tT1_PNSt15iterator_traitsISI_E10value_typeET2_T3_PNSJ_ISO_E10value_typeET4_T5_PST_SU_PNS1_23onesweep_lookback_stateEbbT6_jjT7_P12ihipStream_tbENKUlT_T0_SI_SN_E_clISD_SD_SD_SD_EEDaS11_S12_SI_SN_EUlS11_E_NS1_11comp_targetILNS1_3genE5ELNS1_11target_archE942ELNS1_3gpuE9ELNS1_3repE0EEENS1_47radix_sort_onesweep_sort_config_static_selectorELNS0_4arch9wavefront6targetE0EEEvSI_: ; @_ZN7rocprim17ROCPRIM_400000_NS6detail17trampoline_kernelINS0_14default_configENS1_35radix_sort_onesweep_config_selectorIiiEEZZNS1_29radix_sort_onesweep_iterationIS3_Lb0EN6thrust23THRUST_200600_302600_NS6detail15normal_iteratorINS8_10device_ptrIiEEEESD_SD_SD_jNS0_19identity_decomposerENS1_16block_id_wrapperIjLb0EEEEE10hipError_tT1_PNSt15iterator_traitsISI_E10value_typeET2_T3_PNSJ_ISO_E10value_typeET4_T5_PST_SU_PNS1_23onesweep_lookback_stateEbbT6_jjT7_P12ihipStream_tbENKUlT_T0_SI_SN_E_clISD_SD_SD_SD_EEDaS11_S12_SI_SN_EUlS11_E_NS1_11comp_targetILNS1_3genE5ELNS1_11target_archE942ELNS1_3gpuE9ELNS1_3repE0EEENS1_47radix_sort_onesweep_sort_config_static_selectorELNS0_4arch9wavefront6targetE0EEEvSI_
; %bb.0:
	.section	.rodata,"a",@progbits
	.p2align	6, 0x0
	.amdhsa_kernel _ZN7rocprim17ROCPRIM_400000_NS6detail17trampoline_kernelINS0_14default_configENS1_35radix_sort_onesweep_config_selectorIiiEEZZNS1_29radix_sort_onesweep_iterationIS3_Lb0EN6thrust23THRUST_200600_302600_NS6detail15normal_iteratorINS8_10device_ptrIiEEEESD_SD_SD_jNS0_19identity_decomposerENS1_16block_id_wrapperIjLb0EEEEE10hipError_tT1_PNSt15iterator_traitsISI_E10value_typeET2_T3_PNSJ_ISO_E10value_typeET4_T5_PST_SU_PNS1_23onesweep_lookback_stateEbbT6_jjT7_P12ihipStream_tbENKUlT_T0_SI_SN_E_clISD_SD_SD_SD_EEDaS11_S12_SI_SN_EUlS11_E_NS1_11comp_targetILNS1_3genE5ELNS1_11target_archE942ELNS1_3gpuE9ELNS1_3repE0EEENS1_47radix_sort_onesweep_sort_config_static_selectorELNS0_4arch9wavefront6targetE0EEEvSI_
		.amdhsa_group_segment_fixed_size 0
		.amdhsa_private_segment_fixed_size 0
		.amdhsa_kernarg_size 88
		.amdhsa_user_sgpr_count 6
		.amdhsa_user_sgpr_private_segment_buffer 1
		.amdhsa_user_sgpr_dispatch_ptr 0
		.amdhsa_user_sgpr_queue_ptr 0
		.amdhsa_user_sgpr_kernarg_segment_ptr 1
		.amdhsa_user_sgpr_dispatch_id 0
		.amdhsa_user_sgpr_flat_scratch_init 0
		.amdhsa_user_sgpr_private_segment_size 0
		.amdhsa_wavefront_size32 1
		.amdhsa_uses_dynamic_stack 0
		.amdhsa_system_sgpr_private_segment_wavefront_offset 0
		.amdhsa_system_sgpr_workgroup_id_x 1
		.amdhsa_system_sgpr_workgroup_id_y 0
		.amdhsa_system_sgpr_workgroup_id_z 0
		.amdhsa_system_sgpr_workgroup_info 0
		.amdhsa_system_vgpr_workitem_id 0
		.amdhsa_next_free_vgpr 1
		.amdhsa_next_free_sgpr 1
		.amdhsa_reserve_vcc 0
		.amdhsa_reserve_flat_scratch 0
		.amdhsa_float_round_mode_32 0
		.amdhsa_float_round_mode_16_64 0
		.amdhsa_float_denorm_mode_32 3
		.amdhsa_float_denorm_mode_16_64 3
		.amdhsa_dx10_clamp 1
		.amdhsa_ieee_mode 1
		.amdhsa_fp16_overflow 0
		.amdhsa_workgroup_processor_mode 1
		.amdhsa_memory_ordered 1
		.amdhsa_forward_progress 1
		.amdhsa_shared_vgpr_count 0
		.amdhsa_exception_fp_ieee_invalid_op 0
		.amdhsa_exception_fp_denorm_src 0
		.amdhsa_exception_fp_ieee_div_zero 0
		.amdhsa_exception_fp_ieee_overflow 0
		.amdhsa_exception_fp_ieee_underflow 0
		.amdhsa_exception_fp_ieee_inexact 0
		.amdhsa_exception_int_div_zero 0
	.end_amdhsa_kernel
	.section	.text._ZN7rocprim17ROCPRIM_400000_NS6detail17trampoline_kernelINS0_14default_configENS1_35radix_sort_onesweep_config_selectorIiiEEZZNS1_29radix_sort_onesweep_iterationIS3_Lb0EN6thrust23THRUST_200600_302600_NS6detail15normal_iteratorINS8_10device_ptrIiEEEESD_SD_SD_jNS0_19identity_decomposerENS1_16block_id_wrapperIjLb0EEEEE10hipError_tT1_PNSt15iterator_traitsISI_E10value_typeET2_T3_PNSJ_ISO_E10value_typeET4_T5_PST_SU_PNS1_23onesweep_lookback_stateEbbT6_jjT7_P12ihipStream_tbENKUlT_T0_SI_SN_E_clISD_SD_SD_SD_EEDaS11_S12_SI_SN_EUlS11_E_NS1_11comp_targetILNS1_3genE5ELNS1_11target_archE942ELNS1_3gpuE9ELNS1_3repE0EEENS1_47radix_sort_onesweep_sort_config_static_selectorELNS0_4arch9wavefront6targetE0EEEvSI_,"axG",@progbits,_ZN7rocprim17ROCPRIM_400000_NS6detail17trampoline_kernelINS0_14default_configENS1_35radix_sort_onesweep_config_selectorIiiEEZZNS1_29radix_sort_onesweep_iterationIS3_Lb0EN6thrust23THRUST_200600_302600_NS6detail15normal_iteratorINS8_10device_ptrIiEEEESD_SD_SD_jNS0_19identity_decomposerENS1_16block_id_wrapperIjLb0EEEEE10hipError_tT1_PNSt15iterator_traitsISI_E10value_typeET2_T3_PNSJ_ISO_E10value_typeET4_T5_PST_SU_PNS1_23onesweep_lookback_stateEbbT6_jjT7_P12ihipStream_tbENKUlT_T0_SI_SN_E_clISD_SD_SD_SD_EEDaS11_S12_SI_SN_EUlS11_E_NS1_11comp_targetILNS1_3genE5ELNS1_11target_archE942ELNS1_3gpuE9ELNS1_3repE0EEENS1_47radix_sort_onesweep_sort_config_static_selectorELNS0_4arch9wavefront6targetE0EEEvSI_,comdat
.Lfunc_end851:
	.size	_ZN7rocprim17ROCPRIM_400000_NS6detail17trampoline_kernelINS0_14default_configENS1_35radix_sort_onesweep_config_selectorIiiEEZZNS1_29radix_sort_onesweep_iterationIS3_Lb0EN6thrust23THRUST_200600_302600_NS6detail15normal_iteratorINS8_10device_ptrIiEEEESD_SD_SD_jNS0_19identity_decomposerENS1_16block_id_wrapperIjLb0EEEEE10hipError_tT1_PNSt15iterator_traitsISI_E10value_typeET2_T3_PNSJ_ISO_E10value_typeET4_T5_PST_SU_PNS1_23onesweep_lookback_stateEbbT6_jjT7_P12ihipStream_tbENKUlT_T0_SI_SN_E_clISD_SD_SD_SD_EEDaS11_S12_SI_SN_EUlS11_E_NS1_11comp_targetILNS1_3genE5ELNS1_11target_archE942ELNS1_3gpuE9ELNS1_3repE0EEENS1_47radix_sort_onesweep_sort_config_static_selectorELNS0_4arch9wavefront6targetE0EEEvSI_, .Lfunc_end851-_ZN7rocprim17ROCPRIM_400000_NS6detail17trampoline_kernelINS0_14default_configENS1_35radix_sort_onesweep_config_selectorIiiEEZZNS1_29radix_sort_onesweep_iterationIS3_Lb0EN6thrust23THRUST_200600_302600_NS6detail15normal_iteratorINS8_10device_ptrIiEEEESD_SD_SD_jNS0_19identity_decomposerENS1_16block_id_wrapperIjLb0EEEEE10hipError_tT1_PNSt15iterator_traitsISI_E10value_typeET2_T3_PNSJ_ISO_E10value_typeET4_T5_PST_SU_PNS1_23onesweep_lookback_stateEbbT6_jjT7_P12ihipStream_tbENKUlT_T0_SI_SN_E_clISD_SD_SD_SD_EEDaS11_S12_SI_SN_EUlS11_E_NS1_11comp_targetILNS1_3genE5ELNS1_11target_archE942ELNS1_3gpuE9ELNS1_3repE0EEENS1_47radix_sort_onesweep_sort_config_static_selectorELNS0_4arch9wavefront6targetE0EEEvSI_
                                        ; -- End function
	.set _ZN7rocprim17ROCPRIM_400000_NS6detail17trampoline_kernelINS0_14default_configENS1_35radix_sort_onesweep_config_selectorIiiEEZZNS1_29radix_sort_onesweep_iterationIS3_Lb0EN6thrust23THRUST_200600_302600_NS6detail15normal_iteratorINS8_10device_ptrIiEEEESD_SD_SD_jNS0_19identity_decomposerENS1_16block_id_wrapperIjLb0EEEEE10hipError_tT1_PNSt15iterator_traitsISI_E10value_typeET2_T3_PNSJ_ISO_E10value_typeET4_T5_PST_SU_PNS1_23onesweep_lookback_stateEbbT6_jjT7_P12ihipStream_tbENKUlT_T0_SI_SN_E_clISD_SD_SD_SD_EEDaS11_S12_SI_SN_EUlS11_E_NS1_11comp_targetILNS1_3genE5ELNS1_11target_archE942ELNS1_3gpuE9ELNS1_3repE0EEENS1_47radix_sort_onesweep_sort_config_static_selectorELNS0_4arch9wavefront6targetE0EEEvSI_.num_vgpr, 0
	.set _ZN7rocprim17ROCPRIM_400000_NS6detail17trampoline_kernelINS0_14default_configENS1_35radix_sort_onesweep_config_selectorIiiEEZZNS1_29radix_sort_onesweep_iterationIS3_Lb0EN6thrust23THRUST_200600_302600_NS6detail15normal_iteratorINS8_10device_ptrIiEEEESD_SD_SD_jNS0_19identity_decomposerENS1_16block_id_wrapperIjLb0EEEEE10hipError_tT1_PNSt15iterator_traitsISI_E10value_typeET2_T3_PNSJ_ISO_E10value_typeET4_T5_PST_SU_PNS1_23onesweep_lookback_stateEbbT6_jjT7_P12ihipStream_tbENKUlT_T0_SI_SN_E_clISD_SD_SD_SD_EEDaS11_S12_SI_SN_EUlS11_E_NS1_11comp_targetILNS1_3genE5ELNS1_11target_archE942ELNS1_3gpuE9ELNS1_3repE0EEENS1_47radix_sort_onesweep_sort_config_static_selectorELNS0_4arch9wavefront6targetE0EEEvSI_.num_agpr, 0
	.set _ZN7rocprim17ROCPRIM_400000_NS6detail17trampoline_kernelINS0_14default_configENS1_35radix_sort_onesweep_config_selectorIiiEEZZNS1_29radix_sort_onesweep_iterationIS3_Lb0EN6thrust23THRUST_200600_302600_NS6detail15normal_iteratorINS8_10device_ptrIiEEEESD_SD_SD_jNS0_19identity_decomposerENS1_16block_id_wrapperIjLb0EEEEE10hipError_tT1_PNSt15iterator_traitsISI_E10value_typeET2_T3_PNSJ_ISO_E10value_typeET4_T5_PST_SU_PNS1_23onesweep_lookback_stateEbbT6_jjT7_P12ihipStream_tbENKUlT_T0_SI_SN_E_clISD_SD_SD_SD_EEDaS11_S12_SI_SN_EUlS11_E_NS1_11comp_targetILNS1_3genE5ELNS1_11target_archE942ELNS1_3gpuE9ELNS1_3repE0EEENS1_47radix_sort_onesweep_sort_config_static_selectorELNS0_4arch9wavefront6targetE0EEEvSI_.numbered_sgpr, 0
	.set _ZN7rocprim17ROCPRIM_400000_NS6detail17trampoline_kernelINS0_14default_configENS1_35radix_sort_onesweep_config_selectorIiiEEZZNS1_29radix_sort_onesweep_iterationIS3_Lb0EN6thrust23THRUST_200600_302600_NS6detail15normal_iteratorINS8_10device_ptrIiEEEESD_SD_SD_jNS0_19identity_decomposerENS1_16block_id_wrapperIjLb0EEEEE10hipError_tT1_PNSt15iterator_traitsISI_E10value_typeET2_T3_PNSJ_ISO_E10value_typeET4_T5_PST_SU_PNS1_23onesweep_lookback_stateEbbT6_jjT7_P12ihipStream_tbENKUlT_T0_SI_SN_E_clISD_SD_SD_SD_EEDaS11_S12_SI_SN_EUlS11_E_NS1_11comp_targetILNS1_3genE5ELNS1_11target_archE942ELNS1_3gpuE9ELNS1_3repE0EEENS1_47radix_sort_onesweep_sort_config_static_selectorELNS0_4arch9wavefront6targetE0EEEvSI_.num_named_barrier, 0
	.set _ZN7rocprim17ROCPRIM_400000_NS6detail17trampoline_kernelINS0_14default_configENS1_35radix_sort_onesweep_config_selectorIiiEEZZNS1_29radix_sort_onesweep_iterationIS3_Lb0EN6thrust23THRUST_200600_302600_NS6detail15normal_iteratorINS8_10device_ptrIiEEEESD_SD_SD_jNS0_19identity_decomposerENS1_16block_id_wrapperIjLb0EEEEE10hipError_tT1_PNSt15iterator_traitsISI_E10value_typeET2_T3_PNSJ_ISO_E10value_typeET4_T5_PST_SU_PNS1_23onesweep_lookback_stateEbbT6_jjT7_P12ihipStream_tbENKUlT_T0_SI_SN_E_clISD_SD_SD_SD_EEDaS11_S12_SI_SN_EUlS11_E_NS1_11comp_targetILNS1_3genE5ELNS1_11target_archE942ELNS1_3gpuE9ELNS1_3repE0EEENS1_47radix_sort_onesweep_sort_config_static_selectorELNS0_4arch9wavefront6targetE0EEEvSI_.private_seg_size, 0
	.set _ZN7rocprim17ROCPRIM_400000_NS6detail17trampoline_kernelINS0_14default_configENS1_35radix_sort_onesweep_config_selectorIiiEEZZNS1_29radix_sort_onesweep_iterationIS3_Lb0EN6thrust23THRUST_200600_302600_NS6detail15normal_iteratorINS8_10device_ptrIiEEEESD_SD_SD_jNS0_19identity_decomposerENS1_16block_id_wrapperIjLb0EEEEE10hipError_tT1_PNSt15iterator_traitsISI_E10value_typeET2_T3_PNSJ_ISO_E10value_typeET4_T5_PST_SU_PNS1_23onesweep_lookback_stateEbbT6_jjT7_P12ihipStream_tbENKUlT_T0_SI_SN_E_clISD_SD_SD_SD_EEDaS11_S12_SI_SN_EUlS11_E_NS1_11comp_targetILNS1_3genE5ELNS1_11target_archE942ELNS1_3gpuE9ELNS1_3repE0EEENS1_47radix_sort_onesweep_sort_config_static_selectorELNS0_4arch9wavefront6targetE0EEEvSI_.uses_vcc, 0
	.set _ZN7rocprim17ROCPRIM_400000_NS6detail17trampoline_kernelINS0_14default_configENS1_35radix_sort_onesweep_config_selectorIiiEEZZNS1_29radix_sort_onesweep_iterationIS3_Lb0EN6thrust23THRUST_200600_302600_NS6detail15normal_iteratorINS8_10device_ptrIiEEEESD_SD_SD_jNS0_19identity_decomposerENS1_16block_id_wrapperIjLb0EEEEE10hipError_tT1_PNSt15iterator_traitsISI_E10value_typeET2_T3_PNSJ_ISO_E10value_typeET4_T5_PST_SU_PNS1_23onesweep_lookback_stateEbbT6_jjT7_P12ihipStream_tbENKUlT_T0_SI_SN_E_clISD_SD_SD_SD_EEDaS11_S12_SI_SN_EUlS11_E_NS1_11comp_targetILNS1_3genE5ELNS1_11target_archE942ELNS1_3gpuE9ELNS1_3repE0EEENS1_47radix_sort_onesweep_sort_config_static_selectorELNS0_4arch9wavefront6targetE0EEEvSI_.uses_flat_scratch, 0
	.set _ZN7rocprim17ROCPRIM_400000_NS6detail17trampoline_kernelINS0_14default_configENS1_35radix_sort_onesweep_config_selectorIiiEEZZNS1_29radix_sort_onesweep_iterationIS3_Lb0EN6thrust23THRUST_200600_302600_NS6detail15normal_iteratorINS8_10device_ptrIiEEEESD_SD_SD_jNS0_19identity_decomposerENS1_16block_id_wrapperIjLb0EEEEE10hipError_tT1_PNSt15iterator_traitsISI_E10value_typeET2_T3_PNSJ_ISO_E10value_typeET4_T5_PST_SU_PNS1_23onesweep_lookback_stateEbbT6_jjT7_P12ihipStream_tbENKUlT_T0_SI_SN_E_clISD_SD_SD_SD_EEDaS11_S12_SI_SN_EUlS11_E_NS1_11comp_targetILNS1_3genE5ELNS1_11target_archE942ELNS1_3gpuE9ELNS1_3repE0EEENS1_47radix_sort_onesweep_sort_config_static_selectorELNS0_4arch9wavefront6targetE0EEEvSI_.has_dyn_sized_stack, 0
	.set _ZN7rocprim17ROCPRIM_400000_NS6detail17trampoline_kernelINS0_14default_configENS1_35radix_sort_onesweep_config_selectorIiiEEZZNS1_29radix_sort_onesweep_iterationIS3_Lb0EN6thrust23THRUST_200600_302600_NS6detail15normal_iteratorINS8_10device_ptrIiEEEESD_SD_SD_jNS0_19identity_decomposerENS1_16block_id_wrapperIjLb0EEEEE10hipError_tT1_PNSt15iterator_traitsISI_E10value_typeET2_T3_PNSJ_ISO_E10value_typeET4_T5_PST_SU_PNS1_23onesweep_lookback_stateEbbT6_jjT7_P12ihipStream_tbENKUlT_T0_SI_SN_E_clISD_SD_SD_SD_EEDaS11_S12_SI_SN_EUlS11_E_NS1_11comp_targetILNS1_3genE5ELNS1_11target_archE942ELNS1_3gpuE9ELNS1_3repE0EEENS1_47radix_sort_onesweep_sort_config_static_selectorELNS0_4arch9wavefront6targetE0EEEvSI_.has_recursion, 0
	.set _ZN7rocprim17ROCPRIM_400000_NS6detail17trampoline_kernelINS0_14default_configENS1_35radix_sort_onesweep_config_selectorIiiEEZZNS1_29radix_sort_onesweep_iterationIS3_Lb0EN6thrust23THRUST_200600_302600_NS6detail15normal_iteratorINS8_10device_ptrIiEEEESD_SD_SD_jNS0_19identity_decomposerENS1_16block_id_wrapperIjLb0EEEEE10hipError_tT1_PNSt15iterator_traitsISI_E10value_typeET2_T3_PNSJ_ISO_E10value_typeET4_T5_PST_SU_PNS1_23onesweep_lookback_stateEbbT6_jjT7_P12ihipStream_tbENKUlT_T0_SI_SN_E_clISD_SD_SD_SD_EEDaS11_S12_SI_SN_EUlS11_E_NS1_11comp_targetILNS1_3genE5ELNS1_11target_archE942ELNS1_3gpuE9ELNS1_3repE0EEENS1_47radix_sort_onesweep_sort_config_static_selectorELNS0_4arch9wavefront6targetE0EEEvSI_.has_indirect_call, 0
	.section	.AMDGPU.csdata,"",@progbits
; Kernel info:
; codeLenInByte = 0
; TotalNumSgprs: 0
; NumVgprs: 0
; ScratchSize: 0
; MemoryBound: 0
; FloatMode: 240
; IeeeMode: 1
; LDSByteSize: 0 bytes/workgroup (compile time only)
; SGPRBlocks: 0
; VGPRBlocks: 0
; NumSGPRsForWavesPerEU: 1
; NumVGPRsForWavesPerEU: 1
; Occupancy: 16
; WaveLimiterHint : 0
; COMPUTE_PGM_RSRC2:SCRATCH_EN: 0
; COMPUTE_PGM_RSRC2:USER_SGPR: 6
; COMPUTE_PGM_RSRC2:TRAP_HANDLER: 0
; COMPUTE_PGM_RSRC2:TGID_X_EN: 1
; COMPUTE_PGM_RSRC2:TGID_Y_EN: 0
; COMPUTE_PGM_RSRC2:TGID_Z_EN: 0
; COMPUTE_PGM_RSRC2:TIDIG_COMP_CNT: 0
	.section	.text._ZN7rocprim17ROCPRIM_400000_NS6detail17trampoline_kernelINS0_14default_configENS1_35radix_sort_onesweep_config_selectorIiiEEZZNS1_29radix_sort_onesweep_iterationIS3_Lb0EN6thrust23THRUST_200600_302600_NS6detail15normal_iteratorINS8_10device_ptrIiEEEESD_SD_SD_jNS0_19identity_decomposerENS1_16block_id_wrapperIjLb0EEEEE10hipError_tT1_PNSt15iterator_traitsISI_E10value_typeET2_T3_PNSJ_ISO_E10value_typeET4_T5_PST_SU_PNS1_23onesweep_lookback_stateEbbT6_jjT7_P12ihipStream_tbENKUlT_T0_SI_SN_E_clISD_SD_SD_SD_EEDaS11_S12_SI_SN_EUlS11_E_NS1_11comp_targetILNS1_3genE2ELNS1_11target_archE906ELNS1_3gpuE6ELNS1_3repE0EEENS1_47radix_sort_onesweep_sort_config_static_selectorELNS0_4arch9wavefront6targetE0EEEvSI_,"axG",@progbits,_ZN7rocprim17ROCPRIM_400000_NS6detail17trampoline_kernelINS0_14default_configENS1_35radix_sort_onesweep_config_selectorIiiEEZZNS1_29radix_sort_onesweep_iterationIS3_Lb0EN6thrust23THRUST_200600_302600_NS6detail15normal_iteratorINS8_10device_ptrIiEEEESD_SD_SD_jNS0_19identity_decomposerENS1_16block_id_wrapperIjLb0EEEEE10hipError_tT1_PNSt15iterator_traitsISI_E10value_typeET2_T3_PNSJ_ISO_E10value_typeET4_T5_PST_SU_PNS1_23onesweep_lookback_stateEbbT6_jjT7_P12ihipStream_tbENKUlT_T0_SI_SN_E_clISD_SD_SD_SD_EEDaS11_S12_SI_SN_EUlS11_E_NS1_11comp_targetILNS1_3genE2ELNS1_11target_archE906ELNS1_3gpuE6ELNS1_3repE0EEENS1_47radix_sort_onesweep_sort_config_static_selectorELNS0_4arch9wavefront6targetE0EEEvSI_,comdat
	.protected	_ZN7rocprim17ROCPRIM_400000_NS6detail17trampoline_kernelINS0_14default_configENS1_35radix_sort_onesweep_config_selectorIiiEEZZNS1_29radix_sort_onesweep_iterationIS3_Lb0EN6thrust23THRUST_200600_302600_NS6detail15normal_iteratorINS8_10device_ptrIiEEEESD_SD_SD_jNS0_19identity_decomposerENS1_16block_id_wrapperIjLb0EEEEE10hipError_tT1_PNSt15iterator_traitsISI_E10value_typeET2_T3_PNSJ_ISO_E10value_typeET4_T5_PST_SU_PNS1_23onesweep_lookback_stateEbbT6_jjT7_P12ihipStream_tbENKUlT_T0_SI_SN_E_clISD_SD_SD_SD_EEDaS11_S12_SI_SN_EUlS11_E_NS1_11comp_targetILNS1_3genE2ELNS1_11target_archE906ELNS1_3gpuE6ELNS1_3repE0EEENS1_47radix_sort_onesweep_sort_config_static_selectorELNS0_4arch9wavefront6targetE0EEEvSI_ ; -- Begin function _ZN7rocprim17ROCPRIM_400000_NS6detail17trampoline_kernelINS0_14default_configENS1_35radix_sort_onesweep_config_selectorIiiEEZZNS1_29radix_sort_onesweep_iterationIS3_Lb0EN6thrust23THRUST_200600_302600_NS6detail15normal_iteratorINS8_10device_ptrIiEEEESD_SD_SD_jNS0_19identity_decomposerENS1_16block_id_wrapperIjLb0EEEEE10hipError_tT1_PNSt15iterator_traitsISI_E10value_typeET2_T3_PNSJ_ISO_E10value_typeET4_T5_PST_SU_PNS1_23onesweep_lookback_stateEbbT6_jjT7_P12ihipStream_tbENKUlT_T0_SI_SN_E_clISD_SD_SD_SD_EEDaS11_S12_SI_SN_EUlS11_E_NS1_11comp_targetILNS1_3genE2ELNS1_11target_archE906ELNS1_3gpuE6ELNS1_3repE0EEENS1_47radix_sort_onesweep_sort_config_static_selectorELNS0_4arch9wavefront6targetE0EEEvSI_
	.globl	_ZN7rocprim17ROCPRIM_400000_NS6detail17trampoline_kernelINS0_14default_configENS1_35radix_sort_onesweep_config_selectorIiiEEZZNS1_29radix_sort_onesweep_iterationIS3_Lb0EN6thrust23THRUST_200600_302600_NS6detail15normal_iteratorINS8_10device_ptrIiEEEESD_SD_SD_jNS0_19identity_decomposerENS1_16block_id_wrapperIjLb0EEEEE10hipError_tT1_PNSt15iterator_traitsISI_E10value_typeET2_T3_PNSJ_ISO_E10value_typeET4_T5_PST_SU_PNS1_23onesweep_lookback_stateEbbT6_jjT7_P12ihipStream_tbENKUlT_T0_SI_SN_E_clISD_SD_SD_SD_EEDaS11_S12_SI_SN_EUlS11_E_NS1_11comp_targetILNS1_3genE2ELNS1_11target_archE906ELNS1_3gpuE6ELNS1_3repE0EEENS1_47radix_sort_onesweep_sort_config_static_selectorELNS0_4arch9wavefront6targetE0EEEvSI_
	.p2align	8
	.type	_ZN7rocprim17ROCPRIM_400000_NS6detail17trampoline_kernelINS0_14default_configENS1_35radix_sort_onesweep_config_selectorIiiEEZZNS1_29radix_sort_onesweep_iterationIS3_Lb0EN6thrust23THRUST_200600_302600_NS6detail15normal_iteratorINS8_10device_ptrIiEEEESD_SD_SD_jNS0_19identity_decomposerENS1_16block_id_wrapperIjLb0EEEEE10hipError_tT1_PNSt15iterator_traitsISI_E10value_typeET2_T3_PNSJ_ISO_E10value_typeET4_T5_PST_SU_PNS1_23onesweep_lookback_stateEbbT6_jjT7_P12ihipStream_tbENKUlT_T0_SI_SN_E_clISD_SD_SD_SD_EEDaS11_S12_SI_SN_EUlS11_E_NS1_11comp_targetILNS1_3genE2ELNS1_11target_archE906ELNS1_3gpuE6ELNS1_3repE0EEENS1_47radix_sort_onesweep_sort_config_static_selectorELNS0_4arch9wavefront6targetE0EEEvSI_,@function
_ZN7rocprim17ROCPRIM_400000_NS6detail17trampoline_kernelINS0_14default_configENS1_35radix_sort_onesweep_config_selectorIiiEEZZNS1_29radix_sort_onesweep_iterationIS3_Lb0EN6thrust23THRUST_200600_302600_NS6detail15normal_iteratorINS8_10device_ptrIiEEEESD_SD_SD_jNS0_19identity_decomposerENS1_16block_id_wrapperIjLb0EEEEE10hipError_tT1_PNSt15iterator_traitsISI_E10value_typeET2_T3_PNSJ_ISO_E10value_typeET4_T5_PST_SU_PNS1_23onesweep_lookback_stateEbbT6_jjT7_P12ihipStream_tbENKUlT_T0_SI_SN_E_clISD_SD_SD_SD_EEDaS11_S12_SI_SN_EUlS11_E_NS1_11comp_targetILNS1_3genE2ELNS1_11target_archE906ELNS1_3gpuE6ELNS1_3repE0EEENS1_47radix_sort_onesweep_sort_config_static_selectorELNS0_4arch9wavefront6targetE0EEEvSI_: ; @_ZN7rocprim17ROCPRIM_400000_NS6detail17trampoline_kernelINS0_14default_configENS1_35radix_sort_onesweep_config_selectorIiiEEZZNS1_29radix_sort_onesweep_iterationIS3_Lb0EN6thrust23THRUST_200600_302600_NS6detail15normal_iteratorINS8_10device_ptrIiEEEESD_SD_SD_jNS0_19identity_decomposerENS1_16block_id_wrapperIjLb0EEEEE10hipError_tT1_PNSt15iterator_traitsISI_E10value_typeET2_T3_PNSJ_ISO_E10value_typeET4_T5_PST_SU_PNS1_23onesweep_lookback_stateEbbT6_jjT7_P12ihipStream_tbENKUlT_T0_SI_SN_E_clISD_SD_SD_SD_EEDaS11_S12_SI_SN_EUlS11_E_NS1_11comp_targetILNS1_3genE2ELNS1_11target_archE906ELNS1_3gpuE6ELNS1_3repE0EEENS1_47radix_sort_onesweep_sort_config_static_selectorELNS0_4arch9wavefront6targetE0EEEvSI_
; %bb.0:
	.section	.rodata,"a",@progbits
	.p2align	6, 0x0
	.amdhsa_kernel _ZN7rocprim17ROCPRIM_400000_NS6detail17trampoline_kernelINS0_14default_configENS1_35radix_sort_onesweep_config_selectorIiiEEZZNS1_29radix_sort_onesweep_iterationIS3_Lb0EN6thrust23THRUST_200600_302600_NS6detail15normal_iteratorINS8_10device_ptrIiEEEESD_SD_SD_jNS0_19identity_decomposerENS1_16block_id_wrapperIjLb0EEEEE10hipError_tT1_PNSt15iterator_traitsISI_E10value_typeET2_T3_PNSJ_ISO_E10value_typeET4_T5_PST_SU_PNS1_23onesweep_lookback_stateEbbT6_jjT7_P12ihipStream_tbENKUlT_T0_SI_SN_E_clISD_SD_SD_SD_EEDaS11_S12_SI_SN_EUlS11_E_NS1_11comp_targetILNS1_3genE2ELNS1_11target_archE906ELNS1_3gpuE6ELNS1_3repE0EEENS1_47radix_sort_onesweep_sort_config_static_selectorELNS0_4arch9wavefront6targetE0EEEvSI_
		.amdhsa_group_segment_fixed_size 0
		.amdhsa_private_segment_fixed_size 0
		.amdhsa_kernarg_size 88
		.amdhsa_user_sgpr_count 6
		.amdhsa_user_sgpr_private_segment_buffer 1
		.amdhsa_user_sgpr_dispatch_ptr 0
		.amdhsa_user_sgpr_queue_ptr 0
		.amdhsa_user_sgpr_kernarg_segment_ptr 1
		.amdhsa_user_sgpr_dispatch_id 0
		.amdhsa_user_sgpr_flat_scratch_init 0
		.amdhsa_user_sgpr_private_segment_size 0
		.amdhsa_wavefront_size32 1
		.amdhsa_uses_dynamic_stack 0
		.amdhsa_system_sgpr_private_segment_wavefront_offset 0
		.amdhsa_system_sgpr_workgroup_id_x 1
		.amdhsa_system_sgpr_workgroup_id_y 0
		.amdhsa_system_sgpr_workgroup_id_z 0
		.amdhsa_system_sgpr_workgroup_info 0
		.amdhsa_system_vgpr_workitem_id 0
		.amdhsa_next_free_vgpr 1
		.amdhsa_next_free_sgpr 1
		.amdhsa_reserve_vcc 0
		.amdhsa_reserve_flat_scratch 0
		.amdhsa_float_round_mode_32 0
		.amdhsa_float_round_mode_16_64 0
		.amdhsa_float_denorm_mode_32 3
		.amdhsa_float_denorm_mode_16_64 3
		.amdhsa_dx10_clamp 1
		.amdhsa_ieee_mode 1
		.amdhsa_fp16_overflow 0
		.amdhsa_workgroup_processor_mode 1
		.amdhsa_memory_ordered 1
		.amdhsa_forward_progress 1
		.amdhsa_shared_vgpr_count 0
		.amdhsa_exception_fp_ieee_invalid_op 0
		.amdhsa_exception_fp_denorm_src 0
		.amdhsa_exception_fp_ieee_div_zero 0
		.amdhsa_exception_fp_ieee_overflow 0
		.amdhsa_exception_fp_ieee_underflow 0
		.amdhsa_exception_fp_ieee_inexact 0
		.amdhsa_exception_int_div_zero 0
	.end_amdhsa_kernel
	.section	.text._ZN7rocprim17ROCPRIM_400000_NS6detail17trampoline_kernelINS0_14default_configENS1_35radix_sort_onesweep_config_selectorIiiEEZZNS1_29radix_sort_onesweep_iterationIS3_Lb0EN6thrust23THRUST_200600_302600_NS6detail15normal_iteratorINS8_10device_ptrIiEEEESD_SD_SD_jNS0_19identity_decomposerENS1_16block_id_wrapperIjLb0EEEEE10hipError_tT1_PNSt15iterator_traitsISI_E10value_typeET2_T3_PNSJ_ISO_E10value_typeET4_T5_PST_SU_PNS1_23onesweep_lookback_stateEbbT6_jjT7_P12ihipStream_tbENKUlT_T0_SI_SN_E_clISD_SD_SD_SD_EEDaS11_S12_SI_SN_EUlS11_E_NS1_11comp_targetILNS1_3genE2ELNS1_11target_archE906ELNS1_3gpuE6ELNS1_3repE0EEENS1_47radix_sort_onesweep_sort_config_static_selectorELNS0_4arch9wavefront6targetE0EEEvSI_,"axG",@progbits,_ZN7rocprim17ROCPRIM_400000_NS6detail17trampoline_kernelINS0_14default_configENS1_35radix_sort_onesweep_config_selectorIiiEEZZNS1_29radix_sort_onesweep_iterationIS3_Lb0EN6thrust23THRUST_200600_302600_NS6detail15normal_iteratorINS8_10device_ptrIiEEEESD_SD_SD_jNS0_19identity_decomposerENS1_16block_id_wrapperIjLb0EEEEE10hipError_tT1_PNSt15iterator_traitsISI_E10value_typeET2_T3_PNSJ_ISO_E10value_typeET4_T5_PST_SU_PNS1_23onesweep_lookback_stateEbbT6_jjT7_P12ihipStream_tbENKUlT_T0_SI_SN_E_clISD_SD_SD_SD_EEDaS11_S12_SI_SN_EUlS11_E_NS1_11comp_targetILNS1_3genE2ELNS1_11target_archE906ELNS1_3gpuE6ELNS1_3repE0EEENS1_47radix_sort_onesweep_sort_config_static_selectorELNS0_4arch9wavefront6targetE0EEEvSI_,comdat
.Lfunc_end852:
	.size	_ZN7rocprim17ROCPRIM_400000_NS6detail17trampoline_kernelINS0_14default_configENS1_35radix_sort_onesweep_config_selectorIiiEEZZNS1_29radix_sort_onesweep_iterationIS3_Lb0EN6thrust23THRUST_200600_302600_NS6detail15normal_iteratorINS8_10device_ptrIiEEEESD_SD_SD_jNS0_19identity_decomposerENS1_16block_id_wrapperIjLb0EEEEE10hipError_tT1_PNSt15iterator_traitsISI_E10value_typeET2_T3_PNSJ_ISO_E10value_typeET4_T5_PST_SU_PNS1_23onesweep_lookback_stateEbbT6_jjT7_P12ihipStream_tbENKUlT_T0_SI_SN_E_clISD_SD_SD_SD_EEDaS11_S12_SI_SN_EUlS11_E_NS1_11comp_targetILNS1_3genE2ELNS1_11target_archE906ELNS1_3gpuE6ELNS1_3repE0EEENS1_47radix_sort_onesweep_sort_config_static_selectorELNS0_4arch9wavefront6targetE0EEEvSI_, .Lfunc_end852-_ZN7rocprim17ROCPRIM_400000_NS6detail17trampoline_kernelINS0_14default_configENS1_35radix_sort_onesweep_config_selectorIiiEEZZNS1_29radix_sort_onesweep_iterationIS3_Lb0EN6thrust23THRUST_200600_302600_NS6detail15normal_iteratorINS8_10device_ptrIiEEEESD_SD_SD_jNS0_19identity_decomposerENS1_16block_id_wrapperIjLb0EEEEE10hipError_tT1_PNSt15iterator_traitsISI_E10value_typeET2_T3_PNSJ_ISO_E10value_typeET4_T5_PST_SU_PNS1_23onesweep_lookback_stateEbbT6_jjT7_P12ihipStream_tbENKUlT_T0_SI_SN_E_clISD_SD_SD_SD_EEDaS11_S12_SI_SN_EUlS11_E_NS1_11comp_targetILNS1_3genE2ELNS1_11target_archE906ELNS1_3gpuE6ELNS1_3repE0EEENS1_47radix_sort_onesweep_sort_config_static_selectorELNS0_4arch9wavefront6targetE0EEEvSI_
                                        ; -- End function
	.set _ZN7rocprim17ROCPRIM_400000_NS6detail17trampoline_kernelINS0_14default_configENS1_35radix_sort_onesweep_config_selectorIiiEEZZNS1_29radix_sort_onesweep_iterationIS3_Lb0EN6thrust23THRUST_200600_302600_NS6detail15normal_iteratorINS8_10device_ptrIiEEEESD_SD_SD_jNS0_19identity_decomposerENS1_16block_id_wrapperIjLb0EEEEE10hipError_tT1_PNSt15iterator_traitsISI_E10value_typeET2_T3_PNSJ_ISO_E10value_typeET4_T5_PST_SU_PNS1_23onesweep_lookback_stateEbbT6_jjT7_P12ihipStream_tbENKUlT_T0_SI_SN_E_clISD_SD_SD_SD_EEDaS11_S12_SI_SN_EUlS11_E_NS1_11comp_targetILNS1_3genE2ELNS1_11target_archE906ELNS1_3gpuE6ELNS1_3repE0EEENS1_47radix_sort_onesweep_sort_config_static_selectorELNS0_4arch9wavefront6targetE0EEEvSI_.num_vgpr, 0
	.set _ZN7rocprim17ROCPRIM_400000_NS6detail17trampoline_kernelINS0_14default_configENS1_35radix_sort_onesweep_config_selectorIiiEEZZNS1_29radix_sort_onesweep_iterationIS3_Lb0EN6thrust23THRUST_200600_302600_NS6detail15normal_iteratorINS8_10device_ptrIiEEEESD_SD_SD_jNS0_19identity_decomposerENS1_16block_id_wrapperIjLb0EEEEE10hipError_tT1_PNSt15iterator_traitsISI_E10value_typeET2_T3_PNSJ_ISO_E10value_typeET4_T5_PST_SU_PNS1_23onesweep_lookback_stateEbbT6_jjT7_P12ihipStream_tbENKUlT_T0_SI_SN_E_clISD_SD_SD_SD_EEDaS11_S12_SI_SN_EUlS11_E_NS1_11comp_targetILNS1_3genE2ELNS1_11target_archE906ELNS1_3gpuE6ELNS1_3repE0EEENS1_47radix_sort_onesweep_sort_config_static_selectorELNS0_4arch9wavefront6targetE0EEEvSI_.num_agpr, 0
	.set _ZN7rocprim17ROCPRIM_400000_NS6detail17trampoline_kernelINS0_14default_configENS1_35radix_sort_onesweep_config_selectorIiiEEZZNS1_29radix_sort_onesweep_iterationIS3_Lb0EN6thrust23THRUST_200600_302600_NS6detail15normal_iteratorINS8_10device_ptrIiEEEESD_SD_SD_jNS0_19identity_decomposerENS1_16block_id_wrapperIjLb0EEEEE10hipError_tT1_PNSt15iterator_traitsISI_E10value_typeET2_T3_PNSJ_ISO_E10value_typeET4_T5_PST_SU_PNS1_23onesweep_lookback_stateEbbT6_jjT7_P12ihipStream_tbENKUlT_T0_SI_SN_E_clISD_SD_SD_SD_EEDaS11_S12_SI_SN_EUlS11_E_NS1_11comp_targetILNS1_3genE2ELNS1_11target_archE906ELNS1_3gpuE6ELNS1_3repE0EEENS1_47radix_sort_onesweep_sort_config_static_selectorELNS0_4arch9wavefront6targetE0EEEvSI_.numbered_sgpr, 0
	.set _ZN7rocprim17ROCPRIM_400000_NS6detail17trampoline_kernelINS0_14default_configENS1_35radix_sort_onesweep_config_selectorIiiEEZZNS1_29radix_sort_onesweep_iterationIS3_Lb0EN6thrust23THRUST_200600_302600_NS6detail15normal_iteratorINS8_10device_ptrIiEEEESD_SD_SD_jNS0_19identity_decomposerENS1_16block_id_wrapperIjLb0EEEEE10hipError_tT1_PNSt15iterator_traitsISI_E10value_typeET2_T3_PNSJ_ISO_E10value_typeET4_T5_PST_SU_PNS1_23onesweep_lookback_stateEbbT6_jjT7_P12ihipStream_tbENKUlT_T0_SI_SN_E_clISD_SD_SD_SD_EEDaS11_S12_SI_SN_EUlS11_E_NS1_11comp_targetILNS1_3genE2ELNS1_11target_archE906ELNS1_3gpuE6ELNS1_3repE0EEENS1_47radix_sort_onesweep_sort_config_static_selectorELNS0_4arch9wavefront6targetE0EEEvSI_.num_named_barrier, 0
	.set _ZN7rocprim17ROCPRIM_400000_NS6detail17trampoline_kernelINS0_14default_configENS1_35radix_sort_onesweep_config_selectorIiiEEZZNS1_29radix_sort_onesweep_iterationIS3_Lb0EN6thrust23THRUST_200600_302600_NS6detail15normal_iteratorINS8_10device_ptrIiEEEESD_SD_SD_jNS0_19identity_decomposerENS1_16block_id_wrapperIjLb0EEEEE10hipError_tT1_PNSt15iterator_traitsISI_E10value_typeET2_T3_PNSJ_ISO_E10value_typeET4_T5_PST_SU_PNS1_23onesweep_lookback_stateEbbT6_jjT7_P12ihipStream_tbENKUlT_T0_SI_SN_E_clISD_SD_SD_SD_EEDaS11_S12_SI_SN_EUlS11_E_NS1_11comp_targetILNS1_3genE2ELNS1_11target_archE906ELNS1_3gpuE6ELNS1_3repE0EEENS1_47radix_sort_onesweep_sort_config_static_selectorELNS0_4arch9wavefront6targetE0EEEvSI_.private_seg_size, 0
	.set _ZN7rocprim17ROCPRIM_400000_NS6detail17trampoline_kernelINS0_14default_configENS1_35radix_sort_onesweep_config_selectorIiiEEZZNS1_29radix_sort_onesweep_iterationIS3_Lb0EN6thrust23THRUST_200600_302600_NS6detail15normal_iteratorINS8_10device_ptrIiEEEESD_SD_SD_jNS0_19identity_decomposerENS1_16block_id_wrapperIjLb0EEEEE10hipError_tT1_PNSt15iterator_traitsISI_E10value_typeET2_T3_PNSJ_ISO_E10value_typeET4_T5_PST_SU_PNS1_23onesweep_lookback_stateEbbT6_jjT7_P12ihipStream_tbENKUlT_T0_SI_SN_E_clISD_SD_SD_SD_EEDaS11_S12_SI_SN_EUlS11_E_NS1_11comp_targetILNS1_3genE2ELNS1_11target_archE906ELNS1_3gpuE6ELNS1_3repE0EEENS1_47radix_sort_onesweep_sort_config_static_selectorELNS0_4arch9wavefront6targetE0EEEvSI_.uses_vcc, 0
	.set _ZN7rocprim17ROCPRIM_400000_NS6detail17trampoline_kernelINS0_14default_configENS1_35radix_sort_onesweep_config_selectorIiiEEZZNS1_29radix_sort_onesweep_iterationIS3_Lb0EN6thrust23THRUST_200600_302600_NS6detail15normal_iteratorINS8_10device_ptrIiEEEESD_SD_SD_jNS0_19identity_decomposerENS1_16block_id_wrapperIjLb0EEEEE10hipError_tT1_PNSt15iterator_traitsISI_E10value_typeET2_T3_PNSJ_ISO_E10value_typeET4_T5_PST_SU_PNS1_23onesweep_lookback_stateEbbT6_jjT7_P12ihipStream_tbENKUlT_T0_SI_SN_E_clISD_SD_SD_SD_EEDaS11_S12_SI_SN_EUlS11_E_NS1_11comp_targetILNS1_3genE2ELNS1_11target_archE906ELNS1_3gpuE6ELNS1_3repE0EEENS1_47radix_sort_onesweep_sort_config_static_selectorELNS0_4arch9wavefront6targetE0EEEvSI_.uses_flat_scratch, 0
	.set _ZN7rocprim17ROCPRIM_400000_NS6detail17trampoline_kernelINS0_14default_configENS1_35radix_sort_onesweep_config_selectorIiiEEZZNS1_29radix_sort_onesweep_iterationIS3_Lb0EN6thrust23THRUST_200600_302600_NS6detail15normal_iteratorINS8_10device_ptrIiEEEESD_SD_SD_jNS0_19identity_decomposerENS1_16block_id_wrapperIjLb0EEEEE10hipError_tT1_PNSt15iterator_traitsISI_E10value_typeET2_T3_PNSJ_ISO_E10value_typeET4_T5_PST_SU_PNS1_23onesweep_lookback_stateEbbT6_jjT7_P12ihipStream_tbENKUlT_T0_SI_SN_E_clISD_SD_SD_SD_EEDaS11_S12_SI_SN_EUlS11_E_NS1_11comp_targetILNS1_3genE2ELNS1_11target_archE906ELNS1_3gpuE6ELNS1_3repE0EEENS1_47radix_sort_onesweep_sort_config_static_selectorELNS0_4arch9wavefront6targetE0EEEvSI_.has_dyn_sized_stack, 0
	.set _ZN7rocprim17ROCPRIM_400000_NS6detail17trampoline_kernelINS0_14default_configENS1_35radix_sort_onesweep_config_selectorIiiEEZZNS1_29radix_sort_onesweep_iterationIS3_Lb0EN6thrust23THRUST_200600_302600_NS6detail15normal_iteratorINS8_10device_ptrIiEEEESD_SD_SD_jNS0_19identity_decomposerENS1_16block_id_wrapperIjLb0EEEEE10hipError_tT1_PNSt15iterator_traitsISI_E10value_typeET2_T3_PNSJ_ISO_E10value_typeET4_T5_PST_SU_PNS1_23onesweep_lookback_stateEbbT6_jjT7_P12ihipStream_tbENKUlT_T0_SI_SN_E_clISD_SD_SD_SD_EEDaS11_S12_SI_SN_EUlS11_E_NS1_11comp_targetILNS1_3genE2ELNS1_11target_archE906ELNS1_3gpuE6ELNS1_3repE0EEENS1_47radix_sort_onesweep_sort_config_static_selectorELNS0_4arch9wavefront6targetE0EEEvSI_.has_recursion, 0
	.set _ZN7rocprim17ROCPRIM_400000_NS6detail17trampoline_kernelINS0_14default_configENS1_35radix_sort_onesweep_config_selectorIiiEEZZNS1_29radix_sort_onesweep_iterationIS3_Lb0EN6thrust23THRUST_200600_302600_NS6detail15normal_iteratorINS8_10device_ptrIiEEEESD_SD_SD_jNS0_19identity_decomposerENS1_16block_id_wrapperIjLb0EEEEE10hipError_tT1_PNSt15iterator_traitsISI_E10value_typeET2_T3_PNSJ_ISO_E10value_typeET4_T5_PST_SU_PNS1_23onesweep_lookback_stateEbbT6_jjT7_P12ihipStream_tbENKUlT_T0_SI_SN_E_clISD_SD_SD_SD_EEDaS11_S12_SI_SN_EUlS11_E_NS1_11comp_targetILNS1_3genE2ELNS1_11target_archE906ELNS1_3gpuE6ELNS1_3repE0EEENS1_47radix_sort_onesweep_sort_config_static_selectorELNS0_4arch9wavefront6targetE0EEEvSI_.has_indirect_call, 0
	.section	.AMDGPU.csdata,"",@progbits
; Kernel info:
; codeLenInByte = 0
; TotalNumSgprs: 0
; NumVgprs: 0
; ScratchSize: 0
; MemoryBound: 0
; FloatMode: 240
; IeeeMode: 1
; LDSByteSize: 0 bytes/workgroup (compile time only)
; SGPRBlocks: 0
; VGPRBlocks: 0
; NumSGPRsForWavesPerEU: 1
; NumVGPRsForWavesPerEU: 1
; Occupancy: 16
; WaveLimiterHint : 0
; COMPUTE_PGM_RSRC2:SCRATCH_EN: 0
; COMPUTE_PGM_RSRC2:USER_SGPR: 6
; COMPUTE_PGM_RSRC2:TRAP_HANDLER: 0
; COMPUTE_PGM_RSRC2:TGID_X_EN: 1
; COMPUTE_PGM_RSRC2:TGID_Y_EN: 0
; COMPUTE_PGM_RSRC2:TGID_Z_EN: 0
; COMPUTE_PGM_RSRC2:TIDIG_COMP_CNT: 0
	.section	.text._ZN7rocprim17ROCPRIM_400000_NS6detail17trampoline_kernelINS0_14default_configENS1_35radix_sort_onesweep_config_selectorIiiEEZZNS1_29radix_sort_onesweep_iterationIS3_Lb0EN6thrust23THRUST_200600_302600_NS6detail15normal_iteratorINS8_10device_ptrIiEEEESD_SD_SD_jNS0_19identity_decomposerENS1_16block_id_wrapperIjLb0EEEEE10hipError_tT1_PNSt15iterator_traitsISI_E10value_typeET2_T3_PNSJ_ISO_E10value_typeET4_T5_PST_SU_PNS1_23onesweep_lookback_stateEbbT6_jjT7_P12ihipStream_tbENKUlT_T0_SI_SN_E_clISD_SD_SD_SD_EEDaS11_S12_SI_SN_EUlS11_E_NS1_11comp_targetILNS1_3genE4ELNS1_11target_archE910ELNS1_3gpuE8ELNS1_3repE0EEENS1_47radix_sort_onesweep_sort_config_static_selectorELNS0_4arch9wavefront6targetE0EEEvSI_,"axG",@progbits,_ZN7rocprim17ROCPRIM_400000_NS6detail17trampoline_kernelINS0_14default_configENS1_35radix_sort_onesweep_config_selectorIiiEEZZNS1_29radix_sort_onesweep_iterationIS3_Lb0EN6thrust23THRUST_200600_302600_NS6detail15normal_iteratorINS8_10device_ptrIiEEEESD_SD_SD_jNS0_19identity_decomposerENS1_16block_id_wrapperIjLb0EEEEE10hipError_tT1_PNSt15iterator_traitsISI_E10value_typeET2_T3_PNSJ_ISO_E10value_typeET4_T5_PST_SU_PNS1_23onesweep_lookback_stateEbbT6_jjT7_P12ihipStream_tbENKUlT_T0_SI_SN_E_clISD_SD_SD_SD_EEDaS11_S12_SI_SN_EUlS11_E_NS1_11comp_targetILNS1_3genE4ELNS1_11target_archE910ELNS1_3gpuE8ELNS1_3repE0EEENS1_47radix_sort_onesweep_sort_config_static_selectorELNS0_4arch9wavefront6targetE0EEEvSI_,comdat
	.protected	_ZN7rocprim17ROCPRIM_400000_NS6detail17trampoline_kernelINS0_14default_configENS1_35radix_sort_onesweep_config_selectorIiiEEZZNS1_29radix_sort_onesweep_iterationIS3_Lb0EN6thrust23THRUST_200600_302600_NS6detail15normal_iteratorINS8_10device_ptrIiEEEESD_SD_SD_jNS0_19identity_decomposerENS1_16block_id_wrapperIjLb0EEEEE10hipError_tT1_PNSt15iterator_traitsISI_E10value_typeET2_T3_PNSJ_ISO_E10value_typeET4_T5_PST_SU_PNS1_23onesweep_lookback_stateEbbT6_jjT7_P12ihipStream_tbENKUlT_T0_SI_SN_E_clISD_SD_SD_SD_EEDaS11_S12_SI_SN_EUlS11_E_NS1_11comp_targetILNS1_3genE4ELNS1_11target_archE910ELNS1_3gpuE8ELNS1_3repE0EEENS1_47radix_sort_onesweep_sort_config_static_selectorELNS0_4arch9wavefront6targetE0EEEvSI_ ; -- Begin function _ZN7rocprim17ROCPRIM_400000_NS6detail17trampoline_kernelINS0_14default_configENS1_35radix_sort_onesweep_config_selectorIiiEEZZNS1_29radix_sort_onesweep_iterationIS3_Lb0EN6thrust23THRUST_200600_302600_NS6detail15normal_iteratorINS8_10device_ptrIiEEEESD_SD_SD_jNS0_19identity_decomposerENS1_16block_id_wrapperIjLb0EEEEE10hipError_tT1_PNSt15iterator_traitsISI_E10value_typeET2_T3_PNSJ_ISO_E10value_typeET4_T5_PST_SU_PNS1_23onesweep_lookback_stateEbbT6_jjT7_P12ihipStream_tbENKUlT_T0_SI_SN_E_clISD_SD_SD_SD_EEDaS11_S12_SI_SN_EUlS11_E_NS1_11comp_targetILNS1_3genE4ELNS1_11target_archE910ELNS1_3gpuE8ELNS1_3repE0EEENS1_47radix_sort_onesweep_sort_config_static_selectorELNS0_4arch9wavefront6targetE0EEEvSI_
	.globl	_ZN7rocprim17ROCPRIM_400000_NS6detail17trampoline_kernelINS0_14default_configENS1_35radix_sort_onesweep_config_selectorIiiEEZZNS1_29radix_sort_onesweep_iterationIS3_Lb0EN6thrust23THRUST_200600_302600_NS6detail15normal_iteratorINS8_10device_ptrIiEEEESD_SD_SD_jNS0_19identity_decomposerENS1_16block_id_wrapperIjLb0EEEEE10hipError_tT1_PNSt15iterator_traitsISI_E10value_typeET2_T3_PNSJ_ISO_E10value_typeET4_T5_PST_SU_PNS1_23onesweep_lookback_stateEbbT6_jjT7_P12ihipStream_tbENKUlT_T0_SI_SN_E_clISD_SD_SD_SD_EEDaS11_S12_SI_SN_EUlS11_E_NS1_11comp_targetILNS1_3genE4ELNS1_11target_archE910ELNS1_3gpuE8ELNS1_3repE0EEENS1_47radix_sort_onesweep_sort_config_static_selectorELNS0_4arch9wavefront6targetE0EEEvSI_
	.p2align	8
	.type	_ZN7rocprim17ROCPRIM_400000_NS6detail17trampoline_kernelINS0_14default_configENS1_35radix_sort_onesweep_config_selectorIiiEEZZNS1_29radix_sort_onesweep_iterationIS3_Lb0EN6thrust23THRUST_200600_302600_NS6detail15normal_iteratorINS8_10device_ptrIiEEEESD_SD_SD_jNS0_19identity_decomposerENS1_16block_id_wrapperIjLb0EEEEE10hipError_tT1_PNSt15iterator_traitsISI_E10value_typeET2_T3_PNSJ_ISO_E10value_typeET4_T5_PST_SU_PNS1_23onesweep_lookback_stateEbbT6_jjT7_P12ihipStream_tbENKUlT_T0_SI_SN_E_clISD_SD_SD_SD_EEDaS11_S12_SI_SN_EUlS11_E_NS1_11comp_targetILNS1_3genE4ELNS1_11target_archE910ELNS1_3gpuE8ELNS1_3repE0EEENS1_47radix_sort_onesweep_sort_config_static_selectorELNS0_4arch9wavefront6targetE0EEEvSI_,@function
_ZN7rocprim17ROCPRIM_400000_NS6detail17trampoline_kernelINS0_14default_configENS1_35radix_sort_onesweep_config_selectorIiiEEZZNS1_29radix_sort_onesweep_iterationIS3_Lb0EN6thrust23THRUST_200600_302600_NS6detail15normal_iteratorINS8_10device_ptrIiEEEESD_SD_SD_jNS0_19identity_decomposerENS1_16block_id_wrapperIjLb0EEEEE10hipError_tT1_PNSt15iterator_traitsISI_E10value_typeET2_T3_PNSJ_ISO_E10value_typeET4_T5_PST_SU_PNS1_23onesweep_lookback_stateEbbT6_jjT7_P12ihipStream_tbENKUlT_T0_SI_SN_E_clISD_SD_SD_SD_EEDaS11_S12_SI_SN_EUlS11_E_NS1_11comp_targetILNS1_3genE4ELNS1_11target_archE910ELNS1_3gpuE8ELNS1_3repE0EEENS1_47radix_sort_onesweep_sort_config_static_selectorELNS0_4arch9wavefront6targetE0EEEvSI_: ; @_ZN7rocprim17ROCPRIM_400000_NS6detail17trampoline_kernelINS0_14default_configENS1_35radix_sort_onesweep_config_selectorIiiEEZZNS1_29radix_sort_onesweep_iterationIS3_Lb0EN6thrust23THRUST_200600_302600_NS6detail15normal_iteratorINS8_10device_ptrIiEEEESD_SD_SD_jNS0_19identity_decomposerENS1_16block_id_wrapperIjLb0EEEEE10hipError_tT1_PNSt15iterator_traitsISI_E10value_typeET2_T3_PNSJ_ISO_E10value_typeET4_T5_PST_SU_PNS1_23onesweep_lookback_stateEbbT6_jjT7_P12ihipStream_tbENKUlT_T0_SI_SN_E_clISD_SD_SD_SD_EEDaS11_S12_SI_SN_EUlS11_E_NS1_11comp_targetILNS1_3genE4ELNS1_11target_archE910ELNS1_3gpuE8ELNS1_3repE0EEENS1_47radix_sort_onesweep_sort_config_static_selectorELNS0_4arch9wavefront6targetE0EEEvSI_
; %bb.0:
	.section	.rodata,"a",@progbits
	.p2align	6, 0x0
	.amdhsa_kernel _ZN7rocprim17ROCPRIM_400000_NS6detail17trampoline_kernelINS0_14default_configENS1_35radix_sort_onesweep_config_selectorIiiEEZZNS1_29radix_sort_onesweep_iterationIS3_Lb0EN6thrust23THRUST_200600_302600_NS6detail15normal_iteratorINS8_10device_ptrIiEEEESD_SD_SD_jNS0_19identity_decomposerENS1_16block_id_wrapperIjLb0EEEEE10hipError_tT1_PNSt15iterator_traitsISI_E10value_typeET2_T3_PNSJ_ISO_E10value_typeET4_T5_PST_SU_PNS1_23onesweep_lookback_stateEbbT6_jjT7_P12ihipStream_tbENKUlT_T0_SI_SN_E_clISD_SD_SD_SD_EEDaS11_S12_SI_SN_EUlS11_E_NS1_11comp_targetILNS1_3genE4ELNS1_11target_archE910ELNS1_3gpuE8ELNS1_3repE0EEENS1_47radix_sort_onesweep_sort_config_static_selectorELNS0_4arch9wavefront6targetE0EEEvSI_
		.amdhsa_group_segment_fixed_size 0
		.amdhsa_private_segment_fixed_size 0
		.amdhsa_kernarg_size 88
		.amdhsa_user_sgpr_count 6
		.amdhsa_user_sgpr_private_segment_buffer 1
		.amdhsa_user_sgpr_dispatch_ptr 0
		.amdhsa_user_sgpr_queue_ptr 0
		.amdhsa_user_sgpr_kernarg_segment_ptr 1
		.amdhsa_user_sgpr_dispatch_id 0
		.amdhsa_user_sgpr_flat_scratch_init 0
		.amdhsa_user_sgpr_private_segment_size 0
		.amdhsa_wavefront_size32 1
		.amdhsa_uses_dynamic_stack 0
		.amdhsa_system_sgpr_private_segment_wavefront_offset 0
		.amdhsa_system_sgpr_workgroup_id_x 1
		.amdhsa_system_sgpr_workgroup_id_y 0
		.amdhsa_system_sgpr_workgroup_id_z 0
		.amdhsa_system_sgpr_workgroup_info 0
		.amdhsa_system_vgpr_workitem_id 0
		.amdhsa_next_free_vgpr 1
		.amdhsa_next_free_sgpr 1
		.amdhsa_reserve_vcc 0
		.amdhsa_reserve_flat_scratch 0
		.amdhsa_float_round_mode_32 0
		.amdhsa_float_round_mode_16_64 0
		.amdhsa_float_denorm_mode_32 3
		.amdhsa_float_denorm_mode_16_64 3
		.amdhsa_dx10_clamp 1
		.amdhsa_ieee_mode 1
		.amdhsa_fp16_overflow 0
		.amdhsa_workgroup_processor_mode 1
		.amdhsa_memory_ordered 1
		.amdhsa_forward_progress 1
		.amdhsa_shared_vgpr_count 0
		.amdhsa_exception_fp_ieee_invalid_op 0
		.amdhsa_exception_fp_denorm_src 0
		.amdhsa_exception_fp_ieee_div_zero 0
		.amdhsa_exception_fp_ieee_overflow 0
		.amdhsa_exception_fp_ieee_underflow 0
		.amdhsa_exception_fp_ieee_inexact 0
		.amdhsa_exception_int_div_zero 0
	.end_amdhsa_kernel
	.section	.text._ZN7rocprim17ROCPRIM_400000_NS6detail17trampoline_kernelINS0_14default_configENS1_35radix_sort_onesweep_config_selectorIiiEEZZNS1_29radix_sort_onesweep_iterationIS3_Lb0EN6thrust23THRUST_200600_302600_NS6detail15normal_iteratorINS8_10device_ptrIiEEEESD_SD_SD_jNS0_19identity_decomposerENS1_16block_id_wrapperIjLb0EEEEE10hipError_tT1_PNSt15iterator_traitsISI_E10value_typeET2_T3_PNSJ_ISO_E10value_typeET4_T5_PST_SU_PNS1_23onesweep_lookback_stateEbbT6_jjT7_P12ihipStream_tbENKUlT_T0_SI_SN_E_clISD_SD_SD_SD_EEDaS11_S12_SI_SN_EUlS11_E_NS1_11comp_targetILNS1_3genE4ELNS1_11target_archE910ELNS1_3gpuE8ELNS1_3repE0EEENS1_47radix_sort_onesweep_sort_config_static_selectorELNS0_4arch9wavefront6targetE0EEEvSI_,"axG",@progbits,_ZN7rocprim17ROCPRIM_400000_NS6detail17trampoline_kernelINS0_14default_configENS1_35radix_sort_onesweep_config_selectorIiiEEZZNS1_29radix_sort_onesweep_iterationIS3_Lb0EN6thrust23THRUST_200600_302600_NS6detail15normal_iteratorINS8_10device_ptrIiEEEESD_SD_SD_jNS0_19identity_decomposerENS1_16block_id_wrapperIjLb0EEEEE10hipError_tT1_PNSt15iterator_traitsISI_E10value_typeET2_T3_PNSJ_ISO_E10value_typeET4_T5_PST_SU_PNS1_23onesweep_lookback_stateEbbT6_jjT7_P12ihipStream_tbENKUlT_T0_SI_SN_E_clISD_SD_SD_SD_EEDaS11_S12_SI_SN_EUlS11_E_NS1_11comp_targetILNS1_3genE4ELNS1_11target_archE910ELNS1_3gpuE8ELNS1_3repE0EEENS1_47radix_sort_onesweep_sort_config_static_selectorELNS0_4arch9wavefront6targetE0EEEvSI_,comdat
.Lfunc_end853:
	.size	_ZN7rocprim17ROCPRIM_400000_NS6detail17trampoline_kernelINS0_14default_configENS1_35radix_sort_onesweep_config_selectorIiiEEZZNS1_29radix_sort_onesweep_iterationIS3_Lb0EN6thrust23THRUST_200600_302600_NS6detail15normal_iteratorINS8_10device_ptrIiEEEESD_SD_SD_jNS0_19identity_decomposerENS1_16block_id_wrapperIjLb0EEEEE10hipError_tT1_PNSt15iterator_traitsISI_E10value_typeET2_T3_PNSJ_ISO_E10value_typeET4_T5_PST_SU_PNS1_23onesweep_lookback_stateEbbT6_jjT7_P12ihipStream_tbENKUlT_T0_SI_SN_E_clISD_SD_SD_SD_EEDaS11_S12_SI_SN_EUlS11_E_NS1_11comp_targetILNS1_3genE4ELNS1_11target_archE910ELNS1_3gpuE8ELNS1_3repE0EEENS1_47radix_sort_onesweep_sort_config_static_selectorELNS0_4arch9wavefront6targetE0EEEvSI_, .Lfunc_end853-_ZN7rocprim17ROCPRIM_400000_NS6detail17trampoline_kernelINS0_14default_configENS1_35radix_sort_onesweep_config_selectorIiiEEZZNS1_29radix_sort_onesweep_iterationIS3_Lb0EN6thrust23THRUST_200600_302600_NS6detail15normal_iteratorINS8_10device_ptrIiEEEESD_SD_SD_jNS0_19identity_decomposerENS1_16block_id_wrapperIjLb0EEEEE10hipError_tT1_PNSt15iterator_traitsISI_E10value_typeET2_T3_PNSJ_ISO_E10value_typeET4_T5_PST_SU_PNS1_23onesweep_lookback_stateEbbT6_jjT7_P12ihipStream_tbENKUlT_T0_SI_SN_E_clISD_SD_SD_SD_EEDaS11_S12_SI_SN_EUlS11_E_NS1_11comp_targetILNS1_3genE4ELNS1_11target_archE910ELNS1_3gpuE8ELNS1_3repE0EEENS1_47radix_sort_onesweep_sort_config_static_selectorELNS0_4arch9wavefront6targetE0EEEvSI_
                                        ; -- End function
	.set _ZN7rocprim17ROCPRIM_400000_NS6detail17trampoline_kernelINS0_14default_configENS1_35radix_sort_onesweep_config_selectorIiiEEZZNS1_29radix_sort_onesweep_iterationIS3_Lb0EN6thrust23THRUST_200600_302600_NS6detail15normal_iteratorINS8_10device_ptrIiEEEESD_SD_SD_jNS0_19identity_decomposerENS1_16block_id_wrapperIjLb0EEEEE10hipError_tT1_PNSt15iterator_traitsISI_E10value_typeET2_T3_PNSJ_ISO_E10value_typeET4_T5_PST_SU_PNS1_23onesweep_lookback_stateEbbT6_jjT7_P12ihipStream_tbENKUlT_T0_SI_SN_E_clISD_SD_SD_SD_EEDaS11_S12_SI_SN_EUlS11_E_NS1_11comp_targetILNS1_3genE4ELNS1_11target_archE910ELNS1_3gpuE8ELNS1_3repE0EEENS1_47radix_sort_onesweep_sort_config_static_selectorELNS0_4arch9wavefront6targetE0EEEvSI_.num_vgpr, 0
	.set _ZN7rocprim17ROCPRIM_400000_NS6detail17trampoline_kernelINS0_14default_configENS1_35radix_sort_onesweep_config_selectorIiiEEZZNS1_29radix_sort_onesweep_iterationIS3_Lb0EN6thrust23THRUST_200600_302600_NS6detail15normal_iteratorINS8_10device_ptrIiEEEESD_SD_SD_jNS0_19identity_decomposerENS1_16block_id_wrapperIjLb0EEEEE10hipError_tT1_PNSt15iterator_traitsISI_E10value_typeET2_T3_PNSJ_ISO_E10value_typeET4_T5_PST_SU_PNS1_23onesweep_lookback_stateEbbT6_jjT7_P12ihipStream_tbENKUlT_T0_SI_SN_E_clISD_SD_SD_SD_EEDaS11_S12_SI_SN_EUlS11_E_NS1_11comp_targetILNS1_3genE4ELNS1_11target_archE910ELNS1_3gpuE8ELNS1_3repE0EEENS1_47radix_sort_onesweep_sort_config_static_selectorELNS0_4arch9wavefront6targetE0EEEvSI_.num_agpr, 0
	.set _ZN7rocprim17ROCPRIM_400000_NS6detail17trampoline_kernelINS0_14default_configENS1_35radix_sort_onesweep_config_selectorIiiEEZZNS1_29radix_sort_onesweep_iterationIS3_Lb0EN6thrust23THRUST_200600_302600_NS6detail15normal_iteratorINS8_10device_ptrIiEEEESD_SD_SD_jNS0_19identity_decomposerENS1_16block_id_wrapperIjLb0EEEEE10hipError_tT1_PNSt15iterator_traitsISI_E10value_typeET2_T3_PNSJ_ISO_E10value_typeET4_T5_PST_SU_PNS1_23onesweep_lookback_stateEbbT6_jjT7_P12ihipStream_tbENKUlT_T0_SI_SN_E_clISD_SD_SD_SD_EEDaS11_S12_SI_SN_EUlS11_E_NS1_11comp_targetILNS1_3genE4ELNS1_11target_archE910ELNS1_3gpuE8ELNS1_3repE0EEENS1_47radix_sort_onesweep_sort_config_static_selectorELNS0_4arch9wavefront6targetE0EEEvSI_.numbered_sgpr, 0
	.set _ZN7rocprim17ROCPRIM_400000_NS6detail17trampoline_kernelINS0_14default_configENS1_35radix_sort_onesweep_config_selectorIiiEEZZNS1_29radix_sort_onesweep_iterationIS3_Lb0EN6thrust23THRUST_200600_302600_NS6detail15normal_iteratorINS8_10device_ptrIiEEEESD_SD_SD_jNS0_19identity_decomposerENS1_16block_id_wrapperIjLb0EEEEE10hipError_tT1_PNSt15iterator_traitsISI_E10value_typeET2_T3_PNSJ_ISO_E10value_typeET4_T5_PST_SU_PNS1_23onesweep_lookback_stateEbbT6_jjT7_P12ihipStream_tbENKUlT_T0_SI_SN_E_clISD_SD_SD_SD_EEDaS11_S12_SI_SN_EUlS11_E_NS1_11comp_targetILNS1_3genE4ELNS1_11target_archE910ELNS1_3gpuE8ELNS1_3repE0EEENS1_47radix_sort_onesweep_sort_config_static_selectorELNS0_4arch9wavefront6targetE0EEEvSI_.num_named_barrier, 0
	.set _ZN7rocprim17ROCPRIM_400000_NS6detail17trampoline_kernelINS0_14default_configENS1_35radix_sort_onesweep_config_selectorIiiEEZZNS1_29radix_sort_onesweep_iterationIS3_Lb0EN6thrust23THRUST_200600_302600_NS6detail15normal_iteratorINS8_10device_ptrIiEEEESD_SD_SD_jNS0_19identity_decomposerENS1_16block_id_wrapperIjLb0EEEEE10hipError_tT1_PNSt15iterator_traitsISI_E10value_typeET2_T3_PNSJ_ISO_E10value_typeET4_T5_PST_SU_PNS1_23onesweep_lookback_stateEbbT6_jjT7_P12ihipStream_tbENKUlT_T0_SI_SN_E_clISD_SD_SD_SD_EEDaS11_S12_SI_SN_EUlS11_E_NS1_11comp_targetILNS1_3genE4ELNS1_11target_archE910ELNS1_3gpuE8ELNS1_3repE0EEENS1_47radix_sort_onesweep_sort_config_static_selectorELNS0_4arch9wavefront6targetE0EEEvSI_.private_seg_size, 0
	.set _ZN7rocprim17ROCPRIM_400000_NS6detail17trampoline_kernelINS0_14default_configENS1_35radix_sort_onesweep_config_selectorIiiEEZZNS1_29radix_sort_onesweep_iterationIS3_Lb0EN6thrust23THRUST_200600_302600_NS6detail15normal_iteratorINS8_10device_ptrIiEEEESD_SD_SD_jNS0_19identity_decomposerENS1_16block_id_wrapperIjLb0EEEEE10hipError_tT1_PNSt15iterator_traitsISI_E10value_typeET2_T3_PNSJ_ISO_E10value_typeET4_T5_PST_SU_PNS1_23onesweep_lookback_stateEbbT6_jjT7_P12ihipStream_tbENKUlT_T0_SI_SN_E_clISD_SD_SD_SD_EEDaS11_S12_SI_SN_EUlS11_E_NS1_11comp_targetILNS1_3genE4ELNS1_11target_archE910ELNS1_3gpuE8ELNS1_3repE0EEENS1_47radix_sort_onesweep_sort_config_static_selectorELNS0_4arch9wavefront6targetE0EEEvSI_.uses_vcc, 0
	.set _ZN7rocprim17ROCPRIM_400000_NS6detail17trampoline_kernelINS0_14default_configENS1_35radix_sort_onesweep_config_selectorIiiEEZZNS1_29radix_sort_onesweep_iterationIS3_Lb0EN6thrust23THRUST_200600_302600_NS6detail15normal_iteratorINS8_10device_ptrIiEEEESD_SD_SD_jNS0_19identity_decomposerENS1_16block_id_wrapperIjLb0EEEEE10hipError_tT1_PNSt15iterator_traitsISI_E10value_typeET2_T3_PNSJ_ISO_E10value_typeET4_T5_PST_SU_PNS1_23onesweep_lookback_stateEbbT6_jjT7_P12ihipStream_tbENKUlT_T0_SI_SN_E_clISD_SD_SD_SD_EEDaS11_S12_SI_SN_EUlS11_E_NS1_11comp_targetILNS1_3genE4ELNS1_11target_archE910ELNS1_3gpuE8ELNS1_3repE0EEENS1_47radix_sort_onesweep_sort_config_static_selectorELNS0_4arch9wavefront6targetE0EEEvSI_.uses_flat_scratch, 0
	.set _ZN7rocprim17ROCPRIM_400000_NS6detail17trampoline_kernelINS0_14default_configENS1_35radix_sort_onesweep_config_selectorIiiEEZZNS1_29radix_sort_onesweep_iterationIS3_Lb0EN6thrust23THRUST_200600_302600_NS6detail15normal_iteratorINS8_10device_ptrIiEEEESD_SD_SD_jNS0_19identity_decomposerENS1_16block_id_wrapperIjLb0EEEEE10hipError_tT1_PNSt15iterator_traitsISI_E10value_typeET2_T3_PNSJ_ISO_E10value_typeET4_T5_PST_SU_PNS1_23onesweep_lookback_stateEbbT6_jjT7_P12ihipStream_tbENKUlT_T0_SI_SN_E_clISD_SD_SD_SD_EEDaS11_S12_SI_SN_EUlS11_E_NS1_11comp_targetILNS1_3genE4ELNS1_11target_archE910ELNS1_3gpuE8ELNS1_3repE0EEENS1_47radix_sort_onesweep_sort_config_static_selectorELNS0_4arch9wavefront6targetE0EEEvSI_.has_dyn_sized_stack, 0
	.set _ZN7rocprim17ROCPRIM_400000_NS6detail17trampoline_kernelINS0_14default_configENS1_35radix_sort_onesweep_config_selectorIiiEEZZNS1_29radix_sort_onesweep_iterationIS3_Lb0EN6thrust23THRUST_200600_302600_NS6detail15normal_iteratorINS8_10device_ptrIiEEEESD_SD_SD_jNS0_19identity_decomposerENS1_16block_id_wrapperIjLb0EEEEE10hipError_tT1_PNSt15iterator_traitsISI_E10value_typeET2_T3_PNSJ_ISO_E10value_typeET4_T5_PST_SU_PNS1_23onesweep_lookback_stateEbbT6_jjT7_P12ihipStream_tbENKUlT_T0_SI_SN_E_clISD_SD_SD_SD_EEDaS11_S12_SI_SN_EUlS11_E_NS1_11comp_targetILNS1_3genE4ELNS1_11target_archE910ELNS1_3gpuE8ELNS1_3repE0EEENS1_47radix_sort_onesweep_sort_config_static_selectorELNS0_4arch9wavefront6targetE0EEEvSI_.has_recursion, 0
	.set _ZN7rocprim17ROCPRIM_400000_NS6detail17trampoline_kernelINS0_14default_configENS1_35radix_sort_onesweep_config_selectorIiiEEZZNS1_29radix_sort_onesweep_iterationIS3_Lb0EN6thrust23THRUST_200600_302600_NS6detail15normal_iteratorINS8_10device_ptrIiEEEESD_SD_SD_jNS0_19identity_decomposerENS1_16block_id_wrapperIjLb0EEEEE10hipError_tT1_PNSt15iterator_traitsISI_E10value_typeET2_T3_PNSJ_ISO_E10value_typeET4_T5_PST_SU_PNS1_23onesweep_lookback_stateEbbT6_jjT7_P12ihipStream_tbENKUlT_T0_SI_SN_E_clISD_SD_SD_SD_EEDaS11_S12_SI_SN_EUlS11_E_NS1_11comp_targetILNS1_3genE4ELNS1_11target_archE910ELNS1_3gpuE8ELNS1_3repE0EEENS1_47radix_sort_onesweep_sort_config_static_selectorELNS0_4arch9wavefront6targetE0EEEvSI_.has_indirect_call, 0
	.section	.AMDGPU.csdata,"",@progbits
; Kernel info:
; codeLenInByte = 0
; TotalNumSgprs: 0
; NumVgprs: 0
; ScratchSize: 0
; MemoryBound: 0
; FloatMode: 240
; IeeeMode: 1
; LDSByteSize: 0 bytes/workgroup (compile time only)
; SGPRBlocks: 0
; VGPRBlocks: 0
; NumSGPRsForWavesPerEU: 1
; NumVGPRsForWavesPerEU: 1
; Occupancy: 16
; WaveLimiterHint : 0
; COMPUTE_PGM_RSRC2:SCRATCH_EN: 0
; COMPUTE_PGM_RSRC2:USER_SGPR: 6
; COMPUTE_PGM_RSRC2:TRAP_HANDLER: 0
; COMPUTE_PGM_RSRC2:TGID_X_EN: 1
; COMPUTE_PGM_RSRC2:TGID_Y_EN: 0
; COMPUTE_PGM_RSRC2:TGID_Z_EN: 0
; COMPUTE_PGM_RSRC2:TIDIG_COMP_CNT: 0
	.section	.text._ZN7rocprim17ROCPRIM_400000_NS6detail17trampoline_kernelINS0_14default_configENS1_35radix_sort_onesweep_config_selectorIiiEEZZNS1_29radix_sort_onesweep_iterationIS3_Lb0EN6thrust23THRUST_200600_302600_NS6detail15normal_iteratorINS8_10device_ptrIiEEEESD_SD_SD_jNS0_19identity_decomposerENS1_16block_id_wrapperIjLb0EEEEE10hipError_tT1_PNSt15iterator_traitsISI_E10value_typeET2_T3_PNSJ_ISO_E10value_typeET4_T5_PST_SU_PNS1_23onesweep_lookback_stateEbbT6_jjT7_P12ihipStream_tbENKUlT_T0_SI_SN_E_clISD_SD_SD_SD_EEDaS11_S12_SI_SN_EUlS11_E_NS1_11comp_targetILNS1_3genE3ELNS1_11target_archE908ELNS1_3gpuE7ELNS1_3repE0EEENS1_47radix_sort_onesweep_sort_config_static_selectorELNS0_4arch9wavefront6targetE0EEEvSI_,"axG",@progbits,_ZN7rocprim17ROCPRIM_400000_NS6detail17trampoline_kernelINS0_14default_configENS1_35radix_sort_onesweep_config_selectorIiiEEZZNS1_29radix_sort_onesweep_iterationIS3_Lb0EN6thrust23THRUST_200600_302600_NS6detail15normal_iteratorINS8_10device_ptrIiEEEESD_SD_SD_jNS0_19identity_decomposerENS1_16block_id_wrapperIjLb0EEEEE10hipError_tT1_PNSt15iterator_traitsISI_E10value_typeET2_T3_PNSJ_ISO_E10value_typeET4_T5_PST_SU_PNS1_23onesweep_lookback_stateEbbT6_jjT7_P12ihipStream_tbENKUlT_T0_SI_SN_E_clISD_SD_SD_SD_EEDaS11_S12_SI_SN_EUlS11_E_NS1_11comp_targetILNS1_3genE3ELNS1_11target_archE908ELNS1_3gpuE7ELNS1_3repE0EEENS1_47radix_sort_onesweep_sort_config_static_selectorELNS0_4arch9wavefront6targetE0EEEvSI_,comdat
	.protected	_ZN7rocprim17ROCPRIM_400000_NS6detail17trampoline_kernelINS0_14default_configENS1_35radix_sort_onesweep_config_selectorIiiEEZZNS1_29radix_sort_onesweep_iterationIS3_Lb0EN6thrust23THRUST_200600_302600_NS6detail15normal_iteratorINS8_10device_ptrIiEEEESD_SD_SD_jNS0_19identity_decomposerENS1_16block_id_wrapperIjLb0EEEEE10hipError_tT1_PNSt15iterator_traitsISI_E10value_typeET2_T3_PNSJ_ISO_E10value_typeET4_T5_PST_SU_PNS1_23onesweep_lookback_stateEbbT6_jjT7_P12ihipStream_tbENKUlT_T0_SI_SN_E_clISD_SD_SD_SD_EEDaS11_S12_SI_SN_EUlS11_E_NS1_11comp_targetILNS1_3genE3ELNS1_11target_archE908ELNS1_3gpuE7ELNS1_3repE0EEENS1_47radix_sort_onesweep_sort_config_static_selectorELNS0_4arch9wavefront6targetE0EEEvSI_ ; -- Begin function _ZN7rocprim17ROCPRIM_400000_NS6detail17trampoline_kernelINS0_14default_configENS1_35radix_sort_onesweep_config_selectorIiiEEZZNS1_29radix_sort_onesweep_iterationIS3_Lb0EN6thrust23THRUST_200600_302600_NS6detail15normal_iteratorINS8_10device_ptrIiEEEESD_SD_SD_jNS0_19identity_decomposerENS1_16block_id_wrapperIjLb0EEEEE10hipError_tT1_PNSt15iterator_traitsISI_E10value_typeET2_T3_PNSJ_ISO_E10value_typeET4_T5_PST_SU_PNS1_23onesweep_lookback_stateEbbT6_jjT7_P12ihipStream_tbENKUlT_T0_SI_SN_E_clISD_SD_SD_SD_EEDaS11_S12_SI_SN_EUlS11_E_NS1_11comp_targetILNS1_3genE3ELNS1_11target_archE908ELNS1_3gpuE7ELNS1_3repE0EEENS1_47radix_sort_onesweep_sort_config_static_selectorELNS0_4arch9wavefront6targetE0EEEvSI_
	.globl	_ZN7rocprim17ROCPRIM_400000_NS6detail17trampoline_kernelINS0_14default_configENS1_35radix_sort_onesweep_config_selectorIiiEEZZNS1_29radix_sort_onesweep_iterationIS3_Lb0EN6thrust23THRUST_200600_302600_NS6detail15normal_iteratorINS8_10device_ptrIiEEEESD_SD_SD_jNS0_19identity_decomposerENS1_16block_id_wrapperIjLb0EEEEE10hipError_tT1_PNSt15iterator_traitsISI_E10value_typeET2_T3_PNSJ_ISO_E10value_typeET4_T5_PST_SU_PNS1_23onesweep_lookback_stateEbbT6_jjT7_P12ihipStream_tbENKUlT_T0_SI_SN_E_clISD_SD_SD_SD_EEDaS11_S12_SI_SN_EUlS11_E_NS1_11comp_targetILNS1_3genE3ELNS1_11target_archE908ELNS1_3gpuE7ELNS1_3repE0EEENS1_47radix_sort_onesweep_sort_config_static_selectorELNS0_4arch9wavefront6targetE0EEEvSI_
	.p2align	8
	.type	_ZN7rocprim17ROCPRIM_400000_NS6detail17trampoline_kernelINS0_14default_configENS1_35radix_sort_onesweep_config_selectorIiiEEZZNS1_29radix_sort_onesweep_iterationIS3_Lb0EN6thrust23THRUST_200600_302600_NS6detail15normal_iteratorINS8_10device_ptrIiEEEESD_SD_SD_jNS0_19identity_decomposerENS1_16block_id_wrapperIjLb0EEEEE10hipError_tT1_PNSt15iterator_traitsISI_E10value_typeET2_T3_PNSJ_ISO_E10value_typeET4_T5_PST_SU_PNS1_23onesweep_lookback_stateEbbT6_jjT7_P12ihipStream_tbENKUlT_T0_SI_SN_E_clISD_SD_SD_SD_EEDaS11_S12_SI_SN_EUlS11_E_NS1_11comp_targetILNS1_3genE3ELNS1_11target_archE908ELNS1_3gpuE7ELNS1_3repE0EEENS1_47radix_sort_onesweep_sort_config_static_selectorELNS0_4arch9wavefront6targetE0EEEvSI_,@function
_ZN7rocprim17ROCPRIM_400000_NS6detail17trampoline_kernelINS0_14default_configENS1_35radix_sort_onesweep_config_selectorIiiEEZZNS1_29radix_sort_onesweep_iterationIS3_Lb0EN6thrust23THRUST_200600_302600_NS6detail15normal_iteratorINS8_10device_ptrIiEEEESD_SD_SD_jNS0_19identity_decomposerENS1_16block_id_wrapperIjLb0EEEEE10hipError_tT1_PNSt15iterator_traitsISI_E10value_typeET2_T3_PNSJ_ISO_E10value_typeET4_T5_PST_SU_PNS1_23onesweep_lookback_stateEbbT6_jjT7_P12ihipStream_tbENKUlT_T0_SI_SN_E_clISD_SD_SD_SD_EEDaS11_S12_SI_SN_EUlS11_E_NS1_11comp_targetILNS1_3genE3ELNS1_11target_archE908ELNS1_3gpuE7ELNS1_3repE0EEENS1_47radix_sort_onesweep_sort_config_static_selectorELNS0_4arch9wavefront6targetE0EEEvSI_: ; @_ZN7rocprim17ROCPRIM_400000_NS6detail17trampoline_kernelINS0_14default_configENS1_35radix_sort_onesweep_config_selectorIiiEEZZNS1_29radix_sort_onesweep_iterationIS3_Lb0EN6thrust23THRUST_200600_302600_NS6detail15normal_iteratorINS8_10device_ptrIiEEEESD_SD_SD_jNS0_19identity_decomposerENS1_16block_id_wrapperIjLb0EEEEE10hipError_tT1_PNSt15iterator_traitsISI_E10value_typeET2_T3_PNSJ_ISO_E10value_typeET4_T5_PST_SU_PNS1_23onesweep_lookback_stateEbbT6_jjT7_P12ihipStream_tbENKUlT_T0_SI_SN_E_clISD_SD_SD_SD_EEDaS11_S12_SI_SN_EUlS11_E_NS1_11comp_targetILNS1_3genE3ELNS1_11target_archE908ELNS1_3gpuE7ELNS1_3repE0EEENS1_47radix_sort_onesweep_sort_config_static_selectorELNS0_4arch9wavefront6targetE0EEEvSI_
; %bb.0:
	.section	.rodata,"a",@progbits
	.p2align	6, 0x0
	.amdhsa_kernel _ZN7rocprim17ROCPRIM_400000_NS6detail17trampoline_kernelINS0_14default_configENS1_35radix_sort_onesweep_config_selectorIiiEEZZNS1_29radix_sort_onesweep_iterationIS3_Lb0EN6thrust23THRUST_200600_302600_NS6detail15normal_iteratorINS8_10device_ptrIiEEEESD_SD_SD_jNS0_19identity_decomposerENS1_16block_id_wrapperIjLb0EEEEE10hipError_tT1_PNSt15iterator_traitsISI_E10value_typeET2_T3_PNSJ_ISO_E10value_typeET4_T5_PST_SU_PNS1_23onesweep_lookback_stateEbbT6_jjT7_P12ihipStream_tbENKUlT_T0_SI_SN_E_clISD_SD_SD_SD_EEDaS11_S12_SI_SN_EUlS11_E_NS1_11comp_targetILNS1_3genE3ELNS1_11target_archE908ELNS1_3gpuE7ELNS1_3repE0EEENS1_47radix_sort_onesweep_sort_config_static_selectorELNS0_4arch9wavefront6targetE0EEEvSI_
		.amdhsa_group_segment_fixed_size 0
		.amdhsa_private_segment_fixed_size 0
		.amdhsa_kernarg_size 88
		.amdhsa_user_sgpr_count 6
		.amdhsa_user_sgpr_private_segment_buffer 1
		.amdhsa_user_sgpr_dispatch_ptr 0
		.amdhsa_user_sgpr_queue_ptr 0
		.amdhsa_user_sgpr_kernarg_segment_ptr 1
		.amdhsa_user_sgpr_dispatch_id 0
		.amdhsa_user_sgpr_flat_scratch_init 0
		.amdhsa_user_sgpr_private_segment_size 0
		.amdhsa_wavefront_size32 1
		.amdhsa_uses_dynamic_stack 0
		.amdhsa_system_sgpr_private_segment_wavefront_offset 0
		.amdhsa_system_sgpr_workgroup_id_x 1
		.amdhsa_system_sgpr_workgroup_id_y 0
		.amdhsa_system_sgpr_workgroup_id_z 0
		.amdhsa_system_sgpr_workgroup_info 0
		.amdhsa_system_vgpr_workitem_id 0
		.amdhsa_next_free_vgpr 1
		.amdhsa_next_free_sgpr 1
		.amdhsa_reserve_vcc 0
		.amdhsa_reserve_flat_scratch 0
		.amdhsa_float_round_mode_32 0
		.amdhsa_float_round_mode_16_64 0
		.amdhsa_float_denorm_mode_32 3
		.amdhsa_float_denorm_mode_16_64 3
		.amdhsa_dx10_clamp 1
		.amdhsa_ieee_mode 1
		.amdhsa_fp16_overflow 0
		.amdhsa_workgroup_processor_mode 1
		.amdhsa_memory_ordered 1
		.amdhsa_forward_progress 1
		.amdhsa_shared_vgpr_count 0
		.amdhsa_exception_fp_ieee_invalid_op 0
		.amdhsa_exception_fp_denorm_src 0
		.amdhsa_exception_fp_ieee_div_zero 0
		.amdhsa_exception_fp_ieee_overflow 0
		.amdhsa_exception_fp_ieee_underflow 0
		.amdhsa_exception_fp_ieee_inexact 0
		.amdhsa_exception_int_div_zero 0
	.end_amdhsa_kernel
	.section	.text._ZN7rocprim17ROCPRIM_400000_NS6detail17trampoline_kernelINS0_14default_configENS1_35radix_sort_onesweep_config_selectorIiiEEZZNS1_29radix_sort_onesweep_iterationIS3_Lb0EN6thrust23THRUST_200600_302600_NS6detail15normal_iteratorINS8_10device_ptrIiEEEESD_SD_SD_jNS0_19identity_decomposerENS1_16block_id_wrapperIjLb0EEEEE10hipError_tT1_PNSt15iterator_traitsISI_E10value_typeET2_T3_PNSJ_ISO_E10value_typeET4_T5_PST_SU_PNS1_23onesweep_lookback_stateEbbT6_jjT7_P12ihipStream_tbENKUlT_T0_SI_SN_E_clISD_SD_SD_SD_EEDaS11_S12_SI_SN_EUlS11_E_NS1_11comp_targetILNS1_3genE3ELNS1_11target_archE908ELNS1_3gpuE7ELNS1_3repE0EEENS1_47radix_sort_onesweep_sort_config_static_selectorELNS0_4arch9wavefront6targetE0EEEvSI_,"axG",@progbits,_ZN7rocprim17ROCPRIM_400000_NS6detail17trampoline_kernelINS0_14default_configENS1_35radix_sort_onesweep_config_selectorIiiEEZZNS1_29radix_sort_onesweep_iterationIS3_Lb0EN6thrust23THRUST_200600_302600_NS6detail15normal_iteratorINS8_10device_ptrIiEEEESD_SD_SD_jNS0_19identity_decomposerENS1_16block_id_wrapperIjLb0EEEEE10hipError_tT1_PNSt15iterator_traitsISI_E10value_typeET2_T3_PNSJ_ISO_E10value_typeET4_T5_PST_SU_PNS1_23onesweep_lookback_stateEbbT6_jjT7_P12ihipStream_tbENKUlT_T0_SI_SN_E_clISD_SD_SD_SD_EEDaS11_S12_SI_SN_EUlS11_E_NS1_11comp_targetILNS1_3genE3ELNS1_11target_archE908ELNS1_3gpuE7ELNS1_3repE0EEENS1_47radix_sort_onesweep_sort_config_static_selectorELNS0_4arch9wavefront6targetE0EEEvSI_,comdat
.Lfunc_end854:
	.size	_ZN7rocprim17ROCPRIM_400000_NS6detail17trampoline_kernelINS0_14default_configENS1_35radix_sort_onesweep_config_selectorIiiEEZZNS1_29radix_sort_onesweep_iterationIS3_Lb0EN6thrust23THRUST_200600_302600_NS6detail15normal_iteratorINS8_10device_ptrIiEEEESD_SD_SD_jNS0_19identity_decomposerENS1_16block_id_wrapperIjLb0EEEEE10hipError_tT1_PNSt15iterator_traitsISI_E10value_typeET2_T3_PNSJ_ISO_E10value_typeET4_T5_PST_SU_PNS1_23onesweep_lookback_stateEbbT6_jjT7_P12ihipStream_tbENKUlT_T0_SI_SN_E_clISD_SD_SD_SD_EEDaS11_S12_SI_SN_EUlS11_E_NS1_11comp_targetILNS1_3genE3ELNS1_11target_archE908ELNS1_3gpuE7ELNS1_3repE0EEENS1_47radix_sort_onesweep_sort_config_static_selectorELNS0_4arch9wavefront6targetE0EEEvSI_, .Lfunc_end854-_ZN7rocprim17ROCPRIM_400000_NS6detail17trampoline_kernelINS0_14default_configENS1_35radix_sort_onesweep_config_selectorIiiEEZZNS1_29radix_sort_onesweep_iterationIS3_Lb0EN6thrust23THRUST_200600_302600_NS6detail15normal_iteratorINS8_10device_ptrIiEEEESD_SD_SD_jNS0_19identity_decomposerENS1_16block_id_wrapperIjLb0EEEEE10hipError_tT1_PNSt15iterator_traitsISI_E10value_typeET2_T3_PNSJ_ISO_E10value_typeET4_T5_PST_SU_PNS1_23onesweep_lookback_stateEbbT6_jjT7_P12ihipStream_tbENKUlT_T0_SI_SN_E_clISD_SD_SD_SD_EEDaS11_S12_SI_SN_EUlS11_E_NS1_11comp_targetILNS1_3genE3ELNS1_11target_archE908ELNS1_3gpuE7ELNS1_3repE0EEENS1_47radix_sort_onesweep_sort_config_static_selectorELNS0_4arch9wavefront6targetE0EEEvSI_
                                        ; -- End function
	.set _ZN7rocprim17ROCPRIM_400000_NS6detail17trampoline_kernelINS0_14default_configENS1_35radix_sort_onesweep_config_selectorIiiEEZZNS1_29radix_sort_onesweep_iterationIS3_Lb0EN6thrust23THRUST_200600_302600_NS6detail15normal_iteratorINS8_10device_ptrIiEEEESD_SD_SD_jNS0_19identity_decomposerENS1_16block_id_wrapperIjLb0EEEEE10hipError_tT1_PNSt15iterator_traitsISI_E10value_typeET2_T3_PNSJ_ISO_E10value_typeET4_T5_PST_SU_PNS1_23onesweep_lookback_stateEbbT6_jjT7_P12ihipStream_tbENKUlT_T0_SI_SN_E_clISD_SD_SD_SD_EEDaS11_S12_SI_SN_EUlS11_E_NS1_11comp_targetILNS1_3genE3ELNS1_11target_archE908ELNS1_3gpuE7ELNS1_3repE0EEENS1_47radix_sort_onesweep_sort_config_static_selectorELNS0_4arch9wavefront6targetE0EEEvSI_.num_vgpr, 0
	.set _ZN7rocprim17ROCPRIM_400000_NS6detail17trampoline_kernelINS0_14default_configENS1_35radix_sort_onesweep_config_selectorIiiEEZZNS1_29radix_sort_onesweep_iterationIS3_Lb0EN6thrust23THRUST_200600_302600_NS6detail15normal_iteratorINS8_10device_ptrIiEEEESD_SD_SD_jNS0_19identity_decomposerENS1_16block_id_wrapperIjLb0EEEEE10hipError_tT1_PNSt15iterator_traitsISI_E10value_typeET2_T3_PNSJ_ISO_E10value_typeET4_T5_PST_SU_PNS1_23onesweep_lookback_stateEbbT6_jjT7_P12ihipStream_tbENKUlT_T0_SI_SN_E_clISD_SD_SD_SD_EEDaS11_S12_SI_SN_EUlS11_E_NS1_11comp_targetILNS1_3genE3ELNS1_11target_archE908ELNS1_3gpuE7ELNS1_3repE0EEENS1_47radix_sort_onesweep_sort_config_static_selectorELNS0_4arch9wavefront6targetE0EEEvSI_.num_agpr, 0
	.set _ZN7rocprim17ROCPRIM_400000_NS6detail17trampoline_kernelINS0_14default_configENS1_35radix_sort_onesweep_config_selectorIiiEEZZNS1_29radix_sort_onesweep_iterationIS3_Lb0EN6thrust23THRUST_200600_302600_NS6detail15normal_iteratorINS8_10device_ptrIiEEEESD_SD_SD_jNS0_19identity_decomposerENS1_16block_id_wrapperIjLb0EEEEE10hipError_tT1_PNSt15iterator_traitsISI_E10value_typeET2_T3_PNSJ_ISO_E10value_typeET4_T5_PST_SU_PNS1_23onesweep_lookback_stateEbbT6_jjT7_P12ihipStream_tbENKUlT_T0_SI_SN_E_clISD_SD_SD_SD_EEDaS11_S12_SI_SN_EUlS11_E_NS1_11comp_targetILNS1_3genE3ELNS1_11target_archE908ELNS1_3gpuE7ELNS1_3repE0EEENS1_47radix_sort_onesweep_sort_config_static_selectorELNS0_4arch9wavefront6targetE0EEEvSI_.numbered_sgpr, 0
	.set _ZN7rocprim17ROCPRIM_400000_NS6detail17trampoline_kernelINS0_14default_configENS1_35radix_sort_onesweep_config_selectorIiiEEZZNS1_29radix_sort_onesweep_iterationIS3_Lb0EN6thrust23THRUST_200600_302600_NS6detail15normal_iteratorINS8_10device_ptrIiEEEESD_SD_SD_jNS0_19identity_decomposerENS1_16block_id_wrapperIjLb0EEEEE10hipError_tT1_PNSt15iterator_traitsISI_E10value_typeET2_T3_PNSJ_ISO_E10value_typeET4_T5_PST_SU_PNS1_23onesweep_lookback_stateEbbT6_jjT7_P12ihipStream_tbENKUlT_T0_SI_SN_E_clISD_SD_SD_SD_EEDaS11_S12_SI_SN_EUlS11_E_NS1_11comp_targetILNS1_3genE3ELNS1_11target_archE908ELNS1_3gpuE7ELNS1_3repE0EEENS1_47radix_sort_onesweep_sort_config_static_selectorELNS0_4arch9wavefront6targetE0EEEvSI_.num_named_barrier, 0
	.set _ZN7rocprim17ROCPRIM_400000_NS6detail17trampoline_kernelINS0_14default_configENS1_35radix_sort_onesweep_config_selectorIiiEEZZNS1_29radix_sort_onesweep_iterationIS3_Lb0EN6thrust23THRUST_200600_302600_NS6detail15normal_iteratorINS8_10device_ptrIiEEEESD_SD_SD_jNS0_19identity_decomposerENS1_16block_id_wrapperIjLb0EEEEE10hipError_tT1_PNSt15iterator_traitsISI_E10value_typeET2_T3_PNSJ_ISO_E10value_typeET4_T5_PST_SU_PNS1_23onesweep_lookback_stateEbbT6_jjT7_P12ihipStream_tbENKUlT_T0_SI_SN_E_clISD_SD_SD_SD_EEDaS11_S12_SI_SN_EUlS11_E_NS1_11comp_targetILNS1_3genE3ELNS1_11target_archE908ELNS1_3gpuE7ELNS1_3repE0EEENS1_47radix_sort_onesweep_sort_config_static_selectorELNS0_4arch9wavefront6targetE0EEEvSI_.private_seg_size, 0
	.set _ZN7rocprim17ROCPRIM_400000_NS6detail17trampoline_kernelINS0_14default_configENS1_35radix_sort_onesweep_config_selectorIiiEEZZNS1_29radix_sort_onesweep_iterationIS3_Lb0EN6thrust23THRUST_200600_302600_NS6detail15normal_iteratorINS8_10device_ptrIiEEEESD_SD_SD_jNS0_19identity_decomposerENS1_16block_id_wrapperIjLb0EEEEE10hipError_tT1_PNSt15iterator_traitsISI_E10value_typeET2_T3_PNSJ_ISO_E10value_typeET4_T5_PST_SU_PNS1_23onesweep_lookback_stateEbbT6_jjT7_P12ihipStream_tbENKUlT_T0_SI_SN_E_clISD_SD_SD_SD_EEDaS11_S12_SI_SN_EUlS11_E_NS1_11comp_targetILNS1_3genE3ELNS1_11target_archE908ELNS1_3gpuE7ELNS1_3repE0EEENS1_47radix_sort_onesweep_sort_config_static_selectorELNS0_4arch9wavefront6targetE0EEEvSI_.uses_vcc, 0
	.set _ZN7rocprim17ROCPRIM_400000_NS6detail17trampoline_kernelINS0_14default_configENS1_35radix_sort_onesweep_config_selectorIiiEEZZNS1_29radix_sort_onesweep_iterationIS3_Lb0EN6thrust23THRUST_200600_302600_NS6detail15normal_iteratorINS8_10device_ptrIiEEEESD_SD_SD_jNS0_19identity_decomposerENS1_16block_id_wrapperIjLb0EEEEE10hipError_tT1_PNSt15iterator_traitsISI_E10value_typeET2_T3_PNSJ_ISO_E10value_typeET4_T5_PST_SU_PNS1_23onesweep_lookback_stateEbbT6_jjT7_P12ihipStream_tbENKUlT_T0_SI_SN_E_clISD_SD_SD_SD_EEDaS11_S12_SI_SN_EUlS11_E_NS1_11comp_targetILNS1_3genE3ELNS1_11target_archE908ELNS1_3gpuE7ELNS1_3repE0EEENS1_47radix_sort_onesweep_sort_config_static_selectorELNS0_4arch9wavefront6targetE0EEEvSI_.uses_flat_scratch, 0
	.set _ZN7rocprim17ROCPRIM_400000_NS6detail17trampoline_kernelINS0_14default_configENS1_35radix_sort_onesweep_config_selectorIiiEEZZNS1_29radix_sort_onesweep_iterationIS3_Lb0EN6thrust23THRUST_200600_302600_NS6detail15normal_iteratorINS8_10device_ptrIiEEEESD_SD_SD_jNS0_19identity_decomposerENS1_16block_id_wrapperIjLb0EEEEE10hipError_tT1_PNSt15iterator_traitsISI_E10value_typeET2_T3_PNSJ_ISO_E10value_typeET4_T5_PST_SU_PNS1_23onesweep_lookback_stateEbbT6_jjT7_P12ihipStream_tbENKUlT_T0_SI_SN_E_clISD_SD_SD_SD_EEDaS11_S12_SI_SN_EUlS11_E_NS1_11comp_targetILNS1_3genE3ELNS1_11target_archE908ELNS1_3gpuE7ELNS1_3repE0EEENS1_47radix_sort_onesweep_sort_config_static_selectorELNS0_4arch9wavefront6targetE0EEEvSI_.has_dyn_sized_stack, 0
	.set _ZN7rocprim17ROCPRIM_400000_NS6detail17trampoline_kernelINS0_14default_configENS1_35radix_sort_onesweep_config_selectorIiiEEZZNS1_29radix_sort_onesweep_iterationIS3_Lb0EN6thrust23THRUST_200600_302600_NS6detail15normal_iteratorINS8_10device_ptrIiEEEESD_SD_SD_jNS0_19identity_decomposerENS1_16block_id_wrapperIjLb0EEEEE10hipError_tT1_PNSt15iterator_traitsISI_E10value_typeET2_T3_PNSJ_ISO_E10value_typeET4_T5_PST_SU_PNS1_23onesweep_lookback_stateEbbT6_jjT7_P12ihipStream_tbENKUlT_T0_SI_SN_E_clISD_SD_SD_SD_EEDaS11_S12_SI_SN_EUlS11_E_NS1_11comp_targetILNS1_3genE3ELNS1_11target_archE908ELNS1_3gpuE7ELNS1_3repE0EEENS1_47radix_sort_onesweep_sort_config_static_selectorELNS0_4arch9wavefront6targetE0EEEvSI_.has_recursion, 0
	.set _ZN7rocprim17ROCPRIM_400000_NS6detail17trampoline_kernelINS0_14default_configENS1_35radix_sort_onesweep_config_selectorIiiEEZZNS1_29radix_sort_onesweep_iterationIS3_Lb0EN6thrust23THRUST_200600_302600_NS6detail15normal_iteratorINS8_10device_ptrIiEEEESD_SD_SD_jNS0_19identity_decomposerENS1_16block_id_wrapperIjLb0EEEEE10hipError_tT1_PNSt15iterator_traitsISI_E10value_typeET2_T3_PNSJ_ISO_E10value_typeET4_T5_PST_SU_PNS1_23onesweep_lookback_stateEbbT6_jjT7_P12ihipStream_tbENKUlT_T0_SI_SN_E_clISD_SD_SD_SD_EEDaS11_S12_SI_SN_EUlS11_E_NS1_11comp_targetILNS1_3genE3ELNS1_11target_archE908ELNS1_3gpuE7ELNS1_3repE0EEENS1_47radix_sort_onesweep_sort_config_static_selectorELNS0_4arch9wavefront6targetE0EEEvSI_.has_indirect_call, 0
	.section	.AMDGPU.csdata,"",@progbits
; Kernel info:
; codeLenInByte = 0
; TotalNumSgprs: 0
; NumVgprs: 0
; ScratchSize: 0
; MemoryBound: 0
; FloatMode: 240
; IeeeMode: 1
; LDSByteSize: 0 bytes/workgroup (compile time only)
; SGPRBlocks: 0
; VGPRBlocks: 0
; NumSGPRsForWavesPerEU: 1
; NumVGPRsForWavesPerEU: 1
; Occupancy: 16
; WaveLimiterHint : 0
; COMPUTE_PGM_RSRC2:SCRATCH_EN: 0
; COMPUTE_PGM_RSRC2:USER_SGPR: 6
; COMPUTE_PGM_RSRC2:TRAP_HANDLER: 0
; COMPUTE_PGM_RSRC2:TGID_X_EN: 1
; COMPUTE_PGM_RSRC2:TGID_Y_EN: 0
; COMPUTE_PGM_RSRC2:TGID_Z_EN: 0
; COMPUTE_PGM_RSRC2:TIDIG_COMP_CNT: 0
	.section	.text._ZN7rocprim17ROCPRIM_400000_NS6detail17trampoline_kernelINS0_14default_configENS1_35radix_sort_onesweep_config_selectorIiiEEZZNS1_29radix_sort_onesweep_iterationIS3_Lb0EN6thrust23THRUST_200600_302600_NS6detail15normal_iteratorINS8_10device_ptrIiEEEESD_SD_SD_jNS0_19identity_decomposerENS1_16block_id_wrapperIjLb0EEEEE10hipError_tT1_PNSt15iterator_traitsISI_E10value_typeET2_T3_PNSJ_ISO_E10value_typeET4_T5_PST_SU_PNS1_23onesweep_lookback_stateEbbT6_jjT7_P12ihipStream_tbENKUlT_T0_SI_SN_E_clISD_SD_SD_SD_EEDaS11_S12_SI_SN_EUlS11_E_NS1_11comp_targetILNS1_3genE10ELNS1_11target_archE1201ELNS1_3gpuE5ELNS1_3repE0EEENS1_47radix_sort_onesweep_sort_config_static_selectorELNS0_4arch9wavefront6targetE0EEEvSI_,"axG",@progbits,_ZN7rocprim17ROCPRIM_400000_NS6detail17trampoline_kernelINS0_14default_configENS1_35radix_sort_onesweep_config_selectorIiiEEZZNS1_29radix_sort_onesweep_iterationIS3_Lb0EN6thrust23THRUST_200600_302600_NS6detail15normal_iteratorINS8_10device_ptrIiEEEESD_SD_SD_jNS0_19identity_decomposerENS1_16block_id_wrapperIjLb0EEEEE10hipError_tT1_PNSt15iterator_traitsISI_E10value_typeET2_T3_PNSJ_ISO_E10value_typeET4_T5_PST_SU_PNS1_23onesweep_lookback_stateEbbT6_jjT7_P12ihipStream_tbENKUlT_T0_SI_SN_E_clISD_SD_SD_SD_EEDaS11_S12_SI_SN_EUlS11_E_NS1_11comp_targetILNS1_3genE10ELNS1_11target_archE1201ELNS1_3gpuE5ELNS1_3repE0EEENS1_47radix_sort_onesweep_sort_config_static_selectorELNS0_4arch9wavefront6targetE0EEEvSI_,comdat
	.protected	_ZN7rocprim17ROCPRIM_400000_NS6detail17trampoline_kernelINS0_14default_configENS1_35radix_sort_onesweep_config_selectorIiiEEZZNS1_29radix_sort_onesweep_iterationIS3_Lb0EN6thrust23THRUST_200600_302600_NS6detail15normal_iteratorINS8_10device_ptrIiEEEESD_SD_SD_jNS0_19identity_decomposerENS1_16block_id_wrapperIjLb0EEEEE10hipError_tT1_PNSt15iterator_traitsISI_E10value_typeET2_T3_PNSJ_ISO_E10value_typeET4_T5_PST_SU_PNS1_23onesweep_lookback_stateEbbT6_jjT7_P12ihipStream_tbENKUlT_T0_SI_SN_E_clISD_SD_SD_SD_EEDaS11_S12_SI_SN_EUlS11_E_NS1_11comp_targetILNS1_3genE10ELNS1_11target_archE1201ELNS1_3gpuE5ELNS1_3repE0EEENS1_47radix_sort_onesweep_sort_config_static_selectorELNS0_4arch9wavefront6targetE0EEEvSI_ ; -- Begin function _ZN7rocprim17ROCPRIM_400000_NS6detail17trampoline_kernelINS0_14default_configENS1_35radix_sort_onesweep_config_selectorIiiEEZZNS1_29radix_sort_onesweep_iterationIS3_Lb0EN6thrust23THRUST_200600_302600_NS6detail15normal_iteratorINS8_10device_ptrIiEEEESD_SD_SD_jNS0_19identity_decomposerENS1_16block_id_wrapperIjLb0EEEEE10hipError_tT1_PNSt15iterator_traitsISI_E10value_typeET2_T3_PNSJ_ISO_E10value_typeET4_T5_PST_SU_PNS1_23onesweep_lookback_stateEbbT6_jjT7_P12ihipStream_tbENKUlT_T0_SI_SN_E_clISD_SD_SD_SD_EEDaS11_S12_SI_SN_EUlS11_E_NS1_11comp_targetILNS1_3genE10ELNS1_11target_archE1201ELNS1_3gpuE5ELNS1_3repE0EEENS1_47radix_sort_onesweep_sort_config_static_selectorELNS0_4arch9wavefront6targetE0EEEvSI_
	.globl	_ZN7rocprim17ROCPRIM_400000_NS6detail17trampoline_kernelINS0_14default_configENS1_35radix_sort_onesweep_config_selectorIiiEEZZNS1_29radix_sort_onesweep_iterationIS3_Lb0EN6thrust23THRUST_200600_302600_NS6detail15normal_iteratorINS8_10device_ptrIiEEEESD_SD_SD_jNS0_19identity_decomposerENS1_16block_id_wrapperIjLb0EEEEE10hipError_tT1_PNSt15iterator_traitsISI_E10value_typeET2_T3_PNSJ_ISO_E10value_typeET4_T5_PST_SU_PNS1_23onesweep_lookback_stateEbbT6_jjT7_P12ihipStream_tbENKUlT_T0_SI_SN_E_clISD_SD_SD_SD_EEDaS11_S12_SI_SN_EUlS11_E_NS1_11comp_targetILNS1_3genE10ELNS1_11target_archE1201ELNS1_3gpuE5ELNS1_3repE0EEENS1_47radix_sort_onesweep_sort_config_static_selectorELNS0_4arch9wavefront6targetE0EEEvSI_
	.p2align	8
	.type	_ZN7rocprim17ROCPRIM_400000_NS6detail17trampoline_kernelINS0_14default_configENS1_35radix_sort_onesweep_config_selectorIiiEEZZNS1_29radix_sort_onesweep_iterationIS3_Lb0EN6thrust23THRUST_200600_302600_NS6detail15normal_iteratorINS8_10device_ptrIiEEEESD_SD_SD_jNS0_19identity_decomposerENS1_16block_id_wrapperIjLb0EEEEE10hipError_tT1_PNSt15iterator_traitsISI_E10value_typeET2_T3_PNSJ_ISO_E10value_typeET4_T5_PST_SU_PNS1_23onesweep_lookback_stateEbbT6_jjT7_P12ihipStream_tbENKUlT_T0_SI_SN_E_clISD_SD_SD_SD_EEDaS11_S12_SI_SN_EUlS11_E_NS1_11comp_targetILNS1_3genE10ELNS1_11target_archE1201ELNS1_3gpuE5ELNS1_3repE0EEENS1_47radix_sort_onesweep_sort_config_static_selectorELNS0_4arch9wavefront6targetE0EEEvSI_,@function
_ZN7rocprim17ROCPRIM_400000_NS6detail17trampoline_kernelINS0_14default_configENS1_35radix_sort_onesweep_config_selectorIiiEEZZNS1_29radix_sort_onesweep_iterationIS3_Lb0EN6thrust23THRUST_200600_302600_NS6detail15normal_iteratorINS8_10device_ptrIiEEEESD_SD_SD_jNS0_19identity_decomposerENS1_16block_id_wrapperIjLb0EEEEE10hipError_tT1_PNSt15iterator_traitsISI_E10value_typeET2_T3_PNSJ_ISO_E10value_typeET4_T5_PST_SU_PNS1_23onesweep_lookback_stateEbbT6_jjT7_P12ihipStream_tbENKUlT_T0_SI_SN_E_clISD_SD_SD_SD_EEDaS11_S12_SI_SN_EUlS11_E_NS1_11comp_targetILNS1_3genE10ELNS1_11target_archE1201ELNS1_3gpuE5ELNS1_3repE0EEENS1_47radix_sort_onesweep_sort_config_static_selectorELNS0_4arch9wavefront6targetE0EEEvSI_: ; @_ZN7rocprim17ROCPRIM_400000_NS6detail17trampoline_kernelINS0_14default_configENS1_35radix_sort_onesweep_config_selectorIiiEEZZNS1_29radix_sort_onesweep_iterationIS3_Lb0EN6thrust23THRUST_200600_302600_NS6detail15normal_iteratorINS8_10device_ptrIiEEEESD_SD_SD_jNS0_19identity_decomposerENS1_16block_id_wrapperIjLb0EEEEE10hipError_tT1_PNSt15iterator_traitsISI_E10value_typeET2_T3_PNSJ_ISO_E10value_typeET4_T5_PST_SU_PNS1_23onesweep_lookback_stateEbbT6_jjT7_P12ihipStream_tbENKUlT_T0_SI_SN_E_clISD_SD_SD_SD_EEDaS11_S12_SI_SN_EUlS11_E_NS1_11comp_targetILNS1_3genE10ELNS1_11target_archE1201ELNS1_3gpuE5ELNS1_3repE0EEENS1_47radix_sort_onesweep_sort_config_static_selectorELNS0_4arch9wavefront6targetE0EEEvSI_
; %bb.0:
	.section	.rodata,"a",@progbits
	.p2align	6, 0x0
	.amdhsa_kernel _ZN7rocprim17ROCPRIM_400000_NS6detail17trampoline_kernelINS0_14default_configENS1_35radix_sort_onesweep_config_selectorIiiEEZZNS1_29radix_sort_onesweep_iterationIS3_Lb0EN6thrust23THRUST_200600_302600_NS6detail15normal_iteratorINS8_10device_ptrIiEEEESD_SD_SD_jNS0_19identity_decomposerENS1_16block_id_wrapperIjLb0EEEEE10hipError_tT1_PNSt15iterator_traitsISI_E10value_typeET2_T3_PNSJ_ISO_E10value_typeET4_T5_PST_SU_PNS1_23onesweep_lookback_stateEbbT6_jjT7_P12ihipStream_tbENKUlT_T0_SI_SN_E_clISD_SD_SD_SD_EEDaS11_S12_SI_SN_EUlS11_E_NS1_11comp_targetILNS1_3genE10ELNS1_11target_archE1201ELNS1_3gpuE5ELNS1_3repE0EEENS1_47radix_sort_onesweep_sort_config_static_selectorELNS0_4arch9wavefront6targetE0EEEvSI_
		.amdhsa_group_segment_fixed_size 0
		.amdhsa_private_segment_fixed_size 0
		.amdhsa_kernarg_size 88
		.amdhsa_user_sgpr_count 6
		.amdhsa_user_sgpr_private_segment_buffer 1
		.amdhsa_user_sgpr_dispatch_ptr 0
		.amdhsa_user_sgpr_queue_ptr 0
		.amdhsa_user_sgpr_kernarg_segment_ptr 1
		.amdhsa_user_sgpr_dispatch_id 0
		.amdhsa_user_sgpr_flat_scratch_init 0
		.amdhsa_user_sgpr_private_segment_size 0
		.amdhsa_wavefront_size32 1
		.amdhsa_uses_dynamic_stack 0
		.amdhsa_system_sgpr_private_segment_wavefront_offset 0
		.amdhsa_system_sgpr_workgroup_id_x 1
		.amdhsa_system_sgpr_workgroup_id_y 0
		.amdhsa_system_sgpr_workgroup_id_z 0
		.amdhsa_system_sgpr_workgroup_info 0
		.amdhsa_system_vgpr_workitem_id 0
		.amdhsa_next_free_vgpr 1
		.amdhsa_next_free_sgpr 1
		.amdhsa_reserve_vcc 0
		.amdhsa_reserve_flat_scratch 0
		.amdhsa_float_round_mode_32 0
		.amdhsa_float_round_mode_16_64 0
		.amdhsa_float_denorm_mode_32 3
		.amdhsa_float_denorm_mode_16_64 3
		.amdhsa_dx10_clamp 1
		.amdhsa_ieee_mode 1
		.amdhsa_fp16_overflow 0
		.amdhsa_workgroup_processor_mode 1
		.amdhsa_memory_ordered 1
		.amdhsa_forward_progress 1
		.amdhsa_shared_vgpr_count 0
		.amdhsa_exception_fp_ieee_invalid_op 0
		.amdhsa_exception_fp_denorm_src 0
		.amdhsa_exception_fp_ieee_div_zero 0
		.amdhsa_exception_fp_ieee_overflow 0
		.amdhsa_exception_fp_ieee_underflow 0
		.amdhsa_exception_fp_ieee_inexact 0
		.amdhsa_exception_int_div_zero 0
	.end_amdhsa_kernel
	.section	.text._ZN7rocprim17ROCPRIM_400000_NS6detail17trampoline_kernelINS0_14default_configENS1_35radix_sort_onesweep_config_selectorIiiEEZZNS1_29radix_sort_onesweep_iterationIS3_Lb0EN6thrust23THRUST_200600_302600_NS6detail15normal_iteratorINS8_10device_ptrIiEEEESD_SD_SD_jNS0_19identity_decomposerENS1_16block_id_wrapperIjLb0EEEEE10hipError_tT1_PNSt15iterator_traitsISI_E10value_typeET2_T3_PNSJ_ISO_E10value_typeET4_T5_PST_SU_PNS1_23onesweep_lookback_stateEbbT6_jjT7_P12ihipStream_tbENKUlT_T0_SI_SN_E_clISD_SD_SD_SD_EEDaS11_S12_SI_SN_EUlS11_E_NS1_11comp_targetILNS1_3genE10ELNS1_11target_archE1201ELNS1_3gpuE5ELNS1_3repE0EEENS1_47radix_sort_onesweep_sort_config_static_selectorELNS0_4arch9wavefront6targetE0EEEvSI_,"axG",@progbits,_ZN7rocprim17ROCPRIM_400000_NS6detail17trampoline_kernelINS0_14default_configENS1_35radix_sort_onesweep_config_selectorIiiEEZZNS1_29radix_sort_onesweep_iterationIS3_Lb0EN6thrust23THRUST_200600_302600_NS6detail15normal_iteratorINS8_10device_ptrIiEEEESD_SD_SD_jNS0_19identity_decomposerENS1_16block_id_wrapperIjLb0EEEEE10hipError_tT1_PNSt15iterator_traitsISI_E10value_typeET2_T3_PNSJ_ISO_E10value_typeET4_T5_PST_SU_PNS1_23onesweep_lookback_stateEbbT6_jjT7_P12ihipStream_tbENKUlT_T0_SI_SN_E_clISD_SD_SD_SD_EEDaS11_S12_SI_SN_EUlS11_E_NS1_11comp_targetILNS1_3genE10ELNS1_11target_archE1201ELNS1_3gpuE5ELNS1_3repE0EEENS1_47radix_sort_onesweep_sort_config_static_selectorELNS0_4arch9wavefront6targetE0EEEvSI_,comdat
.Lfunc_end855:
	.size	_ZN7rocprim17ROCPRIM_400000_NS6detail17trampoline_kernelINS0_14default_configENS1_35radix_sort_onesweep_config_selectorIiiEEZZNS1_29radix_sort_onesweep_iterationIS3_Lb0EN6thrust23THRUST_200600_302600_NS6detail15normal_iteratorINS8_10device_ptrIiEEEESD_SD_SD_jNS0_19identity_decomposerENS1_16block_id_wrapperIjLb0EEEEE10hipError_tT1_PNSt15iterator_traitsISI_E10value_typeET2_T3_PNSJ_ISO_E10value_typeET4_T5_PST_SU_PNS1_23onesweep_lookback_stateEbbT6_jjT7_P12ihipStream_tbENKUlT_T0_SI_SN_E_clISD_SD_SD_SD_EEDaS11_S12_SI_SN_EUlS11_E_NS1_11comp_targetILNS1_3genE10ELNS1_11target_archE1201ELNS1_3gpuE5ELNS1_3repE0EEENS1_47radix_sort_onesweep_sort_config_static_selectorELNS0_4arch9wavefront6targetE0EEEvSI_, .Lfunc_end855-_ZN7rocprim17ROCPRIM_400000_NS6detail17trampoline_kernelINS0_14default_configENS1_35radix_sort_onesweep_config_selectorIiiEEZZNS1_29radix_sort_onesweep_iterationIS3_Lb0EN6thrust23THRUST_200600_302600_NS6detail15normal_iteratorINS8_10device_ptrIiEEEESD_SD_SD_jNS0_19identity_decomposerENS1_16block_id_wrapperIjLb0EEEEE10hipError_tT1_PNSt15iterator_traitsISI_E10value_typeET2_T3_PNSJ_ISO_E10value_typeET4_T5_PST_SU_PNS1_23onesweep_lookback_stateEbbT6_jjT7_P12ihipStream_tbENKUlT_T0_SI_SN_E_clISD_SD_SD_SD_EEDaS11_S12_SI_SN_EUlS11_E_NS1_11comp_targetILNS1_3genE10ELNS1_11target_archE1201ELNS1_3gpuE5ELNS1_3repE0EEENS1_47radix_sort_onesweep_sort_config_static_selectorELNS0_4arch9wavefront6targetE0EEEvSI_
                                        ; -- End function
	.set _ZN7rocprim17ROCPRIM_400000_NS6detail17trampoline_kernelINS0_14default_configENS1_35radix_sort_onesweep_config_selectorIiiEEZZNS1_29radix_sort_onesweep_iterationIS3_Lb0EN6thrust23THRUST_200600_302600_NS6detail15normal_iteratorINS8_10device_ptrIiEEEESD_SD_SD_jNS0_19identity_decomposerENS1_16block_id_wrapperIjLb0EEEEE10hipError_tT1_PNSt15iterator_traitsISI_E10value_typeET2_T3_PNSJ_ISO_E10value_typeET4_T5_PST_SU_PNS1_23onesweep_lookback_stateEbbT6_jjT7_P12ihipStream_tbENKUlT_T0_SI_SN_E_clISD_SD_SD_SD_EEDaS11_S12_SI_SN_EUlS11_E_NS1_11comp_targetILNS1_3genE10ELNS1_11target_archE1201ELNS1_3gpuE5ELNS1_3repE0EEENS1_47radix_sort_onesweep_sort_config_static_selectorELNS0_4arch9wavefront6targetE0EEEvSI_.num_vgpr, 0
	.set _ZN7rocprim17ROCPRIM_400000_NS6detail17trampoline_kernelINS0_14default_configENS1_35radix_sort_onesweep_config_selectorIiiEEZZNS1_29radix_sort_onesweep_iterationIS3_Lb0EN6thrust23THRUST_200600_302600_NS6detail15normal_iteratorINS8_10device_ptrIiEEEESD_SD_SD_jNS0_19identity_decomposerENS1_16block_id_wrapperIjLb0EEEEE10hipError_tT1_PNSt15iterator_traitsISI_E10value_typeET2_T3_PNSJ_ISO_E10value_typeET4_T5_PST_SU_PNS1_23onesweep_lookback_stateEbbT6_jjT7_P12ihipStream_tbENKUlT_T0_SI_SN_E_clISD_SD_SD_SD_EEDaS11_S12_SI_SN_EUlS11_E_NS1_11comp_targetILNS1_3genE10ELNS1_11target_archE1201ELNS1_3gpuE5ELNS1_3repE0EEENS1_47radix_sort_onesweep_sort_config_static_selectorELNS0_4arch9wavefront6targetE0EEEvSI_.num_agpr, 0
	.set _ZN7rocprim17ROCPRIM_400000_NS6detail17trampoline_kernelINS0_14default_configENS1_35radix_sort_onesweep_config_selectorIiiEEZZNS1_29radix_sort_onesweep_iterationIS3_Lb0EN6thrust23THRUST_200600_302600_NS6detail15normal_iteratorINS8_10device_ptrIiEEEESD_SD_SD_jNS0_19identity_decomposerENS1_16block_id_wrapperIjLb0EEEEE10hipError_tT1_PNSt15iterator_traitsISI_E10value_typeET2_T3_PNSJ_ISO_E10value_typeET4_T5_PST_SU_PNS1_23onesweep_lookback_stateEbbT6_jjT7_P12ihipStream_tbENKUlT_T0_SI_SN_E_clISD_SD_SD_SD_EEDaS11_S12_SI_SN_EUlS11_E_NS1_11comp_targetILNS1_3genE10ELNS1_11target_archE1201ELNS1_3gpuE5ELNS1_3repE0EEENS1_47radix_sort_onesweep_sort_config_static_selectorELNS0_4arch9wavefront6targetE0EEEvSI_.numbered_sgpr, 0
	.set _ZN7rocprim17ROCPRIM_400000_NS6detail17trampoline_kernelINS0_14default_configENS1_35radix_sort_onesweep_config_selectorIiiEEZZNS1_29radix_sort_onesweep_iterationIS3_Lb0EN6thrust23THRUST_200600_302600_NS6detail15normal_iteratorINS8_10device_ptrIiEEEESD_SD_SD_jNS0_19identity_decomposerENS1_16block_id_wrapperIjLb0EEEEE10hipError_tT1_PNSt15iterator_traitsISI_E10value_typeET2_T3_PNSJ_ISO_E10value_typeET4_T5_PST_SU_PNS1_23onesweep_lookback_stateEbbT6_jjT7_P12ihipStream_tbENKUlT_T0_SI_SN_E_clISD_SD_SD_SD_EEDaS11_S12_SI_SN_EUlS11_E_NS1_11comp_targetILNS1_3genE10ELNS1_11target_archE1201ELNS1_3gpuE5ELNS1_3repE0EEENS1_47radix_sort_onesweep_sort_config_static_selectorELNS0_4arch9wavefront6targetE0EEEvSI_.num_named_barrier, 0
	.set _ZN7rocprim17ROCPRIM_400000_NS6detail17trampoline_kernelINS0_14default_configENS1_35radix_sort_onesweep_config_selectorIiiEEZZNS1_29radix_sort_onesweep_iterationIS3_Lb0EN6thrust23THRUST_200600_302600_NS6detail15normal_iteratorINS8_10device_ptrIiEEEESD_SD_SD_jNS0_19identity_decomposerENS1_16block_id_wrapperIjLb0EEEEE10hipError_tT1_PNSt15iterator_traitsISI_E10value_typeET2_T3_PNSJ_ISO_E10value_typeET4_T5_PST_SU_PNS1_23onesweep_lookback_stateEbbT6_jjT7_P12ihipStream_tbENKUlT_T0_SI_SN_E_clISD_SD_SD_SD_EEDaS11_S12_SI_SN_EUlS11_E_NS1_11comp_targetILNS1_3genE10ELNS1_11target_archE1201ELNS1_3gpuE5ELNS1_3repE0EEENS1_47radix_sort_onesweep_sort_config_static_selectorELNS0_4arch9wavefront6targetE0EEEvSI_.private_seg_size, 0
	.set _ZN7rocprim17ROCPRIM_400000_NS6detail17trampoline_kernelINS0_14default_configENS1_35radix_sort_onesweep_config_selectorIiiEEZZNS1_29radix_sort_onesweep_iterationIS3_Lb0EN6thrust23THRUST_200600_302600_NS6detail15normal_iteratorINS8_10device_ptrIiEEEESD_SD_SD_jNS0_19identity_decomposerENS1_16block_id_wrapperIjLb0EEEEE10hipError_tT1_PNSt15iterator_traitsISI_E10value_typeET2_T3_PNSJ_ISO_E10value_typeET4_T5_PST_SU_PNS1_23onesweep_lookback_stateEbbT6_jjT7_P12ihipStream_tbENKUlT_T0_SI_SN_E_clISD_SD_SD_SD_EEDaS11_S12_SI_SN_EUlS11_E_NS1_11comp_targetILNS1_3genE10ELNS1_11target_archE1201ELNS1_3gpuE5ELNS1_3repE0EEENS1_47radix_sort_onesweep_sort_config_static_selectorELNS0_4arch9wavefront6targetE0EEEvSI_.uses_vcc, 0
	.set _ZN7rocprim17ROCPRIM_400000_NS6detail17trampoline_kernelINS0_14default_configENS1_35radix_sort_onesweep_config_selectorIiiEEZZNS1_29radix_sort_onesweep_iterationIS3_Lb0EN6thrust23THRUST_200600_302600_NS6detail15normal_iteratorINS8_10device_ptrIiEEEESD_SD_SD_jNS0_19identity_decomposerENS1_16block_id_wrapperIjLb0EEEEE10hipError_tT1_PNSt15iterator_traitsISI_E10value_typeET2_T3_PNSJ_ISO_E10value_typeET4_T5_PST_SU_PNS1_23onesweep_lookback_stateEbbT6_jjT7_P12ihipStream_tbENKUlT_T0_SI_SN_E_clISD_SD_SD_SD_EEDaS11_S12_SI_SN_EUlS11_E_NS1_11comp_targetILNS1_3genE10ELNS1_11target_archE1201ELNS1_3gpuE5ELNS1_3repE0EEENS1_47radix_sort_onesweep_sort_config_static_selectorELNS0_4arch9wavefront6targetE0EEEvSI_.uses_flat_scratch, 0
	.set _ZN7rocprim17ROCPRIM_400000_NS6detail17trampoline_kernelINS0_14default_configENS1_35radix_sort_onesweep_config_selectorIiiEEZZNS1_29radix_sort_onesweep_iterationIS3_Lb0EN6thrust23THRUST_200600_302600_NS6detail15normal_iteratorINS8_10device_ptrIiEEEESD_SD_SD_jNS0_19identity_decomposerENS1_16block_id_wrapperIjLb0EEEEE10hipError_tT1_PNSt15iterator_traitsISI_E10value_typeET2_T3_PNSJ_ISO_E10value_typeET4_T5_PST_SU_PNS1_23onesweep_lookback_stateEbbT6_jjT7_P12ihipStream_tbENKUlT_T0_SI_SN_E_clISD_SD_SD_SD_EEDaS11_S12_SI_SN_EUlS11_E_NS1_11comp_targetILNS1_3genE10ELNS1_11target_archE1201ELNS1_3gpuE5ELNS1_3repE0EEENS1_47radix_sort_onesweep_sort_config_static_selectorELNS0_4arch9wavefront6targetE0EEEvSI_.has_dyn_sized_stack, 0
	.set _ZN7rocprim17ROCPRIM_400000_NS6detail17trampoline_kernelINS0_14default_configENS1_35radix_sort_onesweep_config_selectorIiiEEZZNS1_29radix_sort_onesweep_iterationIS3_Lb0EN6thrust23THRUST_200600_302600_NS6detail15normal_iteratorINS8_10device_ptrIiEEEESD_SD_SD_jNS0_19identity_decomposerENS1_16block_id_wrapperIjLb0EEEEE10hipError_tT1_PNSt15iterator_traitsISI_E10value_typeET2_T3_PNSJ_ISO_E10value_typeET4_T5_PST_SU_PNS1_23onesweep_lookback_stateEbbT6_jjT7_P12ihipStream_tbENKUlT_T0_SI_SN_E_clISD_SD_SD_SD_EEDaS11_S12_SI_SN_EUlS11_E_NS1_11comp_targetILNS1_3genE10ELNS1_11target_archE1201ELNS1_3gpuE5ELNS1_3repE0EEENS1_47radix_sort_onesweep_sort_config_static_selectorELNS0_4arch9wavefront6targetE0EEEvSI_.has_recursion, 0
	.set _ZN7rocprim17ROCPRIM_400000_NS6detail17trampoline_kernelINS0_14default_configENS1_35radix_sort_onesweep_config_selectorIiiEEZZNS1_29radix_sort_onesweep_iterationIS3_Lb0EN6thrust23THRUST_200600_302600_NS6detail15normal_iteratorINS8_10device_ptrIiEEEESD_SD_SD_jNS0_19identity_decomposerENS1_16block_id_wrapperIjLb0EEEEE10hipError_tT1_PNSt15iterator_traitsISI_E10value_typeET2_T3_PNSJ_ISO_E10value_typeET4_T5_PST_SU_PNS1_23onesweep_lookback_stateEbbT6_jjT7_P12ihipStream_tbENKUlT_T0_SI_SN_E_clISD_SD_SD_SD_EEDaS11_S12_SI_SN_EUlS11_E_NS1_11comp_targetILNS1_3genE10ELNS1_11target_archE1201ELNS1_3gpuE5ELNS1_3repE0EEENS1_47radix_sort_onesweep_sort_config_static_selectorELNS0_4arch9wavefront6targetE0EEEvSI_.has_indirect_call, 0
	.section	.AMDGPU.csdata,"",@progbits
; Kernel info:
; codeLenInByte = 0
; TotalNumSgprs: 0
; NumVgprs: 0
; ScratchSize: 0
; MemoryBound: 0
; FloatMode: 240
; IeeeMode: 1
; LDSByteSize: 0 bytes/workgroup (compile time only)
; SGPRBlocks: 0
; VGPRBlocks: 0
; NumSGPRsForWavesPerEU: 1
; NumVGPRsForWavesPerEU: 1
; Occupancy: 16
; WaveLimiterHint : 0
; COMPUTE_PGM_RSRC2:SCRATCH_EN: 0
; COMPUTE_PGM_RSRC2:USER_SGPR: 6
; COMPUTE_PGM_RSRC2:TRAP_HANDLER: 0
; COMPUTE_PGM_RSRC2:TGID_X_EN: 1
; COMPUTE_PGM_RSRC2:TGID_Y_EN: 0
; COMPUTE_PGM_RSRC2:TGID_Z_EN: 0
; COMPUTE_PGM_RSRC2:TIDIG_COMP_CNT: 0
	.section	.text._ZN7rocprim17ROCPRIM_400000_NS6detail17trampoline_kernelINS0_14default_configENS1_35radix_sort_onesweep_config_selectorIiiEEZZNS1_29radix_sort_onesweep_iterationIS3_Lb0EN6thrust23THRUST_200600_302600_NS6detail15normal_iteratorINS8_10device_ptrIiEEEESD_SD_SD_jNS0_19identity_decomposerENS1_16block_id_wrapperIjLb0EEEEE10hipError_tT1_PNSt15iterator_traitsISI_E10value_typeET2_T3_PNSJ_ISO_E10value_typeET4_T5_PST_SU_PNS1_23onesweep_lookback_stateEbbT6_jjT7_P12ihipStream_tbENKUlT_T0_SI_SN_E_clISD_SD_SD_SD_EEDaS11_S12_SI_SN_EUlS11_E_NS1_11comp_targetILNS1_3genE9ELNS1_11target_archE1100ELNS1_3gpuE3ELNS1_3repE0EEENS1_47radix_sort_onesweep_sort_config_static_selectorELNS0_4arch9wavefront6targetE0EEEvSI_,"axG",@progbits,_ZN7rocprim17ROCPRIM_400000_NS6detail17trampoline_kernelINS0_14default_configENS1_35radix_sort_onesweep_config_selectorIiiEEZZNS1_29radix_sort_onesweep_iterationIS3_Lb0EN6thrust23THRUST_200600_302600_NS6detail15normal_iteratorINS8_10device_ptrIiEEEESD_SD_SD_jNS0_19identity_decomposerENS1_16block_id_wrapperIjLb0EEEEE10hipError_tT1_PNSt15iterator_traitsISI_E10value_typeET2_T3_PNSJ_ISO_E10value_typeET4_T5_PST_SU_PNS1_23onesweep_lookback_stateEbbT6_jjT7_P12ihipStream_tbENKUlT_T0_SI_SN_E_clISD_SD_SD_SD_EEDaS11_S12_SI_SN_EUlS11_E_NS1_11comp_targetILNS1_3genE9ELNS1_11target_archE1100ELNS1_3gpuE3ELNS1_3repE0EEENS1_47radix_sort_onesweep_sort_config_static_selectorELNS0_4arch9wavefront6targetE0EEEvSI_,comdat
	.protected	_ZN7rocprim17ROCPRIM_400000_NS6detail17trampoline_kernelINS0_14default_configENS1_35radix_sort_onesweep_config_selectorIiiEEZZNS1_29radix_sort_onesweep_iterationIS3_Lb0EN6thrust23THRUST_200600_302600_NS6detail15normal_iteratorINS8_10device_ptrIiEEEESD_SD_SD_jNS0_19identity_decomposerENS1_16block_id_wrapperIjLb0EEEEE10hipError_tT1_PNSt15iterator_traitsISI_E10value_typeET2_T3_PNSJ_ISO_E10value_typeET4_T5_PST_SU_PNS1_23onesweep_lookback_stateEbbT6_jjT7_P12ihipStream_tbENKUlT_T0_SI_SN_E_clISD_SD_SD_SD_EEDaS11_S12_SI_SN_EUlS11_E_NS1_11comp_targetILNS1_3genE9ELNS1_11target_archE1100ELNS1_3gpuE3ELNS1_3repE0EEENS1_47radix_sort_onesweep_sort_config_static_selectorELNS0_4arch9wavefront6targetE0EEEvSI_ ; -- Begin function _ZN7rocprim17ROCPRIM_400000_NS6detail17trampoline_kernelINS0_14default_configENS1_35radix_sort_onesweep_config_selectorIiiEEZZNS1_29radix_sort_onesweep_iterationIS3_Lb0EN6thrust23THRUST_200600_302600_NS6detail15normal_iteratorINS8_10device_ptrIiEEEESD_SD_SD_jNS0_19identity_decomposerENS1_16block_id_wrapperIjLb0EEEEE10hipError_tT1_PNSt15iterator_traitsISI_E10value_typeET2_T3_PNSJ_ISO_E10value_typeET4_T5_PST_SU_PNS1_23onesweep_lookback_stateEbbT6_jjT7_P12ihipStream_tbENKUlT_T0_SI_SN_E_clISD_SD_SD_SD_EEDaS11_S12_SI_SN_EUlS11_E_NS1_11comp_targetILNS1_3genE9ELNS1_11target_archE1100ELNS1_3gpuE3ELNS1_3repE0EEENS1_47radix_sort_onesweep_sort_config_static_selectorELNS0_4arch9wavefront6targetE0EEEvSI_
	.globl	_ZN7rocprim17ROCPRIM_400000_NS6detail17trampoline_kernelINS0_14default_configENS1_35radix_sort_onesweep_config_selectorIiiEEZZNS1_29radix_sort_onesweep_iterationIS3_Lb0EN6thrust23THRUST_200600_302600_NS6detail15normal_iteratorINS8_10device_ptrIiEEEESD_SD_SD_jNS0_19identity_decomposerENS1_16block_id_wrapperIjLb0EEEEE10hipError_tT1_PNSt15iterator_traitsISI_E10value_typeET2_T3_PNSJ_ISO_E10value_typeET4_T5_PST_SU_PNS1_23onesweep_lookback_stateEbbT6_jjT7_P12ihipStream_tbENKUlT_T0_SI_SN_E_clISD_SD_SD_SD_EEDaS11_S12_SI_SN_EUlS11_E_NS1_11comp_targetILNS1_3genE9ELNS1_11target_archE1100ELNS1_3gpuE3ELNS1_3repE0EEENS1_47radix_sort_onesweep_sort_config_static_selectorELNS0_4arch9wavefront6targetE0EEEvSI_
	.p2align	8
	.type	_ZN7rocprim17ROCPRIM_400000_NS6detail17trampoline_kernelINS0_14default_configENS1_35radix_sort_onesweep_config_selectorIiiEEZZNS1_29radix_sort_onesweep_iterationIS3_Lb0EN6thrust23THRUST_200600_302600_NS6detail15normal_iteratorINS8_10device_ptrIiEEEESD_SD_SD_jNS0_19identity_decomposerENS1_16block_id_wrapperIjLb0EEEEE10hipError_tT1_PNSt15iterator_traitsISI_E10value_typeET2_T3_PNSJ_ISO_E10value_typeET4_T5_PST_SU_PNS1_23onesweep_lookback_stateEbbT6_jjT7_P12ihipStream_tbENKUlT_T0_SI_SN_E_clISD_SD_SD_SD_EEDaS11_S12_SI_SN_EUlS11_E_NS1_11comp_targetILNS1_3genE9ELNS1_11target_archE1100ELNS1_3gpuE3ELNS1_3repE0EEENS1_47radix_sort_onesweep_sort_config_static_selectorELNS0_4arch9wavefront6targetE0EEEvSI_,@function
_ZN7rocprim17ROCPRIM_400000_NS6detail17trampoline_kernelINS0_14default_configENS1_35radix_sort_onesweep_config_selectorIiiEEZZNS1_29radix_sort_onesweep_iterationIS3_Lb0EN6thrust23THRUST_200600_302600_NS6detail15normal_iteratorINS8_10device_ptrIiEEEESD_SD_SD_jNS0_19identity_decomposerENS1_16block_id_wrapperIjLb0EEEEE10hipError_tT1_PNSt15iterator_traitsISI_E10value_typeET2_T3_PNSJ_ISO_E10value_typeET4_T5_PST_SU_PNS1_23onesweep_lookback_stateEbbT6_jjT7_P12ihipStream_tbENKUlT_T0_SI_SN_E_clISD_SD_SD_SD_EEDaS11_S12_SI_SN_EUlS11_E_NS1_11comp_targetILNS1_3genE9ELNS1_11target_archE1100ELNS1_3gpuE3ELNS1_3repE0EEENS1_47radix_sort_onesweep_sort_config_static_selectorELNS0_4arch9wavefront6targetE0EEEvSI_: ; @_ZN7rocprim17ROCPRIM_400000_NS6detail17trampoline_kernelINS0_14default_configENS1_35radix_sort_onesweep_config_selectorIiiEEZZNS1_29radix_sort_onesweep_iterationIS3_Lb0EN6thrust23THRUST_200600_302600_NS6detail15normal_iteratorINS8_10device_ptrIiEEEESD_SD_SD_jNS0_19identity_decomposerENS1_16block_id_wrapperIjLb0EEEEE10hipError_tT1_PNSt15iterator_traitsISI_E10value_typeET2_T3_PNSJ_ISO_E10value_typeET4_T5_PST_SU_PNS1_23onesweep_lookback_stateEbbT6_jjT7_P12ihipStream_tbENKUlT_T0_SI_SN_E_clISD_SD_SD_SD_EEDaS11_S12_SI_SN_EUlS11_E_NS1_11comp_targetILNS1_3genE9ELNS1_11target_archE1100ELNS1_3gpuE3ELNS1_3repE0EEENS1_47radix_sort_onesweep_sort_config_static_selectorELNS0_4arch9wavefront6targetE0EEEvSI_
; %bb.0:
	.section	.rodata,"a",@progbits
	.p2align	6, 0x0
	.amdhsa_kernel _ZN7rocprim17ROCPRIM_400000_NS6detail17trampoline_kernelINS0_14default_configENS1_35radix_sort_onesweep_config_selectorIiiEEZZNS1_29radix_sort_onesweep_iterationIS3_Lb0EN6thrust23THRUST_200600_302600_NS6detail15normal_iteratorINS8_10device_ptrIiEEEESD_SD_SD_jNS0_19identity_decomposerENS1_16block_id_wrapperIjLb0EEEEE10hipError_tT1_PNSt15iterator_traitsISI_E10value_typeET2_T3_PNSJ_ISO_E10value_typeET4_T5_PST_SU_PNS1_23onesweep_lookback_stateEbbT6_jjT7_P12ihipStream_tbENKUlT_T0_SI_SN_E_clISD_SD_SD_SD_EEDaS11_S12_SI_SN_EUlS11_E_NS1_11comp_targetILNS1_3genE9ELNS1_11target_archE1100ELNS1_3gpuE3ELNS1_3repE0EEENS1_47radix_sort_onesweep_sort_config_static_selectorELNS0_4arch9wavefront6targetE0EEEvSI_
		.amdhsa_group_segment_fixed_size 0
		.amdhsa_private_segment_fixed_size 0
		.amdhsa_kernarg_size 88
		.amdhsa_user_sgpr_count 6
		.amdhsa_user_sgpr_private_segment_buffer 1
		.amdhsa_user_sgpr_dispatch_ptr 0
		.amdhsa_user_sgpr_queue_ptr 0
		.amdhsa_user_sgpr_kernarg_segment_ptr 1
		.amdhsa_user_sgpr_dispatch_id 0
		.amdhsa_user_sgpr_flat_scratch_init 0
		.amdhsa_user_sgpr_private_segment_size 0
		.amdhsa_wavefront_size32 1
		.amdhsa_uses_dynamic_stack 0
		.amdhsa_system_sgpr_private_segment_wavefront_offset 0
		.amdhsa_system_sgpr_workgroup_id_x 1
		.amdhsa_system_sgpr_workgroup_id_y 0
		.amdhsa_system_sgpr_workgroup_id_z 0
		.amdhsa_system_sgpr_workgroup_info 0
		.amdhsa_system_vgpr_workitem_id 0
		.amdhsa_next_free_vgpr 1
		.amdhsa_next_free_sgpr 1
		.amdhsa_reserve_vcc 0
		.amdhsa_reserve_flat_scratch 0
		.amdhsa_float_round_mode_32 0
		.amdhsa_float_round_mode_16_64 0
		.amdhsa_float_denorm_mode_32 3
		.amdhsa_float_denorm_mode_16_64 3
		.amdhsa_dx10_clamp 1
		.amdhsa_ieee_mode 1
		.amdhsa_fp16_overflow 0
		.amdhsa_workgroup_processor_mode 1
		.amdhsa_memory_ordered 1
		.amdhsa_forward_progress 1
		.amdhsa_shared_vgpr_count 0
		.amdhsa_exception_fp_ieee_invalid_op 0
		.amdhsa_exception_fp_denorm_src 0
		.amdhsa_exception_fp_ieee_div_zero 0
		.amdhsa_exception_fp_ieee_overflow 0
		.amdhsa_exception_fp_ieee_underflow 0
		.amdhsa_exception_fp_ieee_inexact 0
		.amdhsa_exception_int_div_zero 0
	.end_amdhsa_kernel
	.section	.text._ZN7rocprim17ROCPRIM_400000_NS6detail17trampoline_kernelINS0_14default_configENS1_35radix_sort_onesweep_config_selectorIiiEEZZNS1_29radix_sort_onesweep_iterationIS3_Lb0EN6thrust23THRUST_200600_302600_NS6detail15normal_iteratorINS8_10device_ptrIiEEEESD_SD_SD_jNS0_19identity_decomposerENS1_16block_id_wrapperIjLb0EEEEE10hipError_tT1_PNSt15iterator_traitsISI_E10value_typeET2_T3_PNSJ_ISO_E10value_typeET4_T5_PST_SU_PNS1_23onesweep_lookback_stateEbbT6_jjT7_P12ihipStream_tbENKUlT_T0_SI_SN_E_clISD_SD_SD_SD_EEDaS11_S12_SI_SN_EUlS11_E_NS1_11comp_targetILNS1_3genE9ELNS1_11target_archE1100ELNS1_3gpuE3ELNS1_3repE0EEENS1_47radix_sort_onesweep_sort_config_static_selectorELNS0_4arch9wavefront6targetE0EEEvSI_,"axG",@progbits,_ZN7rocprim17ROCPRIM_400000_NS6detail17trampoline_kernelINS0_14default_configENS1_35radix_sort_onesweep_config_selectorIiiEEZZNS1_29radix_sort_onesweep_iterationIS3_Lb0EN6thrust23THRUST_200600_302600_NS6detail15normal_iteratorINS8_10device_ptrIiEEEESD_SD_SD_jNS0_19identity_decomposerENS1_16block_id_wrapperIjLb0EEEEE10hipError_tT1_PNSt15iterator_traitsISI_E10value_typeET2_T3_PNSJ_ISO_E10value_typeET4_T5_PST_SU_PNS1_23onesweep_lookback_stateEbbT6_jjT7_P12ihipStream_tbENKUlT_T0_SI_SN_E_clISD_SD_SD_SD_EEDaS11_S12_SI_SN_EUlS11_E_NS1_11comp_targetILNS1_3genE9ELNS1_11target_archE1100ELNS1_3gpuE3ELNS1_3repE0EEENS1_47radix_sort_onesweep_sort_config_static_selectorELNS0_4arch9wavefront6targetE0EEEvSI_,comdat
.Lfunc_end856:
	.size	_ZN7rocprim17ROCPRIM_400000_NS6detail17trampoline_kernelINS0_14default_configENS1_35radix_sort_onesweep_config_selectorIiiEEZZNS1_29radix_sort_onesweep_iterationIS3_Lb0EN6thrust23THRUST_200600_302600_NS6detail15normal_iteratorINS8_10device_ptrIiEEEESD_SD_SD_jNS0_19identity_decomposerENS1_16block_id_wrapperIjLb0EEEEE10hipError_tT1_PNSt15iterator_traitsISI_E10value_typeET2_T3_PNSJ_ISO_E10value_typeET4_T5_PST_SU_PNS1_23onesweep_lookback_stateEbbT6_jjT7_P12ihipStream_tbENKUlT_T0_SI_SN_E_clISD_SD_SD_SD_EEDaS11_S12_SI_SN_EUlS11_E_NS1_11comp_targetILNS1_3genE9ELNS1_11target_archE1100ELNS1_3gpuE3ELNS1_3repE0EEENS1_47radix_sort_onesweep_sort_config_static_selectorELNS0_4arch9wavefront6targetE0EEEvSI_, .Lfunc_end856-_ZN7rocprim17ROCPRIM_400000_NS6detail17trampoline_kernelINS0_14default_configENS1_35radix_sort_onesweep_config_selectorIiiEEZZNS1_29radix_sort_onesweep_iterationIS3_Lb0EN6thrust23THRUST_200600_302600_NS6detail15normal_iteratorINS8_10device_ptrIiEEEESD_SD_SD_jNS0_19identity_decomposerENS1_16block_id_wrapperIjLb0EEEEE10hipError_tT1_PNSt15iterator_traitsISI_E10value_typeET2_T3_PNSJ_ISO_E10value_typeET4_T5_PST_SU_PNS1_23onesweep_lookback_stateEbbT6_jjT7_P12ihipStream_tbENKUlT_T0_SI_SN_E_clISD_SD_SD_SD_EEDaS11_S12_SI_SN_EUlS11_E_NS1_11comp_targetILNS1_3genE9ELNS1_11target_archE1100ELNS1_3gpuE3ELNS1_3repE0EEENS1_47radix_sort_onesweep_sort_config_static_selectorELNS0_4arch9wavefront6targetE0EEEvSI_
                                        ; -- End function
	.set _ZN7rocprim17ROCPRIM_400000_NS6detail17trampoline_kernelINS0_14default_configENS1_35radix_sort_onesweep_config_selectorIiiEEZZNS1_29radix_sort_onesweep_iterationIS3_Lb0EN6thrust23THRUST_200600_302600_NS6detail15normal_iteratorINS8_10device_ptrIiEEEESD_SD_SD_jNS0_19identity_decomposerENS1_16block_id_wrapperIjLb0EEEEE10hipError_tT1_PNSt15iterator_traitsISI_E10value_typeET2_T3_PNSJ_ISO_E10value_typeET4_T5_PST_SU_PNS1_23onesweep_lookback_stateEbbT6_jjT7_P12ihipStream_tbENKUlT_T0_SI_SN_E_clISD_SD_SD_SD_EEDaS11_S12_SI_SN_EUlS11_E_NS1_11comp_targetILNS1_3genE9ELNS1_11target_archE1100ELNS1_3gpuE3ELNS1_3repE0EEENS1_47radix_sort_onesweep_sort_config_static_selectorELNS0_4arch9wavefront6targetE0EEEvSI_.num_vgpr, 0
	.set _ZN7rocprim17ROCPRIM_400000_NS6detail17trampoline_kernelINS0_14default_configENS1_35radix_sort_onesweep_config_selectorIiiEEZZNS1_29radix_sort_onesweep_iterationIS3_Lb0EN6thrust23THRUST_200600_302600_NS6detail15normal_iteratorINS8_10device_ptrIiEEEESD_SD_SD_jNS0_19identity_decomposerENS1_16block_id_wrapperIjLb0EEEEE10hipError_tT1_PNSt15iterator_traitsISI_E10value_typeET2_T3_PNSJ_ISO_E10value_typeET4_T5_PST_SU_PNS1_23onesweep_lookback_stateEbbT6_jjT7_P12ihipStream_tbENKUlT_T0_SI_SN_E_clISD_SD_SD_SD_EEDaS11_S12_SI_SN_EUlS11_E_NS1_11comp_targetILNS1_3genE9ELNS1_11target_archE1100ELNS1_3gpuE3ELNS1_3repE0EEENS1_47radix_sort_onesweep_sort_config_static_selectorELNS0_4arch9wavefront6targetE0EEEvSI_.num_agpr, 0
	.set _ZN7rocprim17ROCPRIM_400000_NS6detail17trampoline_kernelINS0_14default_configENS1_35radix_sort_onesweep_config_selectorIiiEEZZNS1_29radix_sort_onesweep_iterationIS3_Lb0EN6thrust23THRUST_200600_302600_NS6detail15normal_iteratorINS8_10device_ptrIiEEEESD_SD_SD_jNS0_19identity_decomposerENS1_16block_id_wrapperIjLb0EEEEE10hipError_tT1_PNSt15iterator_traitsISI_E10value_typeET2_T3_PNSJ_ISO_E10value_typeET4_T5_PST_SU_PNS1_23onesweep_lookback_stateEbbT6_jjT7_P12ihipStream_tbENKUlT_T0_SI_SN_E_clISD_SD_SD_SD_EEDaS11_S12_SI_SN_EUlS11_E_NS1_11comp_targetILNS1_3genE9ELNS1_11target_archE1100ELNS1_3gpuE3ELNS1_3repE0EEENS1_47radix_sort_onesweep_sort_config_static_selectorELNS0_4arch9wavefront6targetE0EEEvSI_.numbered_sgpr, 0
	.set _ZN7rocprim17ROCPRIM_400000_NS6detail17trampoline_kernelINS0_14default_configENS1_35radix_sort_onesweep_config_selectorIiiEEZZNS1_29radix_sort_onesweep_iterationIS3_Lb0EN6thrust23THRUST_200600_302600_NS6detail15normal_iteratorINS8_10device_ptrIiEEEESD_SD_SD_jNS0_19identity_decomposerENS1_16block_id_wrapperIjLb0EEEEE10hipError_tT1_PNSt15iterator_traitsISI_E10value_typeET2_T3_PNSJ_ISO_E10value_typeET4_T5_PST_SU_PNS1_23onesweep_lookback_stateEbbT6_jjT7_P12ihipStream_tbENKUlT_T0_SI_SN_E_clISD_SD_SD_SD_EEDaS11_S12_SI_SN_EUlS11_E_NS1_11comp_targetILNS1_3genE9ELNS1_11target_archE1100ELNS1_3gpuE3ELNS1_3repE0EEENS1_47radix_sort_onesweep_sort_config_static_selectorELNS0_4arch9wavefront6targetE0EEEvSI_.num_named_barrier, 0
	.set _ZN7rocprim17ROCPRIM_400000_NS6detail17trampoline_kernelINS0_14default_configENS1_35radix_sort_onesweep_config_selectorIiiEEZZNS1_29radix_sort_onesweep_iterationIS3_Lb0EN6thrust23THRUST_200600_302600_NS6detail15normal_iteratorINS8_10device_ptrIiEEEESD_SD_SD_jNS0_19identity_decomposerENS1_16block_id_wrapperIjLb0EEEEE10hipError_tT1_PNSt15iterator_traitsISI_E10value_typeET2_T3_PNSJ_ISO_E10value_typeET4_T5_PST_SU_PNS1_23onesweep_lookback_stateEbbT6_jjT7_P12ihipStream_tbENKUlT_T0_SI_SN_E_clISD_SD_SD_SD_EEDaS11_S12_SI_SN_EUlS11_E_NS1_11comp_targetILNS1_3genE9ELNS1_11target_archE1100ELNS1_3gpuE3ELNS1_3repE0EEENS1_47radix_sort_onesweep_sort_config_static_selectorELNS0_4arch9wavefront6targetE0EEEvSI_.private_seg_size, 0
	.set _ZN7rocprim17ROCPRIM_400000_NS6detail17trampoline_kernelINS0_14default_configENS1_35radix_sort_onesweep_config_selectorIiiEEZZNS1_29radix_sort_onesweep_iterationIS3_Lb0EN6thrust23THRUST_200600_302600_NS6detail15normal_iteratorINS8_10device_ptrIiEEEESD_SD_SD_jNS0_19identity_decomposerENS1_16block_id_wrapperIjLb0EEEEE10hipError_tT1_PNSt15iterator_traitsISI_E10value_typeET2_T3_PNSJ_ISO_E10value_typeET4_T5_PST_SU_PNS1_23onesweep_lookback_stateEbbT6_jjT7_P12ihipStream_tbENKUlT_T0_SI_SN_E_clISD_SD_SD_SD_EEDaS11_S12_SI_SN_EUlS11_E_NS1_11comp_targetILNS1_3genE9ELNS1_11target_archE1100ELNS1_3gpuE3ELNS1_3repE0EEENS1_47radix_sort_onesweep_sort_config_static_selectorELNS0_4arch9wavefront6targetE0EEEvSI_.uses_vcc, 0
	.set _ZN7rocprim17ROCPRIM_400000_NS6detail17trampoline_kernelINS0_14default_configENS1_35radix_sort_onesweep_config_selectorIiiEEZZNS1_29radix_sort_onesweep_iterationIS3_Lb0EN6thrust23THRUST_200600_302600_NS6detail15normal_iteratorINS8_10device_ptrIiEEEESD_SD_SD_jNS0_19identity_decomposerENS1_16block_id_wrapperIjLb0EEEEE10hipError_tT1_PNSt15iterator_traitsISI_E10value_typeET2_T3_PNSJ_ISO_E10value_typeET4_T5_PST_SU_PNS1_23onesweep_lookback_stateEbbT6_jjT7_P12ihipStream_tbENKUlT_T0_SI_SN_E_clISD_SD_SD_SD_EEDaS11_S12_SI_SN_EUlS11_E_NS1_11comp_targetILNS1_3genE9ELNS1_11target_archE1100ELNS1_3gpuE3ELNS1_3repE0EEENS1_47radix_sort_onesweep_sort_config_static_selectorELNS0_4arch9wavefront6targetE0EEEvSI_.uses_flat_scratch, 0
	.set _ZN7rocprim17ROCPRIM_400000_NS6detail17trampoline_kernelINS0_14default_configENS1_35radix_sort_onesweep_config_selectorIiiEEZZNS1_29radix_sort_onesweep_iterationIS3_Lb0EN6thrust23THRUST_200600_302600_NS6detail15normal_iteratorINS8_10device_ptrIiEEEESD_SD_SD_jNS0_19identity_decomposerENS1_16block_id_wrapperIjLb0EEEEE10hipError_tT1_PNSt15iterator_traitsISI_E10value_typeET2_T3_PNSJ_ISO_E10value_typeET4_T5_PST_SU_PNS1_23onesweep_lookback_stateEbbT6_jjT7_P12ihipStream_tbENKUlT_T0_SI_SN_E_clISD_SD_SD_SD_EEDaS11_S12_SI_SN_EUlS11_E_NS1_11comp_targetILNS1_3genE9ELNS1_11target_archE1100ELNS1_3gpuE3ELNS1_3repE0EEENS1_47radix_sort_onesweep_sort_config_static_selectorELNS0_4arch9wavefront6targetE0EEEvSI_.has_dyn_sized_stack, 0
	.set _ZN7rocprim17ROCPRIM_400000_NS6detail17trampoline_kernelINS0_14default_configENS1_35radix_sort_onesweep_config_selectorIiiEEZZNS1_29radix_sort_onesweep_iterationIS3_Lb0EN6thrust23THRUST_200600_302600_NS6detail15normal_iteratorINS8_10device_ptrIiEEEESD_SD_SD_jNS0_19identity_decomposerENS1_16block_id_wrapperIjLb0EEEEE10hipError_tT1_PNSt15iterator_traitsISI_E10value_typeET2_T3_PNSJ_ISO_E10value_typeET4_T5_PST_SU_PNS1_23onesweep_lookback_stateEbbT6_jjT7_P12ihipStream_tbENKUlT_T0_SI_SN_E_clISD_SD_SD_SD_EEDaS11_S12_SI_SN_EUlS11_E_NS1_11comp_targetILNS1_3genE9ELNS1_11target_archE1100ELNS1_3gpuE3ELNS1_3repE0EEENS1_47radix_sort_onesweep_sort_config_static_selectorELNS0_4arch9wavefront6targetE0EEEvSI_.has_recursion, 0
	.set _ZN7rocprim17ROCPRIM_400000_NS6detail17trampoline_kernelINS0_14default_configENS1_35radix_sort_onesweep_config_selectorIiiEEZZNS1_29radix_sort_onesweep_iterationIS3_Lb0EN6thrust23THRUST_200600_302600_NS6detail15normal_iteratorINS8_10device_ptrIiEEEESD_SD_SD_jNS0_19identity_decomposerENS1_16block_id_wrapperIjLb0EEEEE10hipError_tT1_PNSt15iterator_traitsISI_E10value_typeET2_T3_PNSJ_ISO_E10value_typeET4_T5_PST_SU_PNS1_23onesweep_lookback_stateEbbT6_jjT7_P12ihipStream_tbENKUlT_T0_SI_SN_E_clISD_SD_SD_SD_EEDaS11_S12_SI_SN_EUlS11_E_NS1_11comp_targetILNS1_3genE9ELNS1_11target_archE1100ELNS1_3gpuE3ELNS1_3repE0EEENS1_47radix_sort_onesweep_sort_config_static_selectorELNS0_4arch9wavefront6targetE0EEEvSI_.has_indirect_call, 0
	.section	.AMDGPU.csdata,"",@progbits
; Kernel info:
; codeLenInByte = 0
; TotalNumSgprs: 0
; NumVgprs: 0
; ScratchSize: 0
; MemoryBound: 0
; FloatMode: 240
; IeeeMode: 1
; LDSByteSize: 0 bytes/workgroup (compile time only)
; SGPRBlocks: 0
; VGPRBlocks: 0
; NumSGPRsForWavesPerEU: 1
; NumVGPRsForWavesPerEU: 1
; Occupancy: 16
; WaveLimiterHint : 0
; COMPUTE_PGM_RSRC2:SCRATCH_EN: 0
; COMPUTE_PGM_RSRC2:USER_SGPR: 6
; COMPUTE_PGM_RSRC2:TRAP_HANDLER: 0
; COMPUTE_PGM_RSRC2:TGID_X_EN: 1
; COMPUTE_PGM_RSRC2:TGID_Y_EN: 0
; COMPUTE_PGM_RSRC2:TGID_Z_EN: 0
; COMPUTE_PGM_RSRC2:TIDIG_COMP_CNT: 0
	.section	.text._ZN7rocprim17ROCPRIM_400000_NS6detail17trampoline_kernelINS0_14default_configENS1_35radix_sort_onesweep_config_selectorIiiEEZZNS1_29radix_sort_onesweep_iterationIS3_Lb0EN6thrust23THRUST_200600_302600_NS6detail15normal_iteratorINS8_10device_ptrIiEEEESD_SD_SD_jNS0_19identity_decomposerENS1_16block_id_wrapperIjLb0EEEEE10hipError_tT1_PNSt15iterator_traitsISI_E10value_typeET2_T3_PNSJ_ISO_E10value_typeET4_T5_PST_SU_PNS1_23onesweep_lookback_stateEbbT6_jjT7_P12ihipStream_tbENKUlT_T0_SI_SN_E_clISD_SD_SD_SD_EEDaS11_S12_SI_SN_EUlS11_E_NS1_11comp_targetILNS1_3genE8ELNS1_11target_archE1030ELNS1_3gpuE2ELNS1_3repE0EEENS1_47radix_sort_onesweep_sort_config_static_selectorELNS0_4arch9wavefront6targetE0EEEvSI_,"axG",@progbits,_ZN7rocprim17ROCPRIM_400000_NS6detail17trampoline_kernelINS0_14default_configENS1_35radix_sort_onesweep_config_selectorIiiEEZZNS1_29radix_sort_onesweep_iterationIS3_Lb0EN6thrust23THRUST_200600_302600_NS6detail15normal_iteratorINS8_10device_ptrIiEEEESD_SD_SD_jNS0_19identity_decomposerENS1_16block_id_wrapperIjLb0EEEEE10hipError_tT1_PNSt15iterator_traitsISI_E10value_typeET2_T3_PNSJ_ISO_E10value_typeET4_T5_PST_SU_PNS1_23onesweep_lookback_stateEbbT6_jjT7_P12ihipStream_tbENKUlT_T0_SI_SN_E_clISD_SD_SD_SD_EEDaS11_S12_SI_SN_EUlS11_E_NS1_11comp_targetILNS1_3genE8ELNS1_11target_archE1030ELNS1_3gpuE2ELNS1_3repE0EEENS1_47radix_sort_onesweep_sort_config_static_selectorELNS0_4arch9wavefront6targetE0EEEvSI_,comdat
	.protected	_ZN7rocprim17ROCPRIM_400000_NS6detail17trampoline_kernelINS0_14default_configENS1_35radix_sort_onesweep_config_selectorIiiEEZZNS1_29radix_sort_onesweep_iterationIS3_Lb0EN6thrust23THRUST_200600_302600_NS6detail15normal_iteratorINS8_10device_ptrIiEEEESD_SD_SD_jNS0_19identity_decomposerENS1_16block_id_wrapperIjLb0EEEEE10hipError_tT1_PNSt15iterator_traitsISI_E10value_typeET2_T3_PNSJ_ISO_E10value_typeET4_T5_PST_SU_PNS1_23onesweep_lookback_stateEbbT6_jjT7_P12ihipStream_tbENKUlT_T0_SI_SN_E_clISD_SD_SD_SD_EEDaS11_S12_SI_SN_EUlS11_E_NS1_11comp_targetILNS1_3genE8ELNS1_11target_archE1030ELNS1_3gpuE2ELNS1_3repE0EEENS1_47radix_sort_onesweep_sort_config_static_selectorELNS0_4arch9wavefront6targetE0EEEvSI_ ; -- Begin function _ZN7rocprim17ROCPRIM_400000_NS6detail17trampoline_kernelINS0_14default_configENS1_35radix_sort_onesweep_config_selectorIiiEEZZNS1_29radix_sort_onesweep_iterationIS3_Lb0EN6thrust23THRUST_200600_302600_NS6detail15normal_iteratorINS8_10device_ptrIiEEEESD_SD_SD_jNS0_19identity_decomposerENS1_16block_id_wrapperIjLb0EEEEE10hipError_tT1_PNSt15iterator_traitsISI_E10value_typeET2_T3_PNSJ_ISO_E10value_typeET4_T5_PST_SU_PNS1_23onesweep_lookback_stateEbbT6_jjT7_P12ihipStream_tbENKUlT_T0_SI_SN_E_clISD_SD_SD_SD_EEDaS11_S12_SI_SN_EUlS11_E_NS1_11comp_targetILNS1_3genE8ELNS1_11target_archE1030ELNS1_3gpuE2ELNS1_3repE0EEENS1_47radix_sort_onesweep_sort_config_static_selectorELNS0_4arch9wavefront6targetE0EEEvSI_
	.globl	_ZN7rocprim17ROCPRIM_400000_NS6detail17trampoline_kernelINS0_14default_configENS1_35radix_sort_onesweep_config_selectorIiiEEZZNS1_29radix_sort_onesweep_iterationIS3_Lb0EN6thrust23THRUST_200600_302600_NS6detail15normal_iteratorINS8_10device_ptrIiEEEESD_SD_SD_jNS0_19identity_decomposerENS1_16block_id_wrapperIjLb0EEEEE10hipError_tT1_PNSt15iterator_traitsISI_E10value_typeET2_T3_PNSJ_ISO_E10value_typeET4_T5_PST_SU_PNS1_23onesweep_lookback_stateEbbT6_jjT7_P12ihipStream_tbENKUlT_T0_SI_SN_E_clISD_SD_SD_SD_EEDaS11_S12_SI_SN_EUlS11_E_NS1_11comp_targetILNS1_3genE8ELNS1_11target_archE1030ELNS1_3gpuE2ELNS1_3repE0EEENS1_47radix_sort_onesweep_sort_config_static_selectorELNS0_4arch9wavefront6targetE0EEEvSI_
	.p2align	8
	.type	_ZN7rocprim17ROCPRIM_400000_NS6detail17trampoline_kernelINS0_14default_configENS1_35radix_sort_onesweep_config_selectorIiiEEZZNS1_29radix_sort_onesweep_iterationIS3_Lb0EN6thrust23THRUST_200600_302600_NS6detail15normal_iteratorINS8_10device_ptrIiEEEESD_SD_SD_jNS0_19identity_decomposerENS1_16block_id_wrapperIjLb0EEEEE10hipError_tT1_PNSt15iterator_traitsISI_E10value_typeET2_T3_PNSJ_ISO_E10value_typeET4_T5_PST_SU_PNS1_23onesweep_lookback_stateEbbT6_jjT7_P12ihipStream_tbENKUlT_T0_SI_SN_E_clISD_SD_SD_SD_EEDaS11_S12_SI_SN_EUlS11_E_NS1_11comp_targetILNS1_3genE8ELNS1_11target_archE1030ELNS1_3gpuE2ELNS1_3repE0EEENS1_47radix_sort_onesweep_sort_config_static_selectorELNS0_4arch9wavefront6targetE0EEEvSI_,@function
_ZN7rocprim17ROCPRIM_400000_NS6detail17trampoline_kernelINS0_14default_configENS1_35radix_sort_onesweep_config_selectorIiiEEZZNS1_29radix_sort_onesweep_iterationIS3_Lb0EN6thrust23THRUST_200600_302600_NS6detail15normal_iteratorINS8_10device_ptrIiEEEESD_SD_SD_jNS0_19identity_decomposerENS1_16block_id_wrapperIjLb0EEEEE10hipError_tT1_PNSt15iterator_traitsISI_E10value_typeET2_T3_PNSJ_ISO_E10value_typeET4_T5_PST_SU_PNS1_23onesweep_lookback_stateEbbT6_jjT7_P12ihipStream_tbENKUlT_T0_SI_SN_E_clISD_SD_SD_SD_EEDaS11_S12_SI_SN_EUlS11_E_NS1_11comp_targetILNS1_3genE8ELNS1_11target_archE1030ELNS1_3gpuE2ELNS1_3repE0EEENS1_47radix_sort_onesweep_sort_config_static_selectorELNS0_4arch9wavefront6targetE0EEEvSI_: ; @_ZN7rocprim17ROCPRIM_400000_NS6detail17trampoline_kernelINS0_14default_configENS1_35radix_sort_onesweep_config_selectorIiiEEZZNS1_29radix_sort_onesweep_iterationIS3_Lb0EN6thrust23THRUST_200600_302600_NS6detail15normal_iteratorINS8_10device_ptrIiEEEESD_SD_SD_jNS0_19identity_decomposerENS1_16block_id_wrapperIjLb0EEEEE10hipError_tT1_PNSt15iterator_traitsISI_E10value_typeET2_T3_PNSJ_ISO_E10value_typeET4_T5_PST_SU_PNS1_23onesweep_lookback_stateEbbT6_jjT7_P12ihipStream_tbENKUlT_T0_SI_SN_E_clISD_SD_SD_SD_EEDaS11_S12_SI_SN_EUlS11_E_NS1_11comp_targetILNS1_3genE8ELNS1_11target_archE1030ELNS1_3gpuE2ELNS1_3repE0EEENS1_47radix_sort_onesweep_sort_config_static_selectorELNS0_4arch9wavefront6targetE0EEEvSI_
; %bb.0:
	s_clause 0x3
	s_load_dwordx4 s[44:47], s[4:5], 0x44
	s_load_dwordx8 s[36:43], s[4:5], 0x0
	s_load_dwordx4 s[28:31], s[4:5], 0x28
	s_load_dwordx2 s[26:27], s[4:5], 0x38
	v_mbcnt_lo_u32_b32 v11, -1, 0
	v_and_b32_e32 v12, 0x3e0, v0
	s_add_u32 s0, s0, s7
	s_addc_u32 s1, s1, 0
	s_mov_b32 s7, -1
	s_mul_i32 s34, s6, 0x3000
	s_waitcnt lgkmcnt(0)
	s_cmp_ge_u32 s6, s46
	s_cbranch_scc0 .LBB857_132
; %bb.1:
	s_load_dword s25, s[4:5], 0x20
	s_mov_b32 s35, 0
	s_mul_i32 s7, s46, 0xffffd000
	v_mul_u32_u24_e32 v3, 12, v12
	v_lshlrev_b32_e32 v13, 2, v11
	s_lshl_b64 s[46:47], s[34:35], 2
	v_mov_b32_e32 v15, -1
	v_mov_b32_e32 v16, -1
	v_lshlrev_b32_e32 v14, 2, v3
	v_or_b32_e32 v5, v11, v3
	s_waitcnt lgkmcnt(0)
	s_add_i32 s25, s25, s7
	s_add_u32 s7, s36, s46
	s_addc_u32 s8, s37, s47
	v_add_co_u32 v3, s7, s7, v13
	v_add_co_ci_u32_e64 v4, null, s8, 0, s7
	v_cmp_gt_u32_e64 s7, s25, v5
	v_add_co_u32 v3, vcc_lo, v3, v14
	v_add_co_ci_u32_e64 v4, null, 0, v4, vcc_lo
	s_and_saveexec_b32 s8, s7
	s_cbranch_execz .LBB857_3
; %bb.2:
	global_load_dword v6, v[3:4], off
	s_waitcnt vmcnt(0)
	v_xor_b32_e32 v16, 0x80000000, v6
.LBB857_3:
	s_or_b32 exec_lo, exec_lo, s8
	v_or_b32_e32 v6, 32, v5
	v_cmp_gt_u32_e64 s8, s25, v6
	s_and_saveexec_b32 s9, s8
	s_cbranch_execz .LBB857_5
; %bb.4:
	global_load_dword v6, v[3:4], off offset:128
	s_waitcnt vmcnt(0)
	v_xor_b32_e32 v15, 0x80000000, v6
.LBB857_5:
	s_or_b32 exec_lo, exec_lo, s9
	v_or_b32_e32 v6, 64, v5
	v_mov_b32_e32 v17, -1
	v_mov_b32_e32 v18, -1
	v_cmp_gt_u32_e64 s9, s25, v6
	s_and_saveexec_b32 s10, s9
	s_cbranch_execz .LBB857_7
; %bb.6:
	global_load_dword v6, v[3:4], off offset:256
	s_waitcnt vmcnt(0)
	v_xor_b32_e32 v18, 0x80000000, v6
.LBB857_7:
	s_or_b32 exec_lo, exec_lo, s10
	v_or_b32_e32 v6, 0x60, v5
	v_cmp_gt_u32_e64 s10, s25, v6
	s_and_saveexec_b32 s11, s10
	s_cbranch_execz .LBB857_9
; %bb.8:
	global_load_dword v6, v[3:4], off offset:384
	s_waitcnt vmcnt(0)
	v_xor_b32_e32 v17, 0x80000000, v6
.LBB857_9:
	s_or_b32 exec_lo, exec_lo, s11
	v_add_nc_u32_e32 v6, 0x80, v5
	v_mov_b32_e32 v19, -1
	v_mov_b32_e32 v20, -1
	v_cmp_gt_u32_e64 s11, s25, v6
	s_and_saveexec_b32 s12, s11
	s_cbranch_execz .LBB857_11
; %bb.10:
	global_load_dword v6, v[3:4], off offset:512
	s_waitcnt vmcnt(0)
	v_xor_b32_e32 v20, 0x80000000, v6
.LBB857_11:
	s_or_b32 exec_lo, exec_lo, s12
	v_add_nc_u32_e32 v6, 0xa0, v5
	v_cmp_gt_u32_e64 s12, s25, v6
	s_and_saveexec_b32 s13, s12
	s_cbranch_execz .LBB857_13
; %bb.12:
	global_load_dword v6, v[3:4], off offset:640
	s_waitcnt vmcnt(0)
	v_xor_b32_e32 v19, 0x80000000, v6
.LBB857_13:
	s_or_b32 exec_lo, exec_lo, s13
	v_add_nc_u32_e32 v6, 0xc0, v5
	v_mov_b32_e32 v21, -1
	v_mov_b32_e32 v22, -1
	v_cmp_gt_u32_e64 s13, s25, v6
	s_and_saveexec_b32 s14, s13
	s_cbranch_execz .LBB857_15
; %bb.14:
	global_load_dword v6, v[3:4], off offset:768
	s_waitcnt vmcnt(0)
	v_xor_b32_e32 v22, 0x80000000, v6
.LBB857_15:
	s_or_b32 exec_lo, exec_lo, s14
	v_add_nc_u32_e32 v6, 0xe0, v5
	;; [unrolled: 22-line block ×4, first 2 shown]
	v_cmp_gt_u32_e64 s18, s25, v5
	s_and_saveexec_b32 s19, s18
	s_cbranch_execz .LBB857_25
; %bb.24:
	global_load_dword v3, v[3:4], off offset:1408
	s_waitcnt vmcnt(0)
	v_xor_b32_e32 v25, 0x80000000, v3
.LBB857_25:
	s_or_b32 exec_lo, exec_lo, s19
	s_clause 0x1
	s_load_dword s19, s[4:5], 0x64
	s_load_dword s33, s[4:5], 0x58
	s_add_u32 s20, s4, 0x58
	s_addc_u32 s21, s5, 0
	v_mov_b32_e32 v5, 0
	v_lshrrev_b32_e32 v4, s44, v16
	s_waitcnt lgkmcnt(0)
	s_lshr_b32 s22, s19, 16
	s_cmp_lt_u32 s6, s33
	s_cselect_b32 s19, 12, 18
	s_add_u32 s20, s20, s19
	s_addc_u32 s21, s21, 0
	s_lshl_b32 s19, -1, s45
	global_load_ushort v3, v5, s[20:21]
	s_not_b32 s35, s19
	v_and_b32_e32 v6, s35, v4
	v_and_b32_e32 v4, 1, v6
	v_lshlrev_b32_e32 v7, 30, v6
	v_lshlrev_b32_e32 v8, 29, v6
	;; [unrolled: 1-line block ×4, first 2 shown]
	v_add_co_u32 v4, s19, v4, -1
	v_cndmask_b32_e64 v10, 0, 1, s19
	v_not_b32_e32 v30, v7
	v_cmp_gt_i32_e64 s19, 0, v7
	v_not_b32_e32 v7, v8
	v_lshlrev_b32_e32 v28, 26, v6
	v_cmp_ne_u32_e32 vcc_lo, 0, v10
	v_ashrrev_i32_e32 v30, 31, v30
	v_lshlrev_b32_e32 v29, 25, v6
	v_ashrrev_i32_e32 v7, 31, v7
	v_lshlrev_b32_e32 v10, 24, v6
	v_xor_b32_e32 v4, vcc_lo, v4
	v_cmp_gt_i32_e32 vcc_lo, 0, v8
	v_not_b32_e32 v8, v9
	v_xor_b32_e32 v30, s19, v30
	v_cmp_gt_i32_e64 s19, 0, v9
	v_and_b32_e32 v4, exec_lo, v4
	v_not_b32_e32 v9, v27
	v_ashrrev_i32_e32 v8, 31, v8
	v_xor_b32_e32 v7, vcc_lo, v7
	v_cmp_gt_i32_e32 vcc_lo, 0, v27
	v_and_b32_e32 v4, v4, v30
	v_not_b32_e32 v27, v28
	v_ashrrev_i32_e32 v9, 31, v9
	v_xor_b32_e32 v8, s19, v8
	v_cmp_gt_i32_e64 s19, 0, v28
	v_and_b32_e32 v4, v4, v7
	v_not_b32_e32 v7, v29
	v_ashrrev_i32_e32 v27, 31, v27
	v_xor_b32_e32 v9, vcc_lo, v9
	v_cmp_gt_i32_e32 vcc_lo, 0, v29
	v_and_b32_e32 v4, v4, v8
	v_not_b32_e32 v8, v10
	v_ashrrev_i32_e32 v7, 31, v7
	v_xor_b32_e32 v27, s19, v27
	v_cmp_gt_i32_e64 s19, 0, v10
	v_and_b32_e32 v4, v4, v9
	v_ashrrev_i32_e32 v8, 31, v8
	v_xor_b32_e32 v7, vcc_lo, v7
	v_mad_u32_u24 v9, v2, s22, v1
	v_mul_lo_u32 v6, 0x84, v6
	v_and_b32_e32 v4, v4, v27
	v_xor_b32_e32 v8, s19, v8
	v_mul_u32_u24_e32 v30, 36, v0
	ds_write2_b32 v30, v5, v5 offset0:32 offset1:33
	ds_write2_b32 v30, v5, v5 offset0:34 offset1:35
	;; [unrolled: 1-line block ×3, first 2 shown]
	v_and_b32_e32 v7, v4, v7
	ds_write2_b32 v30, v5, v5 offset0:38 offset1:39
	ds_write_b32 v30, v5 offset:160
	s_waitcnt vmcnt(0) lgkmcnt(0)
	s_barrier
	buffer_gl0_inv
	; wave barrier
	v_mad_u64_u32 v[3:4], null, v9, v3, v[0:1]
	v_and_b32_e32 v4, v7, v8
	v_mbcnt_lo_u32_b32 v27, v4, 0
	v_lshrrev_b32_e32 v3, 5, v3
	v_cmp_ne_u32_e64 s19, 0, v4
	v_cmp_eq_u32_e32 vcc_lo, 0, v27
	v_lshl_add_u32 v31, v3, 2, v6
	s_and_b32 s20, s19, vcc_lo
	s_and_saveexec_b32 s19, s20
; %bb.26:
	v_bcnt_u32_b32 v4, v4, 0
	ds_write_b32 v31, v4 offset:128
; %bb.27:
	s_or_b32 exec_lo, exec_lo, s19
	v_lshrrev_b32_e32 v4, s44, v15
	; wave barrier
	v_and_b32_e32 v4, s35, v4
	v_and_b32_e32 v6, 1, v4
	v_lshlrev_b32_e32 v7, 30, v4
	v_lshlrev_b32_e32 v8, 29, v4
	;; [unrolled: 1-line block ×4, first 2 shown]
	v_add_co_u32 v6, s19, v6, -1
	v_cndmask_b32_e64 v10, 0, 1, s19
	v_not_b32_e32 v33, v7
	v_cmp_gt_i32_e64 s19, 0, v7
	v_not_b32_e32 v7, v8
	v_lshlrev_b32_e32 v29, 26, v4
	v_cmp_ne_u32_e32 vcc_lo, 0, v10
	v_ashrrev_i32_e32 v10, 31, v33
	v_lshlrev_b32_e32 v32, 25, v4
	v_ashrrev_i32_e32 v7, 31, v7
	v_mul_lo_u32 v5, 0x84, v4
	v_xor_b32_e32 v6, vcc_lo, v6
	v_cmp_gt_i32_e32 vcc_lo, 0, v8
	v_not_b32_e32 v8, v9
	v_xor_b32_e32 v10, s19, v10
	v_cmp_gt_i32_e64 s19, 0, v9
	v_and_b32_e32 v6, exec_lo, v6
	v_not_b32_e32 v9, v28
	v_ashrrev_i32_e32 v8, 31, v8
	v_xor_b32_e32 v7, vcc_lo, v7
	v_cmp_gt_i32_e32 vcc_lo, 0, v28
	v_and_b32_e32 v6, v6, v10
	v_not_b32_e32 v10, v29
	v_ashrrev_i32_e32 v9, 31, v9
	v_xor_b32_e32 v8, s19, v8
	v_lshlrev_b32_e32 v4, 24, v4
	v_and_b32_e32 v6, v6, v7
	v_cmp_gt_i32_e64 s19, 0, v29
	v_not_b32_e32 v7, v32
	v_ashrrev_i32_e32 v10, 31, v10
	v_xor_b32_e32 v9, vcc_lo, v9
	v_and_b32_e32 v6, v6, v8
	v_cmp_gt_i32_e32 vcc_lo, 0, v32
	v_not_b32_e32 v8, v4
	v_ashrrev_i32_e32 v7, 31, v7
	v_xor_b32_e32 v10, s19, v10
	v_and_b32_e32 v6, v6, v9
	v_cmp_gt_i32_e64 s19, 0, v4
	v_ashrrev_i32_e32 v4, 31, v8
	v_xor_b32_e32 v7, vcc_lo, v7
	v_lshl_add_u32 v34, v3, 2, v5
	v_and_b32_e32 v6, v6, v10
	v_xor_b32_e32 v4, s19, v4
	ds_read_b32 v28, v34 offset:128
	v_and_b32_e32 v5, v6, v7
	; wave barrier
	v_and_b32_e32 v4, v5, v4
	v_mbcnt_lo_u32_b32 v29, v4, 0
	v_cmp_ne_u32_e64 s19, 0, v4
	v_cmp_eq_u32_e32 vcc_lo, 0, v29
	s_and_b32 s20, s19, vcc_lo
	s_and_saveexec_b32 s19, s20
	s_cbranch_execz .LBB857_29
; %bb.28:
	s_waitcnt lgkmcnt(0)
	v_bcnt_u32_b32 v4, v4, v28
	ds_write_b32 v34, v4 offset:128
.LBB857_29:
	s_or_b32 exec_lo, exec_lo, s19
	v_lshrrev_b32_e32 v4, s44, v18
	; wave barrier
	v_and_b32_e32 v4, s35, v4
	v_and_b32_e32 v6, 1, v4
	v_lshlrev_b32_e32 v7, 30, v4
	v_lshlrev_b32_e32 v8, 29, v4
	;; [unrolled: 1-line block ×4, first 2 shown]
	v_add_co_u32 v6, s19, v6, -1
	v_cndmask_b32_e64 v10, 0, 1, s19
	v_not_b32_e32 v36, v7
	v_cmp_gt_i32_e64 s19, 0, v7
	v_not_b32_e32 v7, v8
	v_lshlrev_b32_e32 v33, 26, v4
	v_cmp_ne_u32_e32 vcc_lo, 0, v10
	v_ashrrev_i32_e32 v10, 31, v36
	v_lshlrev_b32_e32 v35, 25, v4
	v_ashrrev_i32_e32 v7, 31, v7
	v_mul_lo_u32 v5, 0x84, v4
	v_xor_b32_e32 v6, vcc_lo, v6
	v_cmp_gt_i32_e32 vcc_lo, 0, v8
	v_not_b32_e32 v8, v9
	v_xor_b32_e32 v10, s19, v10
	v_cmp_gt_i32_e64 s19, 0, v9
	v_and_b32_e32 v6, exec_lo, v6
	v_not_b32_e32 v9, v32
	v_ashrrev_i32_e32 v8, 31, v8
	v_xor_b32_e32 v7, vcc_lo, v7
	v_cmp_gt_i32_e32 vcc_lo, 0, v32
	v_and_b32_e32 v6, v6, v10
	v_not_b32_e32 v10, v33
	v_ashrrev_i32_e32 v9, 31, v9
	v_xor_b32_e32 v8, s19, v8
	v_lshlrev_b32_e32 v4, 24, v4
	v_and_b32_e32 v6, v6, v7
	v_cmp_gt_i32_e64 s19, 0, v33
	v_not_b32_e32 v7, v35
	v_ashrrev_i32_e32 v10, 31, v10
	v_xor_b32_e32 v9, vcc_lo, v9
	v_and_b32_e32 v6, v6, v8
	v_cmp_gt_i32_e32 vcc_lo, 0, v35
	v_not_b32_e32 v8, v4
	v_ashrrev_i32_e32 v7, 31, v7
	v_xor_b32_e32 v10, s19, v10
	v_and_b32_e32 v6, v6, v9
	v_cmp_gt_i32_e64 s19, 0, v4
	v_ashrrev_i32_e32 v4, 31, v8
	v_xor_b32_e32 v7, vcc_lo, v7
	v_lshl_add_u32 v37, v3, 2, v5
	v_and_b32_e32 v6, v6, v10
	v_xor_b32_e32 v4, s19, v4
	ds_read_b32 v32, v37 offset:128
	v_and_b32_e32 v5, v6, v7
	; wave barrier
	v_and_b32_e32 v4, v5, v4
	v_mbcnt_lo_u32_b32 v33, v4, 0
	v_cmp_ne_u32_e64 s19, 0, v4
	v_cmp_eq_u32_e32 vcc_lo, 0, v33
	s_and_b32 s20, s19, vcc_lo
	s_and_saveexec_b32 s19, s20
	s_cbranch_execz .LBB857_31
; %bb.30:
	s_waitcnt lgkmcnt(0)
	v_bcnt_u32_b32 v4, v4, v32
	ds_write_b32 v37, v4 offset:128
.LBB857_31:
	s_or_b32 exec_lo, exec_lo, s19
	v_lshrrev_b32_e32 v4, s44, v17
	; wave barrier
	v_and_b32_e32 v4, s35, v4
	v_and_b32_e32 v6, 1, v4
	v_lshlrev_b32_e32 v7, 30, v4
	v_lshlrev_b32_e32 v8, 29, v4
	;; [unrolled: 1-line block ×4, first 2 shown]
	v_add_co_u32 v6, s19, v6, -1
	v_cndmask_b32_e64 v10, 0, 1, s19
	v_not_b32_e32 v39, v7
	v_cmp_gt_i32_e64 s19, 0, v7
	v_not_b32_e32 v7, v8
	v_lshlrev_b32_e32 v36, 26, v4
	v_cmp_ne_u32_e32 vcc_lo, 0, v10
	v_ashrrev_i32_e32 v10, 31, v39
	v_lshlrev_b32_e32 v38, 25, v4
	v_ashrrev_i32_e32 v7, 31, v7
	v_mul_lo_u32 v5, 0x84, v4
	v_xor_b32_e32 v6, vcc_lo, v6
	v_cmp_gt_i32_e32 vcc_lo, 0, v8
	v_not_b32_e32 v8, v9
	v_xor_b32_e32 v10, s19, v10
	v_cmp_gt_i32_e64 s19, 0, v9
	v_and_b32_e32 v6, exec_lo, v6
	v_not_b32_e32 v9, v35
	v_ashrrev_i32_e32 v8, 31, v8
	v_xor_b32_e32 v7, vcc_lo, v7
	v_cmp_gt_i32_e32 vcc_lo, 0, v35
	v_and_b32_e32 v6, v6, v10
	v_not_b32_e32 v10, v36
	v_ashrrev_i32_e32 v9, 31, v9
	v_xor_b32_e32 v8, s19, v8
	v_lshlrev_b32_e32 v4, 24, v4
	v_and_b32_e32 v6, v6, v7
	v_cmp_gt_i32_e64 s19, 0, v36
	v_not_b32_e32 v7, v38
	v_ashrrev_i32_e32 v10, 31, v10
	v_xor_b32_e32 v9, vcc_lo, v9
	v_and_b32_e32 v6, v6, v8
	v_cmp_gt_i32_e32 vcc_lo, 0, v38
	v_not_b32_e32 v8, v4
	v_ashrrev_i32_e32 v7, 31, v7
	v_xor_b32_e32 v10, s19, v10
	v_and_b32_e32 v6, v6, v9
	v_cmp_gt_i32_e64 s19, 0, v4
	v_ashrrev_i32_e32 v4, 31, v8
	v_xor_b32_e32 v7, vcc_lo, v7
	v_lshl_add_u32 v40, v3, 2, v5
	v_and_b32_e32 v6, v6, v10
	v_xor_b32_e32 v4, s19, v4
	ds_read_b32 v35, v40 offset:128
	v_and_b32_e32 v5, v6, v7
	; wave barrier
	v_and_b32_e32 v4, v5, v4
	v_mbcnt_lo_u32_b32 v36, v4, 0
	v_cmp_ne_u32_e64 s19, 0, v4
	v_cmp_eq_u32_e32 vcc_lo, 0, v36
	s_and_b32 s20, s19, vcc_lo
	s_and_saveexec_b32 s19, s20
	s_cbranch_execz .LBB857_33
; %bb.32:
	s_waitcnt lgkmcnt(0)
	v_bcnt_u32_b32 v4, v4, v35
	ds_write_b32 v40, v4 offset:128
.LBB857_33:
	s_or_b32 exec_lo, exec_lo, s19
	v_lshrrev_b32_e32 v4, s44, v20
	; wave barrier
	v_and_b32_e32 v4, s35, v4
	v_and_b32_e32 v6, 1, v4
	v_lshlrev_b32_e32 v7, 30, v4
	v_lshlrev_b32_e32 v8, 29, v4
	;; [unrolled: 1-line block ×4, first 2 shown]
	v_add_co_u32 v6, s19, v6, -1
	v_cndmask_b32_e64 v10, 0, 1, s19
	v_not_b32_e32 v42, v7
	v_cmp_gt_i32_e64 s19, 0, v7
	v_not_b32_e32 v7, v8
	v_lshlrev_b32_e32 v39, 26, v4
	v_cmp_ne_u32_e32 vcc_lo, 0, v10
	v_ashrrev_i32_e32 v10, 31, v42
	v_lshlrev_b32_e32 v41, 25, v4
	v_ashrrev_i32_e32 v7, 31, v7
	v_mul_lo_u32 v5, 0x84, v4
	v_xor_b32_e32 v6, vcc_lo, v6
	v_cmp_gt_i32_e32 vcc_lo, 0, v8
	v_not_b32_e32 v8, v9
	v_xor_b32_e32 v10, s19, v10
	v_cmp_gt_i32_e64 s19, 0, v9
	v_and_b32_e32 v6, exec_lo, v6
	v_not_b32_e32 v9, v38
	v_ashrrev_i32_e32 v8, 31, v8
	v_xor_b32_e32 v7, vcc_lo, v7
	v_cmp_gt_i32_e32 vcc_lo, 0, v38
	v_and_b32_e32 v6, v6, v10
	v_not_b32_e32 v10, v39
	v_ashrrev_i32_e32 v9, 31, v9
	v_xor_b32_e32 v8, s19, v8
	v_lshlrev_b32_e32 v4, 24, v4
	v_and_b32_e32 v6, v6, v7
	v_cmp_gt_i32_e64 s19, 0, v39
	v_not_b32_e32 v7, v41
	v_ashrrev_i32_e32 v10, 31, v10
	v_xor_b32_e32 v9, vcc_lo, v9
	v_and_b32_e32 v6, v6, v8
	v_cmp_gt_i32_e32 vcc_lo, 0, v41
	v_not_b32_e32 v8, v4
	v_ashrrev_i32_e32 v7, 31, v7
	v_xor_b32_e32 v10, s19, v10
	v_and_b32_e32 v6, v6, v9
	v_cmp_gt_i32_e64 s19, 0, v4
	v_ashrrev_i32_e32 v4, 31, v8
	v_xor_b32_e32 v7, vcc_lo, v7
	v_lshl_add_u32 v43, v3, 2, v5
	v_and_b32_e32 v6, v6, v10
	v_xor_b32_e32 v4, s19, v4
	ds_read_b32 v38, v43 offset:128
	v_and_b32_e32 v5, v6, v7
	; wave barrier
	v_and_b32_e32 v4, v5, v4
	v_mbcnt_lo_u32_b32 v39, v4, 0
	v_cmp_ne_u32_e64 s19, 0, v4
	v_cmp_eq_u32_e32 vcc_lo, 0, v39
	s_and_b32 s20, s19, vcc_lo
	s_and_saveexec_b32 s19, s20
	s_cbranch_execz .LBB857_35
; %bb.34:
	s_waitcnt lgkmcnt(0)
	v_bcnt_u32_b32 v4, v4, v38
	ds_write_b32 v43, v4 offset:128
.LBB857_35:
	s_or_b32 exec_lo, exec_lo, s19
	v_lshrrev_b32_e32 v4, s44, v19
	; wave barrier
	v_and_b32_e32 v4, s35, v4
	v_and_b32_e32 v6, 1, v4
	v_lshlrev_b32_e32 v7, 30, v4
	v_lshlrev_b32_e32 v8, 29, v4
	;; [unrolled: 1-line block ×4, first 2 shown]
	v_add_co_u32 v6, s19, v6, -1
	v_cndmask_b32_e64 v10, 0, 1, s19
	v_not_b32_e32 v45, v7
	v_cmp_gt_i32_e64 s19, 0, v7
	v_not_b32_e32 v7, v8
	v_lshlrev_b32_e32 v42, 26, v4
	v_cmp_ne_u32_e32 vcc_lo, 0, v10
	v_ashrrev_i32_e32 v10, 31, v45
	v_lshlrev_b32_e32 v44, 25, v4
	v_ashrrev_i32_e32 v7, 31, v7
	v_mul_lo_u32 v5, 0x84, v4
	v_xor_b32_e32 v6, vcc_lo, v6
	v_cmp_gt_i32_e32 vcc_lo, 0, v8
	v_not_b32_e32 v8, v9
	v_xor_b32_e32 v10, s19, v10
	v_cmp_gt_i32_e64 s19, 0, v9
	v_and_b32_e32 v6, exec_lo, v6
	v_not_b32_e32 v9, v41
	v_ashrrev_i32_e32 v8, 31, v8
	v_xor_b32_e32 v7, vcc_lo, v7
	v_cmp_gt_i32_e32 vcc_lo, 0, v41
	v_and_b32_e32 v6, v6, v10
	v_not_b32_e32 v10, v42
	v_ashrrev_i32_e32 v9, 31, v9
	v_xor_b32_e32 v8, s19, v8
	v_lshlrev_b32_e32 v4, 24, v4
	v_and_b32_e32 v6, v6, v7
	v_cmp_gt_i32_e64 s19, 0, v42
	v_not_b32_e32 v7, v44
	v_ashrrev_i32_e32 v10, 31, v10
	v_xor_b32_e32 v9, vcc_lo, v9
	v_and_b32_e32 v6, v6, v8
	v_cmp_gt_i32_e32 vcc_lo, 0, v44
	v_not_b32_e32 v8, v4
	v_ashrrev_i32_e32 v7, 31, v7
	v_xor_b32_e32 v10, s19, v10
	v_and_b32_e32 v6, v6, v9
	v_cmp_gt_i32_e64 s19, 0, v4
	v_ashrrev_i32_e32 v4, 31, v8
	v_xor_b32_e32 v7, vcc_lo, v7
	v_lshl_add_u32 v46, v3, 2, v5
	v_and_b32_e32 v6, v6, v10
	v_xor_b32_e32 v4, s19, v4
	ds_read_b32 v41, v46 offset:128
	v_and_b32_e32 v5, v6, v7
	; wave barrier
	v_and_b32_e32 v4, v5, v4
	v_mbcnt_lo_u32_b32 v42, v4, 0
	v_cmp_ne_u32_e64 s19, 0, v4
	v_cmp_eq_u32_e32 vcc_lo, 0, v42
	s_and_b32 s20, s19, vcc_lo
	s_and_saveexec_b32 s19, s20
	s_cbranch_execz .LBB857_37
; %bb.36:
	s_waitcnt lgkmcnt(0)
	v_bcnt_u32_b32 v4, v4, v41
	ds_write_b32 v46, v4 offset:128
.LBB857_37:
	s_or_b32 exec_lo, exec_lo, s19
	v_lshrrev_b32_e32 v4, s44, v22
	; wave barrier
	v_and_b32_e32 v4, s35, v4
	v_and_b32_e32 v6, 1, v4
	v_lshlrev_b32_e32 v7, 30, v4
	v_lshlrev_b32_e32 v8, 29, v4
	;; [unrolled: 1-line block ×4, first 2 shown]
	v_add_co_u32 v6, s19, v6, -1
	v_cndmask_b32_e64 v10, 0, 1, s19
	v_not_b32_e32 v48, v7
	v_cmp_gt_i32_e64 s19, 0, v7
	v_not_b32_e32 v7, v8
	v_lshlrev_b32_e32 v45, 26, v4
	v_cmp_ne_u32_e32 vcc_lo, 0, v10
	v_ashrrev_i32_e32 v10, 31, v48
	v_lshlrev_b32_e32 v47, 25, v4
	v_ashrrev_i32_e32 v7, 31, v7
	v_mul_lo_u32 v5, 0x84, v4
	v_xor_b32_e32 v6, vcc_lo, v6
	v_cmp_gt_i32_e32 vcc_lo, 0, v8
	v_not_b32_e32 v8, v9
	v_xor_b32_e32 v10, s19, v10
	v_cmp_gt_i32_e64 s19, 0, v9
	v_and_b32_e32 v6, exec_lo, v6
	v_not_b32_e32 v9, v44
	v_ashrrev_i32_e32 v8, 31, v8
	v_xor_b32_e32 v7, vcc_lo, v7
	v_cmp_gt_i32_e32 vcc_lo, 0, v44
	v_and_b32_e32 v6, v6, v10
	v_not_b32_e32 v10, v45
	v_ashrrev_i32_e32 v9, 31, v9
	v_xor_b32_e32 v8, s19, v8
	v_lshlrev_b32_e32 v4, 24, v4
	v_and_b32_e32 v6, v6, v7
	v_cmp_gt_i32_e64 s19, 0, v45
	v_not_b32_e32 v7, v47
	v_ashrrev_i32_e32 v10, 31, v10
	v_xor_b32_e32 v9, vcc_lo, v9
	v_and_b32_e32 v6, v6, v8
	v_cmp_gt_i32_e32 vcc_lo, 0, v47
	v_not_b32_e32 v8, v4
	v_ashrrev_i32_e32 v7, 31, v7
	v_xor_b32_e32 v10, s19, v10
	v_and_b32_e32 v6, v6, v9
	v_cmp_gt_i32_e64 s19, 0, v4
	v_ashrrev_i32_e32 v4, 31, v8
	v_xor_b32_e32 v7, vcc_lo, v7
	v_lshl_add_u32 v49, v3, 2, v5
	v_and_b32_e32 v6, v6, v10
	v_xor_b32_e32 v4, s19, v4
	ds_read_b32 v44, v49 offset:128
	v_and_b32_e32 v5, v6, v7
	; wave barrier
	v_and_b32_e32 v4, v5, v4
	v_mbcnt_lo_u32_b32 v45, v4, 0
	v_cmp_ne_u32_e64 s19, 0, v4
	v_cmp_eq_u32_e32 vcc_lo, 0, v45
	s_and_b32 s20, s19, vcc_lo
	s_and_saveexec_b32 s19, s20
	s_cbranch_execz .LBB857_39
; %bb.38:
	s_waitcnt lgkmcnt(0)
	v_bcnt_u32_b32 v4, v4, v44
	ds_write_b32 v49, v4 offset:128
.LBB857_39:
	s_or_b32 exec_lo, exec_lo, s19
	v_lshrrev_b32_e32 v4, s44, v21
	; wave barrier
	v_and_b32_e32 v4, s35, v4
	v_and_b32_e32 v6, 1, v4
	v_lshlrev_b32_e32 v7, 30, v4
	v_lshlrev_b32_e32 v8, 29, v4
	;; [unrolled: 1-line block ×4, first 2 shown]
	v_add_co_u32 v6, s19, v6, -1
	v_cndmask_b32_e64 v10, 0, 1, s19
	v_not_b32_e32 v51, v7
	v_cmp_gt_i32_e64 s19, 0, v7
	v_not_b32_e32 v7, v8
	v_lshlrev_b32_e32 v48, 26, v4
	v_cmp_ne_u32_e32 vcc_lo, 0, v10
	v_ashrrev_i32_e32 v10, 31, v51
	v_lshlrev_b32_e32 v50, 25, v4
	v_ashrrev_i32_e32 v7, 31, v7
	v_mul_lo_u32 v5, 0x84, v4
	v_xor_b32_e32 v6, vcc_lo, v6
	v_cmp_gt_i32_e32 vcc_lo, 0, v8
	v_not_b32_e32 v8, v9
	v_xor_b32_e32 v10, s19, v10
	v_cmp_gt_i32_e64 s19, 0, v9
	v_and_b32_e32 v6, exec_lo, v6
	v_not_b32_e32 v9, v47
	v_ashrrev_i32_e32 v8, 31, v8
	v_xor_b32_e32 v7, vcc_lo, v7
	v_cmp_gt_i32_e32 vcc_lo, 0, v47
	v_and_b32_e32 v6, v6, v10
	v_not_b32_e32 v10, v48
	v_ashrrev_i32_e32 v9, 31, v9
	v_xor_b32_e32 v8, s19, v8
	v_lshlrev_b32_e32 v4, 24, v4
	v_and_b32_e32 v6, v6, v7
	v_cmp_gt_i32_e64 s19, 0, v48
	v_not_b32_e32 v7, v50
	v_ashrrev_i32_e32 v10, 31, v10
	v_xor_b32_e32 v9, vcc_lo, v9
	v_and_b32_e32 v6, v6, v8
	v_cmp_gt_i32_e32 vcc_lo, 0, v50
	v_not_b32_e32 v8, v4
	v_ashrrev_i32_e32 v7, 31, v7
	v_xor_b32_e32 v10, s19, v10
	v_and_b32_e32 v6, v6, v9
	v_cmp_gt_i32_e64 s19, 0, v4
	v_ashrrev_i32_e32 v4, 31, v8
	v_xor_b32_e32 v7, vcc_lo, v7
	v_lshl_add_u32 v52, v3, 2, v5
	v_and_b32_e32 v6, v6, v10
	v_xor_b32_e32 v4, s19, v4
	ds_read_b32 v47, v52 offset:128
	v_and_b32_e32 v5, v6, v7
	; wave barrier
	v_and_b32_e32 v4, v5, v4
	v_mbcnt_lo_u32_b32 v48, v4, 0
	v_cmp_ne_u32_e64 s19, 0, v4
	v_cmp_eq_u32_e32 vcc_lo, 0, v48
	s_and_b32 s20, s19, vcc_lo
	s_and_saveexec_b32 s19, s20
	s_cbranch_execz .LBB857_41
; %bb.40:
	s_waitcnt lgkmcnt(0)
	v_bcnt_u32_b32 v4, v4, v47
	ds_write_b32 v52, v4 offset:128
.LBB857_41:
	s_or_b32 exec_lo, exec_lo, s19
	v_lshrrev_b32_e32 v4, s44, v24
	; wave barrier
	v_and_b32_e32 v4, s35, v4
	v_and_b32_e32 v6, 1, v4
	v_lshlrev_b32_e32 v7, 30, v4
	v_lshlrev_b32_e32 v8, 29, v4
	;; [unrolled: 1-line block ×4, first 2 shown]
	v_add_co_u32 v6, s19, v6, -1
	v_cndmask_b32_e64 v10, 0, 1, s19
	v_not_b32_e32 v54, v7
	v_cmp_gt_i32_e64 s19, 0, v7
	v_not_b32_e32 v7, v8
	v_lshlrev_b32_e32 v51, 26, v4
	v_cmp_ne_u32_e32 vcc_lo, 0, v10
	v_ashrrev_i32_e32 v10, 31, v54
	v_lshlrev_b32_e32 v53, 25, v4
	v_ashrrev_i32_e32 v7, 31, v7
	v_mul_lo_u32 v5, 0x84, v4
	v_xor_b32_e32 v6, vcc_lo, v6
	v_cmp_gt_i32_e32 vcc_lo, 0, v8
	v_not_b32_e32 v8, v9
	v_xor_b32_e32 v10, s19, v10
	v_cmp_gt_i32_e64 s19, 0, v9
	v_and_b32_e32 v6, exec_lo, v6
	v_not_b32_e32 v9, v50
	v_ashrrev_i32_e32 v8, 31, v8
	v_xor_b32_e32 v7, vcc_lo, v7
	v_cmp_gt_i32_e32 vcc_lo, 0, v50
	v_and_b32_e32 v6, v6, v10
	v_not_b32_e32 v10, v51
	v_ashrrev_i32_e32 v9, 31, v9
	v_xor_b32_e32 v8, s19, v8
	v_lshlrev_b32_e32 v4, 24, v4
	v_and_b32_e32 v6, v6, v7
	v_cmp_gt_i32_e64 s19, 0, v51
	v_not_b32_e32 v7, v53
	v_ashrrev_i32_e32 v10, 31, v10
	v_xor_b32_e32 v9, vcc_lo, v9
	v_and_b32_e32 v6, v6, v8
	v_cmp_gt_i32_e32 vcc_lo, 0, v53
	v_not_b32_e32 v8, v4
	v_ashrrev_i32_e32 v7, 31, v7
	v_xor_b32_e32 v10, s19, v10
	v_and_b32_e32 v6, v6, v9
	v_cmp_gt_i32_e64 s19, 0, v4
	v_ashrrev_i32_e32 v4, 31, v8
	v_xor_b32_e32 v7, vcc_lo, v7
	v_lshl_add_u32 v55, v3, 2, v5
	v_and_b32_e32 v6, v6, v10
	v_xor_b32_e32 v4, s19, v4
	ds_read_b32 v50, v55 offset:128
	v_and_b32_e32 v5, v6, v7
	; wave barrier
	v_and_b32_e32 v4, v5, v4
	v_mbcnt_lo_u32_b32 v51, v4, 0
	v_cmp_ne_u32_e64 s19, 0, v4
	v_cmp_eq_u32_e32 vcc_lo, 0, v51
	s_and_b32 s20, s19, vcc_lo
	s_and_saveexec_b32 s19, s20
	s_cbranch_execz .LBB857_43
; %bb.42:
	s_waitcnt lgkmcnt(0)
	v_bcnt_u32_b32 v4, v4, v50
	ds_write_b32 v55, v4 offset:128
.LBB857_43:
	s_or_b32 exec_lo, exec_lo, s19
	v_lshrrev_b32_e32 v4, s44, v23
	; wave barrier
	v_and_b32_e32 v4, s35, v4
	v_and_b32_e32 v6, 1, v4
	v_lshlrev_b32_e32 v7, 30, v4
	v_lshlrev_b32_e32 v8, 29, v4
	;; [unrolled: 1-line block ×4, first 2 shown]
	v_add_co_u32 v6, s19, v6, -1
	v_cndmask_b32_e64 v10, 0, 1, s19
	v_not_b32_e32 v57, v7
	v_cmp_gt_i32_e64 s19, 0, v7
	v_not_b32_e32 v7, v8
	v_lshlrev_b32_e32 v54, 26, v4
	v_cmp_ne_u32_e32 vcc_lo, 0, v10
	v_ashrrev_i32_e32 v10, 31, v57
	v_lshlrev_b32_e32 v56, 25, v4
	v_ashrrev_i32_e32 v7, 31, v7
	v_mul_lo_u32 v5, 0x84, v4
	v_xor_b32_e32 v6, vcc_lo, v6
	v_cmp_gt_i32_e32 vcc_lo, 0, v8
	v_not_b32_e32 v8, v9
	v_xor_b32_e32 v10, s19, v10
	v_cmp_gt_i32_e64 s19, 0, v9
	v_and_b32_e32 v6, exec_lo, v6
	v_not_b32_e32 v9, v53
	v_ashrrev_i32_e32 v8, 31, v8
	v_xor_b32_e32 v7, vcc_lo, v7
	v_cmp_gt_i32_e32 vcc_lo, 0, v53
	v_and_b32_e32 v6, v6, v10
	v_not_b32_e32 v10, v54
	v_ashrrev_i32_e32 v9, 31, v9
	v_xor_b32_e32 v8, s19, v8
	v_lshlrev_b32_e32 v4, 24, v4
	v_and_b32_e32 v6, v6, v7
	v_cmp_gt_i32_e64 s19, 0, v54
	v_not_b32_e32 v7, v56
	v_ashrrev_i32_e32 v10, 31, v10
	v_xor_b32_e32 v9, vcc_lo, v9
	v_and_b32_e32 v6, v6, v8
	v_cmp_gt_i32_e32 vcc_lo, 0, v56
	v_not_b32_e32 v8, v4
	v_ashrrev_i32_e32 v7, 31, v7
	v_xor_b32_e32 v10, s19, v10
	v_and_b32_e32 v6, v6, v9
	v_cmp_gt_i32_e64 s19, 0, v4
	v_ashrrev_i32_e32 v4, 31, v8
	v_xor_b32_e32 v7, vcc_lo, v7
	v_lshl_add_u32 v58, v3, 2, v5
	v_and_b32_e32 v6, v6, v10
	v_xor_b32_e32 v4, s19, v4
	ds_read_b32 v53, v58 offset:128
	v_and_b32_e32 v5, v6, v7
	; wave barrier
	v_and_b32_e32 v4, v5, v4
	v_mbcnt_lo_u32_b32 v54, v4, 0
	v_cmp_ne_u32_e64 s19, 0, v4
	v_cmp_eq_u32_e32 vcc_lo, 0, v54
	s_and_b32 s20, s19, vcc_lo
	s_and_saveexec_b32 s19, s20
	s_cbranch_execz .LBB857_45
; %bb.44:
	s_waitcnt lgkmcnt(0)
	v_bcnt_u32_b32 v4, v4, v53
	ds_write_b32 v58, v4 offset:128
.LBB857_45:
	s_or_b32 exec_lo, exec_lo, s19
	v_lshrrev_b32_e32 v4, s44, v26
	; wave barrier
	v_and_b32_e32 v4, s35, v4
	v_and_b32_e32 v6, 1, v4
	v_lshlrev_b32_e32 v7, 30, v4
	v_lshlrev_b32_e32 v8, 29, v4
	;; [unrolled: 1-line block ×4, first 2 shown]
	v_add_co_u32 v6, s19, v6, -1
	v_cndmask_b32_e64 v10, 0, 1, s19
	v_not_b32_e32 v60, v7
	v_cmp_gt_i32_e64 s19, 0, v7
	v_not_b32_e32 v7, v8
	v_lshlrev_b32_e32 v57, 26, v4
	v_cmp_ne_u32_e32 vcc_lo, 0, v10
	v_ashrrev_i32_e32 v10, 31, v60
	v_lshlrev_b32_e32 v59, 25, v4
	v_ashrrev_i32_e32 v7, 31, v7
	v_mul_lo_u32 v5, 0x84, v4
	v_xor_b32_e32 v6, vcc_lo, v6
	v_cmp_gt_i32_e32 vcc_lo, 0, v8
	v_not_b32_e32 v8, v9
	v_xor_b32_e32 v10, s19, v10
	v_cmp_gt_i32_e64 s19, 0, v9
	v_and_b32_e32 v6, exec_lo, v6
	v_not_b32_e32 v9, v56
	v_ashrrev_i32_e32 v8, 31, v8
	v_xor_b32_e32 v7, vcc_lo, v7
	v_cmp_gt_i32_e32 vcc_lo, 0, v56
	v_and_b32_e32 v6, v6, v10
	v_not_b32_e32 v10, v57
	v_ashrrev_i32_e32 v9, 31, v9
	v_xor_b32_e32 v8, s19, v8
	v_lshlrev_b32_e32 v4, 24, v4
	v_and_b32_e32 v6, v6, v7
	v_cmp_gt_i32_e64 s19, 0, v57
	v_not_b32_e32 v7, v59
	v_ashrrev_i32_e32 v10, 31, v10
	v_xor_b32_e32 v9, vcc_lo, v9
	v_and_b32_e32 v6, v6, v8
	v_cmp_gt_i32_e32 vcc_lo, 0, v59
	v_not_b32_e32 v8, v4
	v_ashrrev_i32_e32 v7, 31, v7
	v_xor_b32_e32 v10, s19, v10
	v_and_b32_e32 v6, v6, v9
	v_cmp_gt_i32_e64 s19, 0, v4
	v_ashrrev_i32_e32 v4, 31, v8
	v_xor_b32_e32 v7, vcc_lo, v7
	v_lshl_add_u32 v61, v3, 2, v5
	v_and_b32_e32 v6, v6, v10
	v_xor_b32_e32 v4, s19, v4
	ds_read_b32 v56, v61 offset:128
	v_and_b32_e32 v5, v6, v7
	; wave barrier
	v_and_b32_e32 v4, v5, v4
	v_mbcnt_lo_u32_b32 v57, v4, 0
	v_cmp_ne_u32_e64 s19, 0, v4
	v_cmp_eq_u32_e32 vcc_lo, 0, v57
	s_and_b32 s20, s19, vcc_lo
	s_and_saveexec_b32 s19, s20
	s_cbranch_execz .LBB857_47
; %bb.46:
	s_waitcnt lgkmcnt(0)
	v_bcnt_u32_b32 v4, v4, v56
	ds_write_b32 v61, v4 offset:128
.LBB857_47:
	s_or_b32 exec_lo, exec_lo, s19
	v_lshrrev_b32_e32 v4, s44, v25
	; wave barrier
	v_and_b32_e32 v4, s35, v4
	v_and_b32_e32 v6, 1, v4
	v_lshlrev_b32_e32 v7, 30, v4
	v_lshlrev_b32_e32 v8, 29, v4
	;; [unrolled: 1-line block ×4, first 2 shown]
	v_add_co_u32 v6, s19, v6, -1
	v_cndmask_b32_e64 v10, 0, 1, s19
	v_not_b32_e32 v63, v7
	v_cmp_gt_i32_e64 s19, 0, v7
	v_not_b32_e32 v7, v8
	v_lshlrev_b32_e32 v60, 26, v4
	v_cmp_ne_u32_e32 vcc_lo, 0, v10
	v_ashrrev_i32_e32 v10, 31, v63
	v_lshlrev_b32_e32 v62, 25, v4
	v_ashrrev_i32_e32 v7, 31, v7
	v_mul_lo_u32 v5, 0x84, v4
	v_xor_b32_e32 v6, vcc_lo, v6
	v_cmp_gt_i32_e32 vcc_lo, 0, v8
	v_not_b32_e32 v8, v9
	v_xor_b32_e32 v10, s19, v10
	v_cmp_gt_i32_e64 s19, 0, v9
	v_and_b32_e32 v6, exec_lo, v6
	v_not_b32_e32 v9, v59
	v_ashrrev_i32_e32 v8, 31, v8
	v_xor_b32_e32 v7, vcc_lo, v7
	v_cmp_gt_i32_e32 vcc_lo, 0, v59
	v_and_b32_e32 v6, v6, v10
	v_not_b32_e32 v10, v60
	v_ashrrev_i32_e32 v9, 31, v9
	v_xor_b32_e32 v8, s19, v8
	v_lshlrev_b32_e32 v4, 24, v4
	v_and_b32_e32 v6, v6, v7
	v_cmp_gt_i32_e64 s19, 0, v60
	v_not_b32_e32 v7, v62
	v_ashrrev_i32_e32 v10, 31, v10
	v_xor_b32_e32 v9, vcc_lo, v9
	v_and_b32_e32 v6, v6, v8
	v_cmp_gt_i32_e32 vcc_lo, 0, v62
	v_not_b32_e32 v8, v4
	v_ashrrev_i32_e32 v7, 31, v7
	v_xor_b32_e32 v10, s19, v10
	v_and_b32_e32 v6, v6, v9
	v_cmp_gt_i32_e64 s19, 0, v4
	v_ashrrev_i32_e32 v4, 31, v8
	v_xor_b32_e32 v7, vcc_lo, v7
	v_lshl_add_u32 v62, v3, 2, v5
	v_and_b32_e32 v6, v6, v10
	v_xor_b32_e32 v3, s19, v4
	ds_read_b32 v59, v62 offset:128
	v_and_b32_e32 v4, v6, v7
	; wave barrier
	v_and_b32_e32 v3, v4, v3
	v_mbcnt_lo_u32_b32 v60, v3, 0
	v_cmp_ne_u32_e64 s19, 0, v3
	v_cmp_eq_u32_e32 vcc_lo, 0, v60
	s_and_b32 s20, s19, vcc_lo
	s_and_saveexec_b32 s19, s20
	s_cbranch_execz .LBB857_49
; %bb.48:
	s_waitcnt lgkmcnt(0)
	v_bcnt_u32_b32 v3, v3, v59
	ds_write_b32 v62, v3 offset:128
.LBB857_49:
	s_or_b32 exec_lo, exec_lo, s19
	; wave barrier
	s_waitcnt lgkmcnt(0)
	s_barrier
	buffer_gl0_inv
	ds_read2_b32 v[9:10], v30 offset0:32 offset1:33
	ds_read2_b32 v[7:8], v30 offset0:34 offset1:35
	;; [unrolled: 1-line block ×4, first 2 shown]
	ds_read_b32 v63, v30 offset:160
	v_and_b32_e32 v66, 16, v11
	v_and_b32_e32 v67, 31, v0
	s_mov_b32 s24, exec_lo
	v_cmp_eq_u32_e64 s22, 0, v66
	s_waitcnt lgkmcnt(3)
	v_add3_u32 v64, v10, v9, v7
	s_waitcnt lgkmcnt(2)
	v_add3_u32 v64, v64, v8, v5
	;; [unrolled: 2-line block ×4, first 2 shown]
	v_and_b32_e32 v64, 15, v11
	v_mov_b32_dpp v65, v63 row_shr:1 row_mask:0xf bank_mask:0xf
	v_cmp_eq_u32_e32 vcc_lo, 0, v64
	v_cmp_lt_u32_e64 s19, 1, v64
	v_cmp_lt_u32_e64 s20, 3, v64
	;; [unrolled: 1-line block ×3, first 2 shown]
	v_cndmask_b32_e64 v65, v65, 0, vcc_lo
	v_add_nc_u32_e32 v63, v65, v63
	v_mov_b32_dpp v65, v63 row_shr:2 row_mask:0xf bank_mask:0xf
	v_cndmask_b32_e64 v65, 0, v65, s19
	v_add_nc_u32_e32 v63, v63, v65
	v_mov_b32_dpp v65, v63 row_shr:4 row_mask:0xf bank_mask:0xf
	v_cndmask_b32_e64 v65, 0, v65, s20
	;; [unrolled: 3-line block ×3, first 2 shown]
	v_bfe_i32 v65, v11, 4, 1
	v_add_nc_u32_e32 v63, v63, v64
	ds_swizzle_b32 v64, v63 offset:swizzle(BROADCAST,32,15)
	s_waitcnt lgkmcnt(0)
	v_and_b32_e32 v65, v65, v64
	v_lshrrev_b32_e32 v64, 5, v0
	v_add_nc_u32_e32 v63, v63, v65
	v_cmpx_eq_u32_e32 31, v67
; %bb.50:
	v_lshlrev_b32_e32 v65, 2, v64
	ds_write_b32 v65, v63
; %bb.51:
	s_or_b32 exec_lo, exec_lo, s24
	v_cmp_lt_u32_e64 s23, 31, v0
	s_mov_b32 s48, exec_lo
	s_waitcnt lgkmcnt(0)
	s_barrier
	buffer_gl0_inv
	v_cmpx_gt_u32_e32 32, v0
	s_cbranch_execz .LBB857_53
; %bb.52:
	v_lshlrev_b32_e32 v65, 2, v0
	ds_read_b32 v66, v65
	s_waitcnt lgkmcnt(0)
	v_mov_b32_dpp v67, v66 row_shr:1 row_mask:0xf bank_mask:0xf
	v_cndmask_b32_e64 v67, v67, 0, vcc_lo
	v_add_nc_u32_e32 v66, v67, v66
	v_mov_b32_dpp v67, v66 row_shr:2 row_mask:0xf bank_mask:0xf
	v_cndmask_b32_e64 v67, 0, v67, s19
	v_add_nc_u32_e32 v66, v66, v67
	v_mov_b32_dpp v67, v66 row_shr:4 row_mask:0xf bank_mask:0xf
	v_cndmask_b32_e64 v67, 0, v67, s20
	;; [unrolled: 3-line block ×3, first 2 shown]
	v_add_nc_u32_e32 v66, v66, v67
	ds_swizzle_b32 v67, v66 offset:swizzle(BROADCAST,32,15)
	s_waitcnt lgkmcnt(0)
	v_cndmask_b32_e64 v67, v67, 0, s22
	v_add_nc_u32_e32 v66, v66, v67
	ds_write_b32 v65, v66
.LBB857_53:
	s_or_b32 exec_lo, exec_lo, s48
	v_mov_b32_e32 v65, 0
	s_waitcnt lgkmcnt(0)
	s_barrier
	buffer_gl0_inv
	s_and_saveexec_b32 s19, s23
; %bb.54:
	v_lshl_add_u32 v64, v64, 2, -4
	ds_read_b32 v65, v64
; %bb.55:
	s_or_b32 exec_lo, exec_lo, s19
	v_sub_co_u32 v64, vcc_lo, v11, 1
	s_waitcnt lgkmcnt(0)
	v_add_nc_u32_e32 v63, v65, v63
	v_cmp_gt_i32_e64 s19, 0, v64
	v_cndmask_b32_e64 v64, v64, v11, s19
	v_cmp_lt_u32_e64 s19, 0xff, v0
	v_lshlrev_b32_e32 v64, 2, v64
	ds_bpermute_b32 v63, v64, v63
	s_waitcnt lgkmcnt(0)
	v_cndmask_b32_e32 v63, v63, v65, vcc_lo
	v_cmp_ne_u32_e32 vcc_lo, 0, v0
	v_cndmask_b32_e32 v63, 0, v63, vcc_lo
	v_cmp_gt_u32_e32 vcc_lo, 0x100, v0
	v_add_nc_u32_e32 v9, v63, v9
	v_add_nc_u32_e32 v10, v9, v10
	;; [unrolled: 1-line block ×8, first 2 shown]
	ds_write2_b32 v30, v63, v9 offset0:32 offset1:33
	ds_write2_b32 v30, v10, v7 offset0:34 offset1:35
	;; [unrolled: 1-line block ×4, first 2 shown]
	ds_write_b32 v30, v4 offset:160
	s_waitcnt lgkmcnt(0)
	s_barrier
	buffer_gl0_inv
	ds_read_b32 v31, v31 offset:128
	ds_read_b32 v34, v34 offset:128
	;; [unrolled: 1-line block ×12, first 2 shown]
                                        ; implicit-def: $vgpr9
                                        ; implicit-def: $vgpr10
	s_and_saveexec_b32 s21, vcc_lo
	s_cbranch_execz .LBB857_59
; %bb.56:
	v_mul_u32_u24_e32 v3, 0x84, v0
	v_add_nc_u32_e32 v4, 1, v0
	s_mov_b32 s22, exec_lo
	ds_read_b32 v9, v3 offset:128
	v_mov_b32_e32 v3, 0x3000
	v_cmpx_ne_u32_e32 0x100, v4
; %bb.57:
	v_mul_u32_u24_e32 v3, 0x84, v4
	ds_read_b32 v3, v3 offset:128
; %bb.58:
	s_or_b32 exec_lo, exec_lo, s22
	s_waitcnt lgkmcnt(0)
	v_sub_nc_u32_e32 v10, v3, v9
.LBB857_59:
	s_or_b32 exec_lo, exec_lo, s21
	v_mov_b32_e32 v4, 0
	v_lshlrev_b32_e32 v30, 2, v0
	s_waitcnt lgkmcnt(0)
	s_barrier
	buffer_gl0_inv
	s_and_saveexec_b32 s20, vcc_lo
	s_cbranch_execz .LBB857_69
; %bb.60:
	v_lshl_add_u32 v3, s6, 8, v0
	v_mov_b32_e32 v63, 0
	s_mov_b32 s21, 0
	s_mov_b32 s22, s6
                                        ; implicit-def: $sgpr23
	v_lshlrev_b64 v[5:6], 2, v[3:4]
	v_or_b32_e32 v3, 2.0, v10
	v_add_co_u32 v5, vcc_lo, s26, v5
	v_add_co_ci_u32_e64 v6, null, s27, v6, vcc_lo
	global_store_dword v[5:6], v3, off
	s_branch .LBB857_63
	.p2align	6
.LBB857_61:                             ;   in Loop: Header=BB857_63 Depth=1
	s_or_b32 exec_lo, exec_lo, s24
.LBB857_62:                             ;   in Loop: Header=BB857_63 Depth=1
	s_or_b32 exec_lo, exec_lo, s23
	v_and_b32_e32 v7, 0x3fffffff, v3
	v_cmp_gt_i32_e64 s23, -2.0, v3
	v_add_nc_u32_e32 v63, v7, v63
	s_and_b32 s24, exec_lo, s23
	s_or_b32 s21, s24, s21
	s_andn2_b32 exec_lo, exec_lo, s21
	s_cbranch_execz .LBB857_68
.LBB857_63:                             ; =>This Loop Header: Depth=1
                                        ;     Child Loop BB857_66 Depth 2
	s_or_b32 s23, s23, exec_lo
	s_cmp_eq_u32 s22, 0
	s_cbranch_scc1 .LBB857_67
; %bb.64:                               ;   in Loop: Header=BB857_63 Depth=1
	s_add_i32 s22, s22, -1
	s_mov_b32 s23, exec_lo
	v_lshl_or_b32 v3, s22, 8, v0
	v_lshlrev_b64 v[7:8], 2, v[3:4]
	v_add_co_u32 v7, vcc_lo, s26, v7
	v_add_co_ci_u32_e64 v8, null, s27, v8, vcc_lo
	global_load_dword v3, v[7:8], off glc dlc
	s_waitcnt vmcnt(0)
	v_cmpx_gt_u32_e32 2.0, v3
	s_cbranch_execz .LBB857_62
; %bb.65:                               ;   in Loop: Header=BB857_63 Depth=1
	s_mov_b32 s24, 0
.LBB857_66:                             ;   Parent Loop BB857_63 Depth=1
                                        ; =>  This Inner Loop Header: Depth=2
	global_load_dword v3, v[7:8], off glc dlc
	s_waitcnt vmcnt(0)
	v_cmp_lt_u32_e32 vcc_lo, 0x3fffffff, v3
	s_or_b32 s24, vcc_lo, s24
	s_andn2_b32 exec_lo, exec_lo, s24
	s_cbranch_execnz .LBB857_66
	s_branch .LBB857_61
.LBB857_67:                             ;   in Loop: Header=BB857_63 Depth=1
                                        ; implicit-def: $sgpr22
	s_and_b32 s24, exec_lo, s23
	s_or_b32 s21, s24, s21
	s_andn2_b32 exec_lo, exec_lo, s21
	s_cbranch_execnz .LBB857_63
.LBB857_68:
	s_or_b32 exec_lo, exec_lo, s21
	v_add_nc_u32_e32 v3, v63, v10
	v_sub_nc_u32_e32 v4, v63, v9
	v_or_b32_e32 v3, 0x80000000, v3
	global_store_dword v[5:6], v3, off
	global_load_dword v3, v30, s[28:29]
	s_waitcnt vmcnt(0)
	v_add_nc_u32_e32 v3, v4, v3
	ds_write_b32 v30, v3
.LBB857_69:
	s_or_b32 exec_lo, exec_lo, s20
	v_add_nc_u32_e32 v5, v31, v27
	v_add3_u32 v6, v29, v28, v34
	v_add3_u32 v7, v33, v32, v37
	;; [unrolled: 1-line block ×11, first 2 shown]
	v_mov_b32_e32 v4, 0
	v_mov_b32_e32 v36, v5
	;; [unrolled: 1-line block ×14, first 2 shown]
	s_mov_b32 s20, 32
	s_mov_b32 s22, 0
	s_mov_b32 s21, -1
	s_branch .LBB857_71
.LBB857_70:                             ;   in Loop: Header=BB857_71 Depth=1
	s_or_b32 exec_lo, exec_lo, s23
	v_add_nc_u32_e32 v48, 0x2000, v48
	v_add_nc_u32_e32 v47, 0xffffe000, v47
	;; [unrolled: 1-line block ×13, first 2 shown]
	s_xor_b32 s22, s21, -1
	s_mov_b32 s21, 0
	s_and_b32 vcc_lo, exec_lo, s22
	s_mov_b32 s22, s20
	s_waitcnt_vscnt null, 0x0
	s_barrier
	buffer_gl0_inv
	s_cbranch_vccnz .LBB857_87
.LBB857_71:                             ; =>This Inner Loop Header: Depth=1
	v_min_u32_e32 v3, 0x2000, v36
	v_min_u32_e32 v49, 0x2000, v37
	;; [unrolled: 1-line block ×5, first 2 shown]
	v_lshlrev_b32_e32 v3, 2, v3
	v_lshlrev_b32_e32 v49, 2, v49
	v_min_u32_e32 v53, 0x2000, v41
	v_lshlrev_b32_e32 v50, 2, v50
	s_mov_b32 s23, exec_lo
	ds_write_b32 v3, v16 offset:1024
	ds_write_b32 v49, v15 offset:1024
	v_min_u32_e32 v3, 0x2000, v42
	v_lshlrev_b32_e32 v49, 2, v51
	v_lshlrev_b32_e32 v51, 2, v52
	;; [unrolled: 1-line block ×3, first 2 shown]
	ds_write_b32 v50, v18 offset:1024
	v_lshlrev_b32_e32 v3, 2, v3
	ds_write_b32 v49, v17 offset:1024
	ds_write_b32 v51, v20 offset:1024
	ds_write_b32 v52, v19 offset:1024
	v_min_u32_e32 v49, 0x2000, v43
	v_min_u32_e32 v50, 0x2000, v45
	;; [unrolled: 1-line block ×3, first 2 shown]
	ds_write_b32 v3, v22 offset:1024
	v_min_u32_e32 v3, 0x2000, v44
	v_lshlrev_b32_e32 v49, 2, v49
	v_min_u32_e32 v52, 0x2000, v47
	v_lshlrev_b32_e32 v50, 2, v50
	v_lshlrev_b32_e32 v51, 2, v51
	;; [unrolled: 1-line block ×3, first 2 shown]
	ds_write_b32 v49, v21 offset:1024
	v_lshlrev_b32_e32 v49, 2, v52
	ds_write_b32 v3, v24 offset:1024
	ds_write_b32 v50, v23 offset:1024
	;; [unrolled: 1-line block ×4, first 2 shown]
	s_waitcnt lgkmcnt(0)
	s_waitcnt_vscnt null, 0x0
	s_barrier
	buffer_gl0_inv
	v_cmpx_gt_u32_e64 s25, v48
	s_cbranch_execz .LBB857_73
; %bb.72:                               ;   in Loop: Header=BB857_71 Depth=1
	ds_read_b32 v51, v30 offset:1024
	s_waitcnt lgkmcnt(0)
	v_lshrrev_b32_e32 v3, s44, v51
	v_and_b32_e32 v52, s35, v3
	v_lshlrev_b32_e32 v3, 2, v52
	ds_read_b32 v3, v3
	s_waitcnt lgkmcnt(0)
	v_add_nc_u32_e32 v3, v48, v3
	v_lshlrev_b64 v[49:50], 2, v[3:4]
	v_xor_b32_e32 v3, 0x80000000, v51
	v_mov_b32_e32 v51, s22
	v_add_co_u32 v49, vcc_lo, s38, v49
	v_add_co_ci_u32_e64 v50, null, s39, v50, vcc_lo
	buffer_store_dword v52, v51, s[0:3], 0 offen
	global_store_dword v[49:50], v3, off
.LBB857_73:                             ;   in Loop: Header=BB857_71 Depth=1
	s_or_b32 exec_lo, exec_lo, s23
	v_add_nc_u32_e32 v3, 0x400, v48
	s_mov_b32 s23, exec_lo
	v_cmpx_gt_u32_e64 s25, v3
	s_cbranch_execz .LBB857_75
; %bb.74:                               ;   in Loop: Header=BB857_71 Depth=1
	ds_read_b32 v51, v30 offset:5120
	s_waitcnt lgkmcnt(0)
	v_lshrrev_b32_e32 v3, s44, v51
	v_and_b32_e32 v52, s35, v3
	v_lshlrev_b32_e32 v3, 2, v52
	ds_read_b32 v3, v3
	s_waitcnt lgkmcnt(0)
	v_add3_u32 v3, v48, v3, 0x400
	v_lshlrev_b64 v[49:50], 2, v[3:4]
	v_xor_b32_e32 v3, 0x80000000, v51
	v_mov_b32_e32 v51, s22
	v_add_co_u32 v49, vcc_lo, s38, v49
	v_add_co_ci_u32_e64 v50, null, s39, v50, vcc_lo
	buffer_store_dword v52, v51, s[0:3], 0 offen offset:4
	global_store_dword v[49:50], v3, off
.LBB857_75:                             ;   in Loop: Header=BB857_71 Depth=1
	s_or_b32 exec_lo, exec_lo, s23
	v_add_nc_u32_e32 v3, 0x800, v48
	s_mov_b32 s23, exec_lo
	v_cmpx_gt_u32_e64 s25, v3
	s_cbranch_execz .LBB857_77
; %bb.76:                               ;   in Loop: Header=BB857_71 Depth=1
	ds_read_b32 v51, v30 offset:9216
	s_waitcnt lgkmcnt(0)
	v_lshrrev_b32_e32 v3, s44, v51
	v_and_b32_e32 v52, s35, v3
	v_lshlrev_b32_e32 v3, 2, v52
	ds_read_b32 v3, v3
	s_waitcnt lgkmcnt(0)
	v_add3_u32 v3, v48, v3, 0x800
	v_lshlrev_b64 v[49:50], 2, v[3:4]
	v_xor_b32_e32 v3, 0x80000000, v51
	v_mov_b32_e32 v51, s22
	v_add_co_u32 v49, vcc_lo, s38, v49
	v_add_co_ci_u32_e64 v50, null, s39, v50, vcc_lo
	buffer_store_dword v52, v51, s[0:3], 0 offen offset:8
	global_store_dword v[49:50], v3, off
.LBB857_77:                             ;   in Loop: Header=BB857_71 Depth=1
	;; [unrolled: 22-line block ×6, first 2 shown]
	s_or_b32 exec_lo, exec_lo, s23
	v_add_nc_u32_e32 v3, 0x1c00, v48
	s_mov_b32 s23, exec_lo
	v_cmpx_gt_u32_e64 s25, v3
	s_cbranch_execz .LBB857_70
; %bb.86:                               ;   in Loop: Header=BB857_71 Depth=1
	ds_read_b32 v51, v30 offset:29696
	s_waitcnt lgkmcnt(0)
	v_lshrrev_b32_e32 v3, s44, v51
	v_and_b32_e32 v52, s35, v3
	v_lshlrev_b32_e32 v3, 2, v52
	ds_read_b32 v3, v3
	s_waitcnt lgkmcnt(0)
	v_add3_u32 v3, v48, v3, 0x1c00
	v_lshlrev_b64 v[49:50], 2, v[3:4]
	v_xor_b32_e32 v3, 0x80000000, v51
	v_mov_b32_e32 v51, s22
	v_add_co_u32 v49, vcc_lo, s38, v49
	v_add_co_ci_u32_e64 v50, null, s39, v50, vcc_lo
	buffer_store_dword v52, v51, s[0:3], 0 offen offset:28
	global_store_dword v[49:50], v3, off
	s_branch .LBB857_70
.LBB857_87:
	s_add_u32 s21, s40, s46
	s_addc_u32 s22, s41, s47
	v_add_co_u32 v3, s21, s21, v13
	v_add_co_ci_u32_e64 v4, null, s22, 0, s21
                                        ; implicit-def: $vgpr13
	v_add_co_u32 v3, vcc_lo, v3, v14
	v_add_co_ci_u32_e64 v4, null, 0, v4, vcc_lo
	s_and_saveexec_b32 s21, s7
	s_cbranch_execz .LBB857_99
; %bb.88:
	global_load_dword v13, v[3:4], off
	s_or_b32 exec_lo, exec_lo, s21
                                        ; implicit-def: $vgpr14
	s_and_saveexec_b32 s7, s8
	s_cbranch_execnz .LBB857_100
.LBB857_89:
	s_or_b32 exec_lo, exec_lo, s7
                                        ; implicit-def: $vgpr15
	s_and_saveexec_b32 s7, s9
	s_cbranch_execz .LBB857_101
.LBB857_90:
	global_load_dword v15, v[3:4], off offset:256
	s_or_b32 exec_lo, exec_lo, s7
                                        ; implicit-def: $vgpr16
	s_and_saveexec_b32 s7, s10
	s_cbranch_execnz .LBB857_102
.LBB857_91:
	s_or_b32 exec_lo, exec_lo, s7
                                        ; implicit-def: $vgpr17
	s_and_saveexec_b32 s7, s11
	s_cbranch_execz .LBB857_103
.LBB857_92:
	global_load_dword v17, v[3:4], off offset:512
	s_or_b32 exec_lo, exec_lo, s7
                                        ; implicit-def: $vgpr18
	s_and_saveexec_b32 s7, s12
	s_cbranch_execnz .LBB857_104
.LBB857_93:
	s_or_b32 exec_lo, exec_lo, s7
                                        ; implicit-def: $vgpr19
	s_and_saveexec_b32 s7, s13
	s_cbranch_execz .LBB857_105
.LBB857_94:
	global_load_dword v19, v[3:4], off offset:768
	s_or_b32 exec_lo, exec_lo, s7
                                        ; implicit-def: $vgpr20
	s_and_saveexec_b32 s7, s14
	s_cbranch_execnz .LBB857_106
.LBB857_95:
	s_or_b32 exec_lo, exec_lo, s7
                                        ; implicit-def: $vgpr21
	s_and_saveexec_b32 s7, s15
	s_cbranch_execz .LBB857_107
.LBB857_96:
	global_load_dword v21, v[3:4], off offset:1024
	s_or_b32 exec_lo, exec_lo, s7
                                        ; implicit-def: $vgpr22
	s_and_saveexec_b32 s7, s16
	s_cbranch_execnz .LBB857_108
.LBB857_97:
	s_or_b32 exec_lo, exec_lo, s7
                                        ; implicit-def: $vgpr23
	s_and_saveexec_b32 s7, s17
	s_cbranch_execz .LBB857_109
.LBB857_98:
	global_load_dword v23, v[3:4], off offset:1280
	s_or_b32 exec_lo, exec_lo, s7
                                        ; implicit-def: $vgpr24
	s_and_saveexec_b32 s7, s18
	s_cbranch_execnz .LBB857_110
	s_branch .LBB857_111
.LBB857_99:
	s_or_b32 exec_lo, exec_lo, s21
                                        ; implicit-def: $vgpr14
	s_and_saveexec_b32 s7, s8
	s_cbranch_execz .LBB857_89
.LBB857_100:
	global_load_dword v14, v[3:4], off offset:128
	s_or_b32 exec_lo, exec_lo, s7
                                        ; implicit-def: $vgpr15
	s_and_saveexec_b32 s7, s9
	s_cbranch_execnz .LBB857_90
.LBB857_101:
	s_or_b32 exec_lo, exec_lo, s7
                                        ; implicit-def: $vgpr16
	s_and_saveexec_b32 s7, s10
	s_cbranch_execz .LBB857_91
.LBB857_102:
	global_load_dword v16, v[3:4], off offset:384
	s_or_b32 exec_lo, exec_lo, s7
                                        ; implicit-def: $vgpr17
	s_and_saveexec_b32 s7, s11
	s_cbranch_execnz .LBB857_92
.LBB857_103:
	s_or_b32 exec_lo, exec_lo, s7
                                        ; implicit-def: $vgpr18
	s_and_saveexec_b32 s7, s12
	s_cbranch_execz .LBB857_93
.LBB857_104:
	global_load_dword v18, v[3:4], off offset:640
	s_or_b32 exec_lo, exec_lo, s7
                                        ; implicit-def: $vgpr19
	s_and_saveexec_b32 s7, s13
	s_cbranch_execnz .LBB857_94
.LBB857_105:
	s_or_b32 exec_lo, exec_lo, s7
                                        ; implicit-def: $vgpr20
	s_and_saveexec_b32 s7, s14
	s_cbranch_execz .LBB857_95
.LBB857_106:
	global_load_dword v20, v[3:4], off offset:896
	s_or_b32 exec_lo, exec_lo, s7
                                        ; implicit-def: $vgpr21
	s_and_saveexec_b32 s7, s15
	s_cbranch_execnz .LBB857_96
.LBB857_107:
	s_or_b32 exec_lo, exec_lo, s7
                                        ; implicit-def: $vgpr22
	s_and_saveexec_b32 s7, s16
	s_cbranch_execz .LBB857_97
.LBB857_108:
	global_load_dword v22, v[3:4], off offset:1152
	s_or_b32 exec_lo, exec_lo, s7
                                        ; implicit-def: $vgpr23
	s_and_saveexec_b32 s7, s17
	s_cbranch_execnz .LBB857_98
.LBB857_109:
	s_or_b32 exec_lo, exec_lo, s7
                                        ; implicit-def: $vgpr24
	s_and_saveexec_b32 s7, s18
	s_cbranch_execz .LBB857_111
.LBB857_110:
	global_load_dword v24, v[3:4], off offset:1408
.LBB857_111:
	s_or_b32 exec_lo, exec_lo, s7
	v_mov_b32_e32 v4, 0
	v_mov_b32_e32 v25, v0
	s_mov_b32 s8, 0
	s_mov_b32 s7, -1
	s_branch .LBB857_113
.LBB857_112:                            ;   in Loop: Header=BB857_113 Depth=1
	s_or_b32 exec_lo, exec_lo, s9
	v_add_nc_u32_e32 v25, 0x2000, v25
	v_add_nc_u32_e32 v35, 0xffffe000, v35
	;; [unrolled: 1-line block ×13, first 2 shown]
	s_xor_b32 s8, s7, -1
	s_mov_b32 s7, 0
	s_and_b32 vcc_lo, exec_lo, s8
	s_mov_b32 s8, s20
	s_waitcnt_vscnt null, 0x0
	s_barrier
	buffer_gl0_inv
	s_cbranch_vccnz .LBB857_129
.LBB857_113:                            ; =>This Inner Loop Header: Depth=1
	v_min_u32_e32 v3, 0x2000, v5
	v_min_u32_e32 v26, 0x2000, v6
	;; [unrolled: 1-line block ×5, first 2 shown]
	v_lshlrev_b32_e32 v3, 2, v3
	v_lshlrev_b32_e32 v26, 2, v26
	v_min_u32_e32 v39, 0x2000, v28
	v_lshlrev_b32_e32 v36, 2, v36
	s_mov_b32 s9, exec_lo
	s_waitcnt vmcnt(0)
	ds_write_b32 v3, v13 offset:1024
	ds_write_b32 v26, v14 offset:1024
	v_min_u32_e32 v3, 0x2000, v29
	v_lshlrev_b32_e32 v26, 2, v37
	v_lshlrev_b32_e32 v37, 2, v38
	;; [unrolled: 1-line block ×3, first 2 shown]
	ds_write_b32 v36, v15 offset:1024
	v_lshlrev_b32_e32 v3, 2, v3
	ds_write_b32 v26, v16 offset:1024
	ds_write_b32 v37, v17 offset:1024
	;; [unrolled: 1-line block ×3, first 2 shown]
	v_min_u32_e32 v26, 0x2000, v31
	v_min_u32_e32 v36, 0x2000, v33
	;; [unrolled: 1-line block ×3, first 2 shown]
	ds_write_b32 v3, v19 offset:1024
	v_min_u32_e32 v3, 0x2000, v32
	v_lshlrev_b32_e32 v26, 2, v26
	v_min_u32_e32 v38, 0x2000, v35
	v_lshlrev_b32_e32 v36, 2, v36
	v_lshlrev_b32_e32 v37, 2, v37
	;; [unrolled: 1-line block ×3, first 2 shown]
	ds_write_b32 v26, v20 offset:1024
	v_lshlrev_b32_e32 v26, 2, v38
	ds_write_b32 v3, v21 offset:1024
	ds_write_b32 v36, v22 offset:1024
	;; [unrolled: 1-line block ×4, first 2 shown]
	s_waitcnt lgkmcnt(0)
	s_barrier
	buffer_gl0_inv
	v_cmpx_gt_u32_e64 s25, v25
	s_cbranch_execz .LBB857_115
; %bb.114:                              ;   in Loop: Header=BB857_113 Depth=1
	v_mov_b32_e32 v3, s8
	buffer_load_dword v3, v3, s[0:3], 0 offen
	s_waitcnt vmcnt(0)
	v_lshlrev_b32_e32 v3, 2, v3
	ds_read_b32 v3, v3
	ds_read_b32 v26, v30 offset:1024
	s_waitcnt lgkmcnt(1)
	v_add_nc_u32_e32 v3, v25, v3
	v_lshlrev_b64 v[36:37], 2, v[3:4]
	v_add_co_u32 v36, vcc_lo, s42, v36
	v_add_co_ci_u32_e64 v37, null, s43, v37, vcc_lo
	s_waitcnt lgkmcnt(0)
	global_store_dword v[36:37], v26, off
.LBB857_115:                            ;   in Loop: Header=BB857_113 Depth=1
	s_or_b32 exec_lo, exec_lo, s9
	v_add_nc_u32_e32 v3, 0x400, v25
	s_mov_b32 s9, exec_lo
	v_cmpx_gt_u32_e64 s25, v3
	s_cbranch_execz .LBB857_117
; %bb.116:                              ;   in Loop: Header=BB857_113 Depth=1
	v_mov_b32_e32 v3, s8
	buffer_load_dword v3, v3, s[0:3], 0 offen offset:4
	s_waitcnt vmcnt(0)
	v_lshlrev_b32_e32 v3, 2, v3
	ds_read_b32 v3, v3
	ds_read_b32 v26, v30 offset:5120
	s_waitcnt lgkmcnt(1)
	v_add3_u32 v3, v25, v3, 0x400
	v_lshlrev_b64 v[36:37], 2, v[3:4]
	v_add_co_u32 v36, vcc_lo, s42, v36
	v_add_co_ci_u32_e64 v37, null, s43, v37, vcc_lo
	s_waitcnt lgkmcnt(0)
	global_store_dword v[36:37], v26, off
.LBB857_117:                            ;   in Loop: Header=BB857_113 Depth=1
	s_or_b32 exec_lo, exec_lo, s9
	v_add_nc_u32_e32 v3, 0x800, v25
	s_mov_b32 s9, exec_lo
	v_cmpx_gt_u32_e64 s25, v3
	s_cbranch_execz .LBB857_119
; %bb.118:                              ;   in Loop: Header=BB857_113 Depth=1
	v_mov_b32_e32 v3, s8
	buffer_load_dword v3, v3, s[0:3], 0 offen offset:8
	s_waitcnt vmcnt(0)
	v_lshlrev_b32_e32 v3, 2, v3
	ds_read_b32 v3, v3
	ds_read_b32 v26, v30 offset:9216
	s_waitcnt lgkmcnt(1)
	v_add3_u32 v3, v25, v3, 0x800
	v_lshlrev_b64 v[36:37], 2, v[3:4]
	v_add_co_u32 v36, vcc_lo, s42, v36
	v_add_co_ci_u32_e64 v37, null, s43, v37, vcc_lo
	s_waitcnt lgkmcnt(0)
	global_store_dword v[36:37], v26, off
.LBB857_119:                            ;   in Loop: Header=BB857_113 Depth=1
	;; [unrolled: 20-line block ×6, first 2 shown]
	s_or_b32 exec_lo, exec_lo, s9
	v_add_nc_u32_e32 v3, 0x1c00, v25
	s_mov_b32 s9, exec_lo
	v_cmpx_gt_u32_e64 s25, v3
	s_cbranch_execz .LBB857_112
; %bb.128:                              ;   in Loop: Header=BB857_113 Depth=1
	v_mov_b32_e32 v3, s8
	buffer_load_dword v3, v3, s[0:3], 0 offen offset:28
	s_waitcnt vmcnt(0)
	v_lshlrev_b32_e32 v3, 2, v3
	ds_read_b32 v3, v3
	ds_read_b32 v26, v30 offset:29696
	s_waitcnt lgkmcnt(1)
	v_add3_u32 v3, v25, v3, 0x1c00
	v_lshlrev_b64 v[36:37], 2, v[3:4]
	v_add_co_u32 v36, vcc_lo, s42, v36
	v_add_co_ci_u32_e64 v37, null, s43, v37, vcc_lo
	s_waitcnt lgkmcnt(0)
	global_store_dword v[36:37], v26, off
	s_branch .LBB857_112
.LBB857_129:
	s_add_i32 s33, s33, -1
	s_cmp_eq_u32 s6, s33
	s_cselect_b32 s7, -1, 0
	s_xor_b32 s8, s19, -1
	s_and_b32 s8, s8, s7
	s_and_saveexec_b32 s7, s8
	s_cbranch_execz .LBB857_131
; %bb.130:
	ds_read_b32 v3, v30
	s_waitcnt lgkmcnt(0)
	v_add3_u32 v3, v9, v10, v3
	global_store_dword v30, v3, s[30:31]
.LBB857_131:
	s_or_b32 exec_lo, exec_lo, s7
	s_mov_b32 s7, 0
.LBB857_132:
	s_and_b32 vcc_lo, exec_lo, s7
	s_cbranch_vccz .LBB857_199
; %bb.133:
	s_mov_b32 s35, 0
	v_mul_u32_u24_e32 v3, 12, v12
	v_lshlrev_b32_e32 v9, 2, v11
	s_lshl_b64 s[12:13], s[34:35], 2
	v_mov_b32_e32 v22, 0
	s_add_u32 s7, s36, s12
	s_addc_u32 s8, s37, s13
	v_lshlrev_b32_e32 v10, 2, v3
	v_add_co_u32 v3, s7, s7, v9
	v_add_co_ci_u32_e64 v4, null, s8, 0, s7
	v_add_co_u32 v18, vcc_lo, v3, v10
	v_add_co_ci_u32_e64 v19, null, 0, v4, vcc_lo
	global_load_dword v12, v[18:19], off
	s_clause 0x1
	s_load_dword s7, s[4:5], 0x64
	s_load_dword s11, s[4:5], 0x58
	s_add_u32 s4, s4, 0x58
	s_addc_u32 s5, s5, 0
	s_waitcnt lgkmcnt(0)
	s_lshr_b32 s7, s7, 16
	s_cmp_lt_u32 s6, s11
	v_mad_u32_u24 v1, v2, s7, v1
	s_cselect_b32 s8, 12, 18
	s_add_u32 s4, s4, s8
	s_addc_u32 s5, s5, 0
	global_load_ushort v16, v22, s[4:5]
	s_clause 0xa
	global_load_dword v13, v[18:19], off offset:128
	global_load_dword v14, v[18:19], off offset:256
	;; [unrolled: 1-line block ×11, first 2 shown]
	s_lshl_b32 s4, -1, s45
	s_not_b32 s14, s4
	s_waitcnt vmcnt(12)
	v_xor_b32_e32 v12, 0x80000000, v12
	v_lshrrev_b32_e32 v18, s44, v12
	v_and_b32_e32 v18, s14, v18
	v_and_b32_e32 v19, 1, v18
	v_lshlrev_b32_e32 v21, 30, v18
	v_lshlrev_b32_e32 v23, 29, v18
	;; [unrolled: 1-line block ×4, first 2 shown]
	v_add_co_u32 v19, s4, v19, -1
	v_cndmask_b32_e64 v25, 0, 1, s4
	v_not_b32_e32 v29, v21
	v_cmp_gt_i32_e64 s4, 0, v21
	v_not_b32_e32 v21, v23
	v_lshlrev_b32_e32 v27, 26, v18
	v_cmp_ne_u32_e32 vcc_lo, 0, v25
	v_ashrrev_i32_e32 v29, 31, v29
	v_lshlrev_b32_e32 v28, 25, v18
	v_ashrrev_i32_e32 v21, 31, v21
	v_lshlrev_b32_e32 v25, 24, v18
	v_xor_b32_e32 v19, vcc_lo, v19
	v_cmp_gt_i32_e32 vcc_lo, 0, v23
	v_not_b32_e32 v23, v24
	v_xor_b32_e32 v29, s4, v29
	v_cmp_gt_i32_e64 s4, 0, v24
	v_and_b32_e32 v19, exec_lo, v19
	v_not_b32_e32 v24, v26
	v_ashrrev_i32_e32 v23, 31, v23
	v_xor_b32_e32 v21, vcc_lo, v21
	v_cmp_gt_i32_e32 vcc_lo, 0, v26
	v_and_b32_e32 v19, v19, v29
	v_not_b32_e32 v26, v27
	v_ashrrev_i32_e32 v24, 31, v24
	v_xor_b32_e32 v23, s4, v23
	v_cmp_gt_i32_e64 s4, 0, v27
	v_and_b32_e32 v19, v19, v21
	v_not_b32_e32 v21, v28
	v_ashrrev_i32_e32 v26, 31, v26
	v_xor_b32_e32 v24, vcc_lo, v24
	v_cmp_gt_i32_e32 vcc_lo, 0, v28
	v_and_b32_e32 v19, v19, v23
	v_not_b32_e32 v23, v25
	v_ashrrev_i32_e32 v21, 31, v21
	v_xor_b32_e32 v26, s4, v26
	v_cmp_gt_i32_e64 s4, 0, v25
	v_and_b32_e32 v19, v19, v24
	v_ashrrev_i32_e32 v23, 31, v23
	v_xor_b32_e32 v21, vcc_lo, v21
	s_waitcnt vmcnt(11)
	v_mad_u64_u32 v[1:2], null, v1, v16, v[0:1]
	v_and_b32_e32 v19, v19, v26
	v_xor_b32_e32 v23, s4, v23
	v_mul_lo_u32 v18, 0x84, v18
	v_and_b32_e32 v19, v19, v21
	v_mul_u32_u24_e32 v21, 36, v0
	v_lshrrev_b32_e32 v1, 5, v1
	ds_write2_b32 v21, v22, v22 offset0:32 offset1:33
	ds_write2_b32 v21, v22, v22 offset0:34 offset1:35
	;; [unrolled: 1-line block ×3, first 2 shown]
	v_and_b32_e32 v2, v19, v23
	ds_write2_b32 v21, v22, v22 offset0:38 offset1:39
	ds_write_b32 v21, v22 offset:160
	v_lshl_add_u32 v22, v1, 2, v18
	s_waitcnt vmcnt(0) lgkmcnt(0)
	s_waitcnt_vscnt null, 0x0
	s_barrier
	v_mbcnt_lo_u32_b32 v16, v2, 0
	v_cmp_ne_u32_e64 s4, 0, v2
	buffer_gl0_inv
	; wave barrier
	v_cmp_eq_u32_e32 vcc_lo, 0, v16
	s_and_b32 s5, s4, vcc_lo
	s_and_saveexec_b32 s4, s5
; %bb.134:
	v_bcnt_u32_b32 v2, v2, 0
	ds_write_b32 v22, v2 offset:128
; %bb.135:
	s_or_b32 exec_lo, exec_lo, s4
	v_xor_b32_e32 v13, 0x80000000, v13
	; wave barrier
	v_lshrrev_b32_e32 v2, s44, v13
	v_and_b32_e32 v2, s14, v2
	v_and_b32_e32 v19, 1, v2
	v_lshlrev_b32_e32 v23, 30, v2
	v_lshlrev_b32_e32 v24, 29, v2
	;; [unrolled: 1-line block ×4, first 2 shown]
	v_add_co_u32 v19, s4, v19, -1
	v_cndmask_b32_e64 v26, 0, 1, s4
	v_not_b32_e32 v30, v23
	v_cmp_gt_i32_e64 s4, 0, v23
	v_not_b32_e32 v23, v24
	v_lshlrev_b32_e32 v28, 26, v2
	v_cmp_ne_u32_e32 vcc_lo, 0, v26
	v_ashrrev_i32_e32 v26, 31, v30
	v_lshlrev_b32_e32 v29, 25, v2
	v_ashrrev_i32_e32 v23, 31, v23
	v_mul_lo_u32 v18, 0x84, v2
	v_xor_b32_e32 v19, vcc_lo, v19
	v_cmp_gt_i32_e32 vcc_lo, 0, v24
	v_not_b32_e32 v24, v25
	v_xor_b32_e32 v26, s4, v26
	v_cmp_gt_i32_e64 s4, 0, v25
	v_and_b32_e32 v19, exec_lo, v19
	v_not_b32_e32 v25, v27
	v_ashrrev_i32_e32 v24, 31, v24
	v_xor_b32_e32 v23, vcc_lo, v23
	v_cmp_gt_i32_e32 vcc_lo, 0, v27
	v_and_b32_e32 v19, v19, v26
	v_not_b32_e32 v26, v28
	v_ashrrev_i32_e32 v25, 31, v25
	v_xor_b32_e32 v24, s4, v24
	v_lshlrev_b32_e32 v2, 24, v2
	v_and_b32_e32 v19, v19, v23
	v_cmp_gt_i32_e64 s4, 0, v28
	v_not_b32_e32 v23, v29
	v_ashrrev_i32_e32 v26, 31, v26
	v_xor_b32_e32 v25, vcc_lo, v25
	v_and_b32_e32 v19, v19, v24
	v_cmp_gt_i32_e32 vcc_lo, 0, v29
	v_not_b32_e32 v24, v2
	v_ashrrev_i32_e32 v23, 31, v23
	v_xor_b32_e32 v26, s4, v26
	v_and_b32_e32 v19, v19, v25
	v_cmp_gt_i32_e64 s4, 0, v2
	v_ashrrev_i32_e32 v2, 31, v24
	v_xor_b32_e32 v23, vcc_lo, v23
	v_and_b32_e32 v19, v19, v26
	v_lshl_add_u32 v26, v1, 2, v18
	v_xor_b32_e32 v2, s4, v2
	v_and_b32_e32 v19, v19, v23
	ds_read_b32 v18, v26 offset:128
	; wave barrier
	v_and_b32_e32 v2, v19, v2
	v_mbcnt_lo_u32_b32 v19, v2, 0
	v_cmp_ne_u32_e64 s4, 0, v2
	v_cmp_eq_u32_e32 vcc_lo, 0, v19
	s_and_b32 s5, s4, vcc_lo
	s_and_saveexec_b32 s4, s5
	s_cbranch_execz .LBB857_137
; %bb.136:
	s_waitcnt lgkmcnt(0)
	v_bcnt_u32_b32 v2, v2, v18
	ds_write_b32 v26, v2 offset:128
.LBB857_137:
	s_or_b32 exec_lo, exec_lo, s4
	v_xor_b32_e32 v14, 0x80000000, v14
	; wave barrier
	v_lshrrev_b32_e32 v2, s44, v14
	v_and_b32_e32 v2, s14, v2
	v_and_b32_e32 v24, 1, v2
	v_lshlrev_b32_e32 v25, 30, v2
	v_lshlrev_b32_e32 v27, 29, v2
	;; [unrolled: 1-line block ×4, first 2 shown]
	v_add_co_u32 v24, s4, v24, -1
	v_cndmask_b32_e64 v29, 0, 1, s4
	v_not_b32_e32 v33, v25
	v_cmp_gt_i32_e64 s4, 0, v25
	v_not_b32_e32 v25, v27
	v_lshlrev_b32_e32 v31, 26, v2
	v_cmp_ne_u32_e32 vcc_lo, 0, v29
	v_ashrrev_i32_e32 v29, 31, v33
	v_lshlrev_b32_e32 v32, 25, v2
	v_ashrrev_i32_e32 v25, 31, v25
	v_mul_lo_u32 v23, 0x84, v2
	v_xor_b32_e32 v24, vcc_lo, v24
	v_cmp_gt_i32_e32 vcc_lo, 0, v27
	v_not_b32_e32 v27, v28
	v_xor_b32_e32 v29, s4, v29
	v_cmp_gt_i32_e64 s4, 0, v28
	v_and_b32_e32 v24, exec_lo, v24
	v_not_b32_e32 v28, v30
	v_ashrrev_i32_e32 v27, 31, v27
	v_xor_b32_e32 v25, vcc_lo, v25
	v_cmp_gt_i32_e32 vcc_lo, 0, v30
	v_and_b32_e32 v24, v24, v29
	v_not_b32_e32 v29, v31
	v_ashrrev_i32_e32 v28, 31, v28
	v_xor_b32_e32 v27, s4, v27
	v_lshlrev_b32_e32 v2, 24, v2
	v_and_b32_e32 v24, v24, v25
	v_cmp_gt_i32_e64 s4, 0, v31
	v_not_b32_e32 v25, v32
	v_ashrrev_i32_e32 v29, 31, v29
	v_xor_b32_e32 v28, vcc_lo, v28
	v_and_b32_e32 v24, v24, v27
	v_cmp_gt_i32_e32 vcc_lo, 0, v32
	v_not_b32_e32 v27, v2
	v_ashrrev_i32_e32 v25, 31, v25
	v_xor_b32_e32 v29, s4, v29
	v_and_b32_e32 v24, v24, v28
	v_cmp_gt_i32_e64 s4, 0, v2
	v_ashrrev_i32_e32 v2, 31, v27
	v_xor_b32_e32 v25, vcc_lo, v25
	v_lshl_add_u32 v30, v1, 2, v23
	v_and_b32_e32 v24, v24, v29
	v_xor_b32_e32 v2, s4, v2
	ds_read_b32 v23, v30 offset:128
	v_and_b32_e32 v24, v24, v25
	; wave barrier
	v_and_b32_e32 v2, v24, v2
	v_mbcnt_lo_u32_b32 v24, v2, 0
	v_cmp_ne_u32_e64 s4, 0, v2
	v_cmp_eq_u32_e32 vcc_lo, 0, v24
	s_and_b32 s5, s4, vcc_lo
	s_and_saveexec_b32 s4, s5
	s_cbranch_execz .LBB857_139
; %bb.138:
	s_waitcnt lgkmcnt(0)
	v_bcnt_u32_b32 v2, v2, v23
	ds_write_b32 v30, v2 offset:128
.LBB857_139:
	s_or_b32 exec_lo, exec_lo, s4
	v_xor_b32_e32 v15, 0x80000000, v15
	; wave barrier
	v_lshrrev_b32_e32 v2, s44, v15
	v_and_b32_e32 v2, s14, v2
	v_and_b32_e32 v27, 1, v2
	v_lshlrev_b32_e32 v28, 30, v2
	v_lshlrev_b32_e32 v29, 29, v2
	;; [unrolled: 1-line block ×4, first 2 shown]
	v_add_co_u32 v27, s4, v27, -1
	v_cndmask_b32_e64 v32, 0, 1, s4
	v_not_b32_e32 v36, v28
	v_cmp_gt_i32_e64 s4, 0, v28
	v_not_b32_e32 v28, v29
	v_lshlrev_b32_e32 v34, 26, v2
	v_cmp_ne_u32_e32 vcc_lo, 0, v32
	v_ashrrev_i32_e32 v32, 31, v36
	v_lshlrev_b32_e32 v35, 25, v2
	v_ashrrev_i32_e32 v28, 31, v28
	v_mul_lo_u32 v25, 0x84, v2
	v_xor_b32_e32 v27, vcc_lo, v27
	v_cmp_gt_i32_e32 vcc_lo, 0, v29
	v_not_b32_e32 v29, v31
	v_xor_b32_e32 v32, s4, v32
	v_cmp_gt_i32_e64 s4, 0, v31
	v_and_b32_e32 v27, exec_lo, v27
	v_not_b32_e32 v31, v33
	v_ashrrev_i32_e32 v29, 31, v29
	v_xor_b32_e32 v28, vcc_lo, v28
	v_cmp_gt_i32_e32 vcc_lo, 0, v33
	v_and_b32_e32 v27, v27, v32
	v_not_b32_e32 v32, v34
	v_ashrrev_i32_e32 v31, 31, v31
	v_xor_b32_e32 v29, s4, v29
	v_lshlrev_b32_e32 v2, 24, v2
	v_and_b32_e32 v27, v27, v28
	v_cmp_gt_i32_e64 s4, 0, v34
	v_not_b32_e32 v28, v35
	v_ashrrev_i32_e32 v32, 31, v32
	v_xor_b32_e32 v31, vcc_lo, v31
	v_and_b32_e32 v27, v27, v29
	v_cmp_gt_i32_e32 vcc_lo, 0, v35
	v_not_b32_e32 v29, v2
	v_ashrrev_i32_e32 v28, 31, v28
	v_xor_b32_e32 v32, s4, v32
	v_and_b32_e32 v27, v27, v31
	v_cmp_gt_i32_e64 s4, 0, v2
	v_ashrrev_i32_e32 v2, 31, v29
	v_xor_b32_e32 v28, vcc_lo, v28
	v_lshl_add_u32 v34, v1, 2, v25
	v_and_b32_e32 v27, v27, v32
	v_xor_b32_e32 v2, s4, v2
	v_and_b32_e32 v25, v27, v28
	ds_read_b32 v27, v34 offset:128
	; wave barrier
	v_and_b32_e32 v2, v25, v2
	v_mbcnt_lo_u32_b32 v28, v2, 0
	v_cmp_ne_u32_e64 s4, 0, v2
	v_cmp_eq_u32_e32 vcc_lo, 0, v28
	s_and_b32 s5, s4, vcc_lo
	s_and_saveexec_b32 s4, s5
	s_cbranch_execz .LBB857_141
; %bb.140:
	s_waitcnt lgkmcnt(0)
	v_bcnt_u32_b32 v2, v2, v27
	ds_write_b32 v34, v2 offset:128
.LBB857_141:
	s_or_b32 exec_lo, exec_lo, s4
	v_xor_b32_e32 v17, 0x80000000, v17
	; wave barrier
	v_lshrrev_b32_e32 v2, s44, v17
	v_and_b32_e32 v2, s14, v2
	v_and_b32_e32 v29, 1, v2
	v_lshlrev_b32_e32 v31, 30, v2
	v_lshlrev_b32_e32 v32, 29, v2
	;; [unrolled: 1-line block ×4, first 2 shown]
	v_add_co_u32 v29, s4, v29, -1
	v_cndmask_b32_e64 v35, 0, 1, s4
	v_not_b32_e32 v39, v31
	v_cmp_gt_i32_e64 s4, 0, v31
	v_not_b32_e32 v31, v32
	v_lshlrev_b32_e32 v37, 26, v2
	v_cmp_ne_u32_e32 vcc_lo, 0, v35
	v_ashrrev_i32_e32 v35, 31, v39
	v_lshlrev_b32_e32 v38, 25, v2
	v_ashrrev_i32_e32 v31, 31, v31
	v_mul_lo_u32 v25, 0x84, v2
	v_xor_b32_e32 v29, vcc_lo, v29
	v_cmp_gt_i32_e32 vcc_lo, 0, v32
	v_not_b32_e32 v32, v33
	v_xor_b32_e32 v35, s4, v35
	v_cmp_gt_i32_e64 s4, 0, v33
	v_and_b32_e32 v29, exec_lo, v29
	v_not_b32_e32 v33, v36
	v_ashrrev_i32_e32 v32, 31, v32
	v_xor_b32_e32 v31, vcc_lo, v31
	v_cmp_gt_i32_e32 vcc_lo, 0, v36
	v_and_b32_e32 v29, v29, v35
	v_not_b32_e32 v35, v37
	v_ashrrev_i32_e32 v33, 31, v33
	v_xor_b32_e32 v32, s4, v32
	v_lshlrev_b32_e32 v2, 24, v2
	v_and_b32_e32 v29, v29, v31
	v_cmp_gt_i32_e64 s4, 0, v37
	v_not_b32_e32 v31, v38
	v_ashrrev_i32_e32 v35, 31, v35
	v_xor_b32_e32 v33, vcc_lo, v33
	v_and_b32_e32 v29, v29, v32
	v_cmp_gt_i32_e32 vcc_lo, 0, v38
	v_not_b32_e32 v32, v2
	v_ashrrev_i32_e32 v31, 31, v31
	v_xor_b32_e32 v35, s4, v35
	v_and_b32_e32 v29, v29, v33
	v_cmp_gt_i32_e64 s4, 0, v2
	v_ashrrev_i32_e32 v2, 31, v32
	v_xor_b32_e32 v31, vcc_lo, v31
	v_lshl_add_u32 v38, v1, 2, v25
	v_and_b32_e32 v29, v29, v35
	v_xor_b32_e32 v2, s4, v2
	v_and_b32_e32 v25, v29, v31
	ds_read_b32 v31, v38 offset:128
	; wave barrier
	v_and_b32_e32 v2, v25, v2
	v_mbcnt_lo_u32_b32 v32, v2, 0
	v_cmp_ne_u32_e64 s4, 0, v2
	v_cmp_eq_u32_e32 vcc_lo, 0, v32
	s_and_b32 s5, s4, vcc_lo
	s_and_saveexec_b32 s4, s5
	s_cbranch_execz .LBB857_143
; %bb.142:
	s_waitcnt lgkmcnt(0)
	v_bcnt_u32_b32 v2, v2, v31
	ds_write_b32 v38, v2 offset:128
.LBB857_143:
	s_or_b32 exec_lo, exec_lo, s4
	v_xor_b32_e32 v20, 0x80000000, v20
	; wave barrier
	v_lshrrev_b32_e32 v2, s44, v20
	v_and_b32_e32 v2, s14, v2
	v_and_b32_e32 v29, 1, v2
	v_lshlrev_b32_e32 v33, 30, v2
	v_lshlrev_b32_e32 v35, 29, v2
	;; [unrolled: 1-line block ×4, first 2 shown]
	v_add_co_u32 v29, s4, v29, -1
	v_cndmask_b32_e64 v37, 0, 1, s4
	v_not_b32_e32 v42, v33
	v_cmp_gt_i32_e64 s4, 0, v33
	v_not_b32_e32 v33, v35
	v_lshlrev_b32_e32 v40, 26, v2
	v_cmp_ne_u32_e32 vcc_lo, 0, v37
	v_ashrrev_i32_e32 v37, 31, v42
	v_lshlrev_b32_e32 v41, 25, v2
	v_ashrrev_i32_e32 v33, 31, v33
	v_mul_lo_u32 v25, 0x84, v2
	v_xor_b32_e32 v29, vcc_lo, v29
	v_cmp_gt_i32_e32 vcc_lo, 0, v35
	v_not_b32_e32 v35, v36
	v_xor_b32_e32 v37, s4, v37
	v_cmp_gt_i32_e64 s4, 0, v36
	v_and_b32_e32 v29, exec_lo, v29
	v_not_b32_e32 v36, v39
	v_ashrrev_i32_e32 v35, 31, v35
	v_xor_b32_e32 v33, vcc_lo, v33
	v_cmp_gt_i32_e32 vcc_lo, 0, v39
	v_and_b32_e32 v29, v29, v37
	v_not_b32_e32 v37, v40
	v_ashrrev_i32_e32 v36, 31, v36
	v_xor_b32_e32 v35, s4, v35
	v_lshlrev_b32_e32 v2, 24, v2
	v_and_b32_e32 v29, v29, v33
	v_cmp_gt_i32_e64 s4, 0, v40
	v_not_b32_e32 v33, v41
	v_ashrrev_i32_e32 v37, 31, v37
	v_xor_b32_e32 v36, vcc_lo, v36
	v_and_b32_e32 v29, v29, v35
	v_cmp_gt_i32_e32 vcc_lo, 0, v41
	v_not_b32_e32 v35, v2
	v_ashrrev_i32_e32 v33, 31, v33
	v_xor_b32_e32 v37, s4, v37
	v_and_b32_e32 v29, v29, v36
	v_cmp_gt_i32_e64 s4, 0, v2
	v_ashrrev_i32_e32 v2, 31, v35
	v_xor_b32_e32 v33, vcc_lo, v33
	v_lshl_add_u32 v43, v1, 2, v25
	v_and_b32_e32 v29, v29, v37
	v_xor_b32_e32 v2, s4, v2
	ds_read_b32 v35, v43 offset:128
	v_and_b32_e32 v25, v29, v33
	; wave barrier
	v_and_b32_e32 v2, v25, v2
	v_mbcnt_lo_u32_b32 v36, v2, 0
	v_cmp_ne_u32_e64 s4, 0, v2
	v_cmp_eq_u32_e32 vcc_lo, 0, v36
	s_and_b32 s5, s4, vcc_lo
	s_and_saveexec_b32 s4, s5
	s_cbranch_execz .LBB857_145
; %bb.144:
	s_waitcnt lgkmcnt(0)
	v_bcnt_u32_b32 v2, v2, v35
	ds_write_b32 v43, v2 offset:128
.LBB857_145:
	s_or_b32 exec_lo, exec_lo, s4
	v_xor_b32_e32 v25, 0x80000000, v8
	; wave barrier
	v_lshrrev_b32_e32 v2, s44, v25
	v_and_b32_e32 v2, s14, v2
	v_and_b32_e32 v29, 1, v2
	v_lshlrev_b32_e32 v33, 30, v2
	v_lshlrev_b32_e32 v37, 29, v2
	;; [unrolled: 1-line block ×4, first 2 shown]
	v_add_co_u32 v29, s4, v29, -1
	v_cndmask_b32_e64 v40, 0, 1, s4
	v_not_b32_e32 v45, v33
	v_cmp_gt_i32_e64 s4, 0, v33
	v_not_b32_e32 v33, v37
	v_lshlrev_b32_e32 v42, 26, v2
	v_cmp_ne_u32_e32 vcc_lo, 0, v40
	v_ashrrev_i32_e32 v40, 31, v45
	v_lshlrev_b32_e32 v44, 25, v2
	v_ashrrev_i32_e32 v33, 31, v33
	v_mul_lo_u32 v8, 0x84, v2
	v_xor_b32_e32 v29, vcc_lo, v29
	v_cmp_gt_i32_e32 vcc_lo, 0, v37
	v_not_b32_e32 v37, v39
	v_xor_b32_e32 v40, s4, v40
	v_cmp_gt_i32_e64 s4, 0, v39
	v_and_b32_e32 v29, exec_lo, v29
	v_not_b32_e32 v39, v41
	v_ashrrev_i32_e32 v37, 31, v37
	v_xor_b32_e32 v33, vcc_lo, v33
	v_cmp_gt_i32_e32 vcc_lo, 0, v41
	v_and_b32_e32 v29, v29, v40
	v_not_b32_e32 v40, v42
	v_ashrrev_i32_e32 v39, 31, v39
	v_xor_b32_e32 v37, s4, v37
	v_lshlrev_b32_e32 v2, 24, v2
	v_and_b32_e32 v29, v29, v33
	v_cmp_gt_i32_e64 s4, 0, v42
	v_not_b32_e32 v33, v44
	v_ashrrev_i32_e32 v40, 31, v40
	v_xor_b32_e32 v39, vcc_lo, v39
	v_and_b32_e32 v29, v29, v37
	v_cmp_gt_i32_e32 vcc_lo, 0, v44
	v_not_b32_e32 v37, v2
	v_ashrrev_i32_e32 v33, 31, v33
	v_xor_b32_e32 v40, s4, v40
	v_and_b32_e32 v29, v29, v39
	v_cmp_gt_i32_e64 s4, 0, v2
	v_ashrrev_i32_e32 v2, 31, v37
	v_xor_b32_e32 v33, vcc_lo, v33
	v_lshl_add_u32 v47, v1, 2, v8
	v_and_b32_e32 v29, v29, v40
	v_xor_b32_e32 v2, s4, v2
	ds_read_b32 v39, v47 offset:128
	v_and_b32_e32 v8, v29, v33
	; wave barrier
	v_and_b32_e32 v2, v8, v2
	v_mbcnt_lo_u32_b32 v41, v2, 0
	v_cmp_ne_u32_e64 s4, 0, v2
	v_cmp_eq_u32_e32 vcc_lo, 0, v41
	s_and_b32 s5, s4, vcc_lo
	s_and_saveexec_b32 s4, s5
	s_cbranch_execz .LBB857_147
; %bb.146:
	s_waitcnt lgkmcnt(0)
	v_bcnt_u32_b32 v2, v2, v39
	ds_write_b32 v47, v2 offset:128
.LBB857_147:
	s_or_b32 exec_lo, exec_lo, s4
	v_xor_b32_e32 v29, 0x80000000, v7
	; wave barrier
	v_lshrrev_b32_e32 v2, s44, v29
	v_and_b32_e32 v2, s14, v2
	v_and_b32_e32 v8, 1, v2
	v_lshlrev_b32_e32 v33, 30, v2
	v_lshlrev_b32_e32 v37, 29, v2
	;; [unrolled: 1-line block ×4, first 2 shown]
	v_add_co_u32 v8, s4, v8, -1
	v_cndmask_b32_e64 v42, 0, 1, s4
	v_not_b32_e32 v48, v33
	v_cmp_gt_i32_e64 s4, 0, v33
	v_not_b32_e32 v33, v37
	v_lshlrev_b32_e32 v45, 26, v2
	v_cmp_ne_u32_e32 vcc_lo, 0, v42
	v_ashrrev_i32_e32 v42, 31, v48
	v_lshlrev_b32_e32 v46, 25, v2
	v_ashrrev_i32_e32 v33, 31, v33
	v_mul_lo_u32 v7, 0x84, v2
	v_xor_b32_e32 v8, vcc_lo, v8
	v_cmp_gt_i32_e32 vcc_lo, 0, v37
	v_not_b32_e32 v37, v40
	v_xor_b32_e32 v42, s4, v42
	v_cmp_gt_i32_e64 s4, 0, v40
	v_and_b32_e32 v8, exec_lo, v8
	v_not_b32_e32 v40, v44
	v_ashrrev_i32_e32 v37, 31, v37
	v_xor_b32_e32 v33, vcc_lo, v33
	v_cmp_gt_i32_e32 vcc_lo, 0, v44
	v_and_b32_e32 v8, v8, v42
	v_not_b32_e32 v42, v45
	v_ashrrev_i32_e32 v40, 31, v40
	v_xor_b32_e32 v37, s4, v37
	v_lshlrev_b32_e32 v2, 24, v2
	v_and_b32_e32 v8, v8, v33
	v_cmp_gt_i32_e64 s4, 0, v45
	v_not_b32_e32 v33, v46
	v_ashrrev_i32_e32 v42, 31, v42
	v_xor_b32_e32 v40, vcc_lo, v40
	v_and_b32_e32 v8, v8, v37
	v_cmp_gt_i32_e32 vcc_lo, 0, v46
	v_not_b32_e32 v37, v2
	v_ashrrev_i32_e32 v33, 31, v33
	v_xor_b32_e32 v42, s4, v42
	v_and_b32_e32 v8, v8, v40
	v_cmp_gt_i32_e64 s4, 0, v2
	v_ashrrev_i32_e32 v2, 31, v37
	v_xor_b32_e32 v33, vcc_lo, v33
	v_lshl_add_u32 v50, v1, 2, v7
	v_and_b32_e32 v8, v8, v42
	v_xor_b32_e32 v2, s4, v2
	ds_read_b32 v44, v50 offset:128
	v_and_b32_e32 v7, v8, v33
	; wave barrier
	v_and_b32_e32 v2, v7, v2
	v_mbcnt_lo_u32_b32 v45, v2, 0
	v_cmp_ne_u32_e64 s4, 0, v2
	v_cmp_eq_u32_e32 vcc_lo, 0, v45
	s_and_b32 s5, s4, vcc_lo
	s_and_saveexec_b32 s4, s5
	s_cbranch_execz .LBB857_149
; %bb.148:
	s_waitcnt lgkmcnt(0)
	v_bcnt_u32_b32 v2, v2, v44
	ds_write_b32 v50, v2 offset:128
.LBB857_149:
	s_or_b32 exec_lo, exec_lo, s4
	v_xor_b32_e32 v33, 0x80000000, v6
	; wave barrier
	v_lshrrev_b32_e32 v2, s44, v33
	v_and_b32_e32 v2, s14, v2
	v_and_b32_e32 v7, 1, v2
	v_lshlrev_b32_e32 v8, 30, v2
	v_lshlrev_b32_e32 v37, 29, v2
	;; [unrolled: 1-line block ×4, first 2 shown]
	v_add_co_u32 v7, s4, v7, -1
	v_cndmask_b32_e64 v42, 0, 1, s4
	v_not_b32_e32 v51, v8
	v_cmp_gt_i32_e64 s4, 0, v8
	v_not_b32_e32 v8, v37
	v_lshlrev_b32_e32 v48, 26, v2
	v_cmp_ne_u32_e32 vcc_lo, 0, v42
	v_ashrrev_i32_e32 v42, 31, v51
	v_lshlrev_b32_e32 v49, 25, v2
	v_ashrrev_i32_e32 v8, 31, v8
	v_mul_lo_u32 v6, 0x84, v2
	v_xor_b32_e32 v7, vcc_lo, v7
	v_cmp_gt_i32_e32 vcc_lo, 0, v37
	v_not_b32_e32 v37, v40
	v_xor_b32_e32 v42, s4, v42
	v_cmp_gt_i32_e64 s4, 0, v40
	v_and_b32_e32 v7, exec_lo, v7
	v_not_b32_e32 v40, v46
	v_ashrrev_i32_e32 v37, 31, v37
	v_xor_b32_e32 v8, vcc_lo, v8
	v_cmp_gt_i32_e32 vcc_lo, 0, v46
	v_and_b32_e32 v7, v7, v42
	v_not_b32_e32 v42, v48
	v_ashrrev_i32_e32 v40, 31, v40
	v_xor_b32_e32 v37, s4, v37
	v_lshlrev_b32_e32 v2, 24, v2
	v_and_b32_e32 v7, v7, v8
	v_cmp_gt_i32_e64 s4, 0, v48
	v_not_b32_e32 v8, v49
	v_ashrrev_i32_e32 v42, 31, v42
	v_xor_b32_e32 v40, vcc_lo, v40
	v_and_b32_e32 v7, v7, v37
	v_cmp_gt_i32_e32 vcc_lo, 0, v49
	v_not_b32_e32 v37, v2
	v_ashrrev_i32_e32 v8, 31, v8
	v_xor_b32_e32 v42, s4, v42
	v_and_b32_e32 v7, v7, v40
	v_cmp_gt_i32_e64 s4, 0, v2
	v_ashrrev_i32_e32 v2, 31, v37
	v_xor_b32_e32 v8, vcc_lo, v8
	v_lshl_add_u32 v53, v1, 2, v6
	v_and_b32_e32 v7, v7, v42
	v_xor_b32_e32 v2, s4, v2
	ds_read_b32 v48, v53 offset:128
	v_and_b32_e32 v6, v7, v8
	; wave barrier
	v_and_b32_e32 v2, v6, v2
	v_mbcnt_lo_u32_b32 v49, v2, 0
	v_cmp_ne_u32_e64 s4, 0, v2
	v_cmp_eq_u32_e32 vcc_lo, 0, v49
	s_and_b32 s5, s4, vcc_lo
	s_and_saveexec_b32 s4, s5
	s_cbranch_execz .LBB857_151
; %bb.150:
	s_waitcnt lgkmcnt(0)
	v_bcnt_u32_b32 v2, v2, v48
	ds_write_b32 v53, v2 offset:128
.LBB857_151:
	s_or_b32 exec_lo, exec_lo, s4
	v_xor_b32_e32 v37, 0x80000000, v5
	; wave barrier
	v_lshrrev_b32_e32 v2, s44, v37
	v_and_b32_e32 v2, s14, v2
	v_and_b32_e32 v6, 1, v2
	v_lshlrev_b32_e32 v7, 30, v2
	v_lshlrev_b32_e32 v8, 29, v2
	v_lshlrev_b32_e32 v40, 28, v2
	v_lshlrev_b32_e32 v46, 27, v2
	v_add_co_u32 v6, s4, v6, -1
	v_cndmask_b32_e64 v42, 0, 1, s4
	v_not_b32_e32 v54, v7
	v_cmp_gt_i32_e64 s4, 0, v7
	v_not_b32_e32 v7, v8
	v_lshlrev_b32_e32 v51, 26, v2
	v_cmp_ne_u32_e32 vcc_lo, 0, v42
	v_ashrrev_i32_e32 v42, 31, v54
	v_lshlrev_b32_e32 v52, 25, v2
	v_ashrrev_i32_e32 v7, 31, v7
	v_mul_lo_u32 v5, 0x84, v2
	v_xor_b32_e32 v6, vcc_lo, v6
	v_cmp_gt_i32_e32 vcc_lo, 0, v8
	v_not_b32_e32 v8, v40
	v_xor_b32_e32 v42, s4, v42
	v_cmp_gt_i32_e64 s4, 0, v40
	v_and_b32_e32 v6, exec_lo, v6
	v_not_b32_e32 v40, v46
	v_ashrrev_i32_e32 v8, 31, v8
	v_xor_b32_e32 v7, vcc_lo, v7
	v_cmp_gt_i32_e32 vcc_lo, 0, v46
	v_and_b32_e32 v6, v6, v42
	v_not_b32_e32 v42, v51
	v_ashrrev_i32_e32 v40, 31, v40
	v_xor_b32_e32 v8, s4, v8
	v_lshlrev_b32_e32 v2, 24, v2
	v_and_b32_e32 v6, v6, v7
	v_cmp_gt_i32_e64 s4, 0, v51
	v_not_b32_e32 v7, v52
	v_ashrrev_i32_e32 v42, 31, v42
	v_xor_b32_e32 v40, vcc_lo, v40
	v_and_b32_e32 v6, v6, v8
	v_cmp_gt_i32_e32 vcc_lo, 0, v52
	v_not_b32_e32 v8, v2
	v_ashrrev_i32_e32 v7, 31, v7
	v_xor_b32_e32 v42, s4, v42
	v_and_b32_e32 v6, v6, v40
	v_cmp_gt_i32_e64 s4, 0, v2
	v_ashrrev_i32_e32 v2, 31, v8
	v_xor_b32_e32 v7, vcc_lo, v7
	v_lshl_add_u32 v56, v1, 2, v5
	v_and_b32_e32 v6, v6, v42
	v_xor_b32_e32 v2, s4, v2
	ds_read_b32 v51, v56 offset:128
	v_and_b32_e32 v5, v6, v7
	; wave barrier
	v_and_b32_e32 v2, v5, v2
	v_mbcnt_lo_u32_b32 v52, v2, 0
	v_cmp_ne_u32_e64 s4, 0, v2
	v_cmp_eq_u32_e32 vcc_lo, 0, v52
	s_and_b32 s5, s4, vcc_lo
	s_and_saveexec_b32 s4, s5
	s_cbranch_execz .LBB857_153
; %bb.152:
	s_waitcnt lgkmcnt(0)
	v_bcnt_u32_b32 v2, v2, v51
	ds_write_b32 v56, v2 offset:128
.LBB857_153:
	s_or_b32 exec_lo, exec_lo, s4
	v_xor_b32_e32 v42, 0x80000000, v4
	; wave barrier
	v_lshrrev_b32_e32 v2, s44, v42
	v_and_b32_e32 v2, s14, v2
	v_and_b32_e32 v5, 1, v2
	v_lshlrev_b32_e32 v6, 30, v2
	v_lshlrev_b32_e32 v7, 29, v2
	;; [unrolled: 1-line block ×4, first 2 shown]
	v_add_co_u32 v5, s4, v5, -1
	v_cndmask_b32_e64 v40, 0, 1, s4
	v_not_b32_e32 v57, v6
	v_cmp_gt_i32_e64 s4, 0, v6
	v_not_b32_e32 v6, v7
	v_lshlrev_b32_e32 v54, 26, v2
	v_cmp_ne_u32_e32 vcc_lo, 0, v40
	v_ashrrev_i32_e32 v40, 31, v57
	v_lshlrev_b32_e32 v55, 25, v2
	v_ashrrev_i32_e32 v6, 31, v6
	v_mul_lo_u32 v4, 0x84, v2
	v_xor_b32_e32 v5, vcc_lo, v5
	v_cmp_gt_i32_e32 vcc_lo, 0, v7
	v_not_b32_e32 v7, v8
	v_xor_b32_e32 v40, s4, v40
	v_cmp_gt_i32_e64 s4, 0, v8
	v_and_b32_e32 v5, exec_lo, v5
	v_not_b32_e32 v8, v46
	v_ashrrev_i32_e32 v7, 31, v7
	v_xor_b32_e32 v6, vcc_lo, v6
	v_cmp_gt_i32_e32 vcc_lo, 0, v46
	v_and_b32_e32 v5, v5, v40
	v_not_b32_e32 v40, v54
	v_ashrrev_i32_e32 v8, 31, v8
	v_xor_b32_e32 v7, s4, v7
	v_lshlrev_b32_e32 v2, 24, v2
	v_and_b32_e32 v5, v5, v6
	v_cmp_gt_i32_e64 s4, 0, v54
	v_not_b32_e32 v6, v55
	v_ashrrev_i32_e32 v40, 31, v40
	v_xor_b32_e32 v8, vcc_lo, v8
	v_and_b32_e32 v5, v5, v7
	v_cmp_gt_i32_e32 vcc_lo, 0, v55
	v_not_b32_e32 v7, v2
	v_ashrrev_i32_e32 v6, 31, v6
	v_xor_b32_e32 v40, s4, v40
	v_and_b32_e32 v5, v5, v8
	v_cmp_gt_i32_e64 s4, 0, v2
	v_ashrrev_i32_e32 v2, 31, v7
	v_xor_b32_e32 v6, vcc_lo, v6
	v_lshl_add_u32 v59, v1, 2, v4
	v_and_b32_e32 v5, v5, v40
	v_xor_b32_e32 v2, s4, v2
	ds_read_b32 v54, v59 offset:128
	v_and_b32_e32 v4, v5, v6
	; wave barrier
	v_and_b32_e32 v2, v4, v2
	v_mbcnt_lo_u32_b32 v55, v2, 0
	v_cmp_ne_u32_e64 s4, 0, v2
	v_cmp_eq_u32_e32 vcc_lo, 0, v55
	s_and_b32 s5, s4, vcc_lo
	s_and_saveexec_b32 s4, s5
	s_cbranch_execz .LBB857_155
; %bb.154:
	s_waitcnt lgkmcnt(0)
	v_bcnt_u32_b32 v2, v2, v54
	ds_write_b32 v59, v2 offset:128
.LBB857_155:
	s_or_b32 exec_lo, exec_lo, s4
	v_xor_b32_e32 v46, 0x80000000, v3
	; wave barrier
	v_lshrrev_b32_e32 v2, s44, v46
	v_and_b32_e32 v2, s14, v2
	v_and_b32_e32 v4, 1, v2
	v_lshlrev_b32_e32 v5, 30, v2
	v_lshlrev_b32_e32 v6, 29, v2
	;; [unrolled: 1-line block ×4, first 2 shown]
	v_add_co_u32 v4, s4, v4, -1
	v_cndmask_b32_e64 v8, 0, 1, s4
	v_not_b32_e32 v60, v5
	v_cmp_gt_i32_e64 s4, 0, v5
	v_not_b32_e32 v5, v6
	v_lshlrev_b32_e32 v57, 26, v2
	v_cmp_ne_u32_e32 vcc_lo, 0, v8
	v_ashrrev_i32_e32 v8, 31, v60
	v_lshlrev_b32_e32 v58, 25, v2
	v_ashrrev_i32_e32 v5, 31, v5
	v_mul_lo_u32 v3, 0x84, v2
	v_xor_b32_e32 v4, vcc_lo, v4
	v_cmp_gt_i32_e32 vcc_lo, 0, v6
	v_not_b32_e32 v6, v7
	v_xor_b32_e32 v8, s4, v8
	v_cmp_gt_i32_e64 s4, 0, v7
	v_and_b32_e32 v4, exec_lo, v4
	v_not_b32_e32 v7, v40
	v_ashrrev_i32_e32 v6, 31, v6
	v_xor_b32_e32 v5, vcc_lo, v5
	v_cmp_gt_i32_e32 vcc_lo, 0, v40
	v_and_b32_e32 v4, v4, v8
	v_not_b32_e32 v8, v57
	v_ashrrev_i32_e32 v7, 31, v7
	v_xor_b32_e32 v6, s4, v6
	v_lshlrev_b32_e32 v2, 24, v2
	v_and_b32_e32 v4, v4, v5
	v_cmp_gt_i32_e64 s4, 0, v57
	v_not_b32_e32 v5, v58
	v_ashrrev_i32_e32 v8, 31, v8
	v_xor_b32_e32 v7, vcc_lo, v7
	v_and_b32_e32 v4, v4, v6
	v_cmp_gt_i32_e32 vcc_lo, 0, v58
	v_not_b32_e32 v6, v2
	v_ashrrev_i32_e32 v5, 31, v5
	v_xor_b32_e32 v8, s4, v8
	v_and_b32_e32 v4, v4, v7
	v_cmp_gt_i32_e64 s4, 0, v2
	v_ashrrev_i32_e32 v2, 31, v6
	v_xor_b32_e32 v5, vcc_lo, v5
	v_lshl_add_u32 v60, v1, 2, v3
	v_and_b32_e32 v4, v4, v8
	v_xor_b32_e32 v1, s4, v2
	ds_read_b32 v57, v60 offset:128
	v_and_b32_e32 v2, v4, v5
	; wave barrier
	v_and_b32_e32 v1, v2, v1
	v_mbcnt_lo_u32_b32 v58, v1, 0
	v_cmp_ne_u32_e64 s4, 0, v1
	v_cmp_eq_u32_e32 vcc_lo, 0, v58
	s_and_b32 s5, s4, vcc_lo
	s_and_saveexec_b32 s4, s5
	s_cbranch_execz .LBB857_157
; %bb.156:
	s_waitcnt lgkmcnt(0)
	v_bcnt_u32_b32 v1, v1, v57
	ds_write_b32 v60, v1 offset:128
.LBB857_157:
	s_or_b32 exec_lo, exec_lo, s4
	; wave barrier
	s_waitcnt lgkmcnt(0)
	s_barrier
	buffer_gl0_inv
	ds_read2_b32 v[7:8], v21 offset0:32 offset1:33
	ds_read2_b32 v[5:6], v21 offset0:34 offset1:35
	ds_read2_b32 v[3:4], v21 offset0:36 offset1:37
	ds_read2_b32 v[1:2], v21 offset0:38 offset1:39
	ds_read_b32 v40, v21 offset:160
	v_and_b32_e32 v63, 16, v11
	v_and_b32_e32 v64, 31, v0
	s_mov_b32 s10, exec_lo
	v_cmp_eq_u32_e64 s8, 0, v63
	s_waitcnt lgkmcnt(3)
	v_add3_u32 v61, v8, v7, v5
	s_waitcnt lgkmcnt(2)
	v_add3_u32 v61, v61, v6, v3
	;; [unrolled: 2-line block ×4, first 2 shown]
	v_and_b32_e32 v61, 15, v11
	v_mov_b32_dpp v62, v40 row_shr:1 row_mask:0xf bank_mask:0xf
	v_cmp_eq_u32_e32 vcc_lo, 0, v61
	v_cmp_lt_u32_e64 s4, 1, v61
	v_cmp_lt_u32_e64 s5, 3, v61
	;; [unrolled: 1-line block ×3, first 2 shown]
	v_cndmask_b32_e64 v62, v62, 0, vcc_lo
	v_add_nc_u32_e32 v40, v62, v40
	v_mov_b32_dpp v62, v40 row_shr:2 row_mask:0xf bank_mask:0xf
	v_cndmask_b32_e64 v62, 0, v62, s4
	v_add_nc_u32_e32 v40, v40, v62
	v_mov_b32_dpp v62, v40 row_shr:4 row_mask:0xf bank_mask:0xf
	v_cndmask_b32_e64 v62, 0, v62, s5
	;; [unrolled: 3-line block ×3, first 2 shown]
	v_bfe_i32 v62, v11, 4, 1
	v_add_nc_u32_e32 v40, v40, v61
	ds_swizzle_b32 v61, v40 offset:swizzle(BROADCAST,32,15)
	s_waitcnt lgkmcnt(0)
	v_and_b32_e32 v61, v62, v61
	v_lshrrev_b32_e32 v62, 5, v0
	v_add_nc_u32_e32 v61, v40, v61
	v_cmpx_eq_u32_e32 31, v64
; %bb.158:
	v_lshlrev_b32_e32 v40, 2, v62
	ds_write_b32 v40, v61
; %bb.159:
	s_or_b32 exec_lo, exec_lo, s10
	v_cmp_lt_u32_e64 s9, 31, v0
	v_lshlrev_b32_e32 v40, 2, v0
	s_mov_b32 s15, exec_lo
	s_waitcnt lgkmcnt(0)
	s_barrier
	buffer_gl0_inv
	v_cmpx_gt_u32_e32 32, v0
	s_cbranch_execz .LBB857_161
; %bb.160:
	ds_read_b32 v63, v40
	s_waitcnt lgkmcnt(0)
	v_mov_b32_dpp v64, v63 row_shr:1 row_mask:0xf bank_mask:0xf
	v_cndmask_b32_e64 v64, v64, 0, vcc_lo
	v_add_nc_u32_e32 v63, v64, v63
	v_mov_b32_dpp v64, v63 row_shr:2 row_mask:0xf bank_mask:0xf
	v_cndmask_b32_e64 v64, 0, v64, s4
	v_add_nc_u32_e32 v63, v63, v64
	v_mov_b32_dpp v64, v63 row_shr:4 row_mask:0xf bank_mask:0xf
	v_cndmask_b32_e64 v64, 0, v64, s5
	;; [unrolled: 3-line block ×3, first 2 shown]
	v_add_nc_u32_e32 v63, v63, v64
	ds_swizzle_b32 v64, v63 offset:swizzle(BROADCAST,32,15)
	s_waitcnt lgkmcnt(0)
	v_cndmask_b32_e64 v64, v64, 0, s8
	v_add_nc_u32_e32 v63, v63, v64
	ds_write_b32 v40, v63
.LBB857_161:
	s_or_b32 exec_lo, exec_lo, s15
	v_mov_b32_e32 v63, 0
	s_waitcnt lgkmcnt(0)
	s_barrier
	buffer_gl0_inv
	s_and_saveexec_b32 s4, s9
; %bb.162:
	v_lshl_add_u32 v62, v62, 2, -4
	ds_read_b32 v63, v62
; %bb.163:
	s_or_b32 exec_lo, exec_lo, s4
	v_sub_co_u32 v62, vcc_lo, v11, 1
	s_waitcnt lgkmcnt(0)
	v_add_nc_u32_e32 v61, v63, v61
	v_cmp_gt_i32_e64 s4, 0, v62
	v_cndmask_b32_e64 v11, v62, v11, s4
	v_cmp_lt_u32_e64 s4, 0xff, v0
	v_lshlrev_b32_e32 v11, 2, v11
	ds_bpermute_b32 v11, v11, v61
	s_waitcnt lgkmcnt(0)
	v_cndmask_b32_e32 v11, v11, v63, vcc_lo
	v_cmp_ne_u32_e32 vcc_lo, 0, v0
	v_cndmask_b32_e32 v11, 0, v11, vcc_lo
	v_cmp_gt_u32_e32 vcc_lo, 0x100, v0
	v_add_nc_u32_e32 v7, v11, v7
	v_add_nc_u32_e32 v8, v7, v8
	;; [unrolled: 1-line block ×8, first 2 shown]
	ds_write2_b32 v21, v11, v7 offset0:32 offset1:33
	ds_write2_b32 v21, v8, v5 offset0:34 offset1:35
	;; [unrolled: 1-line block ×4, first 2 shown]
	ds_write_b32 v21, v2 offset:160
	s_waitcnt lgkmcnt(0)
	s_barrier
	buffer_gl0_inv
	ds_read_b32 v11, v22 offset:128
	ds_read_b32 v21, v26 offset:128
	ds_read_b32 v22, v30 offset:128
	ds_read_b32 v26, v34 offset:128
	ds_read_b32 v30, v38 offset:128
	ds_read_b32 v34, v43 offset:128
	ds_read_b32 v38, v47 offset:128
	ds_read_b32 v43, v50 offset:128
	ds_read_b32 v47, v53 offset:128
	ds_read_b32 v50, v56 offset:128
	ds_read_b32 v53, v59 offset:128
	ds_read_b32 v56, v60 offset:128
                                        ; implicit-def: $vgpr7
                                        ; implicit-def: $vgpr8
	s_and_saveexec_b32 s7, vcc_lo
	s_cbranch_execz .LBB857_167
; %bb.164:
	v_mul_u32_u24_e32 v1, 0x84, v0
	v_add_nc_u32_e32 v2, 1, v0
	s_mov_b32 s8, exec_lo
	ds_read_b32 v7, v1 offset:128
	v_mov_b32_e32 v1, 0x3000
	v_cmpx_ne_u32_e32 0x100, v2
; %bb.165:
	v_mul_u32_u24_e32 v1, 0x84, v2
	ds_read_b32 v1, v1 offset:128
; %bb.166:
	s_or_b32 exec_lo, exec_lo, s8
	s_waitcnt lgkmcnt(0)
	v_sub_nc_u32_e32 v8, v1, v7
.LBB857_167:
	s_or_b32 exec_lo, exec_lo, s7
	v_mov_b32_e32 v2, 0
	s_waitcnt lgkmcnt(0)
	s_barrier
	buffer_gl0_inv
	s_and_saveexec_b32 s5, vcc_lo
	s_cbranch_execz .LBB857_177
; %bb.168:
	v_lshl_add_u32 v1, s6, 8, v0
	v_mov_b32_e32 v59, 0
	s_mov_b32 s7, 0
	s_mov_b32 s8, s6
                                        ; implicit-def: $sgpr9
	v_lshlrev_b64 v[3:4], 2, v[1:2]
	v_or_b32_e32 v1, 2.0, v8
	v_add_co_u32 v3, vcc_lo, s26, v3
	v_add_co_ci_u32_e64 v4, null, s27, v4, vcc_lo
	global_store_dword v[3:4], v1, off
	s_branch .LBB857_171
	.p2align	6
.LBB857_169:                            ;   in Loop: Header=BB857_171 Depth=1
	s_or_b32 exec_lo, exec_lo, s10
.LBB857_170:                            ;   in Loop: Header=BB857_171 Depth=1
	s_or_b32 exec_lo, exec_lo, s9
	v_and_b32_e32 v5, 0x3fffffff, v1
	v_cmp_gt_i32_e64 s9, -2.0, v1
	v_add_nc_u32_e32 v59, v5, v59
	s_and_b32 s10, exec_lo, s9
	s_or_b32 s7, s10, s7
	s_andn2_b32 exec_lo, exec_lo, s7
	s_cbranch_execz .LBB857_176
.LBB857_171:                            ; =>This Loop Header: Depth=1
                                        ;     Child Loop BB857_174 Depth 2
	s_or_b32 s9, s9, exec_lo
	s_cmp_eq_u32 s8, 0
	s_cbranch_scc1 .LBB857_175
; %bb.172:                              ;   in Loop: Header=BB857_171 Depth=1
	s_add_i32 s8, s8, -1
	s_mov_b32 s9, exec_lo
	v_lshl_or_b32 v1, s8, 8, v0
	v_lshlrev_b64 v[5:6], 2, v[1:2]
	v_add_co_u32 v5, vcc_lo, s26, v5
	v_add_co_ci_u32_e64 v6, null, s27, v6, vcc_lo
	global_load_dword v1, v[5:6], off glc dlc
	s_waitcnt vmcnt(0)
	v_cmpx_gt_u32_e32 2.0, v1
	s_cbranch_execz .LBB857_170
; %bb.173:                              ;   in Loop: Header=BB857_171 Depth=1
	s_mov_b32 s10, 0
.LBB857_174:                            ;   Parent Loop BB857_171 Depth=1
                                        ; =>  This Inner Loop Header: Depth=2
	global_load_dword v1, v[5:6], off glc dlc
	s_waitcnt vmcnt(0)
	v_cmp_lt_u32_e32 vcc_lo, 0x3fffffff, v1
	s_or_b32 s10, vcc_lo, s10
	s_andn2_b32 exec_lo, exec_lo, s10
	s_cbranch_execnz .LBB857_174
	s_branch .LBB857_169
.LBB857_175:                            ;   in Loop: Header=BB857_171 Depth=1
                                        ; implicit-def: $sgpr8
	s_and_b32 s10, exec_lo, s9
	s_or_b32 s7, s10, s7
	s_andn2_b32 exec_lo, exec_lo, s7
	s_cbranch_execnz .LBB857_171
.LBB857_176:
	s_or_b32 exec_lo, exec_lo, s7
	v_add_nc_u32_e32 v1, v59, v8
	v_sub_nc_u32_e32 v2, v59, v7
	v_or_b32_e32 v1, 0x80000000, v1
	global_store_dword v[3:4], v1, off
	global_load_dword v1, v40, s[28:29]
	s_waitcnt vmcnt(0)
	v_add_nc_u32_e32 v1, v2, v1
	ds_write_b32 v40, v1
.LBB857_177:
	s_or_b32 exec_lo, exec_lo, s5
	v_add_nc_u32_e32 v3, v11, v16
	v_add3_u32 v4, v19, v18, v21
	v_add3_u32 v5, v24, v23, v22
	;; [unrolled: 1-line block ×11, first 2 shown]
	v_mov_b32_e32 v2, 0
	v_mov_b32_e32 v26, v3
	;; [unrolled: 1-line block ×13, first 2 shown]
	s_mov_b32 s5, 32
	s_mov_b32 s9, 0
	;; [unrolled: 1-line block ×3, first 2 shown]
	s_mov_b32 s8, -1
	s_branch .LBB857_179
.LBB857_178:                            ;   in Loop: Header=BB857_179 Depth=1
	v_add_nc_u32_e32 v41, 0xffffe000, v41
	v_add_nc_u32_e32 v39, 0xffffe000, v39
	;; [unrolled: 1-line block ×12, first 2 shown]
	s_xor_b32 s9, s8, -1
	s_addk_i32 s7, 0x2000
	s_mov_b32 s8, 0
	s_and_b32 vcc_lo, exec_lo, s9
	s_mov_b32 s9, s5
	s_waitcnt_vscnt null, 0x0
	s_barrier
	buffer_gl0_inv
	s_cbranch_vccnz .LBB857_187
.LBB857_179:                            ; =>This Inner Loop Header: Depth=1
	v_min_u32_e32 v1, 0x2000, v26
	v_min_u32_e32 v43, 0x2000, v27
	;; [unrolled: 1-line block ×5, first 2 shown]
	v_lshlrev_b32_e32 v1, 2, v1
	v_lshlrev_b32_e32 v43, 2, v43
	v_min_u32_e32 v48, 0x2000, v32
	v_min_u32_e32 v49, 0x2000, v34
	v_mov_b32_e32 v57, s9
	ds_write_b32 v1, v12 offset:1024
	ds_write_b32 v43, v13 offset:1024
	v_lshlrev_b32_e32 v1, 2, v44
	v_lshlrev_b32_e32 v43, 2, v45
	v_lshlrev_b32_e32 v44, 2, v47
	v_lshlrev_b32_e32 v45, 2, v48
	v_lshlrev_b32_e32 v47, 2, v49
	ds_write_b32 v1, v14 offset:1024
	ds_write_b32 v43, v15 offset:1024
	;; [unrolled: 1-line block ×5, first 2 shown]
	v_min_u32_e32 v1, 0x2000, v35
	v_min_u32_e32 v43, 0x2000, v36
	v_min_u32_e32 v44, 0x2000, v38
	v_min_u32_e32 v45, 0x2000, v39
	v_min_u32_e32 v47, 0x2000, v41
	v_lshlrev_b32_e32 v1, 2, v1
	v_lshlrev_b32_e32 v43, 2, v43
	;; [unrolled: 1-line block ×5, first 2 shown]
	ds_write_b32 v1, v29 offset:1024
	ds_write_b32 v43, v33 offset:1024
	;; [unrolled: 1-line block ×5, first 2 shown]
	s_waitcnt lgkmcnt(0)
	s_waitcnt_vscnt null, 0x0
	s_barrier
	buffer_gl0_inv
	ds_read2st64_b32 v[44:45], v40 offset0:4 offset1:20
	ds_read2st64_b32 v[47:48], v40 offset0:36 offset1:52
	s_add_i32 s10, s7, 0x1000
	s_cmpk_lt_u32 s10, 0x3000
	s_waitcnt lgkmcnt(1)
	v_lshrrev_b32_e32 v1, s44, v44
	v_xor_b32_e32 v58, 0x80000000, v44
	v_xor_b32_e32 v59, 0x80000000, v45
	s_waitcnt lgkmcnt(0)
	v_xor_b32_e32 v60, 0x80000000, v47
	v_xor_b32_e32 v61, 0x80000000, v48
	v_and_b32_e32 v49, s14, v1
	v_lshrrev_b32_e32 v1, s44, v45
	v_lshlrev_b32_e32 v43, 2, v49
	v_and_b32_e32 v50, s14, v1
	v_lshrrev_b32_e32 v1, s44, v47
	ds_read_b32 v51, v43
	v_and_b32_e32 v53, s14, v1
	v_lshrrev_b32_e32 v1, s44, v48
	v_and_b32_e32 v54, s14, v1
	v_lshlrev_b32_e32 v1, 2, v54
	ds_read_b32 v56, v1
	v_lshlrev_b32_e32 v43, 2, v50
	ds_read_b32 v52, v43
	;; [unrolled: 2-line block ×3, first 2 shown]
	v_add_nc_u32_e32 v43, s7, v0
	buffer_store_dword v49, v57, s[0:3], 0 offen
	buffer_store_dword v50, v57, s[0:3], 0 offen offset:4
	buffer_store_dword v53, v57, s[0:3], 0 offen offset:8
	s_waitcnt lgkmcnt(3)
	v_add_nc_u32_e32 v1, v43, v51
	v_lshlrev_b64 v[44:45], 2, v[1:2]
	s_waitcnt lgkmcnt(1)
	v_add3_u32 v1, v43, v52, 0x400
	v_add_co_u32 v44, vcc_lo, s38, v44
	v_lshlrev_b64 v[47:48], 2, v[1:2]
	s_waitcnt lgkmcnt(0)
	v_add3_u32 v1, v43, v55, 0x800
	v_add_co_ci_u32_e64 v45, null, s39, v45, vcc_lo
	v_lshlrev_b64 v[49:50], 2, v[1:2]
	v_add3_u32 v1, v43, v56, 0xc00
	v_add_co_u32 v47, vcc_lo, s38, v47
	v_add_co_ci_u32_e64 v48, null, s39, v48, vcc_lo
	v_lshlrev_b64 v[51:52], 2, v[1:2]
	v_add_co_u32 v49, vcc_lo, s38, v49
	v_add_co_ci_u32_e64 v50, null, s39, v50, vcc_lo
	v_add_co_u32 v51, vcc_lo, s38, v51
	v_add_co_ci_u32_e64 v52, null, s39, v52, vcc_lo
	global_store_dword v[44:45], v58, off
	global_store_dword v[47:48], v59, off
	;; [unrolled: 1-line block ×4, first 2 shown]
	buffer_store_dword v54, v57, s[0:3], 0 offen offset:12
	s_cbranch_scc0 .LBB857_183
; %bb.180:                              ;   in Loop: Header=BB857_179 Depth=1
	ds_read_b32 v47, v40 offset:17408
	s_waitcnt lgkmcnt(0)
	v_lshrrev_b32_e32 v1, s44, v47
	v_and_b32_e32 v48, s14, v1
	v_lshlrev_b32_e32 v1, 2, v48
	ds_read_b32 v1, v1
	s_waitcnt lgkmcnt(0)
	v_add3_u32 v1, v43, v1, 0x1000
	v_lshlrev_b64 v[44:45], 2, v[1:2]
	v_xor_b32_e32 v1, 0x80000000, v47
	v_mov_b32_e32 v47, s9
	v_add_co_u32 v44, vcc_lo, s38, v44
	v_add_co_ci_u32_e64 v45, null, s39, v45, vcc_lo
	buffer_store_dword v48, v47, s[0:3], 0 offen offset:16
	global_store_dword v[44:45], v1, off
	s_add_i32 s10, s7, 0x1400
	s_cmpk_gt_u32 s10, 0x2fff
	s_cbranch_scc0 .LBB857_184
.LBB857_181:                            ;   in Loop: Header=BB857_179 Depth=1
	s_add_i32 s10, s7, 0x1800
	s_cmpk_gt_u32 s10, 0x2fff
	s_cbranch_scc1 .LBB857_185
.LBB857_182:                            ;   in Loop: Header=BB857_179 Depth=1
	ds_read_b32 v47, v40 offset:25600
	s_waitcnt lgkmcnt(0)
	v_lshrrev_b32_e32 v1, s44, v47
	v_and_b32_e32 v48, s14, v1
	v_lshlrev_b32_e32 v1, 2, v48
	ds_read_b32 v1, v1
	s_waitcnt lgkmcnt(0)
	v_add3_u32 v1, v43, v1, 0x1800
	v_lshlrev_b64 v[44:45], 2, v[1:2]
	v_xor_b32_e32 v1, 0x80000000, v47
	v_mov_b32_e32 v47, s9
	v_add_co_u32 v44, vcc_lo, s38, v44
	v_add_co_ci_u32_e64 v45, null, s39, v45, vcc_lo
	buffer_store_dword v48, v47, s[0:3], 0 offen offset:24
	global_store_dword v[44:45], v1, off
	s_add_i32 s10, s7, 0x1c00
	s_cmpk_gt_u32 s10, 0x2fff
	s_cbranch_scc1 .LBB857_178
	s_branch .LBB857_186
.LBB857_183:                            ;   in Loop: Header=BB857_179 Depth=1
	s_add_i32 s10, s7, 0x1400
	s_cmpk_gt_u32 s10, 0x2fff
	s_cbranch_scc1 .LBB857_181
.LBB857_184:                            ;   in Loop: Header=BB857_179 Depth=1
	ds_read_b32 v47, v40 offset:21504
	s_waitcnt lgkmcnt(0)
	v_lshrrev_b32_e32 v1, s44, v47
	v_and_b32_e32 v48, s14, v1
	v_lshlrev_b32_e32 v1, 2, v48
	ds_read_b32 v1, v1
	s_waitcnt lgkmcnt(0)
	v_add3_u32 v1, v43, v1, 0x1400
	v_lshlrev_b64 v[44:45], 2, v[1:2]
	v_xor_b32_e32 v1, 0x80000000, v47
	v_mov_b32_e32 v47, s9
	v_add_co_u32 v44, vcc_lo, s38, v44
	v_add_co_ci_u32_e64 v45, null, s39, v45, vcc_lo
	buffer_store_dword v48, v47, s[0:3], 0 offen offset:20
	global_store_dword v[44:45], v1, off
	s_add_i32 s10, s7, 0x1800
	s_cmpk_gt_u32 s10, 0x2fff
	s_cbranch_scc0 .LBB857_182
.LBB857_185:                            ;   in Loop: Header=BB857_179 Depth=1
	s_add_i32 s10, s7, 0x1c00
	s_cmpk_gt_u32 s10, 0x2fff
	s_cbranch_scc1 .LBB857_178
.LBB857_186:                            ;   in Loop: Header=BB857_179 Depth=1
	ds_read_b32 v45, v40 offset:29696
	s_waitcnt lgkmcnt(0)
	v_lshrrev_b32_e32 v1, s44, v45
	v_and_b32_e32 v47, s14, v1
	v_lshlrev_b32_e32 v1, 2, v47
	ds_read_b32 v1, v1
	s_waitcnt lgkmcnt(0)
	v_add3_u32 v1, v43, v1, 0x1c00
	v_lshlrev_b64 v[43:44], 2, v[1:2]
	v_xor_b32_e32 v1, 0x80000000, v45
	v_mov_b32_e32 v45, s9
	v_add_co_u32 v43, vcc_lo, s38, v43
	v_add_co_ci_u32_e64 v44, null, s39, v44, vcc_lo
	buffer_store_dword v47, v45, s[0:3], 0 offen offset:28
	global_store_dword v[43:44], v1, off
	s_branch .LBB857_178
.LBB857_187:
	s_add_u32 s7, s40, s12
	s_addc_u32 s8, s41, s13
	v_add_co_u32 v1, s7, s7, v9
	v_add_co_ci_u32_e64 v2, null, s8, 0, s7
	s_mov_b32 s9, 0
	v_add_co_u32 v1, vcc_lo, v1, v10
	v_add_co_ci_u32_e64 v2, null, 0, v2, vcc_lo
	s_mov_b32 s8, -1
	s_mov_b32 s7, 0
	s_clause 0xb
	global_load_dword v9, v[1:2], off
	global_load_dword v10, v[1:2], off offset:128
	global_load_dword v12, v[1:2], off offset:256
	;; [unrolled: 1-line block ×11, first 2 shown]
	v_mov_b32_e32 v2, 0
	s_branch .LBB857_189
.LBB857_188:                            ;   in Loop: Header=BB857_189 Depth=1
	v_add_nc_u32_e32 v24, 0xffffe000, v24
	v_add_nc_u32_e32 v23, 0xffffe000, v23
	;; [unrolled: 1-line block ×12, first 2 shown]
	s_xor_b32 s9, s8, -1
	s_addk_i32 s7, 0x2000
	s_mov_b32 s8, 0
	s_and_b32 vcc_lo, exec_lo, s9
	s_mov_b32 s9, s5
	s_waitcnt_vscnt null, 0x0
	s_barrier
	buffer_gl0_inv
	s_cbranch_vccnz .LBB857_197
.LBB857_189:                            ; =>This Inner Loop Header: Depth=1
	v_min_u32_e32 v1, 0x2000, v3
	v_min_u32_e32 v29, 0x2000, v4
	;; [unrolled: 1-line block ×5, first 2 shown]
	v_lshlrev_b32_e32 v1, 2, v1
	v_lshlrev_b32_e32 v29, 2, v29
	v_min_u32_e32 v33, 0x2000, v16
	v_lshlrev_b32_e32 v30, 2, v30
	s_add_i32 s10, s7, 0x1000
	s_waitcnt vmcnt(11)
	ds_write_b32 v1, v9 offset:1024
	s_waitcnt vmcnt(10)
	ds_write_b32 v29, v10 offset:1024
	v_min_u32_e32 v1, 0x2000, v18
	v_lshlrev_b32_e32 v29, 2, v31
	v_lshlrev_b32_e32 v31, 2, v32
	;; [unrolled: 1-line block ×3, first 2 shown]
	s_waitcnt vmcnt(9)
	ds_write_b32 v30, v12 offset:1024
	v_lshlrev_b32_e32 v1, 2, v1
	s_waitcnt vmcnt(8)
	ds_write_b32 v29, v13 offset:1024
	s_waitcnt vmcnt(7)
	ds_write_b32 v31, v14 offset:1024
	;; [unrolled: 2-line block ×3, first 2 shown]
	v_min_u32_e32 v29, 0x2000, v19
	v_min_u32_e32 v30, 0x2000, v22
	;; [unrolled: 1-line block ×3, first 2 shown]
	s_waitcnt vmcnt(5)
	ds_write_b32 v1, v17 offset:1024
	v_min_u32_e32 v1, 0x2000, v21
	v_lshlrev_b32_e32 v29, 2, v29
	v_min_u32_e32 v32, 0x2000, v24
	v_lshlrev_b32_e32 v30, 2, v30
	v_lshlrev_b32_e32 v31, 2, v31
	;; [unrolled: 1-line block ×3, first 2 shown]
	s_waitcnt vmcnt(4)
	ds_write_b32 v29, v20 offset:1024
	v_lshlrev_b32_e32 v29, 2, v32
	s_waitcnt vmcnt(3)
	ds_write_b32 v1, v25 offset:1024
	s_waitcnt vmcnt(2)
	ds_write_b32 v30, v26 offset:1024
	s_waitcnt vmcnt(1)
	ds_write_b32 v31, v27 offset:1024
	v_mov_b32_e32 v1, s9
	s_waitcnt vmcnt(0)
	ds_write_b32 v29, v28 offset:1024
	s_waitcnt lgkmcnt(0)
	s_barrier
	buffer_gl0_inv
	s_clause 0x3
	buffer_load_dword v29, v1, s[0:3], 0 offen
	buffer_load_dword v30, v1, s[0:3], 0 offen offset:4
	buffer_load_dword v31, v1, s[0:3], 0 offen offset:8
	;; [unrolled: 1-line block ×3, first 2 shown]
	s_cmpk_lt_u32 s10, 0x3000
	s_waitcnt vmcnt(3)
	v_lshlrev_b32_e32 v29, 2, v29
	s_waitcnt vmcnt(0)
	v_lshlrev_b32_e32 v1, 2, v1
	ds_read_b32 v32, v29
	ds_read_b32 v41, v1
	v_lshlrev_b32_e32 v29, 2, v30
	ds_read_b32 v34, v29
	v_lshlrev_b32_e32 v29, 2, v31
	ds_read2st64_b32 v[30:31], v40 offset0:4 offset1:20
	ds_read_b32 v36, v29
	v_add_nc_u32_e32 v29, s7, v0
	s_waitcnt lgkmcnt(4)
	v_add_nc_u32_e32 v1, v29, v32
	v_lshlrev_b64 v[32:33], 2, v[1:2]
	s_waitcnt lgkmcnt(2)
	v_add3_u32 v1, v29, v34, 0x400
	v_add_co_u32 v32, vcc_lo, s42, v32
	v_lshlrev_b64 v[34:35], 2, v[1:2]
	s_waitcnt lgkmcnt(0)
	v_add3_u32 v1, v29, v36, 0x800
	ds_read2st64_b32 v[36:37], v40 offset0:36 offset1:52
	v_add_co_ci_u32_e64 v33, null, s43, v33, vcc_lo
	v_lshlrev_b64 v[38:39], 2, v[1:2]
	v_add3_u32 v1, v29, v41, 0xc00
	global_store_dword v[32:33], v30, off
	v_add_co_u32 v32, vcc_lo, s42, v34
	v_add_co_ci_u32_e64 v33, null, s43, v35, vcc_lo
	v_lshlrev_b64 v[34:35], 2, v[1:2]
	v_add_co_u32 v38, vcc_lo, s42, v38
	v_add_co_ci_u32_e64 v39, null, s43, v39, vcc_lo
	global_store_dword v[32:33], v31, off
	v_add_co_u32 v34, vcc_lo, s42, v34
	v_add_co_ci_u32_e64 v35, null, s43, v35, vcc_lo
	s_waitcnt lgkmcnt(0)
	global_store_dword v[38:39], v36, off
	global_store_dword v[34:35], v37, off
	s_cbranch_scc0 .LBB857_193
; %bb.190:                              ;   in Loop: Header=BB857_189 Depth=1
	v_mov_b32_e32 v1, s9
	buffer_load_dword v1, v1, s[0:3], 0 offen offset:16
	s_waitcnt vmcnt(0)
	v_lshlrev_b32_e32 v1, 2, v1
	ds_read_b32 v1, v1
	ds_read_b32 v32, v40 offset:17408
	s_waitcnt lgkmcnt(1)
	v_add3_u32 v1, v29, v1, 0x1000
	v_lshlrev_b64 v[30:31], 2, v[1:2]
	v_add_co_u32 v30, vcc_lo, s42, v30
	v_add_co_ci_u32_e64 v31, null, s43, v31, vcc_lo
	s_waitcnt lgkmcnt(0)
	global_store_dword v[30:31], v32, off
	s_add_i32 s10, s7, 0x1400
	s_cmpk_gt_u32 s10, 0x2fff
	s_cbranch_scc0 .LBB857_194
.LBB857_191:                            ;   in Loop: Header=BB857_189 Depth=1
	s_add_i32 s10, s7, 0x1800
	s_cmpk_gt_u32 s10, 0x2fff
	s_cbranch_scc1 .LBB857_195
.LBB857_192:                            ;   in Loop: Header=BB857_189 Depth=1
	v_mov_b32_e32 v1, s9
	buffer_load_dword v1, v1, s[0:3], 0 offen offset:24
	s_waitcnt vmcnt(0)
	v_lshlrev_b32_e32 v1, 2, v1
	ds_read_b32 v1, v1
	ds_read_b32 v32, v40 offset:25600
	s_waitcnt lgkmcnt(1)
	v_add3_u32 v1, v29, v1, 0x1800
	v_lshlrev_b64 v[30:31], 2, v[1:2]
	v_add_co_u32 v30, vcc_lo, s42, v30
	v_add_co_ci_u32_e64 v31, null, s43, v31, vcc_lo
	s_waitcnt lgkmcnt(0)
	global_store_dword v[30:31], v32, off
	s_add_i32 s10, s7, 0x1c00
	s_cmpk_gt_u32 s10, 0x2fff
	s_cbranch_scc1 .LBB857_188
	s_branch .LBB857_196
.LBB857_193:                            ;   in Loop: Header=BB857_189 Depth=1
	s_add_i32 s10, s7, 0x1400
	s_cmpk_gt_u32 s10, 0x2fff
	s_cbranch_scc1 .LBB857_191
.LBB857_194:                            ;   in Loop: Header=BB857_189 Depth=1
	v_mov_b32_e32 v1, s9
	buffer_load_dword v1, v1, s[0:3], 0 offen offset:20
	s_waitcnt vmcnt(0)
	v_lshlrev_b32_e32 v1, 2, v1
	ds_read_b32 v1, v1
	ds_read_b32 v32, v40 offset:21504
	s_waitcnt lgkmcnt(1)
	v_add3_u32 v1, v29, v1, 0x1400
	v_lshlrev_b64 v[30:31], 2, v[1:2]
	v_add_co_u32 v30, vcc_lo, s42, v30
	v_add_co_ci_u32_e64 v31, null, s43, v31, vcc_lo
	s_waitcnt lgkmcnt(0)
	global_store_dword v[30:31], v32, off
	s_add_i32 s10, s7, 0x1800
	s_cmpk_gt_u32 s10, 0x2fff
	s_cbranch_scc0 .LBB857_192
.LBB857_195:                            ;   in Loop: Header=BB857_189 Depth=1
	s_add_i32 s10, s7, 0x1c00
	s_cmpk_gt_u32 s10, 0x2fff
	s_cbranch_scc1 .LBB857_188
.LBB857_196:                            ;   in Loop: Header=BB857_189 Depth=1
	v_mov_b32_e32 v1, s9
	buffer_load_dword v1, v1, s[0:3], 0 offen offset:28
	s_waitcnt vmcnt(0)
	v_lshlrev_b32_e32 v1, 2, v1
	ds_read_b32 v1, v1
	ds_read_b32 v31, v40 offset:29696
	s_waitcnt lgkmcnt(1)
	v_add3_u32 v1, v29, v1, 0x1c00
	v_lshlrev_b64 v[29:30], 2, v[1:2]
	v_add_co_u32 v29, vcc_lo, s42, v29
	v_add_co_ci_u32_e64 v30, null, s43, v30, vcc_lo
	s_waitcnt lgkmcnt(0)
	global_store_dword v[29:30], v31, off
	s_branch .LBB857_188
.LBB857_197:
	s_add_i32 s11, s11, -1
	s_cmp_eq_u32 s6, s11
	s_cselect_b32 s5, -1, 0
	s_xor_b32 s4, s4, -1
	s_and_b32 s4, s4, s5
	s_and_saveexec_b32 s5, s4
	s_cbranch_execz .LBB857_199
; %bb.198:
	ds_read_b32 v0, v40
	s_waitcnt lgkmcnt(0)
	v_add3_u32 v0, v7, v8, v0
	global_store_dword v40, v0, s[30:31]
.LBB857_199:
	s_endpgm
	.section	.rodata,"a",@progbits
	.p2align	6, 0x0
	.amdhsa_kernel _ZN7rocprim17ROCPRIM_400000_NS6detail17trampoline_kernelINS0_14default_configENS1_35radix_sort_onesweep_config_selectorIiiEEZZNS1_29radix_sort_onesweep_iterationIS3_Lb0EN6thrust23THRUST_200600_302600_NS6detail15normal_iteratorINS8_10device_ptrIiEEEESD_SD_SD_jNS0_19identity_decomposerENS1_16block_id_wrapperIjLb0EEEEE10hipError_tT1_PNSt15iterator_traitsISI_E10value_typeET2_T3_PNSJ_ISO_E10value_typeET4_T5_PST_SU_PNS1_23onesweep_lookback_stateEbbT6_jjT7_P12ihipStream_tbENKUlT_T0_SI_SN_E_clISD_SD_SD_SD_EEDaS11_S12_SI_SN_EUlS11_E_NS1_11comp_targetILNS1_3genE8ELNS1_11target_archE1030ELNS1_3gpuE2ELNS1_3repE0EEENS1_47radix_sort_onesweep_sort_config_static_selectorELNS0_4arch9wavefront6targetE0EEEvSI_
		.amdhsa_group_segment_fixed_size 37000
		.amdhsa_private_segment_fixed_size 64
		.amdhsa_kernarg_size 344
		.amdhsa_user_sgpr_count 6
		.amdhsa_user_sgpr_private_segment_buffer 1
		.amdhsa_user_sgpr_dispatch_ptr 0
		.amdhsa_user_sgpr_queue_ptr 0
		.amdhsa_user_sgpr_kernarg_segment_ptr 1
		.amdhsa_user_sgpr_dispatch_id 0
		.amdhsa_user_sgpr_flat_scratch_init 0
		.amdhsa_user_sgpr_private_segment_size 0
		.amdhsa_wavefront_size32 1
		.amdhsa_uses_dynamic_stack 0
		.amdhsa_system_sgpr_private_segment_wavefront_offset 1
		.amdhsa_system_sgpr_workgroup_id_x 1
		.amdhsa_system_sgpr_workgroup_id_y 0
		.amdhsa_system_sgpr_workgroup_id_z 0
		.amdhsa_system_sgpr_workgroup_info 0
		.amdhsa_system_vgpr_workitem_id 2
		.amdhsa_next_free_vgpr 68
		.amdhsa_next_free_sgpr 49
		.amdhsa_reserve_vcc 1
		.amdhsa_reserve_flat_scratch 0
		.amdhsa_float_round_mode_32 0
		.amdhsa_float_round_mode_16_64 0
		.amdhsa_float_denorm_mode_32 3
		.amdhsa_float_denorm_mode_16_64 3
		.amdhsa_dx10_clamp 1
		.amdhsa_ieee_mode 1
		.amdhsa_fp16_overflow 0
		.amdhsa_workgroup_processor_mode 1
		.amdhsa_memory_ordered 1
		.amdhsa_forward_progress 1
		.amdhsa_shared_vgpr_count 0
		.amdhsa_exception_fp_ieee_invalid_op 0
		.amdhsa_exception_fp_denorm_src 0
		.amdhsa_exception_fp_ieee_div_zero 0
		.amdhsa_exception_fp_ieee_overflow 0
		.amdhsa_exception_fp_ieee_underflow 0
		.amdhsa_exception_fp_ieee_inexact 0
		.amdhsa_exception_int_div_zero 0
	.end_amdhsa_kernel
	.section	.text._ZN7rocprim17ROCPRIM_400000_NS6detail17trampoline_kernelINS0_14default_configENS1_35radix_sort_onesweep_config_selectorIiiEEZZNS1_29radix_sort_onesweep_iterationIS3_Lb0EN6thrust23THRUST_200600_302600_NS6detail15normal_iteratorINS8_10device_ptrIiEEEESD_SD_SD_jNS0_19identity_decomposerENS1_16block_id_wrapperIjLb0EEEEE10hipError_tT1_PNSt15iterator_traitsISI_E10value_typeET2_T3_PNSJ_ISO_E10value_typeET4_T5_PST_SU_PNS1_23onesweep_lookback_stateEbbT6_jjT7_P12ihipStream_tbENKUlT_T0_SI_SN_E_clISD_SD_SD_SD_EEDaS11_S12_SI_SN_EUlS11_E_NS1_11comp_targetILNS1_3genE8ELNS1_11target_archE1030ELNS1_3gpuE2ELNS1_3repE0EEENS1_47radix_sort_onesweep_sort_config_static_selectorELNS0_4arch9wavefront6targetE0EEEvSI_,"axG",@progbits,_ZN7rocprim17ROCPRIM_400000_NS6detail17trampoline_kernelINS0_14default_configENS1_35radix_sort_onesweep_config_selectorIiiEEZZNS1_29radix_sort_onesweep_iterationIS3_Lb0EN6thrust23THRUST_200600_302600_NS6detail15normal_iteratorINS8_10device_ptrIiEEEESD_SD_SD_jNS0_19identity_decomposerENS1_16block_id_wrapperIjLb0EEEEE10hipError_tT1_PNSt15iterator_traitsISI_E10value_typeET2_T3_PNSJ_ISO_E10value_typeET4_T5_PST_SU_PNS1_23onesweep_lookback_stateEbbT6_jjT7_P12ihipStream_tbENKUlT_T0_SI_SN_E_clISD_SD_SD_SD_EEDaS11_S12_SI_SN_EUlS11_E_NS1_11comp_targetILNS1_3genE8ELNS1_11target_archE1030ELNS1_3gpuE2ELNS1_3repE0EEENS1_47radix_sort_onesweep_sort_config_static_selectorELNS0_4arch9wavefront6targetE0EEEvSI_,comdat
.Lfunc_end857:
	.size	_ZN7rocprim17ROCPRIM_400000_NS6detail17trampoline_kernelINS0_14default_configENS1_35radix_sort_onesweep_config_selectorIiiEEZZNS1_29radix_sort_onesweep_iterationIS3_Lb0EN6thrust23THRUST_200600_302600_NS6detail15normal_iteratorINS8_10device_ptrIiEEEESD_SD_SD_jNS0_19identity_decomposerENS1_16block_id_wrapperIjLb0EEEEE10hipError_tT1_PNSt15iterator_traitsISI_E10value_typeET2_T3_PNSJ_ISO_E10value_typeET4_T5_PST_SU_PNS1_23onesweep_lookback_stateEbbT6_jjT7_P12ihipStream_tbENKUlT_T0_SI_SN_E_clISD_SD_SD_SD_EEDaS11_S12_SI_SN_EUlS11_E_NS1_11comp_targetILNS1_3genE8ELNS1_11target_archE1030ELNS1_3gpuE2ELNS1_3repE0EEENS1_47radix_sort_onesweep_sort_config_static_selectorELNS0_4arch9wavefront6targetE0EEEvSI_, .Lfunc_end857-_ZN7rocprim17ROCPRIM_400000_NS6detail17trampoline_kernelINS0_14default_configENS1_35radix_sort_onesweep_config_selectorIiiEEZZNS1_29radix_sort_onesweep_iterationIS3_Lb0EN6thrust23THRUST_200600_302600_NS6detail15normal_iteratorINS8_10device_ptrIiEEEESD_SD_SD_jNS0_19identity_decomposerENS1_16block_id_wrapperIjLb0EEEEE10hipError_tT1_PNSt15iterator_traitsISI_E10value_typeET2_T3_PNSJ_ISO_E10value_typeET4_T5_PST_SU_PNS1_23onesweep_lookback_stateEbbT6_jjT7_P12ihipStream_tbENKUlT_T0_SI_SN_E_clISD_SD_SD_SD_EEDaS11_S12_SI_SN_EUlS11_E_NS1_11comp_targetILNS1_3genE8ELNS1_11target_archE1030ELNS1_3gpuE2ELNS1_3repE0EEENS1_47radix_sort_onesweep_sort_config_static_selectorELNS0_4arch9wavefront6targetE0EEEvSI_
                                        ; -- End function
	.set _ZN7rocprim17ROCPRIM_400000_NS6detail17trampoline_kernelINS0_14default_configENS1_35radix_sort_onesweep_config_selectorIiiEEZZNS1_29radix_sort_onesweep_iterationIS3_Lb0EN6thrust23THRUST_200600_302600_NS6detail15normal_iteratorINS8_10device_ptrIiEEEESD_SD_SD_jNS0_19identity_decomposerENS1_16block_id_wrapperIjLb0EEEEE10hipError_tT1_PNSt15iterator_traitsISI_E10value_typeET2_T3_PNSJ_ISO_E10value_typeET4_T5_PST_SU_PNS1_23onesweep_lookback_stateEbbT6_jjT7_P12ihipStream_tbENKUlT_T0_SI_SN_E_clISD_SD_SD_SD_EEDaS11_S12_SI_SN_EUlS11_E_NS1_11comp_targetILNS1_3genE8ELNS1_11target_archE1030ELNS1_3gpuE2ELNS1_3repE0EEENS1_47radix_sort_onesweep_sort_config_static_selectorELNS0_4arch9wavefront6targetE0EEEvSI_.num_vgpr, 68
	.set _ZN7rocprim17ROCPRIM_400000_NS6detail17trampoline_kernelINS0_14default_configENS1_35radix_sort_onesweep_config_selectorIiiEEZZNS1_29radix_sort_onesweep_iterationIS3_Lb0EN6thrust23THRUST_200600_302600_NS6detail15normal_iteratorINS8_10device_ptrIiEEEESD_SD_SD_jNS0_19identity_decomposerENS1_16block_id_wrapperIjLb0EEEEE10hipError_tT1_PNSt15iterator_traitsISI_E10value_typeET2_T3_PNSJ_ISO_E10value_typeET4_T5_PST_SU_PNS1_23onesweep_lookback_stateEbbT6_jjT7_P12ihipStream_tbENKUlT_T0_SI_SN_E_clISD_SD_SD_SD_EEDaS11_S12_SI_SN_EUlS11_E_NS1_11comp_targetILNS1_3genE8ELNS1_11target_archE1030ELNS1_3gpuE2ELNS1_3repE0EEENS1_47radix_sort_onesweep_sort_config_static_selectorELNS0_4arch9wavefront6targetE0EEEvSI_.num_agpr, 0
	.set _ZN7rocprim17ROCPRIM_400000_NS6detail17trampoline_kernelINS0_14default_configENS1_35radix_sort_onesweep_config_selectorIiiEEZZNS1_29radix_sort_onesweep_iterationIS3_Lb0EN6thrust23THRUST_200600_302600_NS6detail15normal_iteratorINS8_10device_ptrIiEEEESD_SD_SD_jNS0_19identity_decomposerENS1_16block_id_wrapperIjLb0EEEEE10hipError_tT1_PNSt15iterator_traitsISI_E10value_typeET2_T3_PNSJ_ISO_E10value_typeET4_T5_PST_SU_PNS1_23onesweep_lookback_stateEbbT6_jjT7_P12ihipStream_tbENKUlT_T0_SI_SN_E_clISD_SD_SD_SD_EEDaS11_S12_SI_SN_EUlS11_E_NS1_11comp_targetILNS1_3genE8ELNS1_11target_archE1030ELNS1_3gpuE2ELNS1_3repE0EEENS1_47radix_sort_onesweep_sort_config_static_selectorELNS0_4arch9wavefront6targetE0EEEvSI_.numbered_sgpr, 49
	.set _ZN7rocprim17ROCPRIM_400000_NS6detail17trampoline_kernelINS0_14default_configENS1_35radix_sort_onesweep_config_selectorIiiEEZZNS1_29radix_sort_onesweep_iterationIS3_Lb0EN6thrust23THRUST_200600_302600_NS6detail15normal_iteratorINS8_10device_ptrIiEEEESD_SD_SD_jNS0_19identity_decomposerENS1_16block_id_wrapperIjLb0EEEEE10hipError_tT1_PNSt15iterator_traitsISI_E10value_typeET2_T3_PNSJ_ISO_E10value_typeET4_T5_PST_SU_PNS1_23onesweep_lookback_stateEbbT6_jjT7_P12ihipStream_tbENKUlT_T0_SI_SN_E_clISD_SD_SD_SD_EEDaS11_S12_SI_SN_EUlS11_E_NS1_11comp_targetILNS1_3genE8ELNS1_11target_archE1030ELNS1_3gpuE2ELNS1_3repE0EEENS1_47radix_sort_onesweep_sort_config_static_selectorELNS0_4arch9wavefront6targetE0EEEvSI_.num_named_barrier, 0
	.set _ZN7rocprim17ROCPRIM_400000_NS6detail17trampoline_kernelINS0_14default_configENS1_35radix_sort_onesweep_config_selectorIiiEEZZNS1_29radix_sort_onesweep_iterationIS3_Lb0EN6thrust23THRUST_200600_302600_NS6detail15normal_iteratorINS8_10device_ptrIiEEEESD_SD_SD_jNS0_19identity_decomposerENS1_16block_id_wrapperIjLb0EEEEE10hipError_tT1_PNSt15iterator_traitsISI_E10value_typeET2_T3_PNSJ_ISO_E10value_typeET4_T5_PST_SU_PNS1_23onesweep_lookback_stateEbbT6_jjT7_P12ihipStream_tbENKUlT_T0_SI_SN_E_clISD_SD_SD_SD_EEDaS11_S12_SI_SN_EUlS11_E_NS1_11comp_targetILNS1_3genE8ELNS1_11target_archE1030ELNS1_3gpuE2ELNS1_3repE0EEENS1_47radix_sort_onesweep_sort_config_static_selectorELNS0_4arch9wavefront6targetE0EEEvSI_.private_seg_size, 64
	.set _ZN7rocprim17ROCPRIM_400000_NS6detail17trampoline_kernelINS0_14default_configENS1_35radix_sort_onesweep_config_selectorIiiEEZZNS1_29radix_sort_onesweep_iterationIS3_Lb0EN6thrust23THRUST_200600_302600_NS6detail15normal_iteratorINS8_10device_ptrIiEEEESD_SD_SD_jNS0_19identity_decomposerENS1_16block_id_wrapperIjLb0EEEEE10hipError_tT1_PNSt15iterator_traitsISI_E10value_typeET2_T3_PNSJ_ISO_E10value_typeET4_T5_PST_SU_PNS1_23onesweep_lookback_stateEbbT6_jjT7_P12ihipStream_tbENKUlT_T0_SI_SN_E_clISD_SD_SD_SD_EEDaS11_S12_SI_SN_EUlS11_E_NS1_11comp_targetILNS1_3genE8ELNS1_11target_archE1030ELNS1_3gpuE2ELNS1_3repE0EEENS1_47radix_sort_onesweep_sort_config_static_selectorELNS0_4arch9wavefront6targetE0EEEvSI_.uses_vcc, 1
	.set _ZN7rocprim17ROCPRIM_400000_NS6detail17trampoline_kernelINS0_14default_configENS1_35radix_sort_onesweep_config_selectorIiiEEZZNS1_29radix_sort_onesweep_iterationIS3_Lb0EN6thrust23THRUST_200600_302600_NS6detail15normal_iteratorINS8_10device_ptrIiEEEESD_SD_SD_jNS0_19identity_decomposerENS1_16block_id_wrapperIjLb0EEEEE10hipError_tT1_PNSt15iterator_traitsISI_E10value_typeET2_T3_PNSJ_ISO_E10value_typeET4_T5_PST_SU_PNS1_23onesweep_lookback_stateEbbT6_jjT7_P12ihipStream_tbENKUlT_T0_SI_SN_E_clISD_SD_SD_SD_EEDaS11_S12_SI_SN_EUlS11_E_NS1_11comp_targetILNS1_3genE8ELNS1_11target_archE1030ELNS1_3gpuE2ELNS1_3repE0EEENS1_47radix_sort_onesweep_sort_config_static_selectorELNS0_4arch9wavefront6targetE0EEEvSI_.uses_flat_scratch, 0
	.set _ZN7rocprim17ROCPRIM_400000_NS6detail17trampoline_kernelINS0_14default_configENS1_35radix_sort_onesweep_config_selectorIiiEEZZNS1_29radix_sort_onesweep_iterationIS3_Lb0EN6thrust23THRUST_200600_302600_NS6detail15normal_iteratorINS8_10device_ptrIiEEEESD_SD_SD_jNS0_19identity_decomposerENS1_16block_id_wrapperIjLb0EEEEE10hipError_tT1_PNSt15iterator_traitsISI_E10value_typeET2_T3_PNSJ_ISO_E10value_typeET4_T5_PST_SU_PNS1_23onesweep_lookback_stateEbbT6_jjT7_P12ihipStream_tbENKUlT_T0_SI_SN_E_clISD_SD_SD_SD_EEDaS11_S12_SI_SN_EUlS11_E_NS1_11comp_targetILNS1_3genE8ELNS1_11target_archE1030ELNS1_3gpuE2ELNS1_3repE0EEENS1_47radix_sort_onesweep_sort_config_static_selectorELNS0_4arch9wavefront6targetE0EEEvSI_.has_dyn_sized_stack, 0
	.set _ZN7rocprim17ROCPRIM_400000_NS6detail17trampoline_kernelINS0_14default_configENS1_35radix_sort_onesweep_config_selectorIiiEEZZNS1_29radix_sort_onesweep_iterationIS3_Lb0EN6thrust23THRUST_200600_302600_NS6detail15normal_iteratorINS8_10device_ptrIiEEEESD_SD_SD_jNS0_19identity_decomposerENS1_16block_id_wrapperIjLb0EEEEE10hipError_tT1_PNSt15iterator_traitsISI_E10value_typeET2_T3_PNSJ_ISO_E10value_typeET4_T5_PST_SU_PNS1_23onesweep_lookback_stateEbbT6_jjT7_P12ihipStream_tbENKUlT_T0_SI_SN_E_clISD_SD_SD_SD_EEDaS11_S12_SI_SN_EUlS11_E_NS1_11comp_targetILNS1_3genE8ELNS1_11target_archE1030ELNS1_3gpuE2ELNS1_3repE0EEENS1_47radix_sort_onesweep_sort_config_static_selectorELNS0_4arch9wavefront6targetE0EEEvSI_.has_recursion, 0
	.set _ZN7rocprim17ROCPRIM_400000_NS6detail17trampoline_kernelINS0_14default_configENS1_35radix_sort_onesweep_config_selectorIiiEEZZNS1_29radix_sort_onesweep_iterationIS3_Lb0EN6thrust23THRUST_200600_302600_NS6detail15normal_iteratorINS8_10device_ptrIiEEEESD_SD_SD_jNS0_19identity_decomposerENS1_16block_id_wrapperIjLb0EEEEE10hipError_tT1_PNSt15iterator_traitsISI_E10value_typeET2_T3_PNSJ_ISO_E10value_typeET4_T5_PST_SU_PNS1_23onesweep_lookback_stateEbbT6_jjT7_P12ihipStream_tbENKUlT_T0_SI_SN_E_clISD_SD_SD_SD_EEDaS11_S12_SI_SN_EUlS11_E_NS1_11comp_targetILNS1_3genE8ELNS1_11target_archE1030ELNS1_3gpuE2ELNS1_3repE0EEENS1_47radix_sort_onesweep_sort_config_static_selectorELNS0_4arch9wavefront6targetE0EEEvSI_.has_indirect_call, 0
	.section	.AMDGPU.csdata,"",@progbits
; Kernel info:
; codeLenInByte = 17368
; TotalNumSgprs: 51
; NumVgprs: 68
; ScratchSize: 64
; MemoryBound: 0
; FloatMode: 240
; IeeeMode: 1
; LDSByteSize: 37000 bytes/workgroup (compile time only)
; SGPRBlocks: 0
; VGPRBlocks: 8
; NumSGPRsForWavesPerEU: 51
; NumVGPRsForWavesPerEU: 68
; Occupancy: 12
; WaveLimiterHint : 1
; COMPUTE_PGM_RSRC2:SCRATCH_EN: 1
; COMPUTE_PGM_RSRC2:USER_SGPR: 6
; COMPUTE_PGM_RSRC2:TRAP_HANDLER: 0
; COMPUTE_PGM_RSRC2:TGID_X_EN: 1
; COMPUTE_PGM_RSRC2:TGID_Y_EN: 0
; COMPUTE_PGM_RSRC2:TGID_Z_EN: 0
; COMPUTE_PGM_RSRC2:TIDIG_COMP_CNT: 2
	.section	.text._ZN7rocprim17ROCPRIM_400000_NS6detail17trampoline_kernelINS0_14default_configENS1_35radix_sort_onesweep_config_selectorIiiEEZZNS1_29radix_sort_onesweep_iterationIS3_Lb0EN6thrust23THRUST_200600_302600_NS6detail15normal_iteratorINS8_10device_ptrIiEEEESD_SD_SD_jNS0_19identity_decomposerENS1_16block_id_wrapperIjLb0EEEEE10hipError_tT1_PNSt15iterator_traitsISI_E10value_typeET2_T3_PNSJ_ISO_E10value_typeET4_T5_PST_SU_PNS1_23onesweep_lookback_stateEbbT6_jjT7_P12ihipStream_tbENKUlT_T0_SI_SN_E_clISD_PiSD_S15_EEDaS11_S12_SI_SN_EUlS11_E_NS1_11comp_targetILNS1_3genE0ELNS1_11target_archE4294967295ELNS1_3gpuE0ELNS1_3repE0EEENS1_47radix_sort_onesweep_sort_config_static_selectorELNS0_4arch9wavefront6targetE0EEEvSI_,"axG",@progbits,_ZN7rocprim17ROCPRIM_400000_NS6detail17trampoline_kernelINS0_14default_configENS1_35radix_sort_onesweep_config_selectorIiiEEZZNS1_29radix_sort_onesweep_iterationIS3_Lb0EN6thrust23THRUST_200600_302600_NS6detail15normal_iteratorINS8_10device_ptrIiEEEESD_SD_SD_jNS0_19identity_decomposerENS1_16block_id_wrapperIjLb0EEEEE10hipError_tT1_PNSt15iterator_traitsISI_E10value_typeET2_T3_PNSJ_ISO_E10value_typeET4_T5_PST_SU_PNS1_23onesweep_lookback_stateEbbT6_jjT7_P12ihipStream_tbENKUlT_T0_SI_SN_E_clISD_PiSD_S15_EEDaS11_S12_SI_SN_EUlS11_E_NS1_11comp_targetILNS1_3genE0ELNS1_11target_archE4294967295ELNS1_3gpuE0ELNS1_3repE0EEENS1_47radix_sort_onesweep_sort_config_static_selectorELNS0_4arch9wavefront6targetE0EEEvSI_,comdat
	.protected	_ZN7rocprim17ROCPRIM_400000_NS6detail17trampoline_kernelINS0_14default_configENS1_35radix_sort_onesweep_config_selectorIiiEEZZNS1_29radix_sort_onesweep_iterationIS3_Lb0EN6thrust23THRUST_200600_302600_NS6detail15normal_iteratorINS8_10device_ptrIiEEEESD_SD_SD_jNS0_19identity_decomposerENS1_16block_id_wrapperIjLb0EEEEE10hipError_tT1_PNSt15iterator_traitsISI_E10value_typeET2_T3_PNSJ_ISO_E10value_typeET4_T5_PST_SU_PNS1_23onesweep_lookback_stateEbbT6_jjT7_P12ihipStream_tbENKUlT_T0_SI_SN_E_clISD_PiSD_S15_EEDaS11_S12_SI_SN_EUlS11_E_NS1_11comp_targetILNS1_3genE0ELNS1_11target_archE4294967295ELNS1_3gpuE0ELNS1_3repE0EEENS1_47radix_sort_onesweep_sort_config_static_selectorELNS0_4arch9wavefront6targetE0EEEvSI_ ; -- Begin function _ZN7rocprim17ROCPRIM_400000_NS6detail17trampoline_kernelINS0_14default_configENS1_35radix_sort_onesweep_config_selectorIiiEEZZNS1_29radix_sort_onesweep_iterationIS3_Lb0EN6thrust23THRUST_200600_302600_NS6detail15normal_iteratorINS8_10device_ptrIiEEEESD_SD_SD_jNS0_19identity_decomposerENS1_16block_id_wrapperIjLb0EEEEE10hipError_tT1_PNSt15iterator_traitsISI_E10value_typeET2_T3_PNSJ_ISO_E10value_typeET4_T5_PST_SU_PNS1_23onesweep_lookback_stateEbbT6_jjT7_P12ihipStream_tbENKUlT_T0_SI_SN_E_clISD_PiSD_S15_EEDaS11_S12_SI_SN_EUlS11_E_NS1_11comp_targetILNS1_3genE0ELNS1_11target_archE4294967295ELNS1_3gpuE0ELNS1_3repE0EEENS1_47radix_sort_onesweep_sort_config_static_selectorELNS0_4arch9wavefront6targetE0EEEvSI_
	.globl	_ZN7rocprim17ROCPRIM_400000_NS6detail17trampoline_kernelINS0_14default_configENS1_35radix_sort_onesweep_config_selectorIiiEEZZNS1_29radix_sort_onesweep_iterationIS3_Lb0EN6thrust23THRUST_200600_302600_NS6detail15normal_iteratorINS8_10device_ptrIiEEEESD_SD_SD_jNS0_19identity_decomposerENS1_16block_id_wrapperIjLb0EEEEE10hipError_tT1_PNSt15iterator_traitsISI_E10value_typeET2_T3_PNSJ_ISO_E10value_typeET4_T5_PST_SU_PNS1_23onesweep_lookback_stateEbbT6_jjT7_P12ihipStream_tbENKUlT_T0_SI_SN_E_clISD_PiSD_S15_EEDaS11_S12_SI_SN_EUlS11_E_NS1_11comp_targetILNS1_3genE0ELNS1_11target_archE4294967295ELNS1_3gpuE0ELNS1_3repE0EEENS1_47radix_sort_onesweep_sort_config_static_selectorELNS0_4arch9wavefront6targetE0EEEvSI_
	.p2align	8
	.type	_ZN7rocprim17ROCPRIM_400000_NS6detail17trampoline_kernelINS0_14default_configENS1_35radix_sort_onesweep_config_selectorIiiEEZZNS1_29radix_sort_onesweep_iterationIS3_Lb0EN6thrust23THRUST_200600_302600_NS6detail15normal_iteratorINS8_10device_ptrIiEEEESD_SD_SD_jNS0_19identity_decomposerENS1_16block_id_wrapperIjLb0EEEEE10hipError_tT1_PNSt15iterator_traitsISI_E10value_typeET2_T3_PNSJ_ISO_E10value_typeET4_T5_PST_SU_PNS1_23onesweep_lookback_stateEbbT6_jjT7_P12ihipStream_tbENKUlT_T0_SI_SN_E_clISD_PiSD_S15_EEDaS11_S12_SI_SN_EUlS11_E_NS1_11comp_targetILNS1_3genE0ELNS1_11target_archE4294967295ELNS1_3gpuE0ELNS1_3repE0EEENS1_47radix_sort_onesweep_sort_config_static_selectorELNS0_4arch9wavefront6targetE0EEEvSI_,@function
_ZN7rocprim17ROCPRIM_400000_NS6detail17trampoline_kernelINS0_14default_configENS1_35radix_sort_onesweep_config_selectorIiiEEZZNS1_29radix_sort_onesweep_iterationIS3_Lb0EN6thrust23THRUST_200600_302600_NS6detail15normal_iteratorINS8_10device_ptrIiEEEESD_SD_SD_jNS0_19identity_decomposerENS1_16block_id_wrapperIjLb0EEEEE10hipError_tT1_PNSt15iterator_traitsISI_E10value_typeET2_T3_PNSJ_ISO_E10value_typeET4_T5_PST_SU_PNS1_23onesweep_lookback_stateEbbT6_jjT7_P12ihipStream_tbENKUlT_T0_SI_SN_E_clISD_PiSD_S15_EEDaS11_S12_SI_SN_EUlS11_E_NS1_11comp_targetILNS1_3genE0ELNS1_11target_archE4294967295ELNS1_3gpuE0ELNS1_3repE0EEENS1_47radix_sort_onesweep_sort_config_static_selectorELNS0_4arch9wavefront6targetE0EEEvSI_: ; @_ZN7rocprim17ROCPRIM_400000_NS6detail17trampoline_kernelINS0_14default_configENS1_35radix_sort_onesweep_config_selectorIiiEEZZNS1_29radix_sort_onesweep_iterationIS3_Lb0EN6thrust23THRUST_200600_302600_NS6detail15normal_iteratorINS8_10device_ptrIiEEEESD_SD_SD_jNS0_19identity_decomposerENS1_16block_id_wrapperIjLb0EEEEE10hipError_tT1_PNSt15iterator_traitsISI_E10value_typeET2_T3_PNSJ_ISO_E10value_typeET4_T5_PST_SU_PNS1_23onesweep_lookback_stateEbbT6_jjT7_P12ihipStream_tbENKUlT_T0_SI_SN_E_clISD_PiSD_S15_EEDaS11_S12_SI_SN_EUlS11_E_NS1_11comp_targetILNS1_3genE0ELNS1_11target_archE4294967295ELNS1_3gpuE0ELNS1_3repE0EEENS1_47radix_sort_onesweep_sort_config_static_selectorELNS0_4arch9wavefront6targetE0EEEvSI_
; %bb.0:
	.section	.rodata,"a",@progbits
	.p2align	6, 0x0
	.amdhsa_kernel _ZN7rocprim17ROCPRIM_400000_NS6detail17trampoline_kernelINS0_14default_configENS1_35radix_sort_onesweep_config_selectorIiiEEZZNS1_29radix_sort_onesweep_iterationIS3_Lb0EN6thrust23THRUST_200600_302600_NS6detail15normal_iteratorINS8_10device_ptrIiEEEESD_SD_SD_jNS0_19identity_decomposerENS1_16block_id_wrapperIjLb0EEEEE10hipError_tT1_PNSt15iterator_traitsISI_E10value_typeET2_T3_PNSJ_ISO_E10value_typeET4_T5_PST_SU_PNS1_23onesweep_lookback_stateEbbT6_jjT7_P12ihipStream_tbENKUlT_T0_SI_SN_E_clISD_PiSD_S15_EEDaS11_S12_SI_SN_EUlS11_E_NS1_11comp_targetILNS1_3genE0ELNS1_11target_archE4294967295ELNS1_3gpuE0ELNS1_3repE0EEENS1_47radix_sort_onesweep_sort_config_static_selectorELNS0_4arch9wavefront6targetE0EEEvSI_
		.amdhsa_group_segment_fixed_size 0
		.amdhsa_private_segment_fixed_size 0
		.amdhsa_kernarg_size 88
		.amdhsa_user_sgpr_count 6
		.amdhsa_user_sgpr_private_segment_buffer 1
		.amdhsa_user_sgpr_dispatch_ptr 0
		.amdhsa_user_sgpr_queue_ptr 0
		.amdhsa_user_sgpr_kernarg_segment_ptr 1
		.amdhsa_user_sgpr_dispatch_id 0
		.amdhsa_user_sgpr_flat_scratch_init 0
		.amdhsa_user_sgpr_private_segment_size 0
		.amdhsa_wavefront_size32 1
		.amdhsa_uses_dynamic_stack 0
		.amdhsa_system_sgpr_private_segment_wavefront_offset 0
		.amdhsa_system_sgpr_workgroup_id_x 1
		.amdhsa_system_sgpr_workgroup_id_y 0
		.amdhsa_system_sgpr_workgroup_id_z 0
		.amdhsa_system_sgpr_workgroup_info 0
		.amdhsa_system_vgpr_workitem_id 0
		.amdhsa_next_free_vgpr 1
		.amdhsa_next_free_sgpr 1
		.amdhsa_reserve_vcc 0
		.amdhsa_reserve_flat_scratch 0
		.amdhsa_float_round_mode_32 0
		.amdhsa_float_round_mode_16_64 0
		.amdhsa_float_denorm_mode_32 3
		.amdhsa_float_denorm_mode_16_64 3
		.amdhsa_dx10_clamp 1
		.amdhsa_ieee_mode 1
		.amdhsa_fp16_overflow 0
		.amdhsa_workgroup_processor_mode 1
		.amdhsa_memory_ordered 1
		.amdhsa_forward_progress 1
		.amdhsa_shared_vgpr_count 0
		.amdhsa_exception_fp_ieee_invalid_op 0
		.amdhsa_exception_fp_denorm_src 0
		.amdhsa_exception_fp_ieee_div_zero 0
		.amdhsa_exception_fp_ieee_overflow 0
		.amdhsa_exception_fp_ieee_underflow 0
		.amdhsa_exception_fp_ieee_inexact 0
		.amdhsa_exception_int_div_zero 0
	.end_amdhsa_kernel
	.section	.text._ZN7rocprim17ROCPRIM_400000_NS6detail17trampoline_kernelINS0_14default_configENS1_35radix_sort_onesweep_config_selectorIiiEEZZNS1_29radix_sort_onesweep_iterationIS3_Lb0EN6thrust23THRUST_200600_302600_NS6detail15normal_iteratorINS8_10device_ptrIiEEEESD_SD_SD_jNS0_19identity_decomposerENS1_16block_id_wrapperIjLb0EEEEE10hipError_tT1_PNSt15iterator_traitsISI_E10value_typeET2_T3_PNSJ_ISO_E10value_typeET4_T5_PST_SU_PNS1_23onesweep_lookback_stateEbbT6_jjT7_P12ihipStream_tbENKUlT_T0_SI_SN_E_clISD_PiSD_S15_EEDaS11_S12_SI_SN_EUlS11_E_NS1_11comp_targetILNS1_3genE0ELNS1_11target_archE4294967295ELNS1_3gpuE0ELNS1_3repE0EEENS1_47radix_sort_onesweep_sort_config_static_selectorELNS0_4arch9wavefront6targetE0EEEvSI_,"axG",@progbits,_ZN7rocprim17ROCPRIM_400000_NS6detail17trampoline_kernelINS0_14default_configENS1_35radix_sort_onesweep_config_selectorIiiEEZZNS1_29radix_sort_onesweep_iterationIS3_Lb0EN6thrust23THRUST_200600_302600_NS6detail15normal_iteratorINS8_10device_ptrIiEEEESD_SD_SD_jNS0_19identity_decomposerENS1_16block_id_wrapperIjLb0EEEEE10hipError_tT1_PNSt15iterator_traitsISI_E10value_typeET2_T3_PNSJ_ISO_E10value_typeET4_T5_PST_SU_PNS1_23onesweep_lookback_stateEbbT6_jjT7_P12ihipStream_tbENKUlT_T0_SI_SN_E_clISD_PiSD_S15_EEDaS11_S12_SI_SN_EUlS11_E_NS1_11comp_targetILNS1_3genE0ELNS1_11target_archE4294967295ELNS1_3gpuE0ELNS1_3repE0EEENS1_47radix_sort_onesweep_sort_config_static_selectorELNS0_4arch9wavefront6targetE0EEEvSI_,comdat
.Lfunc_end858:
	.size	_ZN7rocprim17ROCPRIM_400000_NS6detail17trampoline_kernelINS0_14default_configENS1_35radix_sort_onesweep_config_selectorIiiEEZZNS1_29radix_sort_onesweep_iterationIS3_Lb0EN6thrust23THRUST_200600_302600_NS6detail15normal_iteratorINS8_10device_ptrIiEEEESD_SD_SD_jNS0_19identity_decomposerENS1_16block_id_wrapperIjLb0EEEEE10hipError_tT1_PNSt15iterator_traitsISI_E10value_typeET2_T3_PNSJ_ISO_E10value_typeET4_T5_PST_SU_PNS1_23onesweep_lookback_stateEbbT6_jjT7_P12ihipStream_tbENKUlT_T0_SI_SN_E_clISD_PiSD_S15_EEDaS11_S12_SI_SN_EUlS11_E_NS1_11comp_targetILNS1_3genE0ELNS1_11target_archE4294967295ELNS1_3gpuE0ELNS1_3repE0EEENS1_47radix_sort_onesweep_sort_config_static_selectorELNS0_4arch9wavefront6targetE0EEEvSI_, .Lfunc_end858-_ZN7rocprim17ROCPRIM_400000_NS6detail17trampoline_kernelINS0_14default_configENS1_35radix_sort_onesweep_config_selectorIiiEEZZNS1_29radix_sort_onesweep_iterationIS3_Lb0EN6thrust23THRUST_200600_302600_NS6detail15normal_iteratorINS8_10device_ptrIiEEEESD_SD_SD_jNS0_19identity_decomposerENS1_16block_id_wrapperIjLb0EEEEE10hipError_tT1_PNSt15iterator_traitsISI_E10value_typeET2_T3_PNSJ_ISO_E10value_typeET4_T5_PST_SU_PNS1_23onesweep_lookback_stateEbbT6_jjT7_P12ihipStream_tbENKUlT_T0_SI_SN_E_clISD_PiSD_S15_EEDaS11_S12_SI_SN_EUlS11_E_NS1_11comp_targetILNS1_3genE0ELNS1_11target_archE4294967295ELNS1_3gpuE0ELNS1_3repE0EEENS1_47radix_sort_onesweep_sort_config_static_selectorELNS0_4arch9wavefront6targetE0EEEvSI_
                                        ; -- End function
	.set _ZN7rocprim17ROCPRIM_400000_NS6detail17trampoline_kernelINS0_14default_configENS1_35radix_sort_onesweep_config_selectorIiiEEZZNS1_29radix_sort_onesweep_iterationIS3_Lb0EN6thrust23THRUST_200600_302600_NS6detail15normal_iteratorINS8_10device_ptrIiEEEESD_SD_SD_jNS0_19identity_decomposerENS1_16block_id_wrapperIjLb0EEEEE10hipError_tT1_PNSt15iterator_traitsISI_E10value_typeET2_T3_PNSJ_ISO_E10value_typeET4_T5_PST_SU_PNS1_23onesweep_lookback_stateEbbT6_jjT7_P12ihipStream_tbENKUlT_T0_SI_SN_E_clISD_PiSD_S15_EEDaS11_S12_SI_SN_EUlS11_E_NS1_11comp_targetILNS1_3genE0ELNS1_11target_archE4294967295ELNS1_3gpuE0ELNS1_3repE0EEENS1_47radix_sort_onesweep_sort_config_static_selectorELNS0_4arch9wavefront6targetE0EEEvSI_.num_vgpr, 0
	.set _ZN7rocprim17ROCPRIM_400000_NS6detail17trampoline_kernelINS0_14default_configENS1_35radix_sort_onesweep_config_selectorIiiEEZZNS1_29radix_sort_onesweep_iterationIS3_Lb0EN6thrust23THRUST_200600_302600_NS6detail15normal_iteratorINS8_10device_ptrIiEEEESD_SD_SD_jNS0_19identity_decomposerENS1_16block_id_wrapperIjLb0EEEEE10hipError_tT1_PNSt15iterator_traitsISI_E10value_typeET2_T3_PNSJ_ISO_E10value_typeET4_T5_PST_SU_PNS1_23onesweep_lookback_stateEbbT6_jjT7_P12ihipStream_tbENKUlT_T0_SI_SN_E_clISD_PiSD_S15_EEDaS11_S12_SI_SN_EUlS11_E_NS1_11comp_targetILNS1_3genE0ELNS1_11target_archE4294967295ELNS1_3gpuE0ELNS1_3repE0EEENS1_47radix_sort_onesweep_sort_config_static_selectorELNS0_4arch9wavefront6targetE0EEEvSI_.num_agpr, 0
	.set _ZN7rocprim17ROCPRIM_400000_NS6detail17trampoline_kernelINS0_14default_configENS1_35radix_sort_onesweep_config_selectorIiiEEZZNS1_29radix_sort_onesweep_iterationIS3_Lb0EN6thrust23THRUST_200600_302600_NS6detail15normal_iteratorINS8_10device_ptrIiEEEESD_SD_SD_jNS0_19identity_decomposerENS1_16block_id_wrapperIjLb0EEEEE10hipError_tT1_PNSt15iterator_traitsISI_E10value_typeET2_T3_PNSJ_ISO_E10value_typeET4_T5_PST_SU_PNS1_23onesweep_lookback_stateEbbT6_jjT7_P12ihipStream_tbENKUlT_T0_SI_SN_E_clISD_PiSD_S15_EEDaS11_S12_SI_SN_EUlS11_E_NS1_11comp_targetILNS1_3genE0ELNS1_11target_archE4294967295ELNS1_3gpuE0ELNS1_3repE0EEENS1_47radix_sort_onesweep_sort_config_static_selectorELNS0_4arch9wavefront6targetE0EEEvSI_.numbered_sgpr, 0
	.set _ZN7rocprim17ROCPRIM_400000_NS6detail17trampoline_kernelINS0_14default_configENS1_35radix_sort_onesweep_config_selectorIiiEEZZNS1_29radix_sort_onesweep_iterationIS3_Lb0EN6thrust23THRUST_200600_302600_NS6detail15normal_iteratorINS8_10device_ptrIiEEEESD_SD_SD_jNS0_19identity_decomposerENS1_16block_id_wrapperIjLb0EEEEE10hipError_tT1_PNSt15iterator_traitsISI_E10value_typeET2_T3_PNSJ_ISO_E10value_typeET4_T5_PST_SU_PNS1_23onesweep_lookback_stateEbbT6_jjT7_P12ihipStream_tbENKUlT_T0_SI_SN_E_clISD_PiSD_S15_EEDaS11_S12_SI_SN_EUlS11_E_NS1_11comp_targetILNS1_3genE0ELNS1_11target_archE4294967295ELNS1_3gpuE0ELNS1_3repE0EEENS1_47radix_sort_onesweep_sort_config_static_selectorELNS0_4arch9wavefront6targetE0EEEvSI_.num_named_barrier, 0
	.set _ZN7rocprim17ROCPRIM_400000_NS6detail17trampoline_kernelINS0_14default_configENS1_35radix_sort_onesweep_config_selectorIiiEEZZNS1_29radix_sort_onesweep_iterationIS3_Lb0EN6thrust23THRUST_200600_302600_NS6detail15normal_iteratorINS8_10device_ptrIiEEEESD_SD_SD_jNS0_19identity_decomposerENS1_16block_id_wrapperIjLb0EEEEE10hipError_tT1_PNSt15iterator_traitsISI_E10value_typeET2_T3_PNSJ_ISO_E10value_typeET4_T5_PST_SU_PNS1_23onesweep_lookback_stateEbbT6_jjT7_P12ihipStream_tbENKUlT_T0_SI_SN_E_clISD_PiSD_S15_EEDaS11_S12_SI_SN_EUlS11_E_NS1_11comp_targetILNS1_3genE0ELNS1_11target_archE4294967295ELNS1_3gpuE0ELNS1_3repE0EEENS1_47radix_sort_onesweep_sort_config_static_selectorELNS0_4arch9wavefront6targetE0EEEvSI_.private_seg_size, 0
	.set _ZN7rocprim17ROCPRIM_400000_NS6detail17trampoline_kernelINS0_14default_configENS1_35radix_sort_onesweep_config_selectorIiiEEZZNS1_29radix_sort_onesweep_iterationIS3_Lb0EN6thrust23THRUST_200600_302600_NS6detail15normal_iteratorINS8_10device_ptrIiEEEESD_SD_SD_jNS0_19identity_decomposerENS1_16block_id_wrapperIjLb0EEEEE10hipError_tT1_PNSt15iterator_traitsISI_E10value_typeET2_T3_PNSJ_ISO_E10value_typeET4_T5_PST_SU_PNS1_23onesweep_lookback_stateEbbT6_jjT7_P12ihipStream_tbENKUlT_T0_SI_SN_E_clISD_PiSD_S15_EEDaS11_S12_SI_SN_EUlS11_E_NS1_11comp_targetILNS1_3genE0ELNS1_11target_archE4294967295ELNS1_3gpuE0ELNS1_3repE0EEENS1_47radix_sort_onesweep_sort_config_static_selectorELNS0_4arch9wavefront6targetE0EEEvSI_.uses_vcc, 0
	.set _ZN7rocprim17ROCPRIM_400000_NS6detail17trampoline_kernelINS0_14default_configENS1_35radix_sort_onesweep_config_selectorIiiEEZZNS1_29radix_sort_onesweep_iterationIS3_Lb0EN6thrust23THRUST_200600_302600_NS6detail15normal_iteratorINS8_10device_ptrIiEEEESD_SD_SD_jNS0_19identity_decomposerENS1_16block_id_wrapperIjLb0EEEEE10hipError_tT1_PNSt15iterator_traitsISI_E10value_typeET2_T3_PNSJ_ISO_E10value_typeET4_T5_PST_SU_PNS1_23onesweep_lookback_stateEbbT6_jjT7_P12ihipStream_tbENKUlT_T0_SI_SN_E_clISD_PiSD_S15_EEDaS11_S12_SI_SN_EUlS11_E_NS1_11comp_targetILNS1_3genE0ELNS1_11target_archE4294967295ELNS1_3gpuE0ELNS1_3repE0EEENS1_47radix_sort_onesweep_sort_config_static_selectorELNS0_4arch9wavefront6targetE0EEEvSI_.uses_flat_scratch, 0
	.set _ZN7rocprim17ROCPRIM_400000_NS6detail17trampoline_kernelINS0_14default_configENS1_35radix_sort_onesweep_config_selectorIiiEEZZNS1_29radix_sort_onesweep_iterationIS3_Lb0EN6thrust23THRUST_200600_302600_NS6detail15normal_iteratorINS8_10device_ptrIiEEEESD_SD_SD_jNS0_19identity_decomposerENS1_16block_id_wrapperIjLb0EEEEE10hipError_tT1_PNSt15iterator_traitsISI_E10value_typeET2_T3_PNSJ_ISO_E10value_typeET4_T5_PST_SU_PNS1_23onesweep_lookback_stateEbbT6_jjT7_P12ihipStream_tbENKUlT_T0_SI_SN_E_clISD_PiSD_S15_EEDaS11_S12_SI_SN_EUlS11_E_NS1_11comp_targetILNS1_3genE0ELNS1_11target_archE4294967295ELNS1_3gpuE0ELNS1_3repE0EEENS1_47radix_sort_onesweep_sort_config_static_selectorELNS0_4arch9wavefront6targetE0EEEvSI_.has_dyn_sized_stack, 0
	.set _ZN7rocprim17ROCPRIM_400000_NS6detail17trampoline_kernelINS0_14default_configENS1_35radix_sort_onesweep_config_selectorIiiEEZZNS1_29radix_sort_onesweep_iterationIS3_Lb0EN6thrust23THRUST_200600_302600_NS6detail15normal_iteratorINS8_10device_ptrIiEEEESD_SD_SD_jNS0_19identity_decomposerENS1_16block_id_wrapperIjLb0EEEEE10hipError_tT1_PNSt15iterator_traitsISI_E10value_typeET2_T3_PNSJ_ISO_E10value_typeET4_T5_PST_SU_PNS1_23onesweep_lookback_stateEbbT6_jjT7_P12ihipStream_tbENKUlT_T0_SI_SN_E_clISD_PiSD_S15_EEDaS11_S12_SI_SN_EUlS11_E_NS1_11comp_targetILNS1_3genE0ELNS1_11target_archE4294967295ELNS1_3gpuE0ELNS1_3repE0EEENS1_47radix_sort_onesweep_sort_config_static_selectorELNS0_4arch9wavefront6targetE0EEEvSI_.has_recursion, 0
	.set _ZN7rocprim17ROCPRIM_400000_NS6detail17trampoline_kernelINS0_14default_configENS1_35radix_sort_onesweep_config_selectorIiiEEZZNS1_29radix_sort_onesweep_iterationIS3_Lb0EN6thrust23THRUST_200600_302600_NS6detail15normal_iteratorINS8_10device_ptrIiEEEESD_SD_SD_jNS0_19identity_decomposerENS1_16block_id_wrapperIjLb0EEEEE10hipError_tT1_PNSt15iterator_traitsISI_E10value_typeET2_T3_PNSJ_ISO_E10value_typeET4_T5_PST_SU_PNS1_23onesweep_lookback_stateEbbT6_jjT7_P12ihipStream_tbENKUlT_T0_SI_SN_E_clISD_PiSD_S15_EEDaS11_S12_SI_SN_EUlS11_E_NS1_11comp_targetILNS1_3genE0ELNS1_11target_archE4294967295ELNS1_3gpuE0ELNS1_3repE0EEENS1_47radix_sort_onesweep_sort_config_static_selectorELNS0_4arch9wavefront6targetE0EEEvSI_.has_indirect_call, 0
	.section	.AMDGPU.csdata,"",@progbits
; Kernel info:
; codeLenInByte = 0
; TotalNumSgprs: 0
; NumVgprs: 0
; ScratchSize: 0
; MemoryBound: 0
; FloatMode: 240
; IeeeMode: 1
; LDSByteSize: 0 bytes/workgroup (compile time only)
; SGPRBlocks: 0
; VGPRBlocks: 0
; NumSGPRsForWavesPerEU: 1
; NumVGPRsForWavesPerEU: 1
; Occupancy: 16
; WaveLimiterHint : 0
; COMPUTE_PGM_RSRC2:SCRATCH_EN: 0
; COMPUTE_PGM_RSRC2:USER_SGPR: 6
; COMPUTE_PGM_RSRC2:TRAP_HANDLER: 0
; COMPUTE_PGM_RSRC2:TGID_X_EN: 1
; COMPUTE_PGM_RSRC2:TGID_Y_EN: 0
; COMPUTE_PGM_RSRC2:TGID_Z_EN: 0
; COMPUTE_PGM_RSRC2:TIDIG_COMP_CNT: 0
	.section	.text._ZN7rocprim17ROCPRIM_400000_NS6detail17trampoline_kernelINS0_14default_configENS1_35radix_sort_onesweep_config_selectorIiiEEZZNS1_29radix_sort_onesweep_iterationIS3_Lb0EN6thrust23THRUST_200600_302600_NS6detail15normal_iteratorINS8_10device_ptrIiEEEESD_SD_SD_jNS0_19identity_decomposerENS1_16block_id_wrapperIjLb0EEEEE10hipError_tT1_PNSt15iterator_traitsISI_E10value_typeET2_T3_PNSJ_ISO_E10value_typeET4_T5_PST_SU_PNS1_23onesweep_lookback_stateEbbT6_jjT7_P12ihipStream_tbENKUlT_T0_SI_SN_E_clISD_PiSD_S15_EEDaS11_S12_SI_SN_EUlS11_E_NS1_11comp_targetILNS1_3genE6ELNS1_11target_archE950ELNS1_3gpuE13ELNS1_3repE0EEENS1_47radix_sort_onesweep_sort_config_static_selectorELNS0_4arch9wavefront6targetE0EEEvSI_,"axG",@progbits,_ZN7rocprim17ROCPRIM_400000_NS6detail17trampoline_kernelINS0_14default_configENS1_35radix_sort_onesweep_config_selectorIiiEEZZNS1_29radix_sort_onesweep_iterationIS3_Lb0EN6thrust23THRUST_200600_302600_NS6detail15normal_iteratorINS8_10device_ptrIiEEEESD_SD_SD_jNS0_19identity_decomposerENS1_16block_id_wrapperIjLb0EEEEE10hipError_tT1_PNSt15iterator_traitsISI_E10value_typeET2_T3_PNSJ_ISO_E10value_typeET4_T5_PST_SU_PNS1_23onesweep_lookback_stateEbbT6_jjT7_P12ihipStream_tbENKUlT_T0_SI_SN_E_clISD_PiSD_S15_EEDaS11_S12_SI_SN_EUlS11_E_NS1_11comp_targetILNS1_3genE6ELNS1_11target_archE950ELNS1_3gpuE13ELNS1_3repE0EEENS1_47radix_sort_onesweep_sort_config_static_selectorELNS0_4arch9wavefront6targetE0EEEvSI_,comdat
	.protected	_ZN7rocprim17ROCPRIM_400000_NS6detail17trampoline_kernelINS0_14default_configENS1_35radix_sort_onesweep_config_selectorIiiEEZZNS1_29radix_sort_onesweep_iterationIS3_Lb0EN6thrust23THRUST_200600_302600_NS6detail15normal_iteratorINS8_10device_ptrIiEEEESD_SD_SD_jNS0_19identity_decomposerENS1_16block_id_wrapperIjLb0EEEEE10hipError_tT1_PNSt15iterator_traitsISI_E10value_typeET2_T3_PNSJ_ISO_E10value_typeET4_T5_PST_SU_PNS1_23onesweep_lookback_stateEbbT6_jjT7_P12ihipStream_tbENKUlT_T0_SI_SN_E_clISD_PiSD_S15_EEDaS11_S12_SI_SN_EUlS11_E_NS1_11comp_targetILNS1_3genE6ELNS1_11target_archE950ELNS1_3gpuE13ELNS1_3repE0EEENS1_47radix_sort_onesweep_sort_config_static_selectorELNS0_4arch9wavefront6targetE0EEEvSI_ ; -- Begin function _ZN7rocprim17ROCPRIM_400000_NS6detail17trampoline_kernelINS0_14default_configENS1_35radix_sort_onesweep_config_selectorIiiEEZZNS1_29radix_sort_onesweep_iterationIS3_Lb0EN6thrust23THRUST_200600_302600_NS6detail15normal_iteratorINS8_10device_ptrIiEEEESD_SD_SD_jNS0_19identity_decomposerENS1_16block_id_wrapperIjLb0EEEEE10hipError_tT1_PNSt15iterator_traitsISI_E10value_typeET2_T3_PNSJ_ISO_E10value_typeET4_T5_PST_SU_PNS1_23onesweep_lookback_stateEbbT6_jjT7_P12ihipStream_tbENKUlT_T0_SI_SN_E_clISD_PiSD_S15_EEDaS11_S12_SI_SN_EUlS11_E_NS1_11comp_targetILNS1_3genE6ELNS1_11target_archE950ELNS1_3gpuE13ELNS1_3repE0EEENS1_47radix_sort_onesweep_sort_config_static_selectorELNS0_4arch9wavefront6targetE0EEEvSI_
	.globl	_ZN7rocprim17ROCPRIM_400000_NS6detail17trampoline_kernelINS0_14default_configENS1_35radix_sort_onesweep_config_selectorIiiEEZZNS1_29radix_sort_onesweep_iterationIS3_Lb0EN6thrust23THRUST_200600_302600_NS6detail15normal_iteratorINS8_10device_ptrIiEEEESD_SD_SD_jNS0_19identity_decomposerENS1_16block_id_wrapperIjLb0EEEEE10hipError_tT1_PNSt15iterator_traitsISI_E10value_typeET2_T3_PNSJ_ISO_E10value_typeET4_T5_PST_SU_PNS1_23onesweep_lookback_stateEbbT6_jjT7_P12ihipStream_tbENKUlT_T0_SI_SN_E_clISD_PiSD_S15_EEDaS11_S12_SI_SN_EUlS11_E_NS1_11comp_targetILNS1_3genE6ELNS1_11target_archE950ELNS1_3gpuE13ELNS1_3repE0EEENS1_47radix_sort_onesweep_sort_config_static_selectorELNS0_4arch9wavefront6targetE0EEEvSI_
	.p2align	8
	.type	_ZN7rocprim17ROCPRIM_400000_NS6detail17trampoline_kernelINS0_14default_configENS1_35radix_sort_onesweep_config_selectorIiiEEZZNS1_29radix_sort_onesweep_iterationIS3_Lb0EN6thrust23THRUST_200600_302600_NS6detail15normal_iteratorINS8_10device_ptrIiEEEESD_SD_SD_jNS0_19identity_decomposerENS1_16block_id_wrapperIjLb0EEEEE10hipError_tT1_PNSt15iterator_traitsISI_E10value_typeET2_T3_PNSJ_ISO_E10value_typeET4_T5_PST_SU_PNS1_23onesweep_lookback_stateEbbT6_jjT7_P12ihipStream_tbENKUlT_T0_SI_SN_E_clISD_PiSD_S15_EEDaS11_S12_SI_SN_EUlS11_E_NS1_11comp_targetILNS1_3genE6ELNS1_11target_archE950ELNS1_3gpuE13ELNS1_3repE0EEENS1_47radix_sort_onesweep_sort_config_static_selectorELNS0_4arch9wavefront6targetE0EEEvSI_,@function
_ZN7rocprim17ROCPRIM_400000_NS6detail17trampoline_kernelINS0_14default_configENS1_35radix_sort_onesweep_config_selectorIiiEEZZNS1_29radix_sort_onesweep_iterationIS3_Lb0EN6thrust23THRUST_200600_302600_NS6detail15normal_iteratorINS8_10device_ptrIiEEEESD_SD_SD_jNS0_19identity_decomposerENS1_16block_id_wrapperIjLb0EEEEE10hipError_tT1_PNSt15iterator_traitsISI_E10value_typeET2_T3_PNSJ_ISO_E10value_typeET4_T5_PST_SU_PNS1_23onesweep_lookback_stateEbbT6_jjT7_P12ihipStream_tbENKUlT_T0_SI_SN_E_clISD_PiSD_S15_EEDaS11_S12_SI_SN_EUlS11_E_NS1_11comp_targetILNS1_3genE6ELNS1_11target_archE950ELNS1_3gpuE13ELNS1_3repE0EEENS1_47radix_sort_onesweep_sort_config_static_selectorELNS0_4arch9wavefront6targetE0EEEvSI_: ; @_ZN7rocprim17ROCPRIM_400000_NS6detail17trampoline_kernelINS0_14default_configENS1_35radix_sort_onesweep_config_selectorIiiEEZZNS1_29radix_sort_onesweep_iterationIS3_Lb0EN6thrust23THRUST_200600_302600_NS6detail15normal_iteratorINS8_10device_ptrIiEEEESD_SD_SD_jNS0_19identity_decomposerENS1_16block_id_wrapperIjLb0EEEEE10hipError_tT1_PNSt15iterator_traitsISI_E10value_typeET2_T3_PNSJ_ISO_E10value_typeET4_T5_PST_SU_PNS1_23onesweep_lookback_stateEbbT6_jjT7_P12ihipStream_tbENKUlT_T0_SI_SN_E_clISD_PiSD_S15_EEDaS11_S12_SI_SN_EUlS11_E_NS1_11comp_targetILNS1_3genE6ELNS1_11target_archE950ELNS1_3gpuE13ELNS1_3repE0EEENS1_47radix_sort_onesweep_sort_config_static_selectorELNS0_4arch9wavefront6targetE0EEEvSI_
; %bb.0:
	.section	.rodata,"a",@progbits
	.p2align	6, 0x0
	.amdhsa_kernel _ZN7rocprim17ROCPRIM_400000_NS6detail17trampoline_kernelINS0_14default_configENS1_35radix_sort_onesweep_config_selectorIiiEEZZNS1_29radix_sort_onesweep_iterationIS3_Lb0EN6thrust23THRUST_200600_302600_NS6detail15normal_iteratorINS8_10device_ptrIiEEEESD_SD_SD_jNS0_19identity_decomposerENS1_16block_id_wrapperIjLb0EEEEE10hipError_tT1_PNSt15iterator_traitsISI_E10value_typeET2_T3_PNSJ_ISO_E10value_typeET4_T5_PST_SU_PNS1_23onesweep_lookback_stateEbbT6_jjT7_P12ihipStream_tbENKUlT_T0_SI_SN_E_clISD_PiSD_S15_EEDaS11_S12_SI_SN_EUlS11_E_NS1_11comp_targetILNS1_3genE6ELNS1_11target_archE950ELNS1_3gpuE13ELNS1_3repE0EEENS1_47radix_sort_onesweep_sort_config_static_selectorELNS0_4arch9wavefront6targetE0EEEvSI_
		.amdhsa_group_segment_fixed_size 0
		.amdhsa_private_segment_fixed_size 0
		.amdhsa_kernarg_size 88
		.amdhsa_user_sgpr_count 6
		.amdhsa_user_sgpr_private_segment_buffer 1
		.amdhsa_user_sgpr_dispatch_ptr 0
		.amdhsa_user_sgpr_queue_ptr 0
		.amdhsa_user_sgpr_kernarg_segment_ptr 1
		.amdhsa_user_sgpr_dispatch_id 0
		.amdhsa_user_sgpr_flat_scratch_init 0
		.amdhsa_user_sgpr_private_segment_size 0
		.amdhsa_wavefront_size32 1
		.amdhsa_uses_dynamic_stack 0
		.amdhsa_system_sgpr_private_segment_wavefront_offset 0
		.amdhsa_system_sgpr_workgroup_id_x 1
		.amdhsa_system_sgpr_workgroup_id_y 0
		.amdhsa_system_sgpr_workgroup_id_z 0
		.amdhsa_system_sgpr_workgroup_info 0
		.amdhsa_system_vgpr_workitem_id 0
		.amdhsa_next_free_vgpr 1
		.amdhsa_next_free_sgpr 1
		.amdhsa_reserve_vcc 0
		.amdhsa_reserve_flat_scratch 0
		.amdhsa_float_round_mode_32 0
		.amdhsa_float_round_mode_16_64 0
		.amdhsa_float_denorm_mode_32 3
		.amdhsa_float_denorm_mode_16_64 3
		.amdhsa_dx10_clamp 1
		.amdhsa_ieee_mode 1
		.amdhsa_fp16_overflow 0
		.amdhsa_workgroup_processor_mode 1
		.amdhsa_memory_ordered 1
		.amdhsa_forward_progress 1
		.amdhsa_shared_vgpr_count 0
		.amdhsa_exception_fp_ieee_invalid_op 0
		.amdhsa_exception_fp_denorm_src 0
		.amdhsa_exception_fp_ieee_div_zero 0
		.amdhsa_exception_fp_ieee_overflow 0
		.amdhsa_exception_fp_ieee_underflow 0
		.amdhsa_exception_fp_ieee_inexact 0
		.amdhsa_exception_int_div_zero 0
	.end_amdhsa_kernel
	.section	.text._ZN7rocprim17ROCPRIM_400000_NS6detail17trampoline_kernelINS0_14default_configENS1_35radix_sort_onesweep_config_selectorIiiEEZZNS1_29radix_sort_onesweep_iterationIS3_Lb0EN6thrust23THRUST_200600_302600_NS6detail15normal_iteratorINS8_10device_ptrIiEEEESD_SD_SD_jNS0_19identity_decomposerENS1_16block_id_wrapperIjLb0EEEEE10hipError_tT1_PNSt15iterator_traitsISI_E10value_typeET2_T3_PNSJ_ISO_E10value_typeET4_T5_PST_SU_PNS1_23onesweep_lookback_stateEbbT6_jjT7_P12ihipStream_tbENKUlT_T0_SI_SN_E_clISD_PiSD_S15_EEDaS11_S12_SI_SN_EUlS11_E_NS1_11comp_targetILNS1_3genE6ELNS1_11target_archE950ELNS1_3gpuE13ELNS1_3repE0EEENS1_47radix_sort_onesweep_sort_config_static_selectorELNS0_4arch9wavefront6targetE0EEEvSI_,"axG",@progbits,_ZN7rocprim17ROCPRIM_400000_NS6detail17trampoline_kernelINS0_14default_configENS1_35radix_sort_onesweep_config_selectorIiiEEZZNS1_29radix_sort_onesweep_iterationIS3_Lb0EN6thrust23THRUST_200600_302600_NS6detail15normal_iteratorINS8_10device_ptrIiEEEESD_SD_SD_jNS0_19identity_decomposerENS1_16block_id_wrapperIjLb0EEEEE10hipError_tT1_PNSt15iterator_traitsISI_E10value_typeET2_T3_PNSJ_ISO_E10value_typeET4_T5_PST_SU_PNS1_23onesweep_lookback_stateEbbT6_jjT7_P12ihipStream_tbENKUlT_T0_SI_SN_E_clISD_PiSD_S15_EEDaS11_S12_SI_SN_EUlS11_E_NS1_11comp_targetILNS1_3genE6ELNS1_11target_archE950ELNS1_3gpuE13ELNS1_3repE0EEENS1_47radix_sort_onesweep_sort_config_static_selectorELNS0_4arch9wavefront6targetE0EEEvSI_,comdat
.Lfunc_end859:
	.size	_ZN7rocprim17ROCPRIM_400000_NS6detail17trampoline_kernelINS0_14default_configENS1_35radix_sort_onesweep_config_selectorIiiEEZZNS1_29radix_sort_onesweep_iterationIS3_Lb0EN6thrust23THRUST_200600_302600_NS6detail15normal_iteratorINS8_10device_ptrIiEEEESD_SD_SD_jNS0_19identity_decomposerENS1_16block_id_wrapperIjLb0EEEEE10hipError_tT1_PNSt15iterator_traitsISI_E10value_typeET2_T3_PNSJ_ISO_E10value_typeET4_T5_PST_SU_PNS1_23onesweep_lookback_stateEbbT6_jjT7_P12ihipStream_tbENKUlT_T0_SI_SN_E_clISD_PiSD_S15_EEDaS11_S12_SI_SN_EUlS11_E_NS1_11comp_targetILNS1_3genE6ELNS1_11target_archE950ELNS1_3gpuE13ELNS1_3repE0EEENS1_47radix_sort_onesweep_sort_config_static_selectorELNS0_4arch9wavefront6targetE0EEEvSI_, .Lfunc_end859-_ZN7rocprim17ROCPRIM_400000_NS6detail17trampoline_kernelINS0_14default_configENS1_35radix_sort_onesweep_config_selectorIiiEEZZNS1_29radix_sort_onesweep_iterationIS3_Lb0EN6thrust23THRUST_200600_302600_NS6detail15normal_iteratorINS8_10device_ptrIiEEEESD_SD_SD_jNS0_19identity_decomposerENS1_16block_id_wrapperIjLb0EEEEE10hipError_tT1_PNSt15iterator_traitsISI_E10value_typeET2_T3_PNSJ_ISO_E10value_typeET4_T5_PST_SU_PNS1_23onesweep_lookback_stateEbbT6_jjT7_P12ihipStream_tbENKUlT_T0_SI_SN_E_clISD_PiSD_S15_EEDaS11_S12_SI_SN_EUlS11_E_NS1_11comp_targetILNS1_3genE6ELNS1_11target_archE950ELNS1_3gpuE13ELNS1_3repE0EEENS1_47radix_sort_onesweep_sort_config_static_selectorELNS0_4arch9wavefront6targetE0EEEvSI_
                                        ; -- End function
	.set _ZN7rocprim17ROCPRIM_400000_NS6detail17trampoline_kernelINS0_14default_configENS1_35radix_sort_onesweep_config_selectorIiiEEZZNS1_29radix_sort_onesweep_iterationIS3_Lb0EN6thrust23THRUST_200600_302600_NS6detail15normal_iteratorINS8_10device_ptrIiEEEESD_SD_SD_jNS0_19identity_decomposerENS1_16block_id_wrapperIjLb0EEEEE10hipError_tT1_PNSt15iterator_traitsISI_E10value_typeET2_T3_PNSJ_ISO_E10value_typeET4_T5_PST_SU_PNS1_23onesweep_lookback_stateEbbT6_jjT7_P12ihipStream_tbENKUlT_T0_SI_SN_E_clISD_PiSD_S15_EEDaS11_S12_SI_SN_EUlS11_E_NS1_11comp_targetILNS1_3genE6ELNS1_11target_archE950ELNS1_3gpuE13ELNS1_3repE0EEENS1_47radix_sort_onesweep_sort_config_static_selectorELNS0_4arch9wavefront6targetE0EEEvSI_.num_vgpr, 0
	.set _ZN7rocprim17ROCPRIM_400000_NS6detail17trampoline_kernelINS0_14default_configENS1_35radix_sort_onesweep_config_selectorIiiEEZZNS1_29radix_sort_onesweep_iterationIS3_Lb0EN6thrust23THRUST_200600_302600_NS6detail15normal_iteratorINS8_10device_ptrIiEEEESD_SD_SD_jNS0_19identity_decomposerENS1_16block_id_wrapperIjLb0EEEEE10hipError_tT1_PNSt15iterator_traitsISI_E10value_typeET2_T3_PNSJ_ISO_E10value_typeET4_T5_PST_SU_PNS1_23onesweep_lookback_stateEbbT6_jjT7_P12ihipStream_tbENKUlT_T0_SI_SN_E_clISD_PiSD_S15_EEDaS11_S12_SI_SN_EUlS11_E_NS1_11comp_targetILNS1_3genE6ELNS1_11target_archE950ELNS1_3gpuE13ELNS1_3repE0EEENS1_47radix_sort_onesweep_sort_config_static_selectorELNS0_4arch9wavefront6targetE0EEEvSI_.num_agpr, 0
	.set _ZN7rocprim17ROCPRIM_400000_NS6detail17trampoline_kernelINS0_14default_configENS1_35radix_sort_onesweep_config_selectorIiiEEZZNS1_29radix_sort_onesweep_iterationIS3_Lb0EN6thrust23THRUST_200600_302600_NS6detail15normal_iteratorINS8_10device_ptrIiEEEESD_SD_SD_jNS0_19identity_decomposerENS1_16block_id_wrapperIjLb0EEEEE10hipError_tT1_PNSt15iterator_traitsISI_E10value_typeET2_T3_PNSJ_ISO_E10value_typeET4_T5_PST_SU_PNS1_23onesweep_lookback_stateEbbT6_jjT7_P12ihipStream_tbENKUlT_T0_SI_SN_E_clISD_PiSD_S15_EEDaS11_S12_SI_SN_EUlS11_E_NS1_11comp_targetILNS1_3genE6ELNS1_11target_archE950ELNS1_3gpuE13ELNS1_3repE0EEENS1_47radix_sort_onesweep_sort_config_static_selectorELNS0_4arch9wavefront6targetE0EEEvSI_.numbered_sgpr, 0
	.set _ZN7rocprim17ROCPRIM_400000_NS6detail17trampoline_kernelINS0_14default_configENS1_35radix_sort_onesweep_config_selectorIiiEEZZNS1_29radix_sort_onesweep_iterationIS3_Lb0EN6thrust23THRUST_200600_302600_NS6detail15normal_iteratorINS8_10device_ptrIiEEEESD_SD_SD_jNS0_19identity_decomposerENS1_16block_id_wrapperIjLb0EEEEE10hipError_tT1_PNSt15iterator_traitsISI_E10value_typeET2_T3_PNSJ_ISO_E10value_typeET4_T5_PST_SU_PNS1_23onesweep_lookback_stateEbbT6_jjT7_P12ihipStream_tbENKUlT_T0_SI_SN_E_clISD_PiSD_S15_EEDaS11_S12_SI_SN_EUlS11_E_NS1_11comp_targetILNS1_3genE6ELNS1_11target_archE950ELNS1_3gpuE13ELNS1_3repE0EEENS1_47radix_sort_onesweep_sort_config_static_selectorELNS0_4arch9wavefront6targetE0EEEvSI_.num_named_barrier, 0
	.set _ZN7rocprim17ROCPRIM_400000_NS6detail17trampoline_kernelINS0_14default_configENS1_35radix_sort_onesweep_config_selectorIiiEEZZNS1_29radix_sort_onesweep_iterationIS3_Lb0EN6thrust23THRUST_200600_302600_NS6detail15normal_iteratorINS8_10device_ptrIiEEEESD_SD_SD_jNS0_19identity_decomposerENS1_16block_id_wrapperIjLb0EEEEE10hipError_tT1_PNSt15iterator_traitsISI_E10value_typeET2_T3_PNSJ_ISO_E10value_typeET4_T5_PST_SU_PNS1_23onesweep_lookback_stateEbbT6_jjT7_P12ihipStream_tbENKUlT_T0_SI_SN_E_clISD_PiSD_S15_EEDaS11_S12_SI_SN_EUlS11_E_NS1_11comp_targetILNS1_3genE6ELNS1_11target_archE950ELNS1_3gpuE13ELNS1_3repE0EEENS1_47radix_sort_onesweep_sort_config_static_selectorELNS0_4arch9wavefront6targetE0EEEvSI_.private_seg_size, 0
	.set _ZN7rocprim17ROCPRIM_400000_NS6detail17trampoline_kernelINS0_14default_configENS1_35radix_sort_onesweep_config_selectorIiiEEZZNS1_29radix_sort_onesweep_iterationIS3_Lb0EN6thrust23THRUST_200600_302600_NS6detail15normal_iteratorINS8_10device_ptrIiEEEESD_SD_SD_jNS0_19identity_decomposerENS1_16block_id_wrapperIjLb0EEEEE10hipError_tT1_PNSt15iterator_traitsISI_E10value_typeET2_T3_PNSJ_ISO_E10value_typeET4_T5_PST_SU_PNS1_23onesweep_lookback_stateEbbT6_jjT7_P12ihipStream_tbENKUlT_T0_SI_SN_E_clISD_PiSD_S15_EEDaS11_S12_SI_SN_EUlS11_E_NS1_11comp_targetILNS1_3genE6ELNS1_11target_archE950ELNS1_3gpuE13ELNS1_3repE0EEENS1_47radix_sort_onesweep_sort_config_static_selectorELNS0_4arch9wavefront6targetE0EEEvSI_.uses_vcc, 0
	.set _ZN7rocprim17ROCPRIM_400000_NS6detail17trampoline_kernelINS0_14default_configENS1_35radix_sort_onesweep_config_selectorIiiEEZZNS1_29radix_sort_onesweep_iterationIS3_Lb0EN6thrust23THRUST_200600_302600_NS6detail15normal_iteratorINS8_10device_ptrIiEEEESD_SD_SD_jNS0_19identity_decomposerENS1_16block_id_wrapperIjLb0EEEEE10hipError_tT1_PNSt15iterator_traitsISI_E10value_typeET2_T3_PNSJ_ISO_E10value_typeET4_T5_PST_SU_PNS1_23onesweep_lookback_stateEbbT6_jjT7_P12ihipStream_tbENKUlT_T0_SI_SN_E_clISD_PiSD_S15_EEDaS11_S12_SI_SN_EUlS11_E_NS1_11comp_targetILNS1_3genE6ELNS1_11target_archE950ELNS1_3gpuE13ELNS1_3repE0EEENS1_47radix_sort_onesweep_sort_config_static_selectorELNS0_4arch9wavefront6targetE0EEEvSI_.uses_flat_scratch, 0
	.set _ZN7rocprim17ROCPRIM_400000_NS6detail17trampoline_kernelINS0_14default_configENS1_35radix_sort_onesweep_config_selectorIiiEEZZNS1_29radix_sort_onesweep_iterationIS3_Lb0EN6thrust23THRUST_200600_302600_NS6detail15normal_iteratorINS8_10device_ptrIiEEEESD_SD_SD_jNS0_19identity_decomposerENS1_16block_id_wrapperIjLb0EEEEE10hipError_tT1_PNSt15iterator_traitsISI_E10value_typeET2_T3_PNSJ_ISO_E10value_typeET4_T5_PST_SU_PNS1_23onesweep_lookback_stateEbbT6_jjT7_P12ihipStream_tbENKUlT_T0_SI_SN_E_clISD_PiSD_S15_EEDaS11_S12_SI_SN_EUlS11_E_NS1_11comp_targetILNS1_3genE6ELNS1_11target_archE950ELNS1_3gpuE13ELNS1_3repE0EEENS1_47radix_sort_onesweep_sort_config_static_selectorELNS0_4arch9wavefront6targetE0EEEvSI_.has_dyn_sized_stack, 0
	.set _ZN7rocprim17ROCPRIM_400000_NS6detail17trampoline_kernelINS0_14default_configENS1_35radix_sort_onesweep_config_selectorIiiEEZZNS1_29radix_sort_onesweep_iterationIS3_Lb0EN6thrust23THRUST_200600_302600_NS6detail15normal_iteratorINS8_10device_ptrIiEEEESD_SD_SD_jNS0_19identity_decomposerENS1_16block_id_wrapperIjLb0EEEEE10hipError_tT1_PNSt15iterator_traitsISI_E10value_typeET2_T3_PNSJ_ISO_E10value_typeET4_T5_PST_SU_PNS1_23onesweep_lookback_stateEbbT6_jjT7_P12ihipStream_tbENKUlT_T0_SI_SN_E_clISD_PiSD_S15_EEDaS11_S12_SI_SN_EUlS11_E_NS1_11comp_targetILNS1_3genE6ELNS1_11target_archE950ELNS1_3gpuE13ELNS1_3repE0EEENS1_47radix_sort_onesweep_sort_config_static_selectorELNS0_4arch9wavefront6targetE0EEEvSI_.has_recursion, 0
	.set _ZN7rocprim17ROCPRIM_400000_NS6detail17trampoline_kernelINS0_14default_configENS1_35radix_sort_onesweep_config_selectorIiiEEZZNS1_29radix_sort_onesweep_iterationIS3_Lb0EN6thrust23THRUST_200600_302600_NS6detail15normal_iteratorINS8_10device_ptrIiEEEESD_SD_SD_jNS0_19identity_decomposerENS1_16block_id_wrapperIjLb0EEEEE10hipError_tT1_PNSt15iterator_traitsISI_E10value_typeET2_T3_PNSJ_ISO_E10value_typeET4_T5_PST_SU_PNS1_23onesweep_lookback_stateEbbT6_jjT7_P12ihipStream_tbENKUlT_T0_SI_SN_E_clISD_PiSD_S15_EEDaS11_S12_SI_SN_EUlS11_E_NS1_11comp_targetILNS1_3genE6ELNS1_11target_archE950ELNS1_3gpuE13ELNS1_3repE0EEENS1_47radix_sort_onesweep_sort_config_static_selectorELNS0_4arch9wavefront6targetE0EEEvSI_.has_indirect_call, 0
	.section	.AMDGPU.csdata,"",@progbits
; Kernel info:
; codeLenInByte = 0
; TotalNumSgprs: 0
; NumVgprs: 0
; ScratchSize: 0
; MemoryBound: 0
; FloatMode: 240
; IeeeMode: 1
; LDSByteSize: 0 bytes/workgroup (compile time only)
; SGPRBlocks: 0
; VGPRBlocks: 0
; NumSGPRsForWavesPerEU: 1
; NumVGPRsForWavesPerEU: 1
; Occupancy: 16
; WaveLimiterHint : 0
; COMPUTE_PGM_RSRC2:SCRATCH_EN: 0
; COMPUTE_PGM_RSRC2:USER_SGPR: 6
; COMPUTE_PGM_RSRC2:TRAP_HANDLER: 0
; COMPUTE_PGM_RSRC2:TGID_X_EN: 1
; COMPUTE_PGM_RSRC2:TGID_Y_EN: 0
; COMPUTE_PGM_RSRC2:TGID_Z_EN: 0
; COMPUTE_PGM_RSRC2:TIDIG_COMP_CNT: 0
	.section	.text._ZN7rocprim17ROCPRIM_400000_NS6detail17trampoline_kernelINS0_14default_configENS1_35radix_sort_onesweep_config_selectorIiiEEZZNS1_29radix_sort_onesweep_iterationIS3_Lb0EN6thrust23THRUST_200600_302600_NS6detail15normal_iteratorINS8_10device_ptrIiEEEESD_SD_SD_jNS0_19identity_decomposerENS1_16block_id_wrapperIjLb0EEEEE10hipError_tT1_PNSt15iterator_traitsISI_E10value_typeET2_T3_PNSJ_ISO_E10value_typeET4_T5_PST_SU_PNS1_23onesweep_lookback_stateEbbT6_jjT7_P12ihipStream_tbENKUlT_T0_SI_SN_E_clISD_PiSD_S15_EEDaS11_S12_SI_SN_EUlS11_E_NS1_11comp_targetILNS1_3genE5ELNS1_11target_archE942ELNS1_3gpuE9ELNS1_3repE0EEENS1_47radix_sort_onesweep_sort_config_static_selectorELNS0_4arch9wavefront6targetE0EEEvSI_,"axG",@progbits,_ZN7rocprim17ROCPRIM_400000_NS6detail17trampoline_kernelINS0_14default_configENS1_35radix_sort_onesweep_config_selectorIiiEEZZNS1_29radix_sort_onesweep_iterationIS3_Lb0EN6thrust23THRUST_200600_302600_NS6detail15normal_iteratorINS8_10device_ptrIiEEEESD_SD_SD_jNS0_19identity_decomposerENS1_16block_id_wrapperIjLb0EEEEE10hipError_tT1_PNSt15iterator_traitsISI_E10value_typeET2_T3_PNSJ_ISO_E10value_typeET4_T5_PST_SU_PNS1_23onesweep_lookback_stateEbbT6_jjT7_P12ihipStream_tbENKUlT_T0_SI_SN_E_clISD_PiSD_S15_EEDaS11_S12_SI_SN_EUlS11_E_NS1_11comp_targetILNS1_3genE5ELNS1_11target_archE942ELNS1_3gpuE9ELNS1_3repE0EEENS1_47radix_sort_onesweep_sort_config_static_selectorELNS0_4arch9wavefront6targetE0EEEvSI_,comdat
	.protected	_ZN7rocprim17ROCPRIM_400000_NS6detail17trampoline_kernelINS0_14default_configENS1_35radix_sort_onesweep_config_selectorIiiEEZZNS1_29radix_sort_onesweep_iterationIS3_Lb0EN6thrust23THRUST_200600_302600_NS6detail15normal_iteratorINS8_10device_ptrIiEEEESD_SD_SD_jNS0_19identity_decomposerENS1_16block_id_wrapperIjLb0EEEEE10hipError_tT1_PNSt15iterator_traitsISI_E10value_typeET2_T3_PNSJ_ISO_E10value_typeET4_T5_PST_SU_PNS1_23onesweep_lookback_stateEbbT6_jjT7_P12ihipStream_tbENKUlT_T0_SI_SN_E_clISD_PiSD_S15_EEDaS11_S12_SI_SN_EUlS11_E_NS1_11comp_targetILNS1_3genE5ELNS1_11target_archE942ELNS1_3gpuE9ELNS1_3repE0EEENS1_47radix_sort_onesweep_sort_config_static_selectorELNS0_4arch9wavefront6targetE0EEEvSI_ ; -- Begin function _ZN7rocprim17ROCPRIM_400000_NS6detail17trampoline_kernelINS0_14default_configENS1_35radix_sort_onesweep_config_selectorIiiEEZZNS1_29radix_sort_onesweep_iterationIS3_Lb0EN6thrust23THRUST_200600_302600_NS6detail15normal_iteratorINS8_10device_ptrIiEEEESD_SD_SD_jNS0_19identity_decomposerENS1_16block_id_wrapperIjLb0EEEEE10hipError_tT1_PNSt15iterator_traitsISI_E10value_typeET2_T3_PNSJ_ISO_E10value_typeET4_T5_PST_SU_PNS1_23onesweep_lookback_stateEbbT6_jjT7_P12ihipStream_tbENKUlT_T0_SI_SN_E_clISD_PiSD_S15_EEDaS11_S12_SI_SN_EUlS11_E_NS1_11comp_targetILNS1_3genE5ELNS1_11target_archE942ELNS1_3gpuE9ELNS1_3repE0EEENS1_47radix_sort_onesweep_sort_config_static_selectorELNS0_4arch9wavefront6targetE0EEEvSI_
	.globl	_ZN7rocprim17ROCPRIM_400000_NS6detail17trampoline_kernelINS0_14default_configENS1_35radix_sort_onesweep_config_selectorIiiEEZZNS1_29radix_sort_onesweep_iterationIS3_Lb0EN6thrust23THRUST_200600_302600_NS6detail15normal_iteratorINS8_10device_ptrIiEEEESD_SD_SD_jNS0_19identity_decomposerENS1_16block_id_wrapperIjLb0EEEEE10hipError_tT1_PNSt15iterator_traitsISI_E10value_typeET2_T3_PNSJ_ISO_E10value_typeET4_T5_PST_SU_PNS1_23onesweep_lookback_stateEbbT6_jjT7_P12ihipStream_tbENKUlT_T0_SI_SN_E_clISD_PiSD_S15_EEDaS11_S12_SI_SN_EUlS11_E_NS1_11comp_targetILNS1_3genE5ELNS1_11target_archE942ELNS1_3gpuE9ELNS1_3repE0EEENS1_47radix_sort_onesweep_sort_config_static_selectorELNS0_4arch9wavefront6targetE0EEEvSI_
	.p2align	8
	.type	_ZN7rocprim17ROCPRIM_400000_NS6detail17trampoline_kernelINS0_14default_configENS1_35radix_sort_onesweep_config_selectorIiiEEZZNS1_29radix_sort_onesweep_iterationIS3_Lb0EN6thrust23THRUST_200600_302600_NS6detail15normal_iteratorINS8_10device_ptrIiEEEESD_SD_SD_jNS0_19identity_decomposerENS1_16block_id_wrapperIjLb0EEEEE10hipError_tT1_PNSt15iterator_traitsISI_E10value_typeET2_T3_PNSJ_ISO_E10value_typeET4_T5_PST_SU_PNS1_23onesweep_lookback_stateEbbT6_jjT7_P12ihipStream_tbENKUlT_T0_SI_SN_E_clISD_PiSD_S15_EEDaS11_S12_SI_SN_EUlS11_E_NS1_11comp_targetILNS1_3genE5ELNS1_11target_archE942ELNS1_3gpuE9ELNS1_3repE0EEENS1_47radix_sort_onesweep_sort_config_static_selectorELNS0_4arch9wavefront6targetE0EEEvSI_,@function
_ZN7rocprim17ROCPRIM_400000_NS6detail17trampoline_kernelINS0_14default_configENS1_35radix_sort_onesweep_config_selectorIiiEEZZNS1_29radix_sort_onesweep_iterationIS3_Lb0EN6thrust23THRUST_200600_302600_NS6detail15normal_iteratorINS8_10device_ptrIiEEEESD_SD_SD_jNS0_19identity_decomposerENS1_16block_id_wrapperIjLb0EEEEE10hipError_tT1_PNSt15iterator_traitsISI_E10value_typeET2_T3_PNSJ_ISO_E10value_typeET4_T5_PST_SU_PNS1_23onesweep_lookback_stateEbbT6_jjT7_P12ihipStream_tbENKUlT_T0_SI_SN_E_clISD_PiSD_S15_EEDaS11_S12_SI_SN_EUlS11_E_NS1_11comp_targetILNS1_3genE5ELNS1_11target_archE942ELNS1_3gpuE9ELNS1_3repE0EEENS1_47radix_sort_onesweep_sort_config_static_selectorELNS0_4arch9wavefront6targetE0EEEvSI_: ; @_ZN7rocprim17ROCPRIM_400000_NS6detail17trampoline_kernelINS0_14default_configENS1_35radix_sort_onesweep_config_selectorIiiEEZZNS1_29radix_sort_onesweep_iterationIS3_Lb0EN6thrust23THRUST_200600_302600_NS6detail15normal_iteratorINS8_10device_ptrIiEEEESD_SD_SD_jNS0_19identity_decomposerENS1_16block_id_wrapperIjLb0EEEEE10hipError_tT1_PNSt15iterator_traitsISI_E10value_typeET2_T3_PNSJ_ISO_E10value_typeET4_T5_PST_SU_PNS1_23onesweep_lookback_stateEbbT6_jjT7_P12ihipStream_tbENKUlT_T0_SI_SN_E_clISD_PiSD_S15_EEDaS11_S12_SI_SN_EUlS11_E_NS1_11comp_targetILNS1_3genE5ELNS1_11target_archE942ELNS1_3gpuE9ELNS1_3repE0EEENS1_47radix_sort_onesweep_sort_config_static_selectorELNS0_4arch9wavefront6targetE0EEEvSI_
; %bb.0:
	.section	.rodata,"a",@progbits
	.p2align	6, 0x0
	.amdhsa_kernel _ZN7rocprim17ROCPRIM_400000_NS6detail17trampoline_kernelINS0_14default_configENS1_35radix_sort_onesweep_config_selectorIiiEEZZNS1_29radix_sort_onesweep_iterationIS3_Lb0EN6thrust23THRUST_200600_302600_NS6detail15normal_iteratorINS8_10device_ptrIiEEEESD_SD_SD_jNS0_19identity_decomposerENS1_16block_id_wrapperIjLb0EEEEE10hipError_tT1_PNSt15iterator_traitsISI_E10value_typeET2_T3_PNSJ_ISO_E10value_typeET4_T5_PST_SU_PNS1_23onesweep_lookback_stateEbbT6_jjT7_P12ihipStream_tbENKUlT_T0_SI_SN_E_clISD_PiSD_S15_EEDaS11_S12_SI_SN_EUlS11_E_NS1_11comp_targetILNS1_3genE5ELNS1_11target_archE942ELNS1_3gpuE9ELNS1_3repE0EEENS1_47radix_sort_onesweep_sort_config_static_selectorELNS0_4arch9wavefront6targetE0EEEvSI_
		.amdhsa_group_segment_fixed_size 0
		.amdhsa_private_segment_fixed_size 0
		.amdhsa_kernarg_size 88
		.amdhsa_user_sgpr_count 6
		.amdhsa_user_sgpr_private_segment_buffer 1
		.amdhsa_user_sgpr_dispatch_ptr 0
		.amdhsa_user_sgpr_queue_ptr 0
		.amdhsa_user_sgpr_kernarg_segment_ptr 1
		.amdhsa_user_sgpr_dispatch_id 0
		.amdhsa_user_sgpr_flat_scratch_init 0
		.amdhsa_user_sgpr_private_segment_size 0
		.amdhsa_wavefront_size32 1
		.amdhsa_uses_dynamic_stack 0
		.amdhsa_system_sgpr_private_segment_wavefront_offset 0
		.amdhsa_system_sgpr_workgroup_id_x 1
		.amdhsa_system_sgpr_workgroup_id_y 0
		.amdhsa_system_sgpr_workgroup_id_z 0
		.amdhsa_system_sgpr_workgroup_info 0
		.amdhsa_system_vgpr_workitem_id 0
		.amdhsa_next_free_vgpr 1
		.amdhsa_next_free_sgpr 1
		.amdhsa_reserve_vcc 0
		.amdhsa_reserve_flat_scratch 0
		.amdhsa_float_round_mode_32 0
		.amdhsa_float_round_mode_16_64 0
		.amdhsa_float_denorm_mode_32 3
		.amdhsa_float_denorm_mode_16_64 3
		.amdhsa_dx10_clamp 1
		.amdhsa_ieee_mode 1
		.amdhsa_fp16_overflow 0
		.amdhsa_workgroup_processor_mode 1
		.amdhsa_memory_ordered 1
		.amdhsa_forward_progress 1
		.amdhsa_shared_vgpr_count 0
		.amdhsa_exception_fp_ieee_invalid_op 0
		.amdhsa_exception_fp_denorm_src 0
		.amdhsa_exception_fp_ieee_div_zero 0
		.amdhsa_exception_fp_ieee_overflow 0
		.amdhsa_exception_fp_ieee_underflow 0
		.amdhsa_exception_fp_ieee_inexact 0
		.amdhsa_exception_int_div_zero 0
	.end_amdhsa_kernel
	.section	.text._ZN7rocprim17ROCPRIM_400000_NS6detail17trampoline_kernelINS0_14default_configENS1_35radix_sort_onesweep_config_selectorIiiEEZZNS1_29radix_sort_onesweep_iterationIS3_Lb0EN6thrust23THRUST_200600_302600_NS6detail15normal_iteratorINS8_10device_ptrIiEEEESD_SD_SD_jNS0_19identity_decomposerENS1_16block_id_wrapperIjLb0EEEEE10hipError_tT1_PNSt15iterator_traitsISI_E10value_typeET2_T3_PNSJ_ISO_E10value_typeET4_T5_PST_SU_PNS1_23onesweep_lookback_stateEbbT6_jjT7_P12ihipStream_tbENKUlT_T0_SI_SN_E_clISD_PiSD_S15_EEDaS11_S12_SI_SN_EUlS11_E_NS1_11comp_targetILNS1_3genE5ELNS1_11target_archE942ELNS1_3gpuE9ELNS1_3repE0EEENS1_47radix_sort_onesweep_sort_config_static_selectorELNS0_4arch9wavefront6targetE0EEEvSI_,"axG",@progbits,_ZN7rocprim17ROCPRIM_400000_NS6detail17trampoline_kernelINS0_14default_configENS1_35radix_sort_onesweep_config_selectorIiiEEZZNS1_29radix_sort_onesweep_iterationIS3_Lb0EN6thrust23THRUST_200600_302600_NS6detail15normal_iteratorINS8_10device_ptrIiEEEESD_SD_SD_jNS0_19identity_decomposerENS1_16block_id_wrapperIjLb0EEEEE10hipError_tT1_PNSt15iterator_traitsISI_E10value_typeET2_T3_PNSJ_ISO_E10value_typeET4_T5_PST_SU_PNS1_23onesweep_lookback_stateEbbT6_jjT7_P12ihipStream_tbENKUlT_T0_SI_SN_E_clISD_PiSD_S15_EEDaS11_S12_SI_SN_EUlS11_E_NS1_11comp_targetILNS1_3genE5ELNS1_11target_archE942ELNS1_3gpuE9ELNS1_3repE0EEENS1_47radix_sort_onesweep_sort_config_static_selectorELNS0_4arch9wavefront6targetE0EEEvSI_,comdat
.Lfunc_end860:
	.size	_ZN7rocprim17ROCPRIM_400000_NS6detail17trampoline_kernelINS0_14default_configENS1_35radix_sort_onesweep_config_selectorIiiEEZZNS1_29radix_sort_onesweep_iterationIS3_Lb0EN6thrust23THRUST_200600_302600_NS6detail15normal_iteratorINS8_10device_ptrIiEEEESD_SD_SD_jNS0_19identity_decomposerENS1_16block_id_wrapperIjLb0EEEEE10hipError_tT1_PNSt15iterator_traitsISI_E10value_typeET2_T3_PNSJ_ISO_E10value_typeET4_T5_PST_SU_PNS1_23onesweep_lookback_stateEbbT6_jjT7_P12ihipStream_tbENKUlT_T0_SI_SN_E_clISD_PiSD_S15_EEDaS11_S12_SI_SN_EUlS11_E_NS1_11comp_targetILNS1_3genE5ELNS1_11target_archE942ELNS1_3gpuE9ELNS1_3repE0EEENS1_47radix_sort_onesweep_sort_config_static_selectorELNS0_4arch9wavefront6targetE0EEEvSI_, .Lfunc_end860-_ZN7rocprim17ROCPRIM_400000_NS6detail17trampoline_kernelINS0_14default_configENS1_35radix_sort_onesweep_config_selectorIiiEEZZNS1_29radix_sort_onesweep_iterationIS3_Lb0EN6thrust23THRUST_200600_302600_NS6detail15normal_iteratorINS8_10device_ptrIiEEEESD_SD_SD_jNS0_19identity_decomposerENS1_16block_id_wrapperIjLb0EEEEE10hipError_tT1_PNSt15iterator_traitsISI_E10value_typeET2_T3_PNSJ_ISO_E10value_typeET4_T5_PST_SU_PNS1_23onesweep_lookback_stateEbbT6_jjT7_P12ihipStream_tbENKUlT_T0_SI_SN_E_clISD_PiSD_S15_EEDaS11_S12_SI_SN_EUlS11_E_NS1_11comp_targetILNS1_3genE5ELNS1_11target_archE942ELNS1_3gpuE9ELNS1_3repE0EEENS1_47radix_sort_onesweep_sort_config_static_selectorELNS0_4arch9wavefront6targetE0EEEvSI_
                                        ; -- End function
	.set _ZN7rocprim17ROCPRIM_400000_NS6detail17trampoline_kernelINS0_14default_configENS1_35radix_sort_onesweep_config_selectorIiiEEZZNS1_29radix_sort_onesweep_iterationIS3_Lb0EN6thrust23THRUST_200600_302600_NS6detail15normal_iteratorINS8_10device_ptrIiEEEESD_SD_SD_jNS0_19identity_decomposerENS1_16block_id_wrapperIjLb0EEEEE10hipError_tT1_PNSt15iterator_traitsISI_E10value_typeET2_T3_PNSJ_ISO_E10value_typeET4_T5_PST_SU_PNS1_23onesweep_lookback_stateEbbT6_jjT7_P12ihipStream_tbENKUlT_T0_SI_SN_E_clISD_PiSD_S15_EEDaS11_S12_SI_SN_EUlS11_E_NS1_11comp_targetILNS1_3genE5ELNS1_11target_archE942ELNS1_3gpuE9ELNS1_3repE0EEENS1_47radix_sort_onesweep_sort_config_static_selectorELNS0_4arch9wavefront6targetE0EEEvSI_.num_vgpr, 0
	.set _ZN7rocprim17ROCPRIM_400000_NS6detail17trampoline_kernelINS0_14default_configENS1_35radix_sort_onesweep_config_selectorIiiEEZZNS1_29radix_sort_onesweep_iterationIS3_Lb0EN6thrust23THRUST_200600_302600_NS6detail15normal_iteratorINS8_10device_ptrIiEEEESD_SD_SD_jNS0_19identity_decomposerENS1_16block_id_wrapperIjLb0EEEEE10hipError_tT1_PNSt15iterator_traitsISI_E10value_typeET2_T3_PNSJ_ISO_E10value_typeET4_T5_PST_SU_PNS1_23onesweep_lookback_stateEbbT6_jjT7_P12ihipStream_tbENKUlT_T0_SI_SN_E_clISD_PiSD_S15_EEDaS11_S12_SI_SN_EUlS11_E_NS1_11comp_targetILNS1_3genE5ELNS1_11target_archE942ELNS1_3gpuE9ELNS1_3repE0EEENS1_47radix_sort_onesweep_sort_config_static_selectorELNS0_4arch9wavefront6targetE0EEEvSI_.num_agpr, 0
	.set _ZN7rocprim17ROCPRIM_400000_NS6detail17trampoline_kernelINS0_14default_configENS1_35radix_sort_onesweep_config_selectorIiiEEZZNS1_29radix_sort_onesweep_iterationIS3_Lb0EN6thrust23THRUST_200600_302600_NS6detail15normal_iteratorINS8_10device_ptrIiEEEESD_SD_SD_jNS0_19identity_decomposerENS1_16block_id_wrapperIjLb0EEEEE10hipError_tT1_PNSt15iterator_traitsISI_E10value_typeET2_T3_PNSJ_ISO_E10value_typeET4_T5_PST_SU_PNS1_23onesweep_lookback_stateEbbT6_jjT7_P12ihipStream_tbENKUlT_T0_SI_SN_E_clISD_PiSD_S15_EEDaS11_S12_SI_SN_EUlS11_E_NS1_11comp_targetILNS1_3genE5ELNS1_11target_archE942ELNS1_3gpuE9ELNS1_3repE0EEENS1_47radix_sort_onesweep_sort_config_static_selectorELNS0_4arch9wavefront6targetE0EEEvSI_.numbered_sgpr, 0
	.set _ZN7rocprim17ROCPRIM_400000_NS6detail17trampoline_kernelINS0_14default_configENS1_35radix_sort_onesweep_config_selectorIiiEEZZNS1_29radix_sort_onesweep_iterationIS3_Lb0EN6thrust23THRUST_200600_302600_NS6detail15normal_iteratorINS8_10device_ptrIiEEEESD_SD_SD_jNS0_19identity_decomposerENS1_16block_id_wrapperIjLb0EEEEE10hipError_tT1_PNSt15iterator_traitsISI_E10value_typeET2_T3_PNSJ_ISO_E10value_typeET4_T5_PST_SU_PNS1_23onesweep_lookback_stateEbbT6_jjT7_P12ihipStream_tbENKUlT_T0_SI_SN_E_clISD_PiSD_S15_EEDaS11_S12_SI_SN_EUlS11_E_NS1_11comp_targetILNS1_3genE5ELNS1_11target_archE942ELNS1_3gpuE9ELNS1_3repE0EEENS1_47radix_sort_onesweep_sort_config_static_selectorELNS0_4arch9wavefront6targetE0EEEvSI_.num_named_barrier, 0
	.set _ZN7rocprim17ROCPRIM_400000_NS6detail17trampoline_kernelINS0_14default_configENS1_35radix_sort_onesweep_config_selectorIiiEEZZNS1_29radix_sort_onesweep_iterationIS3_Lb0EN6thrust23THRUST_200600_302600_NS6detail15normal_iteratorINS8_10device_ptrIiEEEESD_SD_SD_jNS0_19identity_decomposerENS1_16block_id_wrapperIjLb0EEEEE10hipError_tT1_PNSt15iterator_traitsISI_E10value_typeET2_T3_PNSJ_ISO_E10value_typeET4_T5_PST_SU_PNS1_23onesweep_lookback_stateEbbT6_jjT7_P12ihipStream_tbENKUlT_T0_SI_SN_E_clISD_PiSD_S15_EEDaS11_S12_SI_SN_EUlS11_E_NS1_11comp_targetILNS1_3genE5ELNS1_11target_archE942ELNS1_3gpuE9ELNS1_3repE0EEENS1_47radix_sort_onesweep_sort_config_static_selectorELNS0_4arch9wavefront6targetE0EEEvSI_.private_seg_size, 0
	.set _ZN7rocprim17ROCPRIM_400000_NS6detail17trampoline_kernelINS0_14default_configENS1_35radix_sort_onesweep_config_selectorIiiEEZZNS1_29radix_sort_onesweep_iterationIS3_Lb0EN6thrust23THRUST_200600_302600_NS6detail15normal_iteratorINS8_10device_ptrIiEEEESD_SD_SD_jNS0_19identity_decomposerENS1_16block_id_wrapperIjLb0EEEEE10hipError_tT1_PNSt15iterator_traitsISI_E10value_typeET2_T3_PNSJ_ISO_E10value_typeET4_T5_PST_SU_PNS1_23onesweep_lookback_stateEbbT6_jjT7_P12ihipStream_tbENKUlT_T0_SI_SN_E_clISD_PiSD_S15_EEDaS11_S12_SI_SN_EUlS11_E_NS1_11comp_targetILNS1_3genE5ELNS1_11target_archE942ELNS1_3gpuE9ELNS1_3repE0EEENS1_47radix_sort_onesweep_sort_config_static_selectorELNS0_4arch9wavefront6targetE0EEEvSI_.uses_vcc, 0
	.set _ZN7rocprim17ROCPRIM_400000_NS6detail17trampoline_kernelINS0_14default_configENS1_35radix_sort_onesweep_config_selectorIiiEEZZNS1_29radix_sort_onesweep_iterationIS3_Lb0EN6thrust23THRUST_200600_302600_NS6detail15normal_iteratorINS8_10device_ptrIiEEEESD_SD_SD_jNS0_19identity_decomposerENS1_16block_id_wrapperIjLb0EEEEE10hipError_tT1_PNSt15iterator_traitsISI_E10value_typeET2_T3_PNSJ_ISO_E10value_typeET4_T5_PST_SU_PNS1_23onesweep_lookback_stateEbbT6_jjT7_P12ihipStream_tbENKUlT_T0_SI_SN_E_clISD_PiSD_S15_EEDaS11_S12_SI_SN_EUlS11_E_NS1_11comp_targetILNS1_3genE5ELNS1_11target_archE942ELNS1_3gpuE9ELNS1_3repE0EEENS1_47radix_sort_onesweep_sort_config_static_selectorELNS0_4arch9wavefront6targetE0EEEvSI_.uses_flat_scratch, 0
	.set _ZN7rocprim17ROCPRIM_400000_NS6detail17trampoline_kernelINS0_14default_configENS1_35radix_sort_onesweep_config_selectorIiiEEZZNS1_29radix_sort_onesweep_iterationIS3_Lb0EN6thrust23THRUST_200600_302600_NS6detail15normal_iteratorINS8_10device_ptrIiEEEESD_SD_SD_jNS0_19identity_decomposerENS1_16block_id_wrapperIjLb0EEEEE10hipError_tT1_PNSt15iterator_traitsISI_E10value_typeET2_T3_PNSJ_ISO_E10value_typeET4_T5_PST_SU_PNS1_23onesweep_lookback_stateEbbT6_jjT7_P12ihipStream_tbENKUlT_T0_SI_SN_E_clISD_PiSD_S15_EEDaS11_S12_SI_SN_EUlS11_E_NS1_11comp_targetILNS1_3genE5ELNS1_11target_archE942ELNS1_3gpuE9ELNS1_3repE0EEENS1_47radix_sort_onesweep_sort_config_static_selectorELNS0_4arch9wavefront6targetE0EEEvSI_.has_dyn_sized_stack, 0
	.set _ZN7rocprim17ROCPRIM_400000_NS6detail17trampoline_kernelINS0_14default_configENS1_35radix_sort_onesweep_config_selectorIiiEEZZNS1_29radix_sort_onesweep_iterationIS3_Lb0EN6thrust23THRUST_200600_302600_NS6detail15normal_iteratorINS8_10device_ptrIiEEEESD_SD_SD_jNS0_19identity_decomposerENS1_16block_id_wrapperIjLb0EEEEE10hipError_tT1_PNSt15iterator_traitsISI_E10value_typeET2_T3_PNSJ_ISO_E10value_typeET4_T5_PST_SU_PNS1_23onesweep_lookback_stateEbbT6_jjT7_P12ihipStream_tbENKUlT_T0_SI_SN_E_clISD_PiSD_S15_EEDaS11_S12_SI_SN_EUlS11_E_NS1_11comp_targetILNS1_3genE5ELNS1_11target_archE942ELNS1_3gpuE9ELNS1_3repE0EEENS1_47radix_sort_onesweep_sort_config_static_selectorELNS0_4arch9wavefront6targetE0EEEvSI_.has_recursion, 0
	.set _ZN7rocprim17ROCPRIM_400000_NS6detail17trampoline_kernelINS0_14default_configENS1_35radix_sort_onesweep_config_selectorIiiEEZZNS1_29radix_sort_onesweep_iterationIS3_Lb0EN6thrust23THRUST_200600_302600_NS6detail15normal_iteratorINS8_10device_ptrIiEEEESD_SD_SD_jNS0_19identity_decomposerENS1_16block_id_wrapperIjLb0EEEEE10hipError_tT1_PNSt15iterator_traitsISI_E10value_typeET2_T3_PNSJ_ISO_E10value_typeET4_T5_PST_SU_PNS1_23onesweep_lookback_stateEbbT6_jjT7_P12ihipStream_tbENKUlT_T0_SI_SN_E_clISD_PiSD_S15_EEDaS11_S12_SI_SN_EUlS11_E_NS1_11comp_targetILNS1_3genE5ELNS1_11target_archE942ELNS1_3gpuE9ELNS1_3repE0EEENS1_47radix_sort_onesweep_sort_config_static_selectorELNS0_4arch9wavefront6targetE0EEEvSI_.has_indirect_call, 0
	.section	.AMDGPU.csdata,"",@progbits
; Kernel info:
; codeLenInByte = 0
; TotalNumSgprs: 0
; NumVgprs: 0
; ScratchSize: 0
; MemoryBound: 0
; FloatMode: 240
; IeeeMode: 1
; LDSByteSize: 0 bytes/workgroup (compile time only)
; SGPRBlocks: 0
; VGPRBlocks: 0
; NumSGPRsForWavesPerEU: 1
; NumVGPRsForWavesPerEU: 1
; Occupancy: 16
; WaveLimiterHint : 0
; COMPUTE_PGM_RSRC2:SCRATCH_EN: 0
; COMPUTE_PGM_RSRC2:USER_SGPR: 6
; COMPUTE_PGM_RSRC2:TRAP_HANDLER: 0
; COMPUTE_PGM_RSRC2:TGID_X_EN: 1
; COMPUTE_PGM_RSRC2:TGID_Y_EN: 0
; COMPUTE_PGM_RSRC2:TGID_Z_EN: 0
; COMPUTE_PGM_RSRC2:TIDIG_COMP_CNT: 0
	.section	.text._ZN7rocprim17ROCPRIM_400000_NS6detail17trampoline_kernelINS0_14default_configENS1_35radix_sort_onesweep_config_selectorIiiEEZZNS1_29radix_sort_onesweep_iterationIS3_Lb0EN6thrust23THRUST_200600_302600_NS6detail15normal_iteratorINS8_10device_ptrIiEEEESD_SD_SD_jNS0_19identity_decomposerENS1_16block_id_wrapperIjLb0EEEEE10hipError_tT1_PNSt15iterator_traitsISI_E10value_typeET2_T3_PNSJ_ISO_E10value_typeET4_T5_PST_SU_PNS1_23onesweep_lookback_stateEbbT6_jjT7_P12ihipStream_tbENKUlT_T0_SI_SN_E_clISD_PiSD_S15_EEDaS11_S12_SI_SN_EUlS11_E_NS1_11comp_targetILNS1_3genE2ELNS1_11target_archE906ELNS1_3gpuE6ELNS1_3repE0EEENS1_47radix_sort_onesweep_sort_config_static_selectorELNS0_4arch9wavefront6targetE0EEEvSI_,"axG",@progbits,_ZN7rocprim17ROCPRIM_400000_NS6detail17trampoline_kernelINS0_14default_configENS1_35radix_sort_onesweep_config_selectorIiiEEZZNS1_29radix_sort_onesweep_iterationIS3_Lb0EN6thrust23THRUST_200600_302600_NS6detail15normal_iteratorINS8_10device_ptrIiEEEESD_SD_SD_jNS0_19identity_decomposerENS1_16block_id_wrapperIjLb0EEEEE10hipError_tT1_PNSt15iterator_traitsISI_E10value_typeET2_T3_PNSJ_ISO_E10value_typeET4_T5_PST_SU_PNS1_23onesweep_lookback_stateEbbT6_jjT7_P12ihipStream_tbENKUlT_T0_SI_SN_E_clISD_PiSD_S15_EEDaS11_S12_SI_SN_EUlS11_E_NS1_11comp_targetILNS1_3genE2ELNS1_11target_archE906ELNS1_3gpuE6ELNS1_3repE0EEENS1_47radix_sort_onesweep_sort_config_static_selectorELNS0_4arch9wavefront6targetE0EEEvSI_,comdat
	.protected	_ZN7rocprim17ROCPRIM_400000_NS6detail17trampoline_kernelINS0_14default_configENS1_35radix_sort_onesweep_config_selectorIiiEEZZNS1_29radix_sort_onesweep_iterationIS3_Lb0EN6thrust23THRUST_200600_302600_NS6detail15normal_iteratorINS8_10device_ptrIiEEEESD_SD_SD_jNS0_19identity_decomposerENS1_16block_id_wrapperIjLb0EEEEE10hipError_tT1_PNSt15iterator_traitsISI_E10value_typeET2_T3_PNSJ_ISO_E10value_typeET4_T5_PST_SU_PNS1_23onesweep_lookback_stateEbbT6_jjT7_P12ihipStream_tbENKUlT_T0_SI_SN_E_clISD_PiSD_S15_EEDaS11_S12_SI_SN_EUlS11_E_NS1_11comp_targetILNS1_3genE2ELNS1_11target_archE906ELNS1_3gpuE6ELNS1_3repE0EEENS1_47radix_sort_onesweep_sort_config_static_selectorELNS0_4arch9wavefront6targetE0EEEvSI_ ; -- Begin function _ZN7rocprim17ROCPRIM_400000_NS6detail17trampoline_kernelINS0_14default_configENS1_35radix_sort_onesweep_config_selectorIiiEEZZNS1_29radix_sort_onesweep_iterationIS3_Lb0EN6thrust23THRUST_200600_302600_NS6detail15normal_iteratorINS8_10device_ptrIiEEEESD_SD_SD_jNS0_19identity_decomposerENS1_16block_id_wrapperIjLb0EEEEE10hipError_tT1_PNSt15iterator_traitsISI_E10value_typeET2_T3_PNSJ_ISO_E10value_typeET4_T5_PST_SU_PNS1_23onesweep_lookback_stateEbbT6_jjT7_P12ihipStream_tbENKUlT_T0_SI_SN_E_clISD_PiSD_S15_EEDaS11_S12_SI_SN_EUlS11_E_NS1_11comp_targetILNS1_3genE2ELNS1_11target_archE906ELNS1_3gpuE6ELNS1_3repE0EEENS1_47radix_sort_onesweep_sort_config_static_selectorELNS0_4arch9wavefront6targetE0EEEvSI_
	.globl	_ZN7rocprim17ROCPRIM_400000_NS6detail17trampoline_kernelINS0_14default_configENS1_35radix_sort_onesweep_config_selectorIiiEEZZNS1_29radix_sort_onesweep_iterationIS3_Lb0EN6thrust23THRUST_200600_302600_NS6detail15normal_iteratorINS8_10device_ptrIiEEEESD_SD_SD_jNS0_19identity_decomposerENS1_16block_id_wrapperIjLb0EEEEE10hipError_tT1_PNSt15iterator_traitsISI_E10value_typeET2_T3_PNSJ_ISO_E10value_typeET4_T5_PST_SU_PNS1_23onesweep_lookback_stateEbbT6_jjT7_P12ihipStream_tbENKUlT_T0_SI_SN_E_clISD_PiSD_S15_EEDaS11_S12_SI_SN_EUlS11_E_NS1_11comp_targetILNS1_3genE2ELNS1_11target_archE906ELNS1_3gpuE6ELNS1_3repE0EEENS1_47radix_sort_onesweep_sort_config_static_selectorELNS0_4arch9wavefront6targetE0EEEvSI_
	.p2align	8
	.type	_ZN7rocprim17ROCPRIM_400000_NS6detail17trampoline_kernelINS0_14default_configENS1_35radix_sort_onesweep_config_selectorIiiEEZZNS1_29radix_sort_onesweep_iterationIS3_Lb0EN6thrust23THRUST_200600_302600_NS6detail15normal_iteratorINS8_10device_ptrIiEEEESD_SD_SD_jNS0_19identity_decomposerENS1_16block_id_wrapperIjLb0EEEEE10hipError_tT1_PNSt15iterator_traitsISI_E10value_typeET2_T3_PNSJ_ISO_E10value_typeET4_T5_PST_SU_PNS1_23onesweep_lookback_stateEbbT6_jjT7_P12ihipStream_tbENKUlT_T0_SI_SN_E_clISD_PiSD_S15_EEDaS11_S12_SI_SN_EUlS11_E_NS1_11comp_targetILNS1_3genE2ELNS1_11target_archE906ELNS1_3gpuE6ELNS1_3repE0EEENS1_47radix_sort_onesweep_sort_config_static_selectorELNS0_4arch9wavefront6targetE0EEEvSI_,@function
_ZN7rocprim17ROCPRIM_400000_NS6detail17trampoline_kernelINS0_14default_configENS1_35radix_sort_onesweep_config_selectorIiiEEZZNS1_29radix_sort_onesweep_iterationIS3_Lb0EN6thrust23THRUST_200600_302600_NS6detail15normal_iteratorINS8_10device_ptrIiEEEESD_SD_SD_jNS0_19identity_decomposerENS1_16block_id_wrapperIjLb0EEEEE10hipError_tT1_PNSt15iterator_traitsISI_E10value_typeET2_T3_PNSJ_ISO_E10value_typeET4_T5_PST_SU_PNS1_23onesweep_lookback_stateEbbT6_jjT7_P12ihipStream_tbENKUlT_T0_SI_SN_E_clISD_PiSD_S15_EEDaS11_S12_SI_SN_EUlS11_E_NS1_11comp_targetILNS1_3genE2ELNS1_11target_archE906ELNS1_3gpuE6ELNS1_3repE0EEENS1_47radix_sort_onesweep_sort_config_static_selectorELNS0_4arch9wavefront6targetE0EEEvSI_: ; @_ZN7rocprim17ROCPRIM_400000_NS6detail17trampoline_kernelINS0_14default_configENS1_35radix_sort_onesweep_config_selectorIiiEEZZNS1_29radix_sort_onesweep_iterationIS3_Lb0EN6thrust23THRUST_200600_302600_NS6detail15normal_iteratorINS8_10device_ptrIiEEEESD_SD_SD_jNS0_19identity_decomposerENS1_16block_id_wrapperIjLb0EEEEE10hipError_tT1_PNSt15iterator_traitsISI_E10value_typeET2_T3_PNSJ_ISO_E10value_typeET4_T5_PST_SU_PNS1_23onesweep_lookback_stateEbbT6_jjT7_P12ihipStream_tbENKUlT_T0_SI_SN_E_clISD_PiSD_S15_EEDaS11_S12_SI_SN_EUlS11_E_NS1_11comp_targetILNS1_3genE2ELNS1_11target_archE906ELNS1_3gpuE6ELNS1_3repE0EEENS1_47radix_sort_onesweep_sort_config_static_selectorELNS0_4arch9wavefront6targetE0EEEvSI_
; %bb.0:
	.section	.rodata,"a",@progbits
	.p2align	6, 0x0
	.amdhsa_kernel _ZN7rocprim17ROCPRIM_400000_NS6detail17trampoline_kernelINS0_14default_configENS1_35radix_sort_onesweep_config_selectorIiiEEZZNS1_29radix_sort_onesweep_iterationIS3_Lb0EN6thrust23THRUST_200600_302600_NS6detail15normal_iteratorINS8_10device_ptrIiEEEESD_SD_SD_jNS0_19identity_decomposerENS1_16block_id_wrapperIjLb0EEEEE10hipError_tT1_PNSt15iterator_traitsISI_E10value_typeET2_T3_PNSJ_ISO_E10value_typeET4_T5_PST_SU_PNS1_23onesweep_lookback_stateEbbT6_jjT7_P12ihipStream_tbENKUlT_T0_SI_SN_E_clISD_PiSD_S15_EEDaS11_S12_SI_SN_EUlS11_E_NS1_11comp_targetILNS1_3genE2ELNS1_11target_archE906ELNS1_3gpuE6ELNS1_3repE0EEENS1_47radix_sort_onesweep_sort_config_static_selectorELNS0_4arch9wavefront6targetE0EEEvSI_
		.amdhsa_group_segment_fixed_size 0
		.amdhsa_private_segment_fixed_size 0
		.amdhsa_kernarg_size 88
		.amdhsa_user_sgpr_count 6
		.amdhsa_user_sgpr_private_segment_buffer 1
		.amdhsa_user_sgpr_dispatch_ptr 0
		.amdhsa_user_sgpr_queue_ptr 0
		.amdhsa_user_sgpr_kernarg_segment_ptr 1
		.amdhsa_user_sgpr_dispatch_id 0
		.amdhsa_user_sgpr_flat_scratch_init 0
		.amdhsa_user_sgpr_private_segment_size 0
		.amdhsa_wavefront_size32 1
		.amdhsa_uses_dynamic_stack 0
		.amdhsa_system_sgpr_private_segment_wavefront_offset 0
		.amdhsa_system_sgpr_workgroup_id_x 1
		.amdhsa_system_sgpr_workgroup_id_y 0
		.amdhsa_system_sgpr_workgroup_id_z 0
		.amdhsa_system_sgpr_workgroup_info 0
		.amdhsa_system_vgpr_workitem_id 0
		.amdhsa_next_free_vgpr 1
		.amdhsa_next_free_sgpr 1
		.amdhsa_reserve_vcc 0
		.amdhsa_reserve_flat_scratch 0
		.amdhsa_float_round_mode_32 0
		.amdhsa_float_round_mode_16_64 0
		.amdhsa_float_denorm_mode_32 3
		.amdhsa_float_denorm_mode_16_64 3
		.amdhsa_dx10_clamp 1
		.amdhsa_ieee_mode 1
		.amdhsa_fp16_overflow 0
		.amdhsa_workgroup_processor_mode 1
		.amdhsa_memory_ordered 1
		.amdhsa_forward_progress 1
		.amdhsa_shared_vgpr_count 0
		.amdhsa_exception_fp_ieee_invalid_op 0
		.amdhsa_exception_fp_denorm_src 0
		.amdhsa_exception_fp_ieee_div_zero 0
		.amdhsa_exception_fp_ieee_overflow 0
		.amdhsa_exception_fp_ieee_underflow 0
		.amdhsa_exception_fp_ieee_inexact 0
		.amdhsa_exception_int_div_zero 0
	.end_amdhsa_kernel
	.section	.text._ZN7rocprim17ROCPRIM_400000_NS6detail17trampoline_kernelINS0_14default_configENS1_35radix_sort_onesweep_config_selectorIiiEEZZNS1_29radix_sort_onesweep_iterationIS3_Lb0EN6thrust23THRUST_200600_302600_NS6detail15normal_iteratorINS8_10device_ptrIiEEEESD_SD_SD_jNS0_19identity_decomposerENS1_16block_id_wrapperIjLb0EEEEE10hipError_tT1_PNSt15iterator_traitsISI_E10value_typeET2_T3_PNSJ_ISO_E10value_typeET4_T5_PST_SU_PNS1_23onesweep_lookback_stateEbbT6_jjT7_P12ihipStream_tbENKUlT_T0_SI_SN_E_clISD_PiSD_S15_EEDaS11_S12_SI_SN_EUlS11_E_NS1_11comp_targetILNS1_3genE2ELNS1_11target_archE906ELNS1_3gpuE6ELNS1_3repE0EEENS1_47radix_sort_onesweep_sort_config_static_selectorELNS0_4arch9wavefront6targetE0EEEvSI_,"axG",@progbits,_ZN7rocprim17ROCPRIM_400000_NS6detail17trampoline_kernelINS0_14default_configENS1_35radix_sort_onesweep_config_selectorIiiEEZZNS1_29radix_sort_onesweep_iterationIS3_Lb0EN6thrust23THRUST_200600_302600_NS6detail15normal_iteratorINS8_10device_ptrIiEEEESD_SD_SD_jNS0_19identity_decomposerENS1_16block_id_wrapperIjLb0EEEEE10hipError_tT1_PNSt15iterator_traitsISI_E10value_typeET2_T3_PNSJ_ISO_E10value_typeET4_T5_PST_SU_PNS1_23onesweep_lookback_stateEbbT6_jjT7_P12ihipStream_tbENKUlT_T0_SI_SN_E_clISD_PiSD_S15_EEDaS11_S12_SI_SN_EUlS11_E_NS1_11comp_targetILNS1_3genE2ELNS1_11target_archE906ELNS1_3gpuE6ELNS1_3repE0EEENS1_47radix_sort_onesweep_sort_config_static_selectorELNS0_4arch9wavefront6targetE0EEEvSI_,comdat
.Lfunc_end861:
	.size	_ZN7rocprim17ROCPRIM_400000_NS6detail17trampoline_kernelINS0_14default_configENS1_35radix_sort_onesweep_config_selectorIiiEEZZNS1_29radix_sort_onesweep_iterationIS3_Lb0EN6thrust23THRUST_200600_302600_NS6detail15normal_iteratorINS8_10device_ptrIiEEEESD_SD_SD_jNS0_19identity_decomposerENS1_16block_id_wrapperIjLb0EEEEE10hipError_tT1_PNSt15iterator_traitsISI_E10value_typeET2_T3_PNSJ_ISO_E10value_typeET4_T5_PST_SU_PNS1_23onesweep_lookback_stateEbbT6_jjT7_P12ihipStream_tbENKUlT_T0_SI_SN_E_clISD_PiSD_S15_EEDaS11_S12_SI_SN_EUlS11_E_NS1_11comp_targetILNS1_3genE2ELNS1_11target_archE906ELNS1_3gpuE6ELNS1_3repE0EEENS1_47radix_sort_onesweep_sort_config_static_selectorELNS0_4arch9wavefront6targetE0EEEvSI_, .Lfunc_end861-_ZN7rocprim17ROCPRIM_400000_NS6detail17trampoline_kernelINS0_14default_configENS1_35radix_sort_onesweep_config_selectorIiiEEZZNS1_29radix_sort_onesweep_iterationIS3_Lb0EN6thrust23THRUST_200600_302600_NS6detail15normal_iteratorINS8_10device_ptrIiEEEESD_SD_SD_jNS0_19identity_decomposerENS1_16block_id_wrapperIjLb0EEEEE10hipError_tT1_PNSt15iterator_traitsISI_E10value_typeET2_T3_PNSJ_ISO_E10value_typeET4_T5_PST_SU_PNS1_23onesweep_lookback_stateEbbT6_jjT7_P12ihipStream_tbENKUlT_T0_SI_SN_E_clISD_PiSD_S15_EEDaS11_S12_SI_SN_EUlS11_E_NS1_11comp_targetILNS1_3genE2ELNS1_11target_archE906ELNS1_3gpuE6ELNS1_3repE0EEENS1_47radix_sort_onesweep_sort_config_static_selectorELNS0_4arch9wavefront6targetE0EEEvSI_
                                        ; -- End function
	.set _ZN7rocprim17ROCPRIM_400000_NS6detail17trampoline_kernelINS0_14default_configENS1_35radix_sort_onesweep_config_selectorIiiEEZZNS1_29radix_sort_onesweep_iterationIS3_Lb0EN6thrust23THRUST_200600_302600_NS6detail15normal_iteratorINS8_10device_ptrIiEEEESD_SD_SD_jNS0_19identity_decomposerENS1_16block_id_wrapperIjLb0EEEEE10hipError_tT1_PNSt15iterator_traitsISI_E10value_typeET2_T3_PNSJ_ISO_E10value_typeET4_T5_PST_SU_PNS1_23onesweep_lookback_stateEbbT6_jjT7_P12ihipStream_tbENKUlT_T0_SI_SN_E_clISD_PiSD_S15_EEDaS11_S12_SI_SN_EUlS11_E_NS1_11comp_targetILNS1_3genE2ELNS1_11target_archE906ELNS1_3gpuE6ELNS1_3repE0EEENS1_47radix_sort_onesweep_sort_config_static_selectorELNS0_4arch9wavefront6targetE0EEEvSI_.num_vgpr, 0
	.set _ZN7rocprim17ROCPRIM_400000_NS6detail17trampoline_kernelINS0_14default_configENS1_35radix_sort_onesweep_config_selectorIiiEEZZNS1_29radix_sort_onesweep_iterationIS3_Lb0EN6thrust23THRUST_200600_302600_NS6detail15normal_iteratorINS8_10device_ptrIiEEEESD_SD_SD_jNS0_19identity_decomposerENS1_16block_id_wrapperIjLb0EEEEE10hipError_tT1_PNSt15iterator_traitsISI_E10value_typeET2_T3_PNSJ_ISO_E10value_typeET4_T5_PST_SU_PNS1_23onesweep_lookback_stateEbbT6_jjT7_P12ihipStream_tbENKUlT_T0_SI_SN_E_clISD_PiSD_S15_EEDaS11_S12_SI_SN_EUlS11_E_NS1_11comp_targetILNS1_3genE2ELNS1_11target_archE906ELNS1_3gpuE6ELNS1_3repE0EEENS1_47radix_sort_onesweep_sort_config_static_selectorELNS0_4arch9wavefront6targetE0EEEvSI_.num_agpr, 0
	.set _ZN7rocprim17ROCPRIM_400000_NS6detail17trampoline_kernelINS0_14default_configENS1_35radix_sort_onesweep_config_selectorIiiEEZZNS1_29radix_sort_onesweep_iterationIS3_Lb0EN6thrust23THRUST_200600_302600_NS6detail15normal_iteratorINS8_10device_ptrIiEEEESD_SD_SD_jNS0_19identity_decomposerENS1_16block_id_wrapperIjLb0EEEEE10hipError_tT1_PNSt15iterator_traitsISI_E10value_typeET2_T3_PNSJ_ISO_E10value_typeET4_T5_PST_SU_PNS1_23onesweep_lookback_stateEbbT6_jjT7_P12ihipStream_tbENKUlT_T0_SI_SN_E_clISD_PiSD_S15_EEDaS11_S12_SI_SN_EUlS11_E_NS1_11comp_targetILNS1_3genE2ELNS1_11target_archE906ELNS1_3gpuE6ELNS1_3repE0EEENS1_47radix_sort_onesweep_sort_config_static_selectorELNS0_4arch9wavefront6targetE0EEEvSI_.numbered_sgpr, 0
	.set _ZN7rocprim17ROCPRIM_400000_NS6detail17trampoline_kernelINS0_14default_configENS1_35radix_sort_onesweep_config_selectorIiiEEZZNS1_29radix_sort_onesweep_iterationIS3_Lb0EN6thrust23THRUST_200600_302600_NS6detail15normal_iteratorINS8_10device_ptrIiEEEESD_SD_SD_jNS0_19identity_decomposerENS1_16block_id_wrapperIjLb0EEEEE10hipError_tT1_PNSt15iterator_traitsISI_E10value_typeET2_T3_PNSJ_ISO_E10value_typeET4_T5_PST_SU_PNS1_23onesweep_lookback_stateEbbT6_jjT7_P12ihipStream_tbENKUlT_T0_SI_SN_E_clISD_PiSD_S15_EEDaS11_S12_SI_SN_EUlS11_E_NS1_11comp_targetILNS1_3genE2ELNS1_11target_archE906ELNS1_3gpuE6ELNS1_3repE0EEENS1_47radix_sort_onesweep_sort_config_static_selectorELNS0_4arch9wavefront6targetE0EEEvSI_.num_named_barrier, 0
	.set _ZN7rocprim17ROCPRIM_400000_NS6detail17trampoline_kernelINS0_14default_configENS1_35radix_sort_onesweep_config_selectorIiiEEZZNS1_29radix_sort_onesweep_iterationIS3_Lb0EN6thrust23THRUST_200600_302600_NS6detail15normal_iteratorINS8_10device_ptrIiEEEESD_SD_SD_jNS0_19identity_decomposerENS1_16block_id_wrapperIjLb0EEEEE10hipError_tT1_PNSt15iterator_traitsISI_E10value_typeET2_T3_PNSJ_ISO_E10value_typeET4_T5_PST_SU_PNS1_23onesweep_lookback_stateEbbT6_jjT7_P12ihipStream_tbENKUlT_T0_SI_SN_E_clISD_PiSD_S15_EEDaS11_S12_SI_SN_EUlS11_E_NS1_11comp_targetILNS1_3genE2ELNS1_11target_archE906ELNS1_3gpuE6ELNS1_3repE0EEENS1_47radix_sort_onesweep_sort_config_static_selectorELNS0_4arch9wavefront6targetE0EEEvSI_.private_seg_size, 0
	.set _ZN7rocprim17ROCPRIM_400000_NS6detail17trampoline_kernelINS0_14default_configENS1_35radix_sort_onesweep_config_selectorIiiEEZZNS1_29radix_sort_onesweep_iterationIS3_Lb0EN6thrust23THRUST_200600_302600_NS6detail15normal_iteratorINS8_10device_ptrIiEEEESD_SD_SD_jNS0_19identity_decomposerENS1_16block_id_wrapperIjLb0EEEEE10hipError_tT1_PNSt15iterator_traitsISI_E10value_typeET2_T3_PNSJ_ISO_E10value_typeET4_T5_PST_SU_PNS1_23onesweep_lookback_stateEbbT6_jjT7_P12ihipStream_tbENKUlT_T0_SI_SN_E_clISD_PiSD_S15_EEDaS11_S12_SI_SN_EUlS11_E_NS1_11comp_targetILNS1_3genE2ELNS1_11target_archE906ELNS1_3gpuE6ELNS1_3repE0EEENS1_47radix_sort_onesweep_sort_config_static_selectorELNS0_4arch9wavefront6targetE0EEEvSI_.uses_vcc, 0
	.set _ZN7rocprim17ROCPRIM_400000_NS6detail17trampoline_kernelINS0_14default_configENS1_35radix_sort_onesweep_config_selectorIiiEEZZNS1_29radix_sort_onesweep_iterationIS3_Lb0EN6thrust23THRUST_200600_302600_NS6detail15normal_iteratorINS8_10device_ptrIiEEEESD_SD_SD_jNS0_19identity_decomposerENS1_16block_id_wrapperIjLb0EEEEE10hipError_tT1_PNSt15iterator_traitsISI_E10value_typeET2_T3_PNSJ_ISO_E10value_typeET4_T5_PST_SU_PNS1_23onesweep_lookback_stateEbbT6_jjT7_P12ihipStream_tbENKUlT_T0_SI_SN_E_clISD_PiSD_S15_EEDaS11_S12_SI_SN_EUlS11_E_NS1_11comp_targetILNS1_3genE2ELNS1_11target_archE906ELNS1_3gpuE6ELNS1_3repE0EEENS1_47radix_sort_onesweep_sort_config_static_selectorELNS0_4arch9wavefront6targetE0EEEvSI_.uses_flat_scratch, 0
	.set _ZN7rocprim17ROCPRIM_400000_NS6detail17trampoline_kernelINS0_14default_configENS1_35radix_sort_onesweep_config_selectorIiiEEZZNS1_29radix_sort_onesweep_iterationIS3_Lb0EN6thrust23THRUST_200600_302600_NS6detail15normal_iteratorINS8_10device_ptrIiEEEESD_SD_SD_jNS0_19identity_decomposerENS1_16block_id_wrapperIjLb0EEEEE10hipError_tT1_PNSt15iterator_traitsISI_E10value_typeET2_T3_PNSJ_ISO_E10value_typeET4_T5_PST_SU_PNS1_23onesweep_lookback_stateEbbT6_jjT7_P12ihipStream_tbENKUlT_T0_SI_SN_E_clISD_PiSD_S15_EEDaS11_S12_SI_SN_EUlS11_E_NS1_11comp_targetILNS1_3genE2ELNS1_11target_archE906ELNS1_3gpuE6ELNS1_3repE0EEENS1_47radix_sort_onesweep_sort_config_static_selectorELNS0_4arch9wavefront6targetE0EEEvSI_.has_dyn_sized_stack, 0
	.set _ZN7rocprim17ROCPRIM_400000_NS6detail17trampoline_kernelINS0_14default_configENS1_35radix_sort_onesweep_config_selectorIiiEEZZNS1_29radix_sort_onesweep_iterationIS3_Lb0EN6thrust23THRUST_200600_302600_NS6detail15normal_iteratorINS8_10device_ptrIiEEEESD_SD_SD_jNS0_19identity_decomposerENS1_16block_id_wrapperIjLb0EEEEE10hipError_tT1_PNSt15iterator_traitsISI_E10value_typeET2_T3_PNSJ_ISO_E10value_typeET4_T5_PST_SU_PNS1_23onesweep_lookback_stateEbbT6_jjT7_P12ihipStream_tbENKUlT_T0_SI_SN_E_clISD_PiSD_S15_EEDaS11_S12_SI_SN_EUlS11_E_NS1_11comp_targetILNS1_3genE2ELNS1_11target_archE906ELNS1_3gpuE6ELNS1_3repE0EEENS1_47radix_sort_onesweep_sort_config_static_selectorELNS0_4arch9wavefront6targetE0EEEvSI_.has_recursion, 0
	.set _ZN7rocprim17ROCPRIM_400000_NS6detail17trampoline_kernelINS0_14default_configENS1_35radix_sort_onesweep_config_selectorIiiEEZZNS1_29radix_sort_onesweep_iterationIS3_Lb0EN6thrust23THRUST_200600_302600_NS6detail15normal_iteratorINS8_10device_ptrIiEEEESD_SD_SD_jNS0_19identity_decomposerENS1_16block_id_wrapperIjLb0EEEEE10hipError_tT1_PNSt15iterator_traitsISI_E10value_typeET2_T3_PNSJ_ISO_E10value_typeET4_T5_PST_SU_PNS1_23onesweep_lookback_stateEbbT6_jjT7_P12ihipStream_tbENKUlT_T0_SI_SN_E_clISD_PiSD_S15_EEDaS11_S12_SI_SN_EUlS11_E_NS1_11comp_targetILNS1_3genE2ELNS1_11target_archE906ELNS1_3gpuE6ELNS1_3repE0EEENS1_47radix_sort_onesweep_sort_config_static_selectorELNS0_4arch9wavefront6targetE0EEEvSI_.has_indirect_call, 0
	.section	.AMDGPU.csdata,"",@progbits
; Kernel info:
; codeLenInByte = 0
; TotalNumSgprs: 0
; NumVgprs: 0
; ScratchSize: 0
; MemoryBound: 0
; FloatMode: 240
; IeeeMode: 1
; LDSByteSize: 0 bytes/workgroup (compile time only)
; SGPRBlocks: 0
; VGPRBlocks: 0
; NumSGPRsForWavesPerEU: 1
; NumVGPRsForWavesPerEU: 1
; Occupancy: 16
; WaveLimiterHint : 0
; COMPUTE_PGM_RSRC2:SCRATCH_EN: 0
; COMPUTE_PGM_RSRC2:USER_SGPR: 6
; COMPUTE_PGM_RSRC2:TRAP_HANDLER: 0
; COMPUTE_PGM_RSRC2:TGID_X_EN: 1
; COMPUTE_PGM_RSRC2:TGID_Y_EN: 0
; COMPUTE_PGM_RSRC2:TGID_Z_EN: 0
; COMPUTE_PGM_RSRC2:TIDIG_COMP_CNT: 0
	.section	.text._ZN7rocprim17ROCPRIM_400000_NS6detail17trampoline_kernelINS0_14default_configENS1_35radix_sort_onesweep_config_selectorIiiEEZZNS1_29radix_sort_onesweep_iterationIS3_Lb0EN6thrust23THRUST_200600_302600_NS6detail15normal_iteratorINS8_10device_ptrIiEEEESD_SD_SD_jNS0_19identity_decomposerENS1_16block_id_wrapperIjLb0EEEEE10hipError_tT1_PNSt15iterator_traitsISI_E10value_typeET2_T3_PNSJ_ISO_E10value_typeET4_T5_PST_SU_PNS1_23onesweep_lookback_stateEbbT6_jjT7_P12ihipStream_tbENKUlT_T0_SI_SN_E_clISD_PiSD_S15_EEDaS11_S12_SI_SN_EUlS11_E_NS1_11comp_targetILNS1_3genE4ELNS1_11target_archE910ELNS1_3gpuE8ELNS1_3repE0EEENS1_47radix_sort_onesweep_sort_config_static_selectorELNS0_4arch9wavefront6targetE0EEEvSI_,"axG",@progbits,_ZN7rocprim17ROCPRIM_400000_NS6detail17trampoline_kernelINS0_14default_configENS1_35radix_sort_onesweep_config_selectorIiiEEZZNS1_29radix_sort_onesweep_iterationIS3_Lb0EN6thrust23THRUST_200600_302600_NS6detail15normal_iteratorINS8_10device_ptrIiEEEESD_SD_SD_jNS0_19identity_decomposerENS1_16block_id_wrapperIjLb0EEEEE10hipError_tT1_PNSt15iterator_traitsISI_E10value_typeET2_T3_PNSJ_ISO_E10value_typeET4_T5_PST_SU_PNS1_23onesweep_lookback_stateEbbT6_jjT7_P12ihipStream_tbENKUlT_T0_SI_SN_E_clISD_PiSD_S15_EEDaS11_S12_SI_SN_EUlS11_E_NS1_11comp_targetILNS1_3genE4ELNS1_11target_archE910ELNS1_3gpuE8ELNS1_3repE0EEENS1_47radix_sort_onesweep_sort_config_static_selectorELNS0_4arch9wavefront6targetE0EEEvSI_,comdat
	.protected	_ZN7rocprim17ROCPRIM_400000_NS6detail17trampoline_kernelINS0_14default_configENS1_35radix_sort_onesweep_config_selectorIiiEEZZNS1_29radix_sort_onesweep_iterationIS3_Lb0EN6thrust23THRUST_200600_302600_NS6detail15normal_iteratorINS8_10device_ptrIiEEEESD_SD_SD_jNS0_19identity_decomposerENS1_16block_id_wrapperIjLb0EEEEE10hipError_tT1_PNSt15iterator_traitsISI_E10value_typeET2_T3_PNSJ_ISO_E10value_typeET4_T5_PST_SU_PNS1_23onesweep_lookback_stateEbbT6_jjT7_P12ihipStream_tbENKUlT_T0_SI_SN_E_clISD_PiSD_S15_EEDaS11_S12_SI_SN_EUlS11_E_NS1_11comp_targetILNS1_3genE4ELNS1_11target_archE910ELNS1_3gpuE8ELNS1_3repE0EEENS1_47radix_sort_onesweep_sort_config_static_selectorELNS0_4arch9wavefront6targetE0EEEvSI_ ; -- Begin function _ZN7rocprim17ROCPRIM_400000_NS6detail17trampoline_kernelINS0_14default_configENS1_35radix_sort_onesweep_config_selectorIiiEEZZNS1_29radix_sort_onesweep_iterationIS3_Lb0EN6thrust23THRUST_200600_302600_NS6detail15normal_iteratorINS8_10device_ptrIiEEEESD_SD_SD_jNS0_19identity_decomposerENS1_16block_id_wrapperIjLb0EEEEE10hipError_tT1_PNSt15iterator_traitsISI_E10value_typeET2_T3_PNSJ_ISO_E10value_typeET4_T5_PST_SU_PNS1_23onesweep_lookback_stateEbbT6_jjT7_P12ihipStream_tbENKUlT_T0_SI_SN_E_clISD_PiSD_S15_EEDaS11_S12_SI_SN_EUlS11_E_NS1_11comp_targetILNS1_3genE4ELNS1_11target_archE910ELNS1_3gpuE8ELNS1_3repE0EEENS1_47radix_sort_onesweep_sort_config_static_selectorELNS0_4arch9wavefront6targetE0EEEvSI_
	.globl	_ZN7rocprim17ROCPRIM_400000_NS6detail17trampoline_kernelINS0_14default_configENS1_35radix_sort_onesweep_config_selectorIiiEEZZNS1_29radix_sort_onesweep_iterationIS3_Lb0EN6thrust23THRUST_200600_302600_NS6detail15normal_iteratorINS8_10device_ptrIiEEEESD_SD_SD_jNS0_19identity_decomposerENS1_16block_id_wrapperIjLb0EEEEE10hipError_tT1_PNSt15iterator_traitsISI_E10value_typeET2_T3_PNSJ_ISO_E10value_typeET4_T5_PST_SU_PNS1_23onesweep_lookback_stateEbbT6_jjT7_P12ihipStream_tbENKUlT_T0_SI_SN_E_clISD_PiSD_S15_EEDaS11_S12_SI_SN_EUlS11_E_NS1_11comp_targetILNS1_3genE4ELNS1_11target_archE910ELNS1_3gpuE8ELNS1_3repE0EEENS1_47radix_sort_onesweep_sort_config_static_selectorELNS0_4arch9wavefront6targetE0EEEvSI_
	.p2align	8
	.type	_ZN7rocprim17ROCPRIM_400000_NS6detail17trampoline_kernelINS0_14default_configENS1_35radix_sort_onesweep_config_selectorIiiEEZZNS1_29radix_sort_onesweep_iterationIS3_Lb0EN6thrust23THRUST_200600_302600_NS6detail15normal_iteratorINS8_10device_ptrIiEEEESD_SD_SD_jNS0_19identity_decomposerENS1_16block_id_wrapperIjLb0EEEEE10hipError_tT1_PNSt15iterator_traitsISI_E10value_typeET2_T3_PNSJ_ISO_E10value_typeET4_T5_PST_SU_PNS1_23onesweep_lookback_stateEbbT6_jjT7_P12ihipStream_tbENKUlT_T0_SI_SN_E_clISD_PiSD_S15_EEDaS11_S12_SI_SN_EUlS11_E_NS1_11comp_targetILNS1_3genE4ELNS1_11target_archE910ELNS1_3gpuE8ELNS1_3repE0EEENS1_47radix_sort_onesweep_sort_config_static_selectorELNS0_4arch9wavefront6targetE0EEEvSI_,@function
_ZN7rocprim17ROCPRIM_400000_NS6detail17trampoline_kernelINS0_14default_configENS1_35radix_sort_onesweep_config_selectorIiiEEZZNS1_29radix_sort_onesweep_iterationIS3_Lb0EN6thrust23THRUST_200600_302600_NS6detail15normal_iteratorINS8_10device_ptrIiEEEESD_SD_SD_jNS0_19identity_decomposerENS1_16block_id_wrapperIjLb0EEEEE10hipError_tT1_PNSt15iterator_traitsISI_E10value_typeET2_T3_PNSJ_ISO_E10value_typeET4_T5_PST_SU_PNS1_23onesweep_lookback_stateEbbT6_jjT7_P12ihipStream_tbENKUlT_T0_SI_SN_E_clISD_PiSD_S15_EEDaS11_S12_SI_SN_EUlS11_E_NS1_11comp_targetILNS1_3genE4ELNS1_11target_archE910ELNS1_3gpuE8ELNS1_3repE0EEENS1_47radix_sort_onesweep_sort_config_static_selectorELNS0_4arch9wavefront6targetE0EEEvSI_: ; @_ZN7rocprim17ROCPRIM_400000_NS6detail17trampoline_kernelINS0_14default_configENS1_35radix_sort_onesweep_config_selectorIiiEEZZNS1_29radix_sort_onesweep_iterationIS3_Lb0EN6thrust23THRUST_200600_302600_NS6detail15normal_iteratorINS8_10device_ptrIiEEEESD_SD_SD_jNS0_19identity_decomposerENS1_16block_id_wrapperIjLb0EEEEE10hipError_tT1_PNSt15iterator_traitsISI_E10value_typeET2_T3_PNSJ_ISO_E10value_typeET4_T5_PST_SU_PNS1_23onesweep_lookback_stateEbbT6_jjT7_P12ihipStream_tbENKUlT_T0_SI_SN_E_clISD_PiSD_S15_EEDaS11_S12_SI_SN_EUlS11_E_NS1_11comp_targetILNS1_3genE4ELNS1_11target_archE910ELNS1_3gpuE8ELNS1_3repE0EEENS1_47radix_sort_onesweep_sort_config_static_selectorELNS0_4arch9wavefront6targetE0EEEvSI_
; %bb.0:
	.section	.rodata,"a",@progbits
	.p2align	6, 0x0
	.amdhsa_kernel _ZN7rocprim17ROCPRIM_400000_NS6detail17trampoline_kernelINS0_14default_configENS1_35radix_sort_onesweep_config_selectorIiiEEZZNS1_29radix_sort_onesweep_iterationIS3_Lb0EN6thrust23THRUST_200600_302600_NS6detail15normal_iteratorINS8_10device_ptrIiEEEESD_SD_SD_jNS0_19identity_decomposerENS1_16block_id_wrapperIjLb0EEEEE10hipError_tT1_PNSt15iterator_traitsISI_E10value_typeET2_T3_PNSJ_ISO_E10value_typeET4_T5_PST_SU_PNS1_23onesweep_lookback_stateEbbT6_jjT7_P12ihipStream_tbENKUlT_T0_SI_SN_E_clISD_PiSD_S15_EEDaS11_S12_SI_SN_EUlS11_E_NS1_11comp_targetILNS1_3genE4ELNS1_11target_archE910ELNS1_3gpuE8ELNS1_3repE0EEENS1_47radix_sort_onesweep_sort_config_static_selectorELNS0_4arch9wavefront6targetE0EEEvSI_
		.amdhsa_group_segment_fixed_size 0
		.amdhsa_private_segment_fixed_size 0
		.amdhsa_kernarg_size 88
		.amdhsa_user_sgpr_count 6
		.amdhsa_user_sgpr_private_segment_buffer 1
		.amdhsa_user_sgpr_dispatch_ptr 0
		.amdhsa_user_sgpr_queue_ptr 0
		.amdhsa_user_sgpr_kernarg_segment_ptr 1
		.amdhsa_user_sgpr_dispatch_id 0
		.amdhsa_user_sgpr_flat_scratch_init 0
		.amdhsa_user_sgpr_private_segment_size 0
		.amdhsa_wavefront_size32 1
		.amdhsa_uses_dynamic_stack 0
		.amdhsa_system_sgpr_private_segment_wavefront_offset 0
		.amdhsa_system_sgpr_workgroup_id_x 1
		.amdhsa_system_sgpr_workgroup_id_y 0
		.amdhsa_system_sgpr_workgroup_id_z 0
		.amdhsa_system_sgpr_workgroup_info 0
		.amdhsa_system_vgpr_workitem_id 0
		.amdhsa_next_free_vgpr 1
		.amdhsa_next_free_sgpr 1
		.amdhsa_reserve_vcc 0
		.amdhsa_reserve_flat_scratch 0
		.amdhsa_float_round_mode_32 0
		.amdhsa_float_round_mode_16_64 0
		.amdhsa_float_denorm_mode_32 3
		.amdhsa_float_denorm_mode_16_64 3
		.amdhsa_dx10_clamp 1
		.amdhsa_ieee_mode 1
		.amdhsa_fp16_overflow 0
		.amdhsa_workgroup_processor_mode 1
		.amdhsa_memory_ordered 1
		.amdhsa_forward_progress 1
		.amdhsa_shared_vgpr_count 0
		.amdhsa_exception_fp_ieee_invalid_op 0
		.amdhsa_exception_fp_denorm_src 0
		.amdhsa_exception_fp_ieee_div_zero 0
		.amdhsa_exception_fp_ieee_overflow 0
		.amdhsa_exception_fp_ieee_underflow 0
		.amdhsa_exception_fp_ieee_inexact 0
		.amdhsa_exception_int_div_zero 0
	.end_amdhsa_kernel
	.section	.text._ZN7rocprim17ROCPRIM_400000_NS6detail17trampoline_kernelINS0_14default_configENS1_35radix_sort_onesweep_config_selectorIiiEEZZNS1_29radix_sort_onesweep_iterationIS3_Lb0EN6thrust23THRUST_200600_302600_NS6detail15normal_iteratorINS8_10device_ptrIiEEEESD_SD_SD_jNS0_19identity_decomposerENS1_16block_id_wrapperIjLb0EEEEE10hipError_tT1_PNSt15iterator_traitsISI_E10value_typeET2_T3_PNSJ_ISO_E10value_typeET4_T5_PST_SU_PNS1_23onesweep_lookback_stateEbbT6_jjT7_P12ihipStream_tbENKUlT_T0_SI_SN_E_clISD_PiSD_S15_EEDaS11_S12_SI_SN_EUlS11_E_NS1_11comp_targetILNS1_3genE4ELNS1_11target_archE910ELNS1_3gpuE8ELNS1_3repE0EEENS1_47radix_sort_onesweep_sort_config_static_selectorELNS0_4arch9wavefront6targetE0EEEvSI_,"axG",@progbits,_ZN7rocprim17ROCPRIM_400000_NS6detail17trampoline_kernelINS0_14default_configENS1_35radix_sort_onesweep_config_selectorIiiEEZZNS1_29radix_sort_onesweep_iterationIS3_Lb0EN6thrust23THRUST_200600_302600_NS6detail15normal_iteratorINS8_10device_ptrIiEEEESD_SD_SD_jNS0_19identity_decomposerENS1_16block_id_wrapperIjLb0EEEEE10hipError_tT1_PNSt15iterator_traitsISI_E10value_typeET2_T3_PNSJ_ISO_E10value_typeET4_T5_PST_SU_PNS1_23onesweep_lookback_stateEbbT6_jjT7_P12ihipStream_tbENKUlT_T0_SI_SN_E_clISD_PiSD_S15_EEDaS11_S12_SI_SN_EUlS11_E_NS1_11comp_targetILNS1_3genE4ELNS1_11target_archE910ELNS1_3gpuE8ELNS1_3repE0EEENS1_47radix_sort_onesweep_sort_config_static_selectorELNS0_4arch9wavefront6targetE0EEEvSI_,comdat
.Lfunc_end862:
	.size	_ZN7rocprim17ROCPRIM_400000_NS6detail17trampoline_kernelINS0_14default_configENS1_35radix_sort_onesweep_config_selectorIiiEEZZNS1_29radix_sort_onesweep_iterationIS3_Lb0EN6thrust23THRUST_200600_302600_NS6detail15normal_iteratorINS8_10device_ptrIiEEEESD_SD_SD_jNS0_19identity_decomposerENS1_16block_id_wrapperIjLb0EEEEE10hipError_tT1_PNSt15iterator_traitsISI_E10value_typeET2_T3_PNSJ_ISO_E10value_typeET4_T5_PST_SU_PNS1_23onesweep_lookback_stateEbbT6_jjT7_P12ihipStream_tbENKUlT_T0_SI_SN_E_clISD_PiSD_S15_EEDaS11_S12_SI_SN_EUlS11_E_NS1_11comp_targetILNS1_3genE4ELNS1_11target_archE910ELNS1_3gpuE8ELNS1_3repE0EEENS1_47radix_sort_onesweep_sort_config_static_selectorELNS0_4arch9wavefront6targetE0EEEvSI_, .Lfunc_end862-_ZN7rocprim17ROCPRIM_400000_NS6detail17trampoline_kernelINS0_14default_configENS1_35radix_sort_onesweep_config_selectorIiiEEZZNS1_29radix_sort_onesweep_iterationIS3_Lb0EN6thrust23THRUST_200600_302600_NS6detail15normal_iteratorINS8_10device_ptrIiEEEESD_SD_SD_jNS0_19identity_decomposerENS1_16block_id_wrapperIjLb0EEEEE10hipError_tT1_PNSt15iterator_traitsISI_E10value_typeET2_T3_PNSJ_ISO_E10value_typeET4_T5_PST_SU_PNS1_23onesweep_lookback_stateEbbT6_jjT7_P12ihipStream_tbENKUlT_T0_SI_SN_E_clISD_PiSD_S15_EEDaS11_S12_SI_SN_EUlS11_E_NS1_11comp_targetILNS1_3genE4ELNS1_11target_archE910ELNS1_3gpuE8ELNS1_3repE0EEENS1_47radix_sort_onesweep_sort_config_static_selectorELNS0_4arch9wavefront6targetE0EEEvSI_
                                        ; -- End function
	.set _ZN7rocprim17ROCPRIM_400000_NS6detail17trampoline_kernelINS0_14default_configENS1_35radix_sort_onesweep_config_selectorIiiEEZZNS1_29radix_sort_onesweep_iterationIS3_Lb0EN6thrust23THRUST_200600_302600_NS6detail15normal_iteratorINS8_10device_ptrIiEEEESD_SD_SD_jNS0_19identity_decomposerENS1_16block_id_wrapperIjLb0EEEEE10hipError_tT1_PNSt15iterator_traitsISI_E10value_typeET2_T3_PNSJ_ISO_E10value_typeET4_T5_PST_SU_PNS1_23onesweep_lookback_stateEbbT6_jjT7_P12ihipStream_tbENKUlT_T0_SI_SN_E_clISD_PiSD_S15_EEDaS11_S12_SI_SN_EUlS11_E_NS1_11comp_targetILNS1_3genE4ELNS1_11target_archE910ELNS1_3gpuE8ELNS1_3repE0EEENS1_47radix_sort_onesweep_sort_config_static_selectorELNS0_4arch9wavefront6targetE0EEEvSI_.num_vgpr, 0
	.set _ZN7rocprim17ROCPRIM_400000_NS6detail17trampoline_kernelINS0_14default_configENS1_35radix_sort_onesweep_config_selectorIiiEEZZNS1_29radix_sort_onesweep_iterationIS3_Lb0EN6thrust23THRUST_200600_302600_NS6detail15normal_iteratorINS8_10device_ptrIiEEEESD_SD_SD_jNS0_19identity_decomposerENS1_16block_id_wrapperIjLb0EEEEE10hipError_tT1_PNSt15iterator_traitsISI_E10value_typeET2_T3_PNSJ_ISO_E10value_typeET4_T5_PST_SU_PNS1_23onesweep_lookback_stateEbbT6_jjT7_P12ihipStream_tbENKUlT_T0_SI_SN_E_clISD_PiSD_S15_EEDaS11_S12_SI_SN_EUlS11_E_NS1_11comp_targetILNS1_3genE4ELNS1_11target_archE910ELNS1_3gpuE8ELNS1_3repE0EEENS1_47radix_sort_onesweep_sort_config_static_selectorELNS0_4arch9wavefront6targetE0EEEvSI_.num_agpr, 0
	.set _ZN7rocprim17ROCPRIM_400000_NS6detail17trampoline_kernelINS0_14default_configENS1_35radix_sort_onesweep_config_selectorIiiEEZZNS1_29radix_sort_onesweep_iterationIS3_Lb0EN6thrust23THRUST_200600_302600_NS6detail15normal_iteratorINS8_10device_ptrIiEEEESD_SD_SD_jNS0_19identity_decomposerENS1_16block_id_wrapperIjLb0EEEEE10hipError_tT1_PNSt15iterator_traitsISI_E10value_typeET2_T3_PNSJ_ISO_E10value_typeET4_T5_PST_SU_PNS1_23onesweep_lookback_stateEbbT6_jjT7_P12ihipStream_tbENKUlT_T0_SI_SN_E_clISD_PiSD_S15_EEDaS11_S12_SI_SN_EUlS11_E_NS1_11comp_targetILNS1_3genE4ELNS1_11target_archE910ELNS1_3gpuE8ELNS1_3repE0EEENS1_47radix_sort_onesweep_sort_config_static_selectorELNS0_4arch9wavefront6targetE0EEEvSI_.numbered_sgpr, 0
	.set _ZN7rocprim17ROCPRIM_400000_NS6detail17trampoline_kernelINS0_14default_configENS1_35radix_sort_onesweep_config_selectorIiiEEZZNS1_29radix_sort_onesweep_iterationIS3_Lb0EN6thrust23THRUST_200600_302600_NS6detail15normal_iteratorINS8_10device_ptrIiEEEESD_SD_SD_jNS0_19identity_decomposerENS1_16block_id_wrapperIjLb0EEEEE10hipError_tT1_PNSt15iterator_traitsISI_E10value_typeET2_T3_PNSJ_ISO_E10value_typeET4_T5_PST_SU_PNS1_23onesweep_lookback_stateEbbT6_jjT7_P12ihipStream_tbENKUlT_T0_SI_SN_E_clISD_PiSD_S15_EEDaS11_S12_SI_SN_EUlS11_E_NS1_11comp_targetILNS1_3genE4ELNS1_11target_archE910ELNS1_3gpuE8ELNS1_3repE0EEENS1_47radix_sort_onesweep_sort_config_static_selectorELNS0_4arch9wavefront6targetE0EEEvSI_.num_named_barrier, 0
	.set _ZN7rocprim17ROCPRIM_400000_NS6detail17trampoline_kernelINS0_14default_configENS1_35radix_sort_onesweep_config_selectorIiiEEZZNS1_29radix_sort_onesweep_iterationIS3_Lb0EN6thrust23THRUST_200600_302600_NS6detail15normal_iteratorINS8_10device_ptrIiEEEESD_SD_SD_jNS0_19identity_decomposerENS1_16block_id_wrapperIjLb0EEEEE10hipError_tT1_PNSt15iterator_traitsISI_E10value_typeET2_T3_PNSJ_ISO_E10value_typeET4_T5_PST_SU_PNS1_23onesweep_lookback_stateEbbT6_jjT7_P12ihipStream_tbENKUlT_T0_SI_SN_E_clISD_PiSD_S15_EEDaS11_S12_SI_SN_EUlS11_E_NS1_11comp_targetILNS1_3genE4ELNS1_11target_archE910ELNS1_3gpuE8ELNS1_3repE0EEENS1_47radix_sort_onesweep_sort_config_static_selectorELNS0_4arch9wavefront6targetE0EEEvSI_.private_seg_size, 0
	.set _ZN7rocprim17ROCPRIM_400000_NS6detail17trampoline_kernelINS0_14default_configENS1_35radix_sort_onesweep_config_selectorIiiEEZZNS1_29radix_sort_onesweep_iterationIS3_Lb0EN6thrust23THRUST_200600_302600_NS6detail15normal_iteratorINS8_10device_ptrIiEEEESD_SD_SD_jNS0_19identity_decomposerENS1_16block_id_wrapperIjLb0EEEEE10hipError_tT1_PNSt15iterator_traitsISI_E10value_typeET2_T3_PNSJ_ISO_E10value_typeET4_T5_PST_SU_PNS1_23onesweep_lookback_stateEbbT6_jjT7_P12ihipStream_tbENKUlT_T0_SI_SN_E_clISD_PiSD_S15_EEDaS11_S12_SI_SN_EUlS11_E_NS1_11comp_targetILNS1_3genE4ELNS1_11target_archE910ELNS1_3gpuE8ELNS1_3repE0EEENS1_47radix_sort_onesweep_sort_config_static_selectorELNS0_4arch9wavefront6targetE0EEEvSI_.uses_vcc, 0
	.set _ZN7rocprim17ROCPRIM_400000_NS6detail17trampoline_kernelINS0_14default_configENS1_35radix_sort_onesweep_config_selectorIiiEEZZNS1_29radix_sort_onesweep_iterationIS3_Lb0EN6thrust23THRUST_200600_302600_NS6detail15normal_iteratorINS8_10device_ptrIiEEEESD_SD_SD_jNS0_19identity_decomposerENS1_16block_id_wrapperIjLb0EEEEE10hipError_tT1_PNSt15iterator_traitsISI_E10value_typeET2_T3_PNSJ_ISO_E10value_typeET4_T5_PST_SU_PNS1_23onesweep_lookback_stateEbbT6_jjT7_P12ihipStream_tbENKUlT_T0_SI_SN_E_clISD_PiSD_S15_EEDaS11_S12_SI_SN_EUlS11_E_NS1_11comp_targetILNS1_3genE4ELNS1_11target_archE910ELNS1_3gpuE8ELNS1_3repE0EEENS1_47radix_sort_onesweep_sort_config_static_selectorELNS0_4arch9wavefront6targetE0EEEvSI_.uses_flat_scratch, 0
	.set _ZN7rocprim17ROCPRIM_400000_NS6detail17trampoline_kernelINS0_14default_configENS1_35radix_sort_onesweep_config_selectorIiiEEZZNS1_29radix_sort_onesweep_iterationIS3_Lb0EN6thrust23THRUST_200600_302600_NS6detail15normal_iteratorINS8_10device_ptrIiEEEESD_SD_SD_jNS0_19identity_decomposerENS1_16block_id_wrapperIjLb0EEEEE10hipError_tT1_PNSt15iterator_traitsISI_E10value_typeET2_T3_PNSJ_ISO_E10value_typeET4_T5_PST_SU_PNS1_23onesweep_lookback_stateEbbT6_jjT7_P12ihipStream_tbENKUlT_T0_SI_SN_E_clISD_PiSD_S15_EEDaS11_S12_SI_SN_EUlS11_E_NS1_11comp_targetILNS1_3genE4ELNS1_11target_archE910ELNS1_3gpuE8ELNS1_3repE0EEENS1_47radix_sort_onesweep_sort_config_static_selectorELNS0_4arch9wavefront6targetE0EEEvSI_.has_dyn_sized_stack, 0
	.set _ZN7rocprim17ROCPRIM_400000_NS6detail17trampoline_kernelINS0_14default_configENS1_35radix_sort_onesweep_config_selectorIiiEEZZNS1_29radix_sort_onesweep_iterationIS3_Lb0EN6thrust23THRUST_200600_302600_NS6detail15normal_iteratorINS8_10device_ptrIiEEEESD_SD_SD_jNS0_19identity_decomposerENS1_16block_id_wrapperIjLb0EEEEE10hipError_tT1_PNSt15iterator_traitsISI_E10value_typeET2_T3_PNSJ_ISO_E10value_typeET4_T5_PST_SU_PNS1_23onesweep_lookback_stateEbbT6_jjT7_P12ihipStream_tbENKUlT_T0_SI_SN_E_clISD_PiSD_S15_EEDaS11_S12_SI_SN_EUlS11_E_NS1_11comp_targetILNS1_3genE4ELNS1_11target_archE910ELNS1_3gpuE8ELNS1_3repE0EEENS1_47radix_sort_onesweep_sort_config_static_selectorELNS0_4arch9wavefront6targetE0EEEvSI_.has_recursion, 0
	.set _ZN7rocprim17ROCPRIM_400000_NS6detail17trampoline_kernelINS0_14default_configENS1_35radix_sort_onesweep_config_selectorIiiEEZZNS1_29radix_sort_onesweep_iterationIS3_Lb0EN6thrust23THRUST_200600_302600_NS6detail15normal_iteratorINS8_10device_ptrIiEEEESD_SD_SD_jNS0_19identity_decomposerENS1_16block_id_wrapperIjLb0EEEEE10hipError_tT1_PNSt15iterator_traitsISI_E10value_typeET2_T3_PNSJ_ISO_E10value_typeET4_T5_PST_SU_PNS1_23onesweep_lookback_stateEbbT6_jjT7_P12ihipStream_tbENKUlT_T0_SI_SN_E_clISD_PiSD_S15_EEDaS11_S12_SI_SN_EUlS11_E_NS1_11comp_targetILNS1_3genE4ELNS1_11target_archE910ELNS1_3gpuE8ELNS1_3repE0EEENS1_47radix_sort_onesweep_sort_config_static_selectorELNS0_4arch9wavefront6targetE0EEEvSI_.has_indirect_call, 0
	.section	.AMDGPU.csdata,"",@progbits
; Kernel info:
; codeLenInByte = 0
; TotalNumSgprs: 0
; NumVgprs: 0
; ScratchSize: 0
; MemoryBound: 0
; FloatMode: 240
; IeeeMode: 1
; LDSByteSize: 0 bytes/workgroup (compile time only)
; SGPRBlocks: 0
; VGPRBlocks: 0
; NumSGPRsForWavesPerEU: 1
; NumVGPRsForWavesPerEU: 1
; Occupancy: 16
; WaveLimiterHint : 0
; COMPUTE_PGM_RSRC2:SCRATCH_EN: 0
; COMPUTE_PGM_RSRC2:USER_SGPR: 6
; COMPUTE_PGM_RSRC2:TRAP_HANDLER: 0
; COMPUTE_PGM_RSRC2:TGID_X_EN: 1
; COMPUTE_PGM_RSRC2:TGID_Y_EN: 0
; COMPUTE_PGM_RSRC2:TGID_Z_EN: 0
; COMPUTE_PGM_RSRC2:TIDIG_COMP_CNT: 0
	.section	.text._ZN7rocprim17ROCPRIM_400000_NS6detail17trampoline_kernelINS0_14default_configENS1_35radix_sort_onesweep_config_selectorIiiEEZZNS1_29radix_sort_onesweep_iterationIS3_Lb0EN6thrust23THRUST_200600_302600_NS6detail15normal_iteratorINS8_10device_ptrIiEEEESD_SD_SD_jNS0_19identity_decomposerENS1_16block_id_wrapperIjLb0EEEEE10hipError_tT1_PNSt15iterator_traitsISI_E10value_typeET2_T3_PNSJ_ISO_E10value_typeET4_T5_PST_SU_PNS1_23onesweep_lookback_stateEbbT6_jjT7_P12ihipStream_tbENKUlT_T0_SI_SN_E_clISD_PiSD_S15_EEDaS11_S12_SI_SN_EUlS11_E_NS1_11comp_targetILNS1_3genE3ELNS1_11target_archE908ELNS1_3gpuE7ELNS1_3repE0EEENS1_47radix_sort_onesweep_sort_config_static_selectorELNS0_4arch9wavefront6targetE0EEEvSI_,"axG",@progbits,_ZN7rocprim17ROCPRIM_400000_NS6detail17trampoline_kernelINS0_14default_configENS1_35radix_sort_onesweep_config_selectorIiiEEZZNS1_29radix_sort_onesweep_iterationIS3_Lb0EN6thrust23THRUST_200600_302600_NS6detail15normal_iteratorINS8_10device_ptrIiEEEESD_SD_SD_jNS0_19identity_decomposerENS1_16block_id_wrapperIjLb0EEEEE10hipError_tT1_PNSt15iterator_traitsISI_E10value_typeET2_T3_PNSJ_ISO_E10value_typeET4_T5_PST_SU_PNS1_23onesweep_lookback_stateEbbT6_jjT7_P12ihipStream_tbENKUlT_T0_SI_SN_E_clISD_PiSD_S15_EEDaS11_S12_SI_SN_EUlS11_E_NS1_11comp_targetILNS1_3genE3ELNS1_11target_archE908ELNS1_3gpuE7ELNS1_3repE0EEENS1_47radix_sort_onesweep_sort_config_static_selectorELNS0_4arch9wavefront6targetE0EEEvSI_,comdat
	.protected	_ZN7rocprim17ROCPRIM_400000_NS6detail17trampoline_kernelINS0_14default_configENS1_35radix_sort_onesweep_config_selectorIiiEEZZNS1_29radix_sort_onesweep_iterationIS3_Lb0EN6thrust23THRUST_200600_302600_NS6detail15normal_iteratorINS8_10device_ptrIiEEEESD_SD_SD_jNS0_19identity_decomposerENS1_16block_id_wrapperIjLb0EEEEE10hipError_tT1_PNSt15iterator_traitsISI_E10value_typeET2_T3_PNSJ_ISO_E10value_typeET4_T5_PST_SU_PNS1_23onesweep_lookback_stateEbbT6_jjT7_P12ihipStream_tbENKUlT_T0_SI_SN_E_clISD_PiSD_S15_EEDaS11_S12_SI_SN_EUlS11_E_NS1_11comp_targetILNS1_3genE3ELNS1_11target_archE908ELNS1_3gpuE7ELNS1_3repE0EEENS1_47radix_sort_onesweep_sort_config_static_selectorELNS0_4arch9wavefront6targetE0EEEvSI_ ; -- Begin function _ZN7rocprim17ROCPRIM_400000_NS6detail17trampoline_kernelINS0_14default_configENS1_35radix_sort_onesweep_config_selectorIiiEEZZNS1_29radix_sort_onesweep_iterationIS3_Lb0EN6thrust23THRUST_200600_302600_NS6detail15normal_iteratorINS8_10device_ptrIiEEEESD_SD_SD_jNS0_19identity_decomposerENS1_16block_id_wrapperIjLb0EEEEE10hipError_tT1_PNSt15iterator_traitsISI_E10value_typeET2_T3_PNSJ_ISO_E10value_typeET4_T5_PST_SU_PNS1_23onesweep_lookback_stateEbbT6_jjT7_P12ihipStream_tbENKUlT_T0_SI_SN_E_clISD_PiSD_S15_EEDaS11_S12_SI_SN_EUlS11_E_NS1_11comp_targetILNS1_3genE3ELNS1_11target_archE908ELNS1_3gpuE7ELNS1_3repE0EEENS1_47radix_sort_onesweep_sort_config_static_selectorELNS0_4arch9wavefront6targetE0EEEvSI_
	.globl	_ZN7rocprim17ROCPRIM_400000_NS6detail17trampoline_kernelINS0_14default_configENS1_35radix_sort_onesweep_config_selectorIiiEEZZNS1_29radix_sort_onesweep_iterationIS3_Lb0EN6thrust23THRUST_200600_302600_NS6detail15normal_iteratorINS8_10device_ptrIiEEEESD_SD_SD_jNS0_19identity_decomposerENS1_16block_id_wrapperIjLb0EEEEE10hipError_tT1_PNSt15iterator_traitsISI_E10value_typeET2_T3_PNSJ_ISO_E10value_typeET4_T5_PST_SU_PNS1_23onesweep_lookback_stateEbbT6_jjT7_P12ihipStream_tbENKUlT_T0_SI_SN_E_clISD_PiSD_S15_EEDaS11_S12_SI_SN_EUlS11_E_NS1_11comp_targetILNS1_3genE3ELNS1_11target_archE908ELNS1_3gpuE7ELNS1_3repE0EEENS1_47radix_sort_onesweep_sort_config_static_selectorELNS0_4arch9wavefront6targetE0EEEvSI_
	.p2align	8
	.type	_ZN7rocprim17ROCPRIM_400000_NS6detail17trampoline_kernelINS0_14default_configENS1_35radix_sort_onesweep_config_selectorIiiEEZZNS1_29radix_sort_onesweep_iterationIS3_Lb0EN6thrust23THRUST_200600_302600_NS6detail15normal_iteratorINS8_10device_ptrIiEEEESD_SD_SD_jNS0_19identity_decomposerENS1_16block_id_wrapperIjLb0EEEEE10hipError_tT1_PNSt15iterator_traitsISI_E10value_typeET2_T3_PNSJ_ISO_E10value_typeET4_T5_PST_SU_PNS1_23onesweep_lookback_stateEbbT6_jjT7_P12ihipStream_tbENKUlT_T0_SI_SN_E_clISD_PiSD_S15_EEDaS11_S12_SI_SN_EUlS11_E_NS1_11comp_targetILNS1_3genE3ELNS1_11target_archE908ELNS1_3gpuE7ELNS1_3repE0EEENS1_47radix_sort_onesweep_sort_config_static_selectorELNS0_4arch9wavefront6targetE0EEEvSI_,@function
_ZN7rocprim17ROCPRIM_400000_NS6detail17trampoline_kernelINS0_14default_configENS1_35radix_sort_onesweep_config_selectorIiiEEZZNS1_29radix_sort_onesweep_iterationIS3_Lb0EN6thrust23THRUST_200600_302600_NS6detail15normal_iteratorINS8_10device_ptrIiEEEESD_SD_SD_jNS0_19identity_decomposerENS1_16block_id_wrapperIjLb0EEEEE10hipError_tT1_PNSt15iterator_traitsISI_E10value_typeET2_T3_PNSJ_ISO_E10value_typeET4_T5_PST_SU_PNS1_23onesweep_lookback_stateEbbT6_jjT7_P12ihipStream_tbENKUlT_T0_SI_SN_E_clISD_PiSD_S15_EEDaS11_S12_SI_SN_EUlS11_E_NS1_11comp_targetILNS1_3genE3ELNS1_11target_archE908ELNS1_3gpuE7ELNS1_3repE0EEENS1_47radix_sort_onesweep_sort_config_static_selectorELNS0_4arch9wavefront6targetE0EEEvSI_: ; @_ZN7rocprim17ROCPRIM_400000_NS6detail17trampoline_kernelINS0_14default_configENS1_35radix_sort_onesweep_config_selectorIiiEEZZNS1_29radix_sort_onesweep_iterationIS3_Lb0EN6thrust23THRUST_200600_302600_NS6detail15normal_iteratorINS8_10device_ptrIiEEEESD_SD_SD_jNS0_19identity_decomposerENS1_16block_id_wrapperIjLb0EEEEE10hipError_tT1_PNSt15iterator_traitsISI_E10value_typeET2_T3_PNSJ_ISO_E10value_typeET4_T5_PST_SU_PNS1_23onesweep_lookback_stateEbbT6_jjT7_P12ihipStream_tbENKUlT_T0_SI_SN_E_clISD_PiSD_S15_EEDaS11_S12_SI_SN_EUlS11_E_NS1_11comp_targetILNS1_3genE3ELNS1_11target_archE908ELNS1_3gpuE7ELNS1_3repE0EEENS1_47radix_sort_onesweep_sort_config_static_selectorELNS0_4arch9wavefront6targetE0EEEvSI_
; %bb.0:
	.section	.rodata,"a",@progbits
	.p2align	6, 0x0
	.amdhsa_kernel _ZN7rocprim17ROCPRIM_400000_NS6detail17trampoline_kernelINS0_14default_configENS1_35radix_sort_onesweep_config_selectorIiiEEZZNS1_29radix_sort_onesweep_iterationIS3_Lb0EN6thrust23THRUST_200600_302600_NS6detail15normal_iteratorINS8_10device_ptrIiEEEESD_SD_SD_jNS0_19identity_decomposerENS1_16block_id_wrapperIjLb0EEEEE10hipError_tT1_PNSt15iterator_traitsISI_E10value_typeET2_T3_PNSJ_ISO_E10value_typeET4_T5_PST_SU_PNS1_23onesweep_lookback_stateEbbT6_jjT7_P12ihipStream_tbENKUlT_T0_SI_SN_E_clISD_PiSD_S15_EEDaS11_S12_SI_SN_EUlS11_E_NS1_11comp_targetILNS1_3genE3ELNS1_11target_archE908ELNS1_3gpuE7ELNS1_3repE0EEENS1_47radix_sort_onesweep_sort_config_static_selectorELNS0_4arch9wavefront6targetE0EEEvSI_
		.amdhsa_group_segment_fixed_size 0
		.amdhsa_private_segment_fixed_size 0
		.amdhsa_kernarg_size 88
		.amdhsa_user_sgpr_count 6
		.amdhsa_user_sgpr_private_segment_buffer 1
		.amdhsa_user_sgpr_dispatch_ptr 0
		.amdhsa_user_sgpr_queue_ptr 0
		.amdhsa_user_sgpr_kernarg_segment_ptr 1
		.amdhsa_user_sgpr_dispatch_id 0
		.amdhsa_user_sgpr_flat_scratch_init 0
		.amdhsa_user_sgpr_private_segment_size 0
		.amdhsa_wavefront_size32 1
		.amdhsa_uses_dynamic_stack 0
		.amdhsa_system_sgpr_private_segment_wavefront_offset 0
		.amdhsa_system_sgpr_workgroup_id_x 1
		.amdhsa_system_sgpr_workgroup_id_y 0
		.amdhsa_system_sgpr_workgroup_id_z 0
		.amdhsa_system_sgpr_workgroup_info 0
		.amdhsa_system_vgpr_workitem_id 0
		.amdhsa_next_free_vgpr 1
		.amdhsa_next_free_sgpr 1
		.amdhsa_reserve_vcc 0
		.amdhsa_reserve_flat_scratch 0
		.amdhsa_float_round_mode_32 0
		.amdhsa_float_round_mode_16_64 0
		.amdhsa_float_denorm_mode_32 3
		.amdhsa_float_denorm_mode_16_64 3
		.amdhsa_dx10_clamp 1
		.amdhsa_ieee_mode 1
		.amdhsa_fp16_overflow 0
		.amdhsa_workgroup_processor_mode 1
		.amdhsa_memory_ordered 1
		.amdhsa_forward_progress 1
		.amdhsa_shared_vgpr_count 0
		.amdhsa_exception_fp_ieee_invalid_op 0
		.amdhsa_exception_fp_denorm_src 0
		.amdhsa_exception_fp_ieee_div_zero 0
		.amdhsa_exception_fp_ieee_overflow 0
		.amdhsa_exception_fp_ieee_underflow 0
		.amdhsa_exception_fp_ieee_inexact 0
		.amdhsa_exception_int_div_zero 0
	.end_amdhsa_kernel
	.section	.text._ZN7rocprim17ROCPRIM_400000_NS6detail17trampoline_kernelINS0_14default_configENS1_35radix_sort_onesweep_config_selectorIiiEEZZNS1_29radix_sort_onesweep_iterationIS3_Lb0EN6thrust23THRUST_200600_302600_NS6detail15normal_iteratorINS8_10device_ptrIiEEEESD_SD_SD_jNS0_19identity_decomposerENS1_16block_id_wrapperIjLb0EEEEE10hipError_tT1_PNSt15iterator_traitsISI_E10value_typeET2_T3_PNSJ_ISO_E10value_typeET4_T5_PST_SU_PNS1_23onesweep_lookback_stateEbbT6_jjT7_P12ihipStream_tbENKUlT_T0_SI_SN_E_clISD_PiSD_S15_EEDaS11_S12_SI_SN_EUlS11_E_NS1_11comp_targetILNS1_3genE3ELNS1_11target_archE908ELNS1_3gpuE7ELNS1_3repE0EEENS1_47radix_sort_onesweep_sort_config_static_selectorELNS0_4arch9wavefront6targetE0EEEvSI_,"axG",@progbits,_ZN7rocprim17ROCPRIM_400000_NS6detail17trampoline_kernelINS0_14default_configENS1_35radix_sort_onesweep_config_selectorIiiEEZZNS1_29radix_sort_onesweep_iterationIS3_Lb0EN6thrust23THRUST_200600_302600_NS6detail15normal_iteratorINS8_10device_ptrIiEEEESD_SD_SD_jNS0_19identity_decomposerENS1_16block_id_wrapperIjLb0EEEEE10hipError_tT1_PNSt15iterator_traitsISI_E10value_typeET2_T3_PNSJ_ISO_E10value_typeET4_T5_PST_SU_PNS1_23onesweep_lookback_stateEbbT6_jjT7_P12ihipStream_tbENKUlT_T0_SI_SN_E_clISD_PiSD_S15_EEDaS11_S12_SI_SN_EUlS11_E_NS1_11comp_targetILNS1_3genE3ELNS1_11target_archE908ELNS1_3gpuE7ELNS1_3repE0EEENS1_47radix_sort_onesweep_sort_config_static_selectorELNS0_4arch9wavefront6targetE0EEEvSI_,comdat
.Lfunc_end863:
	.size	_ZN7rocprim17ROCPRIM_400000_NS6detail17trampoline_kernelINS0_14default_configENS1_35radix_sort_onesweep_config_selectorIiiEEZZNS1_29radix_sort_onesweep_iterationIS3_Lb0EN6thrust23THRUST_200600_302600_NS6detail15normal_iteratorINS8_10device_ptrIiEEEESD_SD_SD_jNS0_19identity_decomposerENS1_16block_id_wrapperIjLb0EEEEE10hipError_tT1_PNSt15iterator_traitsISI_E10value_typeET2_T3_PNSJ_ISO_E10value_typeET4_T5_PST_SU_PNS1_23onesweep_lookback_stateEbbT6_jjT7_P12ihipStream_tbENKUlT_T0_SI_SN_E_clISD_PiSD_S15_EEDaS11_S12_SI_SN_EUlS11_E_NS1_11comp_targetILNS1_3genE3ELNS1_11target_archE908ELNS1_3gpuE7ELNS1_3repE0EEENS1_47radix_sort_onesweep_sort_config_static_selectorELNS0_4arch9wavefront6targetE0EEEvSI_, .Lfunc_end863-_ZN7rocprim17ROCPRIM_400000_NS6detail17trampoline_kernelINS0_14default_configENS1_35radix_sort_onesweep_config_selectorIiiEEZZNS1_29radix_sort_onesweep_iterationIS3_Lb0EN6thrust23THRUST_200600_302600_NS6detail15normal_iteratorINS8_10device_ptrIiEEEESD_SD_SD_jNS0_19identity_decomposerENS1_16block_id_wrapperIjLb0EEEEE10hipError_tT1_PNSt15iterator_traitsISI_E10value_typeET2_T3_PNSJ_ISO_E10value_typeET4_T5_PST_SU_PNS1_23onesweep_lookback_stateEbbT6_jjT7_P12ihipStream_tbENKUlT_T0_SI_SN_E_clISD_PiSD_S15_EEDaS11_S12_SI_SN_EUlS11_E_NS1_11comp_targetILNS1_3genE3ELNS1_11target_archE908ELNS1_3gpuE7ELNS1_3repE0EEENS1_47radix_sort_onesweep_sort_config_static_selectorELNS0_4arch9wavefront6targetE0EEEvSI_
                                        ; -- End function
	.set _ZN7rocprim17ROCPRIM_400000_NS6detail17trampoline_kernelINS0_14default_configENS1_35radix_sort_onesweep_config_selectorIiiEEZZNS1_29radix_sort_onesweep_iterationIS3_Lb0EN6thrust23THRUST_200600_302600_NS6detail15normal_iteratorINS8_10device_ptrIiEEEESD_SD_SD_jNS0_19identity_decomposerENS1_16block_id_wrapperIjLb0EEEEE10hipError_tT1_PNSt15iterator_traitsISI_E10value_typeET2_T3_PNSJ_ISO_E10value_typeET4_T5_PST_SU_PNS1_23onesweep_lookback_stateEbbT6_jjT7_P12ihipStream_tbENKUlT_T0_SI_SN_E_clISD_PiSD_S15_EEDaS11_S12_SI_SN_EUlS11_E_NS1_11comp_targetILNS1_3genE3ELNS1_11target_archE908ELNS1_3gpuE7ELNS1_3repE0EEENS1_47radix_sort_onesweep_sort_config_static_selectorELNS0_4arch9wavefront6targetE0EEEvSI_.num_vgpr, 0
	.set _ZN7rocprim17ROCPRIM_400000_NS6detail17trampoline_kernelINS0_14default_configENS1_35radix_sort_onesweep_config_selectorIiiEEZZNS1_29radix_sort_onesweep_iterationIS3_Lb0EN6thrust23THRUST_200600_302600_NS6detail15normal_iteratorINS8_10device_ptrIiEEEESD_SD_SD_jNS0_19identity_decomposerENS1_16block_id_wrapperIjLb0EEEEE10hipError_tT1_PNSt15iterator_traitsISI_E10value_typeET2_T3_PNSJ_ISO_E10value_typeET4_T5_PST_SU_PNS1_23onesweep_lookback_stateEbbT6_jjT7_P12ihipStream_tbENKUlT_T0_SI_SN_E_clISD_PiSD_S15_EEDaS11_S12_SI_SN_EUlS11_E_NS1_11comp_targetILNS1_3genE3ELNS1_11target_archE908ELNS1_3gpuE7ELNS1_3repE0EEENS1_47radix_sort_onesweep_sort_config_static_selectorELNS0_4arch9wavefront6targetE0EEEvSI_.num_agpr, 0
	.set _ZN7rocprim17ROCPRIM_400000_NS6detail17trampoline_kernelINS0_14default_configENS1_35radix_sort_onesweep_config_selectorIiiEEZZNS1_29radix_sort_onesweep_iterationIS3_Lb0EN6thrust23THRUST_200600_302600_NS6detail15normal_iteratorINS8_10device_ptrIiEEEESD_SD_SD_jNS0_19identity_decomposerENS1_16block_id_wrapperIjLb0EEEEE10hipError_tT1_PNSt15iterator_traitsISI_E10value_typeET2_T3_PNSJ_ISO_E10value_typeET4_T5_PST_SU_PNS1_23onesweep_lookback_stateEbbT6_jjT7_P12ihipStream_tbENKUlT_T0_SI_SN_E_clISD_PiSD_S15_EEDaS11_S12_SI_SN_EUlS11_E_NS1_11comp_targetILNS1_3genE3ELNS1_11target_archE908ELNS1_3gpuE7ELNS1_3repE0EEENS1_47radix_sort_onesweep_sort_config_static_selectorELNS0_4arch9wavefront6targetE0EEEvSI_.numbered_sgpr, 0
	.set _ZN7rocprim17ROCPRIM_400000_NS6detail17trampoline_kernelINS0_14default_configENS1_35radix_sort_onesweep_config_selectorIiiEEZZNS1_29radix_sort_onesweep_iterationIS3_Lb0EN6thrust23THRUST_200600_302600_NS6detail15normal_iteratorINS8_10device_ptrIiEEEESD_SD_SD_jNS0_19identity_decomposerENS1_16block_id_wrapperIjLb0EEEEE10hipError_tT1_PNSt15iterator_traitsISI_E10value_typeET2_T3_PNSJ_ISO_E10value_typeET4_T5_PST_SU_PNS1_23onesweep_lookback_stateEbbT6_jjT7_P12ihipStream_tbENKUlT_T0_SI_SN_E_clISD_PiSD_S15_EEDaS11_S12_SI_SN_EUlS11_E_NS1_11comp_targetILNS1_3genE3ELNS1_11target_archE908ELNS1_3gpuE7ELNS1_3repE0EEENS1_47radix_sort_onesweep_sort_config_static_selectorELNS0_4arch9wavefront6targetE0EEEvSI_.num_named_barrier, 0
	.set _ZN7rocprim17ROCPRIM_400000_NS6detail17trampoline_kernelINS0_14default_configENS1_35radix_sort_onesweep_config_selectorIiiEEZZNS1_29radix_sort_onesweep_iterationIS3_Lb0EN6thrust23THRUST_200600_302600_NS6detail15normal_iteratorINS8_10device_ptrIiEEEESD_SD_SD_jNS0_19identity_decomposerENS1_16block_id_wrapperIjLb0EEEEE10hipError_tT1_PNSt15iterator_traitsISI_E10value_typeET2_T3_PNSJ_ISO_E10value_typeET4_T5_PST_SU_PNS1_23onesweep_lookback_stateEbbT6_jjT7_P12ihipStream_tbENKUlT_T0_SI_SN_E_clISD_PiSD_S15_EEDaS11_S12_SI_SN_EUlS11_E_NS1_11comp_targetILNS1_3genE3ELNS1_11target_archE908ELNS1_3gpuE7ELNS1_3repE0EEENS1_47radix_sort_onesweep_sort_config_static_selectorELNS0_4arch9wavefront6targetE0EEEvSI_.private_seg_size, 0
	.set _ZN7rocprim17ROCPRIM_400000_NS6detail17trampoline_kernelINS0_14default_configENS1_35radix_sort_onesweep_config_selectorIiiEEZZNS1_29radix_sort_onesweep_iterationIS3_Lb0EN6thrust23THRUST_200600_302600_NS6detail15normal_iteratorINS8_10device_ptrIiEEEESD_SD_SD_jNS0_19identity_decomposerENS1_16block_id_wrapperIjLb0EEEEE10hipError_tT1_PNSt15iterator_traitsISI_E10value_typeET2_T3_PNSJ_ISO_E10value_typeET4_T5_PST_SU_PNS1_23onesweep_lookback_stateEbbT6_jjT7_P12ihipStream_tbENKUlT_T0_SI_SN_E_clISD_PiSD_S15_EEDaS11_S12_SI_SN_EUlS11_E_NS1_11comp_targetILNS1_3genE3ELNS1_11target_archE908ELNS1_3gpuE7ELNS1_3repE0EEENS1_47radix_sort_onesweep_sort_config_static_selectorELNS0_4arch9wavefront6targetE0EEEvSI_.uses_vcc, 0
	.set _ZN7rocprim17ROCPRIM_400000_NS6detail17trampoline_kernelINS0_14default_configENS1_35radix_sort_onesweep_config_selectorIiiEEZZNS1_29radix_sort_onesweep_iterationIS3_Lb0EN6thrust23THRUST_200600_302600_NS6detail15normal_iteratorINS8_10device_ptrIiEEEESD_SD_SD_jNS0_19identity_decomposerENS1_16block_id_wrapperIjLb0EEEEE10hipError_tT1_PNSt15iterator_traitsISI_E10value_typeET2_T3_PNSJ_ISO_E10value_typeET4_T5_PST_SU_PNS1_23onesweep_lookback_stateEbbT6_jjT7_P12ihipStream_tbENKUlT_T0_SI_SN_E_clISD_PiSD_S15_EEDaS11_S12_SI_SN_EUlS11_E_NS1_11comp_targetILNS1_3genE3ELNS1_11target_archE908ELNS1_3gpuE7ELNS1_3repE0EEENS1_47radix_sort_onesweep_sort_config_static_selectorELNS0_4arch9wavefront6targetE0EEEvSI_.uses_flat_scratch, 0
	.set _ZN7rocprim17ROCPRIM_400000_NS6detail17trampoline_kernelINS0_14default_configENS1_35radix_sort_onesweep_config_selectorIiiEEZZNS1_29radix_sort_onesweep_iterationIS3_Lb0EN6thrust23THRUST_200600_302600_NS6detail15normal_iteratorINS8_10device_ptrIiEEEESD_SD_SD_jNS0_19identity_decomposerENS1_16block_id_wrapperIjLb0EEEEE10hipError_tT1_PNSt15iterator_traitsISI_E10value_typeET2_T3_PNSJ_ISO_E10value_typeET4_T5_PST_SU_PNS1_23onesweep_lookback_stateEbbT6_jjT7_P12ihipStream_tbENKUlT_T0_SI_SN_E_clISD_PiSD_S15_EEDaS11_S12_SI_SN_EUlS11_E_NS1_11comp_targetILNS1_3genE3ELNS1_11target_archE908ELNS1_3gpuE7ELNS1_3repE0EEENS1_47radix_sort_onesweep_sort_config_static_selectorELNS0_4arch9wavefront6targetE0EEEvSI_.has_dyn_sized_stack, 0
	.set _ZN7rocprim17ROCPRIM_400000_NS6detail17trampoline_kernelINS0_14default_configENS1_35radix_sort_onesweep_config_selectorIiiEEZZNS1_29radix_sort_onesweep_iterationIS3_Lb0EN6thrust23THRUST_200600_302600_NS6detail15normal_iteratorINS8_10device_ptrIiEEEESD_SD_SD_jNS0_19identity_decomposerENS1_16block_id_wrapperIjLb0EEEEE10hipError_tT1_PNSt15iterator_traitsISI_E10value_typeET2_T3_PNSJ_ISO_E10value_typeET4_T5_PST_SU_PNS1_23onesweep_lookback_stateEbbT6_jjT7_P12ihipStream_tbENKUlT_T0_SI_SN_E_clISD_PiSD_S15_EEDaS11_S12_SI_SN_EUlS11_E_NS1_11comp_targetILNS1_3genE3ELNS1_11target_archE908ELNS1_3gpuE7ELNS1_3repE0EEENS1_47radix_sort_onesweep_sort_config_static_selectorELNS0_4arch9wavefront6targetE0EEEvSI_.has_recursion, 0
	.set _ZN7rocprim17ROCPRIM_400000_NS6detail17trampoline_kernelINS0_14default_configENS1_35radix_sort_onesweep_config_selectorIiiEEZZNS1_29radix_sort_onesweep_iterationIS3_Lb0EN6thrust23THRUST_200600_302600_NS6detail15normal_iteratorINS8_10device_ptrIiEEEESD_SD_SD_jNS0_19identity_decomposerENS1_16block_id_wrapperIjLb0EEEEE10hipError_tT1_PNSt15iterator_traitsISI_E10value_typeET2_T3_PNSJ_ISO_E10value_typeET4_T5_PST_SU_PNS1_23onesweep_lookback_stateEbbT6_jjT7_P12ihipStream_tbENKUlT_T0_SI_SN_E_clISD_PiSD_S15_EEDaS11_S12_SI_SN_EUlS11_E_NS1_11comp_targetILNS1_3genE3ELNS1_11target_archE908ELNS1_3gpuE7ELNS1_3repE0EEENS1_47radix_sort_onesweep_sort_config_static_selectorELNS0_4arch9wavefront6targetE0EEEvSI_.has_indirect_call, 0
	.section	.AMDGPU.csdata,"",@progbits
; Kernel info:
; codeLenInByte = 0
; TotalNumSgprs: 0
; NumVgprs: 0
; ScratchSize: 0
; MemoryBound: 0
; FloatMode: 240
; IeeeMode: 1
; LDSByteSize: 0 bytes/workgroup (compile time only)
; SGPRBlocks: 0
; VGPRBlocks: 0
; NumSGPRsForWavesPerEU: 1
; NumVGPRsForWavesPerEU: 1
; Occupancy: 16
; WaveLimiterHint : 0
; COMPUTE_PGM_RSRC2:SCRATCH_EN: 0
; COMPUTE_PGM_RSRC2:USER_SGPR: 6
; COMPUTE_PGM_RSRC2:TRAP_HANDLER: 0
; COMPUTE_PGM_RSRC2:TGID_X_EN: 1
; COMPUTE_PGM_RSRC2:TGID_Y_EN: 0
; COMPUTE_PGM_RSRC2:TGID_Z_EN: 0
; COMPUTE_PGM_RSRC2:TIDIG_COMP_CNT: 0
	.section	.text._ZN7rocprim17ROCPRIM_400000_NS6detail17trampoline_kernelINS0_14default_configENS1_35radix_sort_onesweep_config_selectorIiiEEZZNS1_29radix_sort_onesweep_iterationIS3_Lb0EN6thrust23THRUST_200600_302600_NS6detail15normal_iteratorINS8_10device_ptrIiEEEESD_SD_SD_jNS0_19identity_decomposerENS1_16block_id_wrapperIjLb0EEEEE10hipError_tT1_PNSt15iterator_traitsISI_E10value_typeET2_T3_PNSJ_ISO_E10value_typeET4_T5_PST_SU_PNS1_23onesweep_lookback_stateEbbT6_jjT7_P12ihipStream_tbENKUlT_T0_SI_SN_E_clISD_PiSD_S15_EEDaS11_S12_SI_SN_EUlS11_E_NS1_11comp_targetILNS1_3genE10ELNS1_11target_archE1201ELNS1_3gpuE5ELNS1_3repE0EEENS1_47radix_sort_onesweep_sort_config_static_selectorELNS0_4arch9wavefront6targetE0EEEvSI_,"axG",@progbits,_ZN7rocprim17ROCPRIM_400000_NS6detail17trampoline_kernelINS0_14default_configENS1_35radix_sort_onesweep_config_selectorIiiEEZZNS1_29radix_sort_onesweep_iterationIS3_Lb0EN6thrust23THRUST_200600_302600_NS6detail15normal_iteratorINS8_10device_ptrIiEEEESD_SD_SD_jNS0_19identity_decomposerENS1_16block_id_wrapperIjLb0EEEEE10hipError_tT1_PNSt15iterator_traitsISI_E10value_typeET2_T3_PNSJ_ISO_E10value_typeET4_T5_PST_SU_PNS1_23onesweep_lookback_stateEbbT6_jjT7_P12ihipStream_tbENKUlT_T0_SI_SN_E_clISD_PiSD_S15_EEDaS11_S12_SI_SN_EUlS11_E_NS1_11comp_targetILNS1_3genE10ELNS1_11target_archE1201ELNS1_3gpuE5ELNS1_3repE0EEENS1_47radix_sort_onesweep_sort_config_static_selectorELNS0_4arch9wavefront6targetE0EEEvSI_,comdat
	.protected	_ZN7rocprim17ROCPRIM_400000_NS6detail17trampoline_kernelINS0_14default_configENS1_35radix_sort_onesweep_config_selectorIiiEEZZNS1_29radix_sort_onesweep_iterationIS3_Lb0EN6thrust23THRUST_200600_302600_NS6detail15normal_iteratorINS8_10device_ptrIiEEEESD_SD_SD_jNS0_19identity_decomposerENS1_16block_id_wrapperIjLb0EEEEE10hipError_tT1_PNSt15iterator_traitsISI_E10value_typeET2_T3_PNSJ_ISO_E10value_typeET4_T5_PST_SU_PNS1_23onesweep_lookback_stateEbbT6_jjT7_P12ihipStream_tbENKUlT_T0_SI_SN_E_clISD_PiSD_S15_EEDaS11_S12_SI_SN_EUlS11_E_NS1_11comp_targetILNS1_3genE10ELNS1_11target_archE1201ELNS1_3gpuE5ELNS1_3repE0EEENS1_47radix_sort_onesweep_sort_config_static_selectorELNS0_4arch9wavefront6targetE0EEEvSI_ ; -- Begin function _ZN7rocprim17ROCPRIM_400000_NS6detail17trampoline_kernelINS0_14default_configENS1_35radix_sort_onesweep_config_selectorIiiEEZZNS1_29radix_sort_onesweep_iterationIS3_Lb0EN6thrust23THRUST_200600_302600_NS6detail15normal_iteratorINS8_10device_ptrIiEEEESD_SD_SD_jNS0_19identity_decomposerENS1_16block_id_wrapperIjLb0EEEEE10hipError_tT1_PNSt15iterator_traitsISI_E10value_typeET2_T3_PNSJ_ISO_E10value_typeET4_T5_PST_SU_PNS1_23onesweep_lookback_stateEbbT6_jjT7_P12ihipStream_tbENKUlT_T0_SI_SN_E_clISD_PiSD_S15_EEDaS11_S12_SI_SN_EUlS11_E_NS1_11comp_targetILNS1_3genE10ELNS1_11target_archE1201ELNS1_3gpuE5ELNS1_3repE0EEENS1_47radix_sort_onesweep_sort_config_static_selectorELNS0_4arch9wavefront6targetE0EEEvSI_
	.globl	_ZN7rocprim17ROCPRIM_400000_NS6detail17trampoline_kernelINS0_14default_configENS1_35radix_sort_onesweep_config_selectorIiiEEZZNS1_29radix_sort_onesweep_iterationIS3_Lb0EN6thrust23THRUST_200600_302600_NS6detail15normal_iteratorINS8_10device_ptrIiEEEESD_SD_SD_jNS0_19identity_decomposerENS1_16block_id_wrapperIjLb0EEEEE10hipError_tT1_PNSt15iterator_traitsISI_E10value_typeET2_T3_PNSJ_ISO_E10value_typeET4_T5_PST_SU_PNS1_23onesweep_lookback_stateEbbT6_jjT7_P12ihipStream_tbENKUlT_T0_SI_SN_E_clISD_PiSD_S15_EEDaS11_S12_SI_SN_EUlS11_E_NS1_11comp_targetILNS1_3genE10ELNS1_11target_archE1201ELNS1_3gpuE5ELNS1_3repE0EEENS1_47radix_sort_onesweep_sort_config_static_selectorELNS0_4arch9wavefront6targetE0EEEvSI_
	.p2align	8
	.type	_ZN7rocprim17ROCPRIM_400000_NS6detail17trampoline_kernelINS0_14default_configENS1_35radix_sort_onesweep_config_selectorIiiEEZZNS1_29radix_sort_onesweep_iterationIS3_Lb0EN6thrust23THRUST_200600_302600_NS6detail15normal_iteratorINS8_10device_ptrIiEEEESD_SD_SD_jNS0_19identity_decomposerENS1_16block_id_wrapperIjLb0EEEEE10hipError_tT1_PNSt15iterator_traitsISI_E10value_typeET2_T3_PNSJ_ISO_E10value_typeET4_T5_PST_SU_PNS1_23onesweep_lookback_stateEbbT6_jjT7_P12ihipStream_tbENKUlT_T0_SI_SN_E_clISD_PiSD_S15_EEDaS11_S12_SI_SN_EUlS11_E_NS1_11comp_targetILNS1_3genE10ELNS1_11target_archE1201ELNS1_3gpuE5ELNS1_3repE0EEENS1_47radix_sort_onesweep_sort_config_static_selectorELNS0_4arch9wavefront6targetE0EEEvSI_,@function
_ZN7rocprim17ROCPRIM_400000_NS6detail17trampoline_kernelINS0_14default_configENS1_35radix_sort_onesweep_config_selectorIiiEEZZNS1_29radix_sort_onesweep_iterationIS3_Lb0EN6thrust23THRUST_200600_302600_NS6detail15normal_iteratorINS8_10device_ptrIiEEEESD_SD_SD_jNS0_19identity_decomposerENS1_16block_id_wrapperIjLb0EEEEE10hipError_tT1_PNSt15iterator_traitsISI_E10value_typeET2_T3_PNSJ_ISO_E10value_typeET4_T5_PST_SU_PNS1_23onesweep_lookback_stateEbbT6_jjT7_P12ihipStream_tbENKUlT_T0_SI_SN_E_clISD_PiSD_S15_EEDaS11_S12_SI_SN_EUlS11_E_NS1_11comp_targetILNS1_3genE10ELNS1_11target_archE1201ELNS1_3gpuE5ELNS1_3repE0EEENS1_47radix_sort_onesweep_sort_config_static_selectorELNS0_4arch9wavefront6targetE0EEEvSI_: ; @_ZN7rocprim17ROCPRIM_400000_NS6detail17trampoline_kernelINS0_14default_configENS1_35radix_sort_onesweep_config_selectorIiiEEZZNS1_29radix_sort_onesweep_iterationIS3_Lb0EN6thrust23THRUST_200600_302600_NS6detail15normal_iteratorINS8_10device_ptrIiEEEESD_SD_SD_jNS0_19identity_decomposerENS1_16block_id_wrapperIjLb0EEEEE10hipError_tT1_PNSt15iterator_traitsISI_E10value_typeET2_T3_PNSJ_ISO_E10value_typeET4_T5_PST_SU_PNS1_23onesweep_lookback_stateEbbT6_jjT7_P12ihipStream_tbENKUlT_T0_SI_SN_E_clISD_PiSD_S15_EEDaS11_S12_SI_SN_EUlS11_E_NS1_11comp_targetILNS1_3genE10ELNS1_11target_archE1201ELNS1_3gpuE5ELNS1_3repE0EEENS1_47radix_sort_onesweep_sort_config_static_selectorELNS0_4arch9wavefront6targetE0EEEvSI_
; %bb.0:
	.section	.rodata,"a",@progbits
	.p2align	6, 0x0
	.amdhsa_kernel _ZN7rocprim17ROCPRIM_400000_NS6detail17trampoline_kernelINS0_14default_configENS1_35radix_sort_onesweep_config_selectorIiiEEZZNS1_29radix_sort_onesweep_iterationIS3_Lb0EN6thrust23THRUST_200600_302600_NS6detail15normal_iteratorINS8_10device_ptrIiEEEESD_SD_SD_jNS0_19identity_decomposerENS1_16block_id_wrapperIjLb0EEEEE10hipError_tT1_PNSt15iterator_traitsISI_E10value_typeET2_T3_PNSJ_ISO_E10value_typeET4_T5_PST_SU_PNS1_23onesweep_lookback_stateEbbT6_jjT7_P12ihipStream_tbENKUlT_T0_SI_SN_E_clISD_PiSD_S15_EEDaS11_S12_SI_SN_EUlS11_E_NS1_11comp_targetILNS1_3genE10ELNS1_11target_archE1201ELNS1_3gpuE5ELNS1_3repE0EEENS1_47radix_sort_onesweep_sort_config_static_selectorELNS0_4arch9wavefront6targetE0EEEvSI_
		.amdhsa_group_segment_fixed_size 0
		.amdhsa_private_segment_fixed_size 0
		.amdhsa_kernarg_size 88
		.amdhsa_user_sgpr_count 6
		.amdhsa_user_sgpr_private_segment_buffer 1
		.amdhsa_user_sgpr_dispatch_ptr 0
		.amdhsa_user_sgpr_queue_ptr 0
		.amdhsa_user_sgpr_kernarg_segment_ptr 1
		.amdhsa_user_sgpr_dispatch_id 0
		.amdhsa_user_sgpr_flat_scratch_init 0
		.amdhsa_user_sgpr_private_segment_size 0
		.amdhsa_wavefront_size32 1
		.amdhsa_uses_dynamic_stack 0
		.amdhsa_system_sgpr_private_segment_wavefront_offset 0
		.amdhsa_system_sgpr_workgroup_id_x 1
		.amdhsa_system_sgpr_workgroup_id_y 0
		.amdhsa_system_sgpr_workgroup_id_z 0
		.amdhsa_system_sgpr_workgroup_info 0
		.amdhsa_system_vgpr_workitem_id 0
		.amdhsa_next_free_vgpr 1
		.amdhsa_next_free_sgpr 1
		.amdhsa_reserve_vcc 0
		.amdhsa_reserve_flat_scratch 0
		.amdhsa_float_round_mode_32 0
		.amdhsa_float_round_mode_16_64 0
		.amdhsa_float_denorm_mode_32 3
		.amdhsa_float_denorm_mode_16_64 3
		.amdhsa_dx10_clamp 1
		.amdhsa_ieee_mode 1
		.amdhsa_fp16_overflow 0
		.amdhsa_workgroup_processor_mode 1
		.amdhsa_memory_ordered 1
		.amdhsa_forward_progress 1
		.amdhsa_shared_vgpr_count 0
		.amdhsa_exception_fp_ieee_invalid_op 0
		.amdhsa_exception_fp_denorm_src 0
		.amdhsa_exception_fp_ieee_div_zero 0
		.amdhsa_exception_fp_ieee_overflow 0
		.amdhsa_exception_fp_ieee_underflow 0
		.amdhsa_exception_fp_ieee_inexact 0
		.amdhsa_exception_int_div_zero 0
	.end_amdhsa_kernel
	.section	.text._ZN7rocprim17ROCPRIM_400000_NS6detail17trampoline_kernelINS0_14default_configENS1_35radix_sort_onesweep_config_selectorIiiEEZZNS1_29radix_sort_onesweep_iterationIS3_Lb0EN6thrust23THRUST_200600_302600_NS6detail15normal_iteratorINS8_10device_ptrIiEEEESD_SD_SD_jNS0_19identity_decomposerENS1_16block_id_wrapperIjLb0EEEEE10hipError_tT1_PNSt15iterator_traitsISI_E10value_typeET2_T3_PNSJ_ISO_E10value_typeET4_T5_PST_SU_PNS1_23onesweep_lookback_stateEbbT6_jjT7_P12ihipStream_tbENKUlT_T0_SI_SN_E_clISD_PiSD_S15_EEDaS11_S12_SI_SN_EUlS11_E_NS1_11comp_targetILNS1_3genE10ELNS1_11target_archE1201ELNS1_3gpuE5ELNS1_3repE0EEENS1_47radix_sort_onesweep_sort_config_static_selectorELNS0_4arch9wavefront6targetE0EEEvSI_,"axG",@progbits,_ZN7rocprim17ROCPRIM_400000_NS6detail17trampoline_kernelINS0_14default_configENS1_35radix_sort_onesweep_config_selectorIiiEEZZNS1_29radix_sort_onesweep_iterationIS3_Lb0EN6thrust23THRUST_200600_302600_NS6detail15normal_iteratorINS8_10device_ptrIiEEEESD_SD_SD_jNS0_19identity_decomposerENS1_16block_id_wrapperIjLb0EEEEE10hipError_tT1_PNSt15iterator_traitsISI_E10value_typeET2_T3_PNSJ_ISO_E10value_typeET4_T5_PST_SU_PNS1_23onesweep_lookback_stateEbbT6_jjT7_P12ihipStream_tbENKUlT_T0_SI_SN_E_clISD_PiSD_S15_EEDaS11_S12_SI_SN_EUlS11_E_NS1_11comp_targetILNS1_3genE10ELNS1_11target_archE1201ELNS1_3gpuE5ELNS1_3repE0EEENS1_47radix_sort_onesweep_sort_config_static_selectorELNS0_4arch9wavefront6targetE0EEEvSI_,comdat
.Lfunc_end864:
	.size	_ZN7rocprim17ROCPRIM_400000_NS6detail17trampoline_kernelINS0_14default_configENS1_35radix_sort_onesweep_config_selectorIiiEEZZNS1_29radix_sort_onesweep_iterationIS3_Lb0EN6thrust23THRUST_200600_302600_NS6detail15normal_iteratorINS8_10device_ptrIiEEEESD_SD_SD_jNS0_19identity_decomposerENS1_16block_id_wrapperIjLb0EEEEE10hipError_tT1_PNSt15iterator_traitsISI_E10value_typeET2_T3_PNSJ_ISO_E10value_typeET4_T5_PST_SU_PNS1_23onesweep_lookback_stateEbbT6_jjT7_P12ihipStream_tbENKUlT_T0_SI_SN_E_clISD_PiSD_S15_EEDaS11_S12_SI_SN_EUlS11_E_NS1_11comp_targetILNS1_3genE10ELNS1_11target_archE1201ELNS1_3gpuE5ELNS1_3repE0EEENS1_47radix_sort_onesweep_sort_config_static_selectorELNS0_4arch9wavefront6targetE0EEEvSI_, .Lfunc_end864-_ZN7rocprim17ROCPRIM_400000_NS6detail17trampoline_kernelINS0_14default_configENS1_35radix_sort_onesweep_config_selectorIiiEEZZNS1_29radix_sort_onesweep_iterationIS3_Lb0EN6thrust23THRUST_200600_302600_NS6detail15normal_iteratorINS8_10device_ptrIiEEEESD_SD_SD_jNS0_19identity_decomposerENS1_16block_id_wrapperIjLb0EEEEE10hipError_tT1_PNSt15iterator_traitsISI_E10value_typeET2_T3_PNSJ_ISO_E10value_typeET4_T5_PST_SU_PNS1_23onesweep_lookback_stateEbbT6_jjT7_P12ihipStream_tbENKUlT_T0_SI_SN_E_clISD_PiSD_S15_EEDaS11_S12_SI_SN_EUlS11_E_NS1_11comp_targetILNS1_3genE10ELNS1_11target_archE1201ELNS1_3gpuE5ELNS1_3repE0EEENS1_47radix_sort_onesweep_sort_config_static_selectorELNS0_4arch9wavefront6targetE0EEEvSI_
                                        ; -- End function
	.set _ZN7rocprim17ROCPRIM_400000_NS6detail17trampoline_kernelINS0_14default_configENS1_35radix_sort_onesweep_config_selectorIiiEEZZNS1_29radix_sort_onesweep_iterationIS3_Lb0EN6thrust23THRUST_200600_302600_NS6detail15normal_iteratorINS8_10device_ptrIiEEEESD_SD_SD_jNS0_19identity_decomposerENS1_16block_id_wrapperIjLb0EEEEE10hipError_tT1_PNSt15iterator_traitsISI_E10value_typeET2_T3_PNSJ_ISO_E10value_typeET4_T5_PST_SU_PNS1_23onesweep_lookback_stateEbbT6_jjT7_P12ihipStream_tbENKUlT_T0_SI_SN_E_clISD_PiSD_S15_EEDaS11_S12_SI_SN_EUlS11_E_NS1_11comp_targetILNS1_3genE10ELNS1_11target_archE1201ELNS1_3gpuE5ELNS1_3repE0EEENS1_47radix_sort_onesweep_sort_config_static_selectorELNS0_4arch9wavefront6targetE0EEEvSI_.num_vgpr, 0
	.set _ZN7rocprim17ROCPRIM_400000_NS6detail17trampoline_kernelINS0_14default_configENS1_35radix_sort_onesweep_config_selectorIiiEEZZNS1_29radix_sort_onesweep_iterationIS3_Lb0EN6thrust23THRUST_200600_302600_NS6detail15normal_iteratorINS8_10device_ptrIiEEEESD_SD_SD_jNS0_19identity_decomposerENS1_16block_id_wrapperIjLb0EEEEE10hipError_tT1_PNSt15iterator_traitsISI_E10value_typeET2_T3_PNSJ_ISO_E10value_typeET4_T5_PST_SU_PNS1_23onesweep_lookback_stateEbbT6_jjT7_P12ihipStream_tbENKUlT_T0_SI_SN_E_clISD_PiSD_S15_EEDaS11_S12_SI_SN_EUlS11_E_NS1_11comp_targetILNS1_3genE10ELNS1_11target_archE1201ELNS1_3gpuE5ELNS1_3repE0EEENS1_47radix_sort_onesweep_sort_config_static_selectorELNS0_4arch9wavefront6targetE0EEEvSI_.num_agpr, 0
	.set _ZN7rocprim17ROCPRIM_400000_NS6detail17trampoline_kernelINS0_14default_configENS1_35radix_sort_onesweep_config_selectorIiiEEZZNS1_29radix_sort_onesweep_iterationIS3_Lb0EN6thrust23THRUST_200600_302600_NS6detail15normal_iteratorINS8_10device_ptrIiEEEESD_SD_SD_jNS0_19identity_decomposerENS1_16block_id_wrapperIjLb0EEEEE10hipError_tT1_PNSt15iterator_traitsISI_E10value_typeET2_T3_PNSJ_ISO_E10value_typeET4_T5_PST_SU_PNS1_23onesweep_lookback_stateEbbT6_jjT7_P12ihipStream_tbENKUlT_T0_SI_SN_E_clISD_PiSD_S15_EEDaS11_S12_SI_SN_EUlS11_E_NS1_11comp_targetILNS1_3genE10ELNS1_11target_archE1201ELNS1_3gpuE5ELNS1_3repE0EEENS1_47radix_sort_onesweep_sort_config_static_selectorELNS0_4arch9wavefront6targetE0EEEvSI_.numbered_sgpr, 0
	.set _ZN7rocprim17ROCPRIM_400000_NS6detail17trampoline_kernelINS0_14default_configENS1_35radix_sort_onesweep_config_selectorIiiEEZZNS1_29radix_sort_onesweep_iterationIS3_Lb0EN6thrust23THRUST_200600_302600_NS6detail15normal_iteratorINS8_10device_ptrIiEEEESD_SD_SD_jNS0_19identity_decomposerENS1_16block_id_wrapperIjLb0EEEEE10hipError_tT1_PNSt15iterator_traitsISI_E10value_typeET2_T3_PNSJ_ISO_E10value_typeET4_T5_PST_SU_PNS1_23onesweep_lookback_stateEbbT6_jjT7_P12ihipStream_tbENKUlT_T0_SI_SN_E_clISD_PiSD_S15_EEDaS11_S12_SI_SN_EUlS11_E_NS1_11comp_targetILNS1_3genE10ELNS1_11target_archE1201ELNS1_3gpuE5ELNS1_3repE0EEENS1_47radix_sort_onesweep_sort_config_static_selectorELNS0_4arch9wavefront6targetE0EEEvSI_.num_named_barrier, 0
	.set _ZN7rocprim17ROCPRIM_400000_NS6detail17trampoline_kernelINS0_14default_configENS1_35radix_sort_onesweep_config_selectorIiiEEZZNS1_29radix_sort_onesweep_iterationIS3_Lb0EN6thrust23THRUST_200600_302600_NS6detail15normal_iteratorINS8_10device_ptrIiEEEESD_SD_SD_jNS0_19identity_decomposerENS1_16block_id_wrapperIjLb0EEEEE10hipError_tT1_PNSt15iterator_traitsISI_E10value_typeET2_T3_PNSJ_ISO_E10value_typeET4_T5_PST_SU_PNS1_23onesweep_lookback_stateEbbT6_jjT7_P12ihipStream_tbENKUlT_T0_SI_SN_E_clISD_PiSD_S15_EEDaS11_S12_SI_SN_EUlS11_E_NS1_11comp_targetILNS1_3genE10ELNS1_11target_archE1201ELNS1_3gpuE5ELNS1_3repE0EEENS1_47radix_sort_onesweep_sort_config_static_selectorELNS0_4arch9wavefront6targetE0EEEvSI_.private_seg_size, 0
	.set _ZN7rocprim17ROCPRIM_400000_NS6detail17trampoline_kernelINS0_14default_configENS1_35radix_sort_onesweep_config_selectorIiiEEZZNS1_29radix_sort_onesweep_iterationIS3_Lb0EN6thrust23THRUST_200600_302600_NS6detail15normal_iteratorINS8_10device_ptrIiEEEESD_SD_SD_jNS0_19identity_decomposerENS1_16block_id_wrapperIjLb0EEEEE10hipError_tT1_PNSt15iterator_traitsISI_E10value_typeET2_T3_PNSJ_ISO_E10value_typeET4_T5_PST_SU_PNS1_23onesweep_lookback_stateEbbT6_jjT7_P12ihipStream_tbENKUlT_T0_SI_SN_E_clISD_PiSD_S15_EEDaS11_S12_SI_SN_EUlS11_E_NS1_11comp_targetILNS1_3genE10ELNS1_11target_archE1201ELNS1_3gpuE5ELNS1_3repE0EEENS1_47radix_sort_onesweep_sort_config_static_selectorELNS0_4arch9wavefront6targetE0EEEvSI_.uses_vcc, 0
	.set _ZN7rocprim17ROCPRIM_400000_NS6detail17trampoline_kernelINS0_14default_configENS1_35radix_sort_onesweep_config_selectorIiiEEZZNS1_29radix_sort_onesweep_iterationIS3_Lb0EN6thrust23THRUST_200600_302600_NS6detail15normal_iteratorINS8_10device_ptrIiEEEESD_SD_SD_jNS0_19identity_decomposerENS1_16block_id_wrapperIjLb0EEEEE10hipError_tT1_PNSt15iterator_traitsISI_E10value_typeET2_T3_PNSJ_ISO_E10value_typeET4_T5_PST_SU_PNS1_23onesweep_lookback_stateEbbT6_jjT7_P12ihipStream_tbENKUlT_T0_SI_SN_E_clISD_PiSD_S15_EEDaS11_S12_SI_SN_EUlS11_E_NS1_11comp_targetILNS1_3genE10ELNS1_11target_archE1201ELNS1_3gpuE5ELNS1_3repE0EEENS1_47radix_sort_onesweep_sort_config_static_selectorELNS0_4arch9wavefront6targetE0EEEvSI_.uses_flat_scratch, 0
	.set _ZN7rocprim17ROCPRIM_400000_NS6detail17trampoline_kernelINS0_14default_configENS1_35radix_sort_onesweep_config_selectorIiiEEZZNS1_29radix_sort_onesweep_iterationIS3_Lb0EN6thrust23THRUST_200600_302600_NS6detail15normal_iteratorINS8_10device_ptrIiEEEESD_SD_SD_jNS0_19identity_decomposerENS1_16block_id_wrapperIjLb0EEEEE10hipError_tT1_PNSt15iterator_traitsISI_E10value_typeET2_T3_PNSJ_ISO_E10value_typeET4_T5_PST_SU_PNS1_23onesweep_lookback_stateEbbT6_jjT7_P12ihipStream_tbENKUlT_T0_SI_SN_E_clISD_PiSD_S15_EEDaS11_S12_SI_SN_EUlS11_E_NS1_11comp_targetILNS1_3genE10ELNS1_11target_archE1201ELNS1_3gpuE5ELNS1_3repE0EEENS1_47radix_sort_onesweep_sort_config_static_selectorELNS0_4arch9wavefront6targetE0EEEvSI_.has_dyn_sized_stack, 0
	.set _ZN7rocprim17ROCPRIM_400000_NS6detail17trampoline_kernelINS0_14default_configENS1_35radix_sort_onesweep_config_selectorIiiEEZZNS1_29radix_sort_onesweep_iterationIS3_Lb0EN6thrust23THRUST_200600_302600_NS6detail15normal_iteratorINS8_10device_ptrIiEEEESD_SD_SD_jNS0_19identity_decomposerENS1_16block_id_wrapperIjLb0EEEEE10hipError_tT1_PNSt15iterator_traitsISI_E10value_typeET2_T3_PNSJ_ISO_E10value_typeET4_T5_PST_SU_PNS1_23onesweep_lookback_stateEbbT6_jjT7_P12ihipStream_tbENKUlT_T0_SI_SN_E_clISD_PiSD_S15_EEDaS11_S12_SI_SN_EUlS11_E_NS1_11comp_targetILNS1_3genE10ELNS1_11target_archE1201ELNS1_3gpuE5ELNS1_3repE0EEENS1_47radix_sort_onesweep_sort_config_static_selectorELNS0_4arch9wavefront6targetE0EEEvSI_.has_recursion, 0
	.set _ZN7rocprim17ROCPRIM_400000_NS6detail17trampoline_kernelINS0_14default_configENS1_35radix_sort_onesweep_config_selectorIiiEEZZNS1_29radix_sort_onesweep_iterationIS3_Lb0EN6thrust23THRUST_200600_302600_NS6detail15normal_iteratorINS8_10device_ptrIiEEEESD_SD_SD_jNS0_19identity_decomposerENS1_16block_id_wrapperIjLb0EEEEE10hipError_tT1_PNSt15iterator_traitsISI_E10value_typeET2_T3_PNSJ_ISO_E10value_typeET4_T5_PST_SU_PNS1_23onesweep_lookback_stateEbbT6_jjT7_P12ihipStream_tbENKUlT_T0_SI_SN_E_clISD_PiSD_S15_EEDaS11_S12_SI_SN_EUlS11_E_NS1_11comp_targetILNS1_3genE10ELNS1_11target_archE1201ELNS1_3gpuE5ELNS1_3repE0EEENS1_47radix_sort_onesweep_sort_config_static_selectorELNS0_4arch9wavefront6targetE0EEEvSI_.has_indirect_call, 0
	.section	.AMDGPU.csdata,"",@progbits
; Kernel info:
; codeLenInByte = 0
; TotalNumSgprs: 0
; NumVgprs: 0
; ScratchSize: 0
; MemoryBound: 0
; FloatMode: 240
; IeeeMode: 1
; LDSByteSize: 0 bytes/workgroup (compile time only)
; SGPRBlocks: 0
; VGPRBlocks: 0
; NumSGPRsForWavesPerEU: 1
; NumVGPRsForWavesPerEU: 1
; Occupancy: 16
; WaveLimiterHint : 0
; COMPUTE_PGM_RSRC2:SCRATCH_EN: 0
; COMPUTE_PGM_RSRC2:USER_SGPR: 6
; COMPUTE_PGM_RSRC2:TRAP_HANDLER: 0
; COMPUTE_PGM_RSRC2:TGID_X_EN: 1
; COMPUTE_PGM_RSRC2:TGID_Y_EN: 0
; COMPUTE_PGM_RSRC2:TGID_Z_EN: 0
; COMPUTE_PGM_RSRC2:TIDIG_COMP_CNT: 0
	.section	.text._ZN7rocprim17ROCPRIM_400000_NS6detail17trampoline_kernelINS0_14default_configENS1_35radix_sort_onesweep_config_selectorIiiEEZZNS1_29radix_sort_onesweep_iterationIS3_Lb0EN6thrust23THRUST_200600_302600_NS6detail15normal_iteratorINS8_10device_ptrIiEEEESD_SD_SD_jNS0_19identity_decomposerENS1_16block_id_wrapperIjLb0EEEEE10hipError_tT1_PNSt15iterator_traitsISI_E10value_typeET2_T3_PNSJ_ISO_E10value_typeET4_T5_PST_SU_PNS1_23onesweep_lookback_stateEbbT6_jjT7_P12ihipStream_tbENKUlT_T0_SI_SN_E_clISD_PiSD_S15_EEDaS11_S12_SI_SN_EUlS11_E_NS1_11comp_targetILNS1_3genE9ELNS1_11target_archE1100ELNS1_3gpuE3ELNS1_3repE0EEENS1_47radix_sort_onesweep_sort_config_static_selectorELNS0_4arch9wavefront6targetE0EEEvSI_,"axG",@progbits,_ZN7rocprim17ROCPRIM_400000_NS6detail17trampoline_kernelINS0_14default_configENS1_35radix_sort_onesweep_config_selectorIiiEEZZNS1_29radix_sort_onesweep_iterationIS3_Lb0EN6thrust23THRUST_200600_302600_NS6detail15normal_iteratorINS8_10device_ptrIiEEEESD_SD_SD_jNS0_19identity_decomposerENS1_16block_id_wrapperIjLb0EEEEE10hipError_tT1_PNSt15iterator_traitsISI_E10value_typeET2_T3_PNSJ_ISO_E10value_typeET4_T5_PST_SU_PNS1_23onesweep_lookback_stateEbbT6_jjT7_P12ihipStream_tbENKUlT_T0_SI_SN_E_clISD_PiSD_S15_EEDaS11_S12_SI_SN_EUlS11_E_NS1_11comp_targetILNS1_3genE9ELNS1_11target_archE1100ELNS1_3gpuE3ELNS1_3repE0EEENS1_47radix_sort_onesweep_sort_config_static_selectorELNS0_4arch9wavefront6targetE0EEEvSI_,comdat
	.protected	_ZN7rocprim17ROCPRIM_400000_NS6detail17trampoline_kernelINS0_14default_configENS1_35radix_sort_onesweep_config_selectorIiiEEZZNS1_29radix_sort_onesweep_iterationIS3_Lb0EN6thrust23THRUST_200600_302600_NS6detail15normal_iteratorINS8_10device_ptrIiEEEESD_SD_SD_jNS0_19identity_decomposerENS1_16block_id_wrapperIjLb0EEEEE10hipError_tT1_PNSt15iterator_traitsISI_E10value_typeET2_T3_PNSJ_ISO_E10value_typeET4_T5_PST_SU_PNS1_23onesweep_lookback_stateEbbT6_jjT7_P12ihipStream_tbENKUlT_T0_SI_SN_E_clISD_PiSD_S15_EEDaS11_S12_SI_SN_EUlS11_E_NS1_11comp_targetILNS1_3genE9ELNS1_11target_archE1100ELNS1_3gpuE3ELNS1_3repE0EEENS1_47radix_sort_onesweep_sort_config_static_selectorELNS0_4arch9wavefront6targetE0EEEvSI_ ; -- Begin function _ZN7rocprim17ROCPRIM_400000_NS6detail17trampoline_kernelINS0_14default_configENS1_35radix_sort_onesweep_config_selectorIiiEEZZNS1_29radix_sort_onesweep_iterationIS3_Lb0EN6thrust23THRUST_200600_302600_NS6detail15normal_iteratorINS8_10device_ptrIiEEEESD_SD_SD_jNS0_19identity_decomposerENS1_16block_id_wrapperIjLb0EEEEE10hipError_tT1_PNSt15iterator_traitsISI_E10value_typeET2_T3_PNSJ_ISO_E10value_typeET4_T5_PST_SU_PNS1_23onesweep_lookback_stateEbbT6_jjT7_P12ihipStream_tbENKUlT_T0_SI_SN_E_clISD_PiSD_S15_EEDaS11_S12_SI_SN_EUlS11_E_NS1_11comp_targetILNS1_3genE9ELNS1_11target_archE1100ELNS1_3gpuE3ELNS1_3repE0EEENS1_47radix_sort_onesweep_sort_config_static_selectorELNS0_4arch9wavefront6targetE0EEEvSI_
	.globl	_ZN7rocprim17ROCPRIM_400000_NS6detail17trampoline_kernelINS0_14default_configENS1_35radix_sort_onesweep_config_selectorIiiEEZZNS1_29radix_sort_onesweep_iterationIS3_Lb0EN6thrust23THRUST_200600_302600_NS6detail15normal_iteratorINS8_10device_ptrIiEEEESD_SD_SD_jNS0_19identity_decomposerENS1_16block_id_wrapperIjLb0EEEEE10hipError_tT1_PNSt15iterator_traitsISI_E10value_typeET2_T3_PNSJ_ISO_E10value_typeET4_T5_PST_SU_PNS1_23onesweep_lookback_stateEbbT6_jjT7_P12ihipStream_tbENKUlT_T0_SI_SN_E_clISD_PiSD_S15_EEDaS11_S12_SI_SN_EUlS11_E_NS1_11comp_targetILNS1_3genE9ELNS1_11target_archE1100ELNS1_3gpuE3ELNS1_3repE0EEENS1_47radix_sort_onesweep_sort_config_static_selectorELNS0_4arch9wavefront6targetE0EEEvSI_
	.p2align	8
	.type	_ZN7rocprim17ROCPRIM_400000_NS6detail17trampoline_kernelINS0_14default_configENS1_35radix_sort_onesweep_config_selectorIiiEEZZNS1_29radix_sort_onesweep_iterationIS3_Lb0EN6thrust23THRUST_200600_302600_NS6detail15normal_iteratorINS8_10device_ptrIiEEEESD_SD_SD_jNS0_19identity_decomposerENS1_16block_id_wrapperIjLb0EEEEE10hipError_tT1_PNSt15iterator_traitsISI_E10value_typeET2_T3_PNSJ_ISO_E10value_typeET4_T5_PST_SU_PNS1_23onesweep_lookback_stateEbbT6_jjT7_P12ihipStream_tbENKUlT_T0_SI_SN_E_clISD_PiSD_S15_EEDaS11_S12_SI_SN_EUlS11_E_NS1_11comp_targetILNS1_3genE9ELNS1_11target_archE1100ELNS1_3gpuE3ELNS1_3repE0EEENS1_47radix_sort_onesweep_sort_config_static_selectorELNS0_4arch9wavefront6targetE0EEEvSI_,@function
_ZN7rocprim17ROCPRIM_400000_NS6detail17trampoline_kernelINS0_14default_configENS1_35radix_sort_onesweep_config_selectorIiiEEZZNS1_29radix_sort_onesweep_iterationIS3_Lb0EN6thrust23THRUST_200600_302600_NS6detail15normal_iteratorINS8_10device_ptrIiEEEESD_SD_SD_jNS0_19identity_decomposerENS1_16block_id_wrapperIjLb0EEEEE10hipError_tT1_PNSt15iterator_traitsISI_E10value_typeET2_T3_PNSJ_ISO_E10value_typeET4_T5_PST_SU_PNS1_23onesweep_lookback_stateEbbT6_jjT7_P12ihipStream_tbENKUlT_T0_SI_SN_E_clISD_PiSD_S15_EEDaS11_S12_SI_SN_EUlS11_E_NS1_11comp_targetILNS1_3genE9ELNS1_11target_archE1100ELNS1_3gpuE3ELNS1_3repE0EEENS1_47radix_sort_onesweep_sort_config_static_selectorELNS0_4arch9wavefront6targetE0EEEvSI_: ; @_ZN7rocprim17ROCPRIM_400000_NS6detail17trampoline_kernelINS0_14default_configENS1_35radix_sort_onesweep_config_selectorIiiEEZZNS1_29radix_sort_onesweep_iterationIS3_Lb0EN6thrust23THRUST_200600_302600_NS6detail15normal_iteratorINS8_10device_ptrIiEEEESD_SD_SD_jNS0_19identity_decomposerENS1_16block_id_wrapperIjLb0EEEEE10hipError_tT1_PNSt15iterator_traitsISI_E10value_typeET2_T3_PNSJ_ISO_E10value_typeET4_T5_PST_SU_PNS1_23onesweep_lookback_stateEbbT6_jjT7_P12ihipStream_tbENKUlT_T0_SI_SN_E_clISD_PiSD_S15_EEDaS11_S12_SI_SN_EUlS11_E_NS1_11comp_targetILNS1_3genE9ELNS1_11target_archE1100ELNS1_3gpuE3ELNS1_3repE0EEENS1_47radix_sort_onesweep_sort_config_static_selectorELNS0_4arch9wavefront6targetE0EEEvSI_
; %bb.0:
	.section	.rodata,"a",@progbits
	.p2align	6, 0x0
	.amdhsa_kernel _ZN7rocprim17ROCPRIM_400000_NS6detail17trampoline_kernelINS0_14default_configENS1_35radix_sort_onesweep_config_selectorIiiEEZZNS1_29radix_sort_onesweep_iterationIS3_Lb0EN6thrust23THRUST_200600_302600_NS6detail15normal_iteratorINS8_10device_ptrIiEEEESD_SD_SD_jNS0_19identity_decomposerENS1_16block_id_wrapperIjLb0EEEEE10hipError_tT1_PNSt15iterator_traitsISI_E10value_typeET2_T3_PNSJ_ISO_E10value_typeET4_T5_PST_SU_PNS1_23onesweep_lookback_stateEbbT6_jjT7_P12ihipStream_tbENKUlT_T0_SI_SN_E_clISD_PiSD_S15_EEDaS11_S12_SI_SN_EUlS11_E_NS1_11comp_targetILNS1_3genE9ELNS1_11target_archE1100ELNS1_3gpuE3ELNS1_3repE0EEENS1_47radix_sort_onesweep_sort_config_static_selectorELNS0_4arch9wavefront6targetE0EEEvSI_
		.amdhsa_group_segment_fixed_size 0
		.amdhsa_private_segment_fixed_size 0
		.amdhsa_kernarg_size 88
		.amdhsa_user_sgpr_count 6
		.amdhsa_user_sgpr_private_segment_buffer 1
		.amdhsa_user_sgpr_dispatch_ptr 0
		.amdhsa_user_sgpr_queue_ptr 0
		.amdhsa_user_sgpr_kernarg_segment_ptr 1
		.amdhsa_user_sgpr_dispatch_id 0
		.amdhsa_user_sgpr_flat_scratch_init 0
		.amdhsa_user_sgpr_private_segment_size 0
		.amdhsa_wavefront_size32 1
		.amdhsa_uses_dynamic_stack 0
		.amdhsa_system_sgpr_private_segment_wavefront_offset 0
		.amdhsa_system_sgpr_workgroup_id_x 1
		.amdhsa_system_sgpr_workgroup_id_y 0
		.amdhsa_system_sgpr_workgroup_id_z 0
		.amdhsa_system_sgpr_workgroup_info 0
		.amdhsa_system_vgpr_workitem_id 0
		.amdhsa_next_free_vgpr 1
		.amdhsa_next_free_sgpr 1
		.amdhsa_reserve_vcc 0
		.amdhsa_reserve_flat_scratch 0
		.amdhsa_float_round_mode_32 0
		.amdhsa_float_round_mode_16_64 0
		.amdhsa_float_denorm_mode_32 3
		.amdhsa_float_denorm_mode_16_64 3
		.amdhsa_dx10_clamp 1
		.amdhsa_ieee_mode 1
		.amdhsa_fp16_overflow 0
		.amdhsa_workgroup_processor_mode 1
		.amdhsa_memory_ordered 1
		.amdhsa_forward_progress 1
		.amdhsa_shared_vgpr_count 0
		.amdhsa_exception_fp_ieee_invalid_op 0
		.amdhsa_exception_fp_denorm_src 0
		.amdhsa_exception_fp_ieee_div_zero 0
		.amdhsa_exception_fp_ieee_overflow 0
		.amdhsa_exception_fp_ieee_underflow 0
		.amdhsa_exception_fp_ieee_inexact 0
		.amdhsa_exception_int_div_zero 0
	.end_amdhsa_kernel
	.section	.text._ZN7rocprim17ROCPRIM_400000_NS6detail17trampoline_kernelINS0_14default_configENS1_35radix_sort_onesweep_config_selectorIiiEEZZNS1_29radix_sort_onesweep_iterationIS3_Lb0EN6thrust23THRUST_200600_302600_NS6detail15normal_iteratorINS8_10device_ptrIiEEEESD_SD_SD_jNS0_19identity_decomposerENS1_16block_id_wrapperIjLb0EEEEE10hipError_tT1_PNSt15iterator_traitsISI_E10value_typeET2_T3_PNSJ_ISO_E10value_typeET4_T5_PST_SU_PNS1_23onesweep_lookback_stateEbbT6_jjT7_P12ihipStream_tbENKUlT_T0_SI_SN_E_clISD_PiSD_S15_EEDaS11_S12_SI_SN_EUlS11_E_NS1_11comp_targetILNS1_3genE9ELNS1_11target_archE1100ELNS1_3gpuE3ELNS1_3repE0EEENS1_47radix_sort_onesweep_sort_config_static_selectorELNS0_4arch9wavefront6targetE0EEEvSI_,"axG",@progbits,_ZN7rocprim17ROCPRIM_400000_NS6detail17trampoline_kernelINS0_14default_configENS1_35radix_sort_onesweep_config_selectorIiiEEZZNS1_29radix_sort_onesweep_iterationIS3_Lb0EN6thrust23THRUST_200600_302600_NS6detail15normal_iteratorINS8_10device_ptrIiEEEESD_SD_SD_jNS0_19identity_decomposerENS1_16block_id_wrapperIjLb0EEEEE10hipError_tT1_PNSt15iterator_traitsISI_E10value_typeET2_T3_PNSJ_ISO_E10value_typeET4_T5_PST_SU_PNS1_23onesweep_lookback_stateEbbT6_jjT7_P12ihipStream_tbENKUlT_T0_SI_SN_E_clISD_PiSD_S15_EEDaS11_S12_SI_SN_EUlS11_E_NS1_11comp_targetILNS1_3genE9ELNS1_11target_archE1100ELNS1_3gpuE3ELNS1_3repE0EEENS1_47radix_sort_onesweep_sort_config_static_selectorELNS0_4arch9wavefront6targetE0EEEvSI_,comdat
.Lfunc_end865:
	.size	_ZN7rocprim17ROCPRIM_400000_NS6detail17trampoline_kernelINS0_14default_configENS1_35radix_sort_onesweep_config_selectorIiiEEZZNS1_29radix_sort_onesweep_iterationIS3_Lb0EN6thrust23THRUST_200600_302600_NS6detail15normal_iteratorINS8_10device_ptrIiEEEESD_SD_SD_jNS0_19identity_decomposerENS1_16block_id_wrapperIjLb0EEEEE10hipError_tT1_PNSt15iterator_traitsISI_E10value_typeET2_T3_PNSJ_ISO_E10value_typeET4_T5_PST_SU_PNS1_23onesweep_lookback_stateEbbT6_jjT7_P12ihipStream_tbENKUlT_T0_SI_SN_E_clISD_PiSD_S15_EEDaS11_S12_SI_SN_EUlS11_E_NS1_11comp_targetILNS1_3genE9ELNS1_11target_archE1100ELNS1_3gpuE3ELNS1_3repE0EEENS1_47radix_sort_onesweep_sort_config_static_selectorELNS0_4arch9wavefront6targetE0EEEvSI_, .Lfunc_end865-_ZN7rocprim17ROCPRIM_400000_NS6detail17trampoline_kernelINS0_14default_configENS1_35radix_sort_onesweep_config_selectorIiiEEZZNS1_29radix_sort_onesweep_iterationIS3_Lb0EN6thrust23THRUST_200600_302600_NS6detail15normal_iteratorINS8_10device_ptrIiEEEESD_SD_SD_jNS0_19identity_decomposerENS1_16block_id_wrapperIjLb0EEEEE10hipError_tT1_PNSt15iterator_traitsISI_E10value_typeET2_T3_PNSJ_ISO_E10value_typeET4_T5_PST_SU_PNS1_23onesweep_lookback_stateEbbT6_jjT7_P12ihipStream_tbENKUlT_T0_SI_SN_E_clISD_PiSD_S15_EEDaS11_S12_SI_SN_EUlS11_E_NS1_11comp_targetILNS1_3genE9ELNS1_11target_archE1100ELNS1_3gpuE3ELNS1_3repE0EEENS1_47radix_sort_onesweep_sort_config_static_selectorELNS0_4arch9wavefront6targetE0EEEvSI_
                                        ; -- End function
	.set _ZN7rocprim17ROCPRIM_400000_NS6detail17trampoline_kernelINS0_14default_configENS1_35radix_sort_onesweep_config_selectorIiiEEZZNS1_29radix_sort_onesweep_iterationIS3_Lb0EN6thrust23THRUST_200600_302600_NS6detail15normal_iteratorINS8_10device_ptrIiEEEESD_SD_SD_jNS0_19identity_decomposerENS1_16block_id_wrapperIjLb0EEEEE10hipError_tT1_PNSt15iterator_traitsISI_E10value_typeET2_T3_PNSJ_ISO_E10value_typeET4_T5_PST_SU_PNS1_23onesweep_lookback_stateEbbT6_jjT7_P12ihipStream_tbENKUlT_T0_SI_SN_E_clISD_PiSD_S15_EEDaS11_S12_SI_SN_EUlS11_E_NS1_11comp_targetILNS1_3genE9ELNS1_11target_archE1100ELNS1_3gpuE3ELNS1_3repE0EEENS1_47radix_sort_onesweep_sort_config_static_selectorELNS0_4arch9wavefront6targetE0EEEvSI_.num_vgpr, 0
	.set _ZN7rocprim17ROCPRIM_400000_NS6detail17trampoline_kernelINS0_14default_configENS1_35radix_sort_onesweep_config_selectorIiiEEZZNS1_29radix_sort_onesweep_iterationIS3_Lb0EN6thrust23THRUST_200600_302600_NS6detail15normal_iteratorINS8_10device_ptrIiEEEESD_SD_SD_jNS0_19identity_decomposerENS1_16block_id_wrapperIjLb0EEEEE10hipError_tT1_PNSt15iterator_traitsISI_E10value_typeET2_T3_PNSJ_ISO_E10value_typeET4_T5_PST_SU_PNS1_23onesweep_lookback_stateEbbT6_jjT7_P12ihipStream_tbENKUlT_T0_SI_SN_E_clISD_PiSD_S15_EEDaS11_S12_SI_SN_EUlS11_E_NS1_11comp_targetILNS1_3genE9ELNS1_11target_archE1100ELNS1_3gpuE3ELNS1_3repE0EEENS1_47radix_sort_onesweep_sort_config_static_selectorELNS0_4arch9wavefront6targetE0EEEvSI_.num_agpr, 0
	.set _ZN7rocprim17ROCPRIM_400000_NS6detail17trampoline_kernelINS0_14default_configENS1_35radix_sort_onesweep_config_selectorIiiEEZZNS1_29radix_sort_onesweep_iterationIS3_Lb0EN6thrust23THRUST_200600_302600_NS6detail15normal_iteratorINS8_10device_ptrIiEEEESD_SD_SD_jNS0_19identity_decomposerENS1_16block_id_wrapperIjLb0EEEEE10hipError_tT1_PNSt15iterator_traitsISI_E10value_typeET2_T3_PNSJ_ISO_E10value_typeET4_T5_PST_SU_PNS1_23onesweep_lookback_stateEbbT6_jjT7_P12ihipStream_tbENKUlT_T0_SI_SN_E_clISD_PiSD_S15_EEDaS11_S12_SI_SN_EUlS11_E_NS1_11comp_targetILNS1_3genE9ELNS1_11target_archE1100ELNS1_3gpuE3ELNS1_3repE0EEENS1_47radix_sort_onesweep_sort_config_static_selectorELNS0_4arch9wavefront6targetE0EEEvSI_.numbered_sgpr, 0
	.set _ZN7rocprim17ROCPRIM_400000_NS6detail17trampoline_kernelINS0_14default_configENS1_35radix_sort_onesweep_config_selectorIiiEEZZNS1_29radix_sort_onesweep_iterationIS3_Lb0EN6thrust23THRUST_200600_302600_NS6detail15normal_iteratorINS8_10device_ptrIiEEEESD_SD_SD_jNS0_19identity_decomposerENS1_16block_id_wrapperIjLb0EEEEE10hipError_tT1_PNSt15iterator_traitsISI_E10value_typeET2_T3_PNSJ_ISO_E10value_typeET4_T5_PST_SU_PNS1_23onesweep_lookback_stateEbbT6_jjT7_P12ihipStream_tbENKUlT_T0_SI_SN_E_clISD_PiSD_S15_EEDaS11_S12_SI_SN_EUlS11_E_NS1_11comp_targetILNS1_3genE9ELNS1_11target_archE1100ELNS1_3gpuE3ELNS1_3repE0EEENS1_47radix_sort_onesweep_sort_config_static_selectorELNS0_4arch9wavefront6targetE0EEEvSI_.num_named_barrier, 0
	.set _ZN7rocprim17ROCPRIM_400000_NS6detail17trampoline_kernelINS0_14default_configENS1_35radix_sort_onesweep_config_selectorIiiEEZZNS1_29radix_sort_onesweep_iterationIS3_Lb0EN6thrust23THRUST_200600_302600_NS6detail15normal_iteratorINS8_10device_ptrIiEEEESD_SD_SD_jNS0_19identity_decomposerENS1_16block_id_wrapperIjLb0EEEEE10hipError_tT1_PNSt15iterator_traitsISI_E10value_typeET2_T3_PNSJ_ISO_E10value_typeET4_T5_PST_SU_PNS1_23onesweep_lookback_stateEbbT6_jjT7_P12ihipStream_tbENKUlT_T0_SI_SN_E_clISD_PiSD_S15_EEDaS11_S12_SI_SN_EUlS11_E_NS1_11comp_targetILNS1_3genE9ELNS1_11target_archE1100ELNS1_3gpuE3ELNS1_3repE0EEENS1_47radix_sort_onesweep_sort_config_static_selectorELNS0_4arch9wavefront6targetE0EEEvSI_.private_seg_size, 0
	.set _ZN7rocprim17ROCPRIM_400000_NS6detail17trampoline_kernelINS0_14default_configENS1_35radix_sort_onesweep_config_selectorIiiEEZZNS1_29radix_sort_onesweep_iterationIS3_Lb0EN6thrust23THRUST_200600_302600_NS6detail15normal_iteratorINS8_10device_ptrIiEEEESD_SD_SD_jNS0_19identity_decomposerENS1_16block_id_wrapperIjLb0EEEEE10hipError_tT1_PNSt15iterator_traitsISI_E10value_typeET2_T3_PNSJ_ISO_E10value_typeET4_T5_PST_SU_PNS1_23onesweep_lookback_stateEbbT6_jjT7_P12ihipStream_tbENKUlT_T0_SI_SN_E_clISD_PiSD_S15_EEDaS11_S12_SI_SN_EUlS11_E_NS1_11comp_targetILNS1_3genE9ELNS1_11target_archE1100ELNS1_3gpuE3ELNS1_3repE0EEENS1_47radix_sort_onesweep_sort_config_static_selectorELNS0_4arch9wavefront6targetE0EEEvSI_.uses_vcc, 0
	.set _ZN7rocprim17ROCPRIM_400000_NS6detail17trampoline_kernelINS0_14default_configENS1_35radix_sort_onesweep_config_selectorIiiEEZZNS1_29radix_sort_onesweep_iterationIS3_Lb0EN6thrust23THRUST_200600_302600_NS6detail15normal_iteratorINS8_10device_ptrIiEEEESD_SD_SD_jNS0_19identity_decomposerENS1_16block_id_wrapperIjLb0EEEEE10hipError_tT1_PNSt15iterator_traitsISI_E10value_typeET2_T3_PNSJ_ISO_E10value_typeET4_T5_PST_SU_PNS1_23onesweep_lookback_stateEbbT6_jjT7_P12ihipStream_tbENKUlT_T0_SI_SN_E_clISD_PiSD_S15_EEDaS11_S12_SI_SN_EUlS11_E_NS1_11comp_targetILNS1_3genE9ELNS1_11target_archE1100ELNS1_3gpuE3ELNS1_3repE0EEENS1_47radix_sort_onesweep_sort_config_static_selectorELNS0_4arch9wavefront6targetE0EEEvSI_.uses_flat_scratch, 0
	.set _ZN7rocprim17ROCPRIM_400000_NS6detail17trampoline_kernelINS0_14default_configENS1_35radix_sort_onesweep_config_selectorIiiEEZZNS1_29radix_sort_onesweep_iterationIS3_Lb0EN6thrust23THRUST_200600_302600_NS6detail15normal_iteratorINS8_10device_ptrIiEEEESD_SD_SD_jNS0_19identity_decomposerENS1_16block_id_wrapperIjLb0EEEEE10hipError_tT1_PNSt15iterator_traitsISI_E10value_typeET2_T3_PNSJ_ISO_E10value_typeET4_T5_PST_SU_PNS1_23onesweep_lookback_stateEbbT6_jjT7_P12ihipStream_tbENKUlT_T0_SI_SN_E_clISD_PiSD_S15_EEDaS11_S12_SI_SN_EUlS11_E_NS1_11comp_targetILNS1_3genE9ELNS1_11target_archE1100ELNS1_3gpuE3ELNS1_3repE0EEENS1_47radix_sort_onesweep_sort_config_static_selectorELNS0_4arch9wavefront6targetE0EEEvSI_.has_dyn_sized_stack, 0
	.set _ZN7rocprim17ROCPRIM_400000_NS6detail17trampoline_kernelINS0_14default_configENS1_35radix_sort_onesweep_config_selectorIiiEEZZNS1_29radix_sort_onesweep_iterationIS3_Lb0EN6thrust23THRUST_200600_302600_NS6detail15normal_iteratorINS8_10device_ptrIiEEEESD_SD_SD_jNS0_19identity_decomposerENS1_16block_id_wrapperIjLb0EEEEE10hipError_tT1_PNSt15iterator_traitsISI_E10value_typeET2_T3_PNSJ_ISO_E10value_typeET4_T5_PST_SU_PNS1_23onesweep_lookback_stateEbbT6_jjT7_P12ihipStream_tbENKUlT_T0_SI_SN_E_clISD_PiSD_S15_EEDaS11_S12_SI_SN_EUlS11_E_NS1_11comp_targetILNS1_3genE9ELNS1_11target_archE1100ELNS1_3gpuE3ELNS1_3repE0EEENS1_47radix_sort_onesweep_sort_config_static_selectorELNS0_4arch9wavefront6targetE0EEEvSI_.has_recursion, 0
	.set _ZN7rocprim17ROCPRIM_400000_NS6detail17trampoline_kernelINS0_14default_configENS1_35radix_sort_onesweep_config_selectorIiiEEZZNS1_29radix_sort_onesweep_iterationIS3_Lb0EN6thrust23THRUST_200600_302600_NS6detail15normal_iteratorINS8_10device_ptrIiEEEESD_SD_SD_jNS0_19identity_decomposerENS1_16block_id_wrapperIjLb0EEEEE10hipError_tT1_PNSt15iterator_traitsISI_E10value_typeET2_T3_PNSJ_ISO_E10value_typeET4_T5_PST_SU_PNS1_23onesweep_lookback_stateEbbT6_jjT7_P12ihipStream_tbENKUlT_T0_SI_SN_E_clISD_PiSD_S15_EEDaS11_S12_SI_SN_EUlS11_E_NS1_11comp_targetILNS1_3genE9ELNS1_11target_archE1100ELNS1_3gpuE3ELNS1_3repE0EEENS1_47radix_sort_onesweep_sort_config_static_selectorELNS0_4arch9wavefront6targetE0EEEvSI_.has_indirect_call, 0
	.section	.AMDGPU.csdata,"",@progbits
; Kernel info:
; codeLenInByte = 0
; TotalNumSgprs: 0
; NumVgprs: 0
; ScratchSize: 0
; MemoryBound: 0
; FloatMode: 240
; IeeeMode: 1
; LDSByteSize: 0 bytes/workgroup (compile time only)
; SGPRBlocks: 0
; VGPRBlocks: 0
; NumSGPRsForWavesPerEU: 1
; NumVGPRsForWavesPerEU: 1
; Occupancy: 16
; WaveLimiterHint : 0
; COMPUTE_PGM_RSRC2:SCRATCH_EN: 0
; COMPUTE_PGM_RSRC2:USER_SGPR: 6
; COMPUTE_PGM_RSRC2:TRAP_HANDLER: 0
; COMPUTE_PGM_RSRC2:TGID_X_EN: 1
; COMPUTE_PGM_RSRC2:TGID_Y_EN: 0
; COMPUTE_PGM_RSRC2:TGID_Z_EN: 0
; COMPUTE_PGM_RSRC2:TIDIG_COMP_CNT: 0
	.section	.text._ZN7rocprim17ROCPRIM_400000_NS6detail17trampoline_kernelINS0_14default_configENS1_35radix_sort_onesweep_config_selectorIiiEEZZNS1_29radix_sort_onesweep_iterationIS3_Lb0EN6thrust23THRUST_200600_302600_NS6detail15normal_iteratorINS8_10device_ptrIiEEEESD_SD_SD_jNS0_19identity_decomposerENS1_16block_id_wrapperIjLb0EEEEE10hipError_tT1_PNSt15iterator_traitsISI_E10value_typeET2_T3_PNSJ_ISO_E10value_typeET4_T5_PST_SU_PNS1_23onesweep_lookback_stateEbbT6_jjT7_P12ihipStream_tbENKUlT_T0_SI_SN_E_clISD_PiSD_S15_EEDaS11_S12_SI_SN_EUlS11_E_NS1_11comp_targetILNS1_3genE8ELNS1_11target_archE1030ELNS1_3gpuE2ELNS1_3repE0EEENS1_47radix_sort_onesweep_sort_config_static_selectorELNS0_4arch9wavefront6targetE0EEEvSI_,"axG",@progbits,_ZN7rocprim17ROCPRIM_400000_NS6detail17trampoline_kernelINS0_14default_configENS1_35radix_sort_onesweep_config_selectorIiiEEZZNS1_29radix_sort_onesweep_iterationIS3_Lb0EN6thrust23THRUST_200600_302600_NS6detail15normal_iteratorINS8_10device_ptrIiEEEESD_SD_SD_jNS0_19identity_decomposerENS1_16block_id_wrapperIjLb0EEEEE10hipError_tT1_PNSt15iterator_traitsISI_E10value_typeET2_T3_PNSJ_ISO_E10value_typeET4_T5_PST_SU_PNS1_23onesweep_lookback_stateEbbT6_jjT7_P12ihipStream_tbENKUlT_T0_SI_SN_E_clISD_PiSD_S15_EEDaS11_S12_SI_SN_EUlS11_E_NS1_11comp_targetILNS1_3genE8ELNS1_11target_archE1030ELNS1_3gpuE2ELNS1_3repE0EEENS1_47radix_sort_onesweep_sort_config_static_selectorELNS0_4arch9wavefront6targetE0EEEvSI_,comdat
	.protected	_ZN7rocprim17ROCPRIM_400000_NS6detail17trampoline_kernelINS0_14default_configENS1_35radix_sort_onesweep_config_selectorIiiEEZZNS1_29radix_sort_onesweep_iterationIS3_Lb0EN6thrust23THRUST_200600_302600_NS6detail15normal_iteratorINS8_10device_ptrIiEEEESD_SD_SD_jNS0_19identity_decomposerENS1_16block_id_wrapperIjLb0EEEEE10hipError_tT1_PNSt15iterator_traitsISI_E10value_typeET2_T3_PNSJ_ISO_E10value_typeET4_T5_PST_SU_PNS1_23onesweep_lookback_stateEbbT6_jjT7_P12ihipStream_tbENKUlT_T0_SI_SN_E_clISD_PiSD_S15_EEDaS11_S12_SI_SN_EUlS11_E_NS1_11comp_targetILNS1_3genE8ELNS1_11target_archE1030ELNS1_3gpuE2ELNS1_3repE0EEENS1_47radix_sort_onesweep_sort_config_static_selectorELNS0_4arch9wavefront6targetE0EEEvSI_ ; -- Begin function _ZN7rocprim17ROCPRIM_400000_NS6detail17trampoline_kernelINS0_14default_configENS1_35radix_sort_onesweep_config_selectorIiiEEZZNS1_29radix_sort_onesweep_iterationIS3_Lb0EN6thrust23THRUST_200600_302600_NS6detail15normal_iteratorINS8_10device_ptrIiEEEESD_SD_SD_jNS0_19identity_decomposerENS1_16block_id_wrapperIjLb0EEEEE10hipError_tT1_PNSt15iterator_traitsISI_E10value_typeET2_T3_PNSJ_ISO_E10value_typeET4_T5_PST_SU_PNS1_23onesweep_lookback_stateEbbT6_jjT7_P12ihipStream_tbENKUlT_T0_SI_SN_E_clISD_PiSD_S15_EEDaS11_S12_SI_SN_EUlS11_E_NS1_11comp_targetILNS1_3genE8ELNS1_11target_archE1030ELNS1_3gpuE2ELNS1_3repE0EEENS1_47radix_sort_onesweep_sort_config_static_selectorELNS0_4arch9wavefront6targetE0EEEvSI_
	.globl	_ZN7rocprim17ROCPRIM_400000_NS6detail17trampoline_kernelINS0_14default_configENS1_35radix_sort_onesweep_config_selectorIiiEEZZNS1_29radix_sort_onesweep_iterationIS3_Lb0EN6thrust23THRUST_200600_302600_NS6detail15normal_iteratorINS8_10device_ptrIiEEEESD_SD_SD_jNS0_19identity_decomposerENS1_16block_id_wrapperIjLb0EEEEE10hipError_tT1_PNSt15iterator_traitsISI_E10value_typeET2_T3_PNSJ_ISO_E10value_typeET4_T5_PST_SU_PNS1_23onesweep_lookback_stateEbbT6_jjT7_P12ihipStream_tbENKUlT_T0_SI_SN_E_clISD_PiSD_S15_EEDaS11_S12_SI_SN_EUlS11_E_NS1_11comp_targetILNS1_3genE8ELNS1_11target_archE1030ELNS1_3gpuE2ELNS1_3repE0EEENS1_47radix_sort_onesweep_sort_config_static_selectorELNS0_4arch9wavefront6targetE0EEEvSI_
	.p2align	8
	.type	_ZN7rocprim17ROCPRIM_400000_NS6detail17trampoline_kernelINS0_14default_configENS1_35radix_sort_onesweep_config_selectorIiiEEZZNS1_29radix_sort_onesweep_iterationIS3_Lb0EN6thrust23THRUST_200600_302600_NS6detail15normal_iteratorINS8_10device_ptrIiEEEESD_SD_SD_jNS0_19identity_decomposerENS1_16block_id_wrapperIjLb0EEEEE10hipError_tT1_PNSt15iterator_traitsISI_E10value_typeET2_T3_PNSJ_ISO_E10value_typeET4_T5_PST_SU_PNS1_23onesweep_lookback_stateEbbT6_jjT7_P12ihipStream_tbENKUlT_T0_SI_SN_E_clISD_PiSD_S15_EEDaS11_S12_SI_SN_EUlS11_E_NS1_11comp_targetILNS1_3genE8ELNS1_11target_archE1030ELNS1_3gpuE2ELNS1_3repE0EEENS1_47radix_sort_onesweep_sort_config_static_selectorELNS0_4arch9wavefront6targetE0EEEvSI_,@function
_ZN7rocprim17ROCPRIM_400000_NS6detail17trampoline_kernelINS0_14default_configENS1_35radix_sort_onesweep_config_selectorIiiEEZZNS1_29radix_sort_onesweep_iterationIS3_Lb0EN6thrust23THRUST_200600_302600_NS6detail15normal_iteratorINS8_10device_ptrIiEEEESD_SD_SD_jNS0_19identity_decomposerENS1_16block_id_wrapperIjLb0EEEEE10hipError_tT1_PNSt15iterator_traitsISI_E10value_typeET2_T3_PNSJ_ISO_E10value_typeET4_T5_PST_SU_PNS1_23onesweep_lookback_stateEbbT6_jjT7_P12ihipStream_tbENKUlT_T0_SI_SN_E_clISD_PiSD_S15_EEDaS11_S12_SI_SN_EUlS11_E_NS1_11comp_targetILNS1_3genE8ELNS1_11target_archE1030ELNS1_3gpuE2ELNS1_3repE0EEENS1_47radix_sort_onesweep_sort_config_static_selectorELNS0_4arch9wavefront6targetE0EEEvSI_: ; @_ZN7rocprim17ROCPRIM_400000_NS6detail17trampoline_kernelINS0_14default_configENS1_35radix_sort_onesweep_config_selectorIiiEEZZNS1_29radix_sort_onesweep_iterationIS3_Lb0EN6thrust23THRUST_200600_302600_NS6detail15normal_iteratorINS8_10device_ptrIiEEEESD_SD_SD_jNS0_19identity_decomposerENS1_16block_id_wrapperIjLb0EEEEE10hipError_tT1_PNSt15iterator_traitsISI_E10value_typeET2_T3_PNSJ_ISO_E10value_typeET4_T5_PST_SU_PNS1_23onesweep_lookback_stateEbbT6_jjT7_P12ihipStream_tbENKUlT_T0_SI_SN_E_clISD_PiSD_S15_EEDaS11_S12_SI_SN_EUlS11_E_NS1_11comp_targetILNS1_3genE8ELNS1_11target_archE1030ELNS1_3gpuE2ELNS1_3repE0EEENS1_47radix_sort_onesweep_sort_config_static_selectorELNS0_4arch9wavefront6targetE0EEEvSI_
; %bb.0:
	s_clause 0x3
	s_load_dwordx4 s[44:47], s[4:5], 0x44
	s_load_dwordx8 s[36:43], s[4:5], 0x0
	s_load_dwordx4 s[28:31], s[4:5], 0x28
	s_load_dwordx2 s[26:27], s[4:5], 0x38
	v_mbcnt_lo_u32_b32 v11, -1, 0
	v_and_b32_e32 v12, 0x3e0, v0
	s_add_u32 s0, s0, s7
	s_addc_u32 s1, s1, 0
	s_mov_b32 s7, -1
	s_mul_i32 s34, s6, 0x3000
	s_waitcnt lgkmcnt(0)
	s_cmp_ge_u32 s6, s46
	s_cbranch_scc0 .LBB866_132
; %bb.1:
	s_load_dword s25, s[4:5], 0x20
	s_mov_b32 s35, 0
	s_mul_i32 s7, s46, 0xffffd000
	v_mul_u32_u24_e32 v3, 12, v12
	v_lshlrev_b32_e32 v13, 2, v11
	s_lshl_b64 s[46:47], s[34:35], 2
	v_mov_b32_e32 v15, -1
	v_mov_b32_e32 v16, -1
	v_lshlrev_b32_e32 v14, 2, v3
	v_or_b32_e32 v5, v11, v3
	s_waitcnt lgkmcnt(0)
	s_add_i32 s25, s25, s7
	s_add_u32 s7, s36, s46
	s_addc_u32 s8, s37, s47
	v_add_co_u32 v3, s7, s7, v13
	v_add_co_ci_u32_e64 v4, null, s8, 0, s7
	v_cmp_gt_u32_e64 s7, s25, v5
	v_add_co_u32 v3, vcc_lo, v3, v14
	v_add_co_ci_u32_e64 v4, null, 0, v4, vcc_lo
	s_and_saveexec_b32 s8, s7
	s_cbranch_execz .LBB866_3
; %bb.2:
	global_load_dword v6, v[3:4], off
	s_waitcnt vmcnt(0)
	v_xor_b32_e32 v16, 0x80000000, v6
.LBB866_3:
	s_or_b32 exec_lo, exec_lo, s8
	v_or_b32_e32 v6, 32, v5
	v_cmp_gt_u32_e64 s8, s25, v6
	s_and_saveexec_b32 s9, s8
	s_cbranch_execz .LBB866_5
; %bb.4:
	global_load_dword v6, v[3:4], off offset:128
	s_waitcnt vmcnt(0)
	v_xor_b32_e32 v15, 0x80000000, v6
.LBB866_5:
	s_or_b32 exec_lo, exec_lo, s9
	v_or_b32_e32 v6, 64, v5
	v_mov_b32_e32 v17, -1
	v_mov_b32_e32 v18, -1
	v_cmp_gt_u32_e64 s9, s25, v6
	s_and_saveexec_b32 s10, s9
	s_cbranch_execz .LBB866_7
; %bb.6:
	global_load_dword v6, v[3:4], off offset:256
	s_waitcnt vmcnt(0)
	v_xor_b32_e32 v18, 0x80000000, v6
.LBB866_7:
	s_or_b32 exec_lo, exec_lo, s10
	v_or_b32_e32 v6, 0x60, v5
	v_cmp_gt_u32_e64 s10, s25, v6
	s_and_saveexec_b32 s11, s10
	s_cbranch_execz .LBB866_9
; %bb.8:
	global_load_dword v6, v[3:4], off offset:384
	s_waitcnt vmcnt(0)
	v_xor_b32_e32 v17, 0x80000000, v6
.LBB866_9:
	s_or_b32 exec_lo, exec_lo, s11
	v_add_nc_u32_e32 v6, 0x80, v5
	v_mov_b32_e32 v19, -1
	v_mov_b32_e32 v20, -1
	v_cmp_gt_u32_e64 s11, s25, v6
	s_and_saveexec_b32 s12, s11
	s_cbranch_execz .LBB866_11
; %bb.10:
	global_load_dword v6, v[3:4], off offset:512
	s_waitcnt vmcnt(0)
	v_xor_b32_e32 v20, 0x80000000, v6
.LBB866_11:
	s_or_b32 exec_lo, exec_lo, s12
	v_add_nc_u32_e32 v6, 0xa0, v5
	v_cmp_gt_u32_e64 s12, s25, v6
	s_and_saveexec_b32 s13, s12
	s_cbranch_execz .LBB866_13
; %bb.12:
	global_load_dword v6, v[3:4], off offset:640
	s_waitcnt vmcnt(0)
	v_xor_b32_e32 v19, 0x80000000, v6
.LBB866_13:
	s_or_b32 exec_lo, exec_lo, s13
	v_add_nc_u32_e32 v6, 0xc0, v5
	v_mov_b32_e32 v21, -1
	v_mov_b32_e32 v22, -1
	v_cmp_gt_u32_e64 s13, s25, v6
	s_and_saveexec_b32 s14, s13
	s_cbranch_execz .LBB866_15
; %bb.14:
	global_load_dword v6, v[3:4], off offset:768
	s_waitcnt vmcnt(0)
	v_xor_b32_e32 v22, 0x80000000, v6
.LBB866_15:
	s_or_b32 exec_lo, exec_lo, s14
	v_add_nc_u32_e32 v6, 0xe0, v5
	;; [unrolled: 22-line block ×4, first 2 shown]
	v_cmp_gt_u32_e64 s18, s25, v5
	s_and_saveexec_b32 s19, s18
	s_cbranch_execz .LBB866_25
; %bb.24:
	global_load_dword v3, v[3:4], off offset:1408
	s_waitcnt vmcnt(0)
	v_xor_b32_e32 v25, 0x80000000, v3
.LBB866_25:
	s_or_b32 exec_lo, exec_lo, s19
	s_clause 0x1
	s_load_dword s19, s[4:5], 0x64
	s_load_dword s33, s[4:5], 0x58
	s_add_u32 s20, s4, 0x58
	s_addc_u32 s21, s5, 0
	v_mov_b32_e32 v5, 0
	v_lshrrev_b32_e32 v4, s44, v16
	s_waitcnt lgkmcnt(0)
	s_lshr_b32 s22, s19, 16
	s_cmp_lt_u32 s6, s33
	s_cselect_b32 s19, 12, 18
	s_add_u32 s20, s20, s19
	s_addc_u32 s21, s21, 0
	s_lshl_b32 s19, -1, s45
	global_load_ushort v3, v5, s[20:21]
	s_not_b32 s35, s19
	v_and_b32_e32 v6, s35, v4
	v_and_b32_e32 v4, 1, v6
	v_lshlrev_b32_e32 v7, 30, v6
	v_lshlrev_b32_e32 v8, 29, v6
	;; [unrolled: 1-line block ×4, first 2 shown]
	v_add_co_u32 v4, s19, v4, -1
	v_cndmask_b32_e64 v10, 0, 1, s19
	v_not_b32_e32 v30, v7
	v_cmp_gt_i32_e64 s19, 0, v7
	v_not_b32_e32 v7, v8
	v_lshlrev_b32_e32 v28, 26, v6
	v_cmp_ne_u32_e32 vcc_lo, 0, v10
	v_ashrrev_i32_e32 v30, 31, v30
	v_lshlrev_b32_e32 v29, 25, v6
	v_ashrrev_i32_e32 v7, 31, v7
	v_lshlrev_b32_e32 v10, 24, v6
	v_xor_b32_e32 v4, vcc_lo, v4
	v_cmp_gt_i32_e32 vcc_lo, 0, v8
	v_not_b32_e32 v8, v9
	v_xor_b32_e32 v30, s19, v30
	v_cmp_gt_i32_e64 s19, 0, v9
	v_and_b32_e32 v4, exec_lo, v4
	v_not_b32_e32 v9, v27
	v_ashrrev_i32_e32 v8, 31, v8
	v_xor_b32_e32 v7, vcc_lo, v7
	v_cmp_gt_i32_e32 vcc_lo, 0, v27
	v_and_b32_e32 v4, v4, v30
	v_not_b32_e32 v27, v28
	v_ashrrev_i32_e32 v9, 31, v9
	v_xor_b32_e32 v8, s19, v8
	v_cmp_gt_i32_e64 s19, 0, v28
	v_and_b32_e32 v4, v4, v7
	v_not_b32_e32 v7, v29
	v_ashrrev_i32_e32 v27, 31, v27
	v_xor_b32_e32 v9, vcc_lo, v9
	v_cmp_gt_i32_e32 vcc_lo, 0, v29
	v_and_b32_e32 v4, v4, v8
	v_not_b32_e32 v8, v10
	v_ashrrev_i32_e32 v7, 31, v7
	v_xor_b32_e32 v27, s19, v27
	v_cmp_gt_i32_e64 s19, 0, v10
	v_and_b32_e32 v4, v4, v9
	v_ashrrev_i32_e32 v8, 31, v8
	v_xor_b32_e32 v7, vcc_lo, v7
	v_mad_u32_u24 v9, v2, s22, v1
	v_mul_lo_u32 v6, 0x84, v6
	v_and_b32_e32 v4, v4, v27
	v_xor_b32_e32 v8, s19, v8
	v_mul_u32_u24_e32 v30, 36, v0
	ds_write2_b32 v30, v5, v5 offset0:32 offset1:33
	ds_write2_b32 v30, v5, v5 offset0:34 offset1:35
	;; [unrolled: 1-line block ×3, first 2 shown]
	v_and_b32_e32 v7, v4, v7
	ds_write2_b32 v30, v5, v5 offset0:38 offset1:39
	ds_write_b32 v30, v5 offset:160
	s_waitcnt vmcnt(0) lgkmcnt(0)
	s_barrier
	buffer_gl0_inv
	; wave barrier
	v_mad_u64_u32 v[3:4], null, v9, v3, v[0:1]
	v_and_b32_e32 v4, v7, v8
	v_mbcnt_lo_u32_b32 v27, v4, 0
	v_lshrrev_b32_e32 v3, 5, v3
	v_cmp_ne_u32_e64 s19, 0, v4
	v_cmp_eq_u32_e32 vcc_lo, 0, v27
	v_lshl_add_u32 v31, v3, 2, v6
	s_and_b32 s20, s19, vcc_lo
	s_and_saveexec_b32 s19, s20
; %bb.26:
	v_bcnt_u32_b32 v4, v4, 0
	ds_write_b32 v31, v4 offset:128
; %bb.27:
	s_or_b32 exec_lo, exec_lo, s19
	v_lshrrev_b32_e32 v4, s44, v15
	; wave barrier
	v_and_b32_e32 v4, s35, v4
	v_and_b32_e32 v6, 1, v4
	v_lshlrev_b32_e32 v7, 30, v4
	v_lshlrev_b32_e32 v8, 29, v4
	;; [unrolled: 1-line block ×4, first 2 shown]
	v_add_co_u32 v6, s19, v6, -1
	v_cndmask_b32_e64 v10, 0, 1, s19
	v_not_b32_e32 v33, v7
	v_cmp_gt_i32_e64 s19, 0, v7
	v_not_b32_e32 v7, v8
	v_lshlrev_b32_e32 v29, 26, v4
	v_cmp_ne_u32_e32 vcc_lo, 0, v10
	v_ashrrev_i32_e32 v10, 31, v33
	v_lshlrev_b32_e32 v32, 25, v4
	v_ashrrev_i32_e32 v7, 31, v7
	v_mul_lo_u32 v5, 0x84, v4
	v_xor_b32_e32 v6, vcc_lo, v6
	v_cmp_gt_i32_e32 vcc_lo, 0, v8
	v_not_b32_e32 v8, v9
	v_xor_b32_e32 v10, s19, v10
	v_cmp_gt_i32_e64 s19, 0, v9
	v_and_b32_e32 v6, exec_lo, v6
	v_not_b32_e32 v9, v28
	v_ashrrev_i32_e32 v8, 31, v8
	v_xor_b32_e32 v7, vcc_lo, v7
	v_cmp_gt_i32_e32 vcc_lo, 0, v28
	v_and_b32_e32 v6, v6, v10
	v_not_b32_e32 v10, v29
	v_ashrrev_i32_e32 v9, 31, v9
	v_xor_b32_e32 v8, s19, v8
	v_lshlrev_b32_e32 v4, 24, v4
	v_and_b32_e32 v6, v6, v7
	v_cmp_gt_i32_e64 s19, 0, v29
	v_not_b32_e32 v7, v32
	v_ashrrev_i32_e32 v10, 31, v10
	v_xor_b32_e32 v9, vcc_lo, v9
	v_and_b32_e32 v6, v6, v8
	v_cmp_gt_i32_e32 vcc_lo, 0, v32
	v_not_b32_e32 v8, v4
	v_ashrrev_i32_e32 v7, 31, v7
	v_xor_b32_e32 v10, s19, v10
	v_and_b32_e32 v6, v6, v9
	v_cmp_gt_i32_e64 s19, 0, v4
	v_ashrrev_i32_e32 v4, 31, v8
	v_xor_b32_e32 v7, vcc_lo, v7
	v_lshl_add_u32 v34, v3, 2, v5
	v_and_b32_e32 v6, v6, v10
	v_xor_b32_e32 v4, s19, v4
	ds_read_b32 v28, v34 offset:128
	v_and_b32_e32 v5, v6, v7
	; wave barrier
	v_and_b32_e32 v4, v5, v4
	v_mbcnt_lo_u32_b32 v29, v4, 0
	v_cmp_ne_u32_e64 s19, 0, v4
	v_cmp_eq_u32_e32 vcc_lo, 0, v29
	s_and_b32 s20, s19, vcc_lo
	s_and_saveexec_b32 s19, s20
	s_cbranch_execz .LBB866_29
; %bb.28:
	s_waitcnt lgkmcnt(0)
	v_bcnt_u32_b32 v4, v4, v28
	ds_write_b32 v34, v4 offset:128
.LBB866_29:
	s_or_b32 exec_lo, exec_lo, s19
	v_lshrrev_b32_e32 v4, s44, v18
	; wave barrier
	v_and_b32_e32 v4, s35, v4
	v_and_b32_e32 v6, 1, v4
	v_lshlrev_b32_e32 v7, 30, v4
	v_lshlrev_b32_e32 v8, 29, v4
	;; [unrolled: 1-line block ×4, first 2 shown]
	v_add_co_u32 v6, s19, v6, -1
	v_cndmask_b32_e64 v10, 0, 1, s19
	v_not_b32_e32 v36, v7
	v_cmp_gt_i32_e64 s19, 0, v7
	v_not_b32_e32 v7, v8
	v_lshlrev_b32_e32 v33, 26, v4
	v_cmp_ne_u32_e32 vcc_lo, 0, v10
	v_ashrrev_i32_e32 v10, 31, v36
	v_lshlrev_b32_e32 v35, 25, v4
	v_ashrrev_i32_e32 v7, 31, v7
	v_mul_lo_u32 v5, 0x84, v4
	v_xor_b32_e32 v6, vcc_lo, v6
	v_cmp_gt_i32_e32 vcc_lo, 0, v8
	v_not_b32_e32 v8, v9
	v_xor_b32_e32 v10, s19, v10
	v_cmp_gt_i32_e64 s19, 0, v9
	v_and_b32_e32 v6, exec_lo, v6
	v_not_b32_e32 v9, v32
	v_ashrrev_i32_e32 v8, 31, v8
	v_xor_b32_e32 v7, vcc_lo, v7
	v_cmp_gt_i32_e32 vcc_lo, 0, v32
	v_and_b32_e32 v6, v6, v10
	v_not_b32_e32 v10, v33
	v_ashrrev_i32_e32 v9, 31, v9
	v_xor_b32_e32 v8, s19, v8
	v_lshlrev_b32_e32 v4, 24, v4
	v_and_b32_e32 v6, v6, v7
	v_cmp_gt_i32_e64 s19, 0, v33
	v_not_b32_e32 v7, v35
	v_ashrrev_i32_e32 v10, 31, v10
	v_xor_b32_e32 v9, vcc_lo, v9
	v_and_b32_e32 v6, v6, v8
	v_cmp_gt_i32_e32 vcc_lo, 0, v35
	v_not_b32_e32 v8, v4
	v_ashrrev_i32_e32 v7, 31, v7
	v_xor_b32_e32 v10, s19, v10
	v_and_b32_e32 v6, v6, v9
	v_cmp_gt_i32_e64 s19, 0, v4
	v_ashrrev_i32_e32 v4, 31, v8
	v_xor_b32_e32 v7, vcc_lo, v7
	v_lshl_add_u32 v37, v3, 2, v5
	v_and_b32_e32 v6, v6, v10
	v_xor_b32_e32 v4, s19, v4
	ds_read_b32 v32, v37 offset:128
	v_and_b32_e32 v5, v6, v7
	; wave barrier
	v_and_b32_e32 v4, v5, v4
	v_mbcnt_lo_u32_b32 v33, v4, 0
	v_cmp_ne_u32_e64 s19, 0, v4
	v_cmp_eq_u32_e32 vcc_lo, 0, v33
	s_and_b32 s20, s19, vcc_lo
	s_and_saveexec_b32 s19, s20
	s_cbranch_execz .LBB866_31
; %bb.30:
	s_waitcnt lgkmcnt(0)
	v_bcnt_u32_b32 v4, v4, v32
	ds_write_b32 v37, v4 offset:128
.LBB866_31:
	s_or_b32 exec_lo, exec_lo, s19
	v_lshrrev_b32_e32 v4, s44, v17
	; wave barrier
	v_and_b32_e32 v4, s35, v4
	v_and_b32_e32 v6, 1, v4
	v_lshlrev_b32_e32 v7, 30, v4
	v_lshlrev_b32_e32 v8, 29, v4
	;; [unrolled: 1-line block ×4, first 2 shown]
	v_add_co_u32 v6, s19, v6, -1
	v_cndmask_b32_e64 v10, 0, 1, s19
	v_not_b32_e32 v39, v7
	v_cmp_gt_i32_e64 s19, 0, v7
	v_not_b32_e32 v7, v8
	v_lshlrev_b32_e32 v36, 26, v4
	v_cmp_ne_u32_e32 vcc_lo, 0, v10
	v_ashrrev_i32_e32 v10, 31, v39
	v_lshlrev_b32_e32 v38, 25, v4
	v_ashrrev_i32_e32 v7, 31, v7
	v_mul_lo_u32 v5, 0x84, v4
	v_xor_b32_e32 v6, vcc_lo, v6
	v_cmp_gt_i32_e32 vcc_lo, 0, v8
	v_not_b32_e32 v8, v9
	v_xor_b32_e32 v10, s19, v10
	v_cmp_gt_i32_e64 s19, 0, v9
	v_and_b32_e32 v6, exec_lo, v6
	v_not_b32_e32 v9, v35
	v_ashrrev_i32_e32 v8, 31, v8
	v_xor_b32_e32 v7, vcc_lo, v7
	v_cmp_gt_i32_e32 vcc_lo, 0, v35
	v_and_b32_e32 v6, v6, v10
	v_not_b32_e32 v10, v36
	v_ashrrev_i32_e32 v9, 31, v9
	v_xor_b32_e32 v8, s19, v8
	v_lshlrev_b32_e32 v4, 24, v4
	v_and_b32_e32 v6, v6, v7
	v_cmp_gt_i32_e64 s19, 0, v36
	v_not_b32_e32 v7, v38
	v_ashrrev_i32_e32 v10, 31, v10
	v_xor_b32_e32 v9, vcc_lo, v9
	v_and_b32_e32 v6, v6, v8
	v_cmp_gt_i32_e32 vcc_lo, 0, v38
	v_not_b32_e32 v8, v4
	v_ashrrev_i32_e32 v7, 31, v7
	v_xor_b32_e32 v10, s19, v10
	v_and_b32_e32 v6, v6, v9
	v_cmp_gt_i32_e64 s19, 0, v4
	v_ashrrev_i32_e32 v4, 31, v8
	v_xor_b32_e32 v7, vcc_lo, v7
	v_lshl_add_u32 v40, v3, 2, v5
	v_and_b32_e32 v6, v6, v10
	v_xor_b32_e32 v4, s19, v4
	ds_read_b32 v35, v40 offset:128
	v_and_b32_e32 v5, v6, v7
	; wave barrier
	v_and_b32_e32 v4, v5, v4
	v_mbcnt_lo_u32_b32 v36, v4, 0
	v_cmp_ne_u32_e64 s19, 0, v4
	v_cmp_eq_u32_e32 vcc_lo, 0, v36
	s_and_b32 s20, s19, vcc_lo
	s_and_saveexec_b32 s19, s20
	s_cbranch_execz .LBB866_33
; %bb.32:
	s_waitcnt lgkmcnt(0)
	v_bcnt_u32_b32 v4, v4, v35
	ds_write_b32 v40, v4 offset:128
.LBB866_33:
	s_or_b32 exec_lo, exec_lo, s19
	v_lshrrev_b32_e32 v4, s44, v20
	; wave barrier
	v_and_b32_e32 v4, s35, v4
	v_and_b32_e32 v6, 1, v4
	v_lshlrev_b32_e32 v7, 30, v4
	v_lshlrev_b32_e32 v8, 29, v4
	;; [unrolled: 1-line block ×4, first 2 shown]
	v_add_co_u32 v6, s19, v6, -1
	v_cndmask_b32_e64 v10, 0, 1, s19
	v_not_b32_e32 v42, v7
	v_cmp_gt_i32_e64 s19, 0, v7
	v_not_b32_e32 v7, v8
	v_lshlrev_b32_e32 v39, 26, v4
	v_cmp_ne_u32_e32 vcc_lo, 0, v10
	v_ashrrev_i32_e32 v10, 31, v42
	v_lshlrev_b32_e32 v41, 25, v4
	v_ashrrev_i32_e32 v7, 31, v7
	v_mul_lo_u32 v5, 0x84, v4
	v_xor_b32_e32 v6, vcc_lo, v6
	v_cmp_gt_i32_e32 vcc_lo, 0, v8
	v_not_b32_e32 v8, v9
	v_xor_b32_e32 v10, s19, v10
	v_cmp_gt_i32_e64 s19, 0, v9
	v_and_b32_e32 v6, exec_lo, v6
	v_not_b32_e32 v9, v38
	v_ashrrev_i32_e32 v8, 31, v8
	v_xor_b32_e32 v7, vcc_lo, v7
	v_cmp_gt_i32_e32 vcc_lo, 0, v38
	v_and_b32_e32 v6, v6, v10
	v_not_b32_e32 v10, v39
	v_ashrrev_i32_e32 v9, 31, v9
	v_xor_b32_e32 v8, s19, v8
	v_lshlrev_b32_e32 v4, 24, v4
	v_and_b32_e32 v6, v6, v7
	v_cmp_gt_i32_e64 s19, 0, v39
	v_not_b32_e32 v7, v41
	v_ashrrev_i32_e32 v10, 31, v10
	v_xor_b32_e32 v9, vcc_lo, v9
	v_and_b32_e32 v6, v6, v8
	v_cmp_gt_i32_e32 vcc_lo, 0, v41
	v_not_b32_e32 v8, v4
	v_ashrrev_i32_e32 v7, 31, v7
	v_xor_b32_e32 v10, s19, v10
	v_and_b32_e32 v6, v6, v9
	v_cmp_gt_i32_e64 s19, 0, v4
	v_ashrrev_i32_e32 v4, 31, v8
	v_xor_b32_e32 v7, vcc_lo, v7
	v_lshl_add_u32 v43, v3, 2, v5
	v_and_b32_e32 v6, v6, v10
	v_xor_b32_e32 v4, s19, v4
	ds_read_b32 v38, v43 offset:128
	v_and_b32_e32 v5, v6, v7
	; wave barrier
	v_and_b32_e32 v4, v5, v4
	v_mbcnt_lo_u32_b32 v39, v4, 0
	v_cmp_ne_u32_e64 s19, 0, v4
	v_cmp_eq_u32_e32 vcc_lo, 0, v39
	s_and_b32 s20, s19, vcc_lo
	s_and_saveexec_b32 s19, s20
	s_cbranch_execz .LBB866_35
; %bb.34:
	s_waitcnt lgkmcnt(0)
	v_bcnt_u32_b32 v4, v4, v38
	ds_write_b32 v43, v4 offset:128
.LBB866_35:
	s_or_b32 exec_lo, exec_lo, s19
	v_lshrrev_b32_e32 v4, s44, v19
	; wave barrier
	v_and_b32_e32 v4, s35, v4
	v_and_b32_e32 v6, 1, v4
	v_lshlrev_b32_e32 v7, 30, v4
	v_lshlrev_b32_e32 v8, 29, v4
	;; [unrolled: 1-line block ×4, first 2 shown]
	v_add_co_u32 v6, s19, v6, -1
	v_cndmask_b32_e64 v10, 0, 1, s19
	v_not_b32_e32 v45, v7
	v_cmp_gt_i32_e64 s19, 0, v7
	v_not_b32_e32 v7, v8
	v_lshlrev_b32_e32 v42, 26, v4
	v_cmp_ne_u32_e32 vcc_lo, 0, v10
	v_ashrrev_i32_e32 v10, 31, v45
	v_lshlrev_b32_e32 v44, 25, v4
	v_ashrrev_i32_e32 v7, 31, v7
	v_mul_lo_u32 v5, 0x84, v4
	v_xor_b32_e32 v6, vcc_lo, v6
	v_cmp_gt_i32_e32 vcc_lo, 0, v8
	v_not_b32_e32 v8, v9
	v_xor_b32_e32 v10, s19, v10
	v_cmp_gt_i32_e64 s19, 0, v9
	v_and_b32_e32 v6, exec_lo, v6
	v_not_b32_e32 v9, v41
	v_ashrrev_i32_e32 v8, 31, v8
	v_xor_b32_e32 v7, vcc_lo, v7
	v_cmp_gt_i32_e32 vcc_lo, 0, v41
	v_and_b32_e32 v6, v6, v10
	v_not_b32_e32 v10, v42
	v_ashrrev_i32_e32 v9, 31, v9
	v_xor_b32_e32 v8, s19, v8
	v_lshlrev_b32_e32 v4, 24, v4
	v_and_b32_e32 v6, v6, v7
	v_cmp_gt_i32_e64 s19, 0, v42
	v_not_b32_e32 v7, v44
	v_ashrrev_i32_e32 v10, 31, v10
	v_xor_b32_e32 v9, vcc_lo, v9
	v_and_b32_e32 v6, v6, v8
	v_cmp_gt_i32_e32 vcc_lo, 0, v44
	v_not_b32_e32 v8, v4
	v_ashrrev_i32_e32 v7, 31, v7
	v_xor_b32_e32 v10, s19, v10
	v_and_b32_e32 v6, v6, v9
	v_cmp_gt_i32_e64 s19, 0, v4
	v_ashrrev_i32_e32 v4, 31, v8
	v_xor_b32_e32 v7, vcc_lo, v7
	v_lshl_add_u32 v46, v3, 2, v5
	v_and_b32_e32 v6, v6, v10
	v_xor_b32_e32 v4, s19, v4
	ds_read_b32 v41, v46 offset:128
	v_and_b32_e32 v5, v6, v7
	; wave barrier
	v_and_b32_e32 v4, v5, v4
	v_mbcnt_lo_u32_b32 v42, v4, 0
	v_cmp_ne_u32_e64 s19, 0, v4
	v_cmp_eq_u32_e32 vcc_lo, 0, v42
	s_and_b32 s20, s19, vcc_lo
	s_and_saveexec_b32 s19, s20
	s_cbranch_execz .LBB866_37
; %bb.36:
	s_waitcnt lgkmcnt(0)
	v_bcnt_u32_b32 v4, v4, v41
	ds_write_b32 v46, v4 offset:128
.LBB866_37:
	s_or_b32 exec_lo, exec_lo, s19
	v_lshrrev_b32_e32 v4, s44, v22
	; wave barrier
	v_and_b32_e32 v4, s35, v4
	v_and_b32_e32 v6, 1, v4
	v_lshlrev_b32_e32 v7, 30, v4
	v_lshlrev_b32_e32 v8, 29, v4
	;; [unrolled: 1-line block ×4, first 2 shown]
	v_add_co_u32 v6, s19, v6, -1
	v_cndmask_b32_e64 v10, 0, 1, s19
	v_not_b32_e32 v48, v7
	v_cmp_gt_i32_e64 s19, 0, v7
	v_not_b32_e32 v7, v8
	v_lshlrev_b32_e32 v45, 26, v4
	v_cmp_ne_u32_e32 vcc_lo, 0, v10
	v_ashrrev_i32_e32 v10, 31, v48
	v_lshlrev_b32_e32 v47, 25, v4
	v_ashrrev_i32_e32 v7, 31, v7
	v_mul_lo_u32 v5, 0x84, v4
	v_xor_b32_e32 v6, vcc_lo, v6
	v_cmp_gt_i32_e32 vcc_lo, 0, v8
	v_not_b32_e32 v8, v9
	v_xor_b32_e32 v10, s19, v10
	v_cmp_gt_i32_e64 s19, 0, v9
	v_and_b32_e32 v6, exec_lo, v6
	v_not_b32_e32 v9, v44
	v_ashrrev_i32_e32 v8, 31, v8
	v_xor_b32_e32 v7, vcc_lo, v7
	v_cmp_gt_i32_e32 vcc_lo, 0, v44
	v_and_b32_e32 v6, v6, v10
	v_not_b32_e32 v10, v45
	v_ashrrev_i32_e32 v9, 31, v9
	v_xor_b32_e32 v8, s19, v8
	v_lshlrev_b32_e32 v4, 24, v4
	v_and_b32_e32 v6, v6, v7
	v_cmp_gt_i32_e64 s19, 0, v45
	v_not_b32_e32 v7, v47
	v_ashrrev_i32_e32 v10, 31, v10
	v_xor_b32_e32 v9, vcc_lo, v9
	v_and_b32_e32 v6, v6, v8
	v_cmp_gt_i32_e32 vcc_lo, 0, v47
	v_not_b32_e32 v8, v4
	v_ashrrev_i32_e32 v7, 31, v7
	v_xor_b32_e32 v10, s19, v10
	v_and_b32_e32 v6, v6, v9
	v_cmp_gt_i32_e64 s19, 0, v4
	v_ashrrev_i32_e32 v4, 31, v8
	v_xor_b32_e32 v7, vcc_lo, v7
	v_lshl_add_u32 v49, v3, 2, v5
	v_and_b32_e32 v6, v6, v10
	v_xor_b32_e32 v4, s19, v4
	ds_read_b32 v44, v49 offset:128
	v_and_b32_e32 v5, v6, v7
	; wave barrier
	v_and_b32_e32 v4, v5, v4
	v_mbcnt_lo_u32_b32 v45, v4, 0
	v_cmp_ne_u32_e64 s19, 0, v4
	v_cmp_eq_u32_e32 vcc_lo, 0, v45
	s_and_b32 s20, s19, vcc_lo
	s_and_saveexec_b32 s19, s20
	s_cbranch_execz .LBB866_39
; %bb.38:
	s_waitcnt lgkmcnt(0)
	v_bcnt_u32_b32 v4, v4, v44
	ds_write_b32 v49, v4 offset:128
.LBB866_39:
	s_or_b32 exec_lo, exec_lo, s19
	v_lshrrev_b32_e32 v4, s44, v21
	; wave barrier
	v_and_b32_e32 v4, s35, v4
	v_and_b32_e32 v6, 1, v4
	v_lshlrev_b32_e32 v7, 30, v4
	v_lshlrev_b32_e32 v8, 29, v4
	;; [unrolled: 1-line block ×4, first 2 shown]
	v_add_co_u32 v6, s19, v6, -1
	v_cndmask_b32_e64 v10, 0, 1, s19
	v_not_b32_e32 v51, v7
	v_cmp_gt_i32_e64 s19, 0, v7
	v_not_b32_e32 v7, v8
	v_lshlrev_b32_e32 v48, 26, v4
	v_cmp_ne_u32_e32 vcc_lo, 0, v10
	v_ashrrev_i32_e32 v10, 31, v51
	v_lshlrev_b32_e32 v50, 25, v4
	v_ashrrev_i32_e32 v7, 31, v7
	v_mul_lo_u32 v5, 0x84, v4
	v_xor_b32_e32 v6, vcc_lo, v6
	v_cmp_gt_i32_e32 vcc_lo, 0, v8
	v_not_b32_e32 v8, v9
	v_xor_b32_e32 v10, s19, v10
	v_cmp_gt_i32_e64 s19, 0, v9
	v_and_b32_e32 v6, exec_lo, v6
	v_not_b32_e32 v9, v47
	v_ashrrev_i32_e32 v8, 31, v8
	v_xor_b32_e32 v7, vcc_lo, v7
	v_cmp_gt_i32_e32 vcc_lo, 0, v47
	v_and_b32_e32 v6, v6, v10
	v_not_b32_e32 v10, v48
	v_ashrrev_i32_e32 v9, 31, v9
	v_xor_b32_e32 v8, s19, v8
	v_lshlrev_b32_e32 v4, 24, v4
	v_and_b32_e32 v6, v6, v7
	v_cmp_gt_i32_e64 s19, 0, v48
	v_not_b32_e32 v7, v50
	v_ashrrev_i32_e32 v10, 31, v10
	v_xor_b32_e32 v9, vcc_lo, v9
	v_and_b32_e32 v6, v6, v8
	v_cmp_gt_i32_e32 vcc_lo, 0, v50
	v_not_b32_e32 v8, v4
	v_ashrrev_i32_e32 v7, 31, v7
	v_xor_b32_e32 v10, s19, v10
	v_and_b32_e32 v6, v6, v9
	v_cmp_gt_i32_e64 s19, 0, v4
	v_ashrrev_i32_e32 v4, 31, v8
	v_xor_b32_e32 v7, vcc_lo, v7
	v_lshl_add_u32 v52, v3, 2, v5
	v_and_b32_e32 v6, v6, v10
	v_xor_b32_e32 v4, s19, v4
	ds_read_b32 v47, v52 offset:128
	v_and_b32_e32 v5, v6, v7
	; wave barrier
	v_and_b32_e32 v4, v5, v4
	v_mbcnt_lo_u32_b32 v48, v4, 0
	v_cmp_ne_u32_e64 s19, 0, v4
	v_cmp_eq_u32_e32 vcc_lo, 0, v48
	s_and_b32 s20, s19, vcc_lo
	s_and_saveexec_b32 s19, s20
	s_cbranch_execz .LBB866_41
; %bb.40:
	s_waitcnt lgkmcnt(0)
	v_bcnt_u32_b32 v4, v4, v47
	ds_write_b32 v52, v4 offset:128
.LBB866_41:
	s_or_b32 exec_lo, exec_lo, s19
	v_lshrrev_b32_e32 v4, s44, v24
	; wave barrier
	v_and_b32_e32 v4, s35, v4
	v_and_b32_e32 v6, 1, v4
	v_lshlrev_b32_e32 v7, 30, v4
	v_lshlrev_b32_e32 v8, 29, v4
	;; [unrolled: 1-line block ×4, first 2 shown]
	v_add_co_u32 v6, s19, v6, -1
	v_cndmask_b32_e64 v10, 0, 1, s19
	v_not_b32_e32 v54, v7
	v_cmp_gt_i32_e64 s19, 0, v7
	v_not_b32_e32 v7, v8
	v_lshlrev_b32_e32 v51, 26, v4
	v_cmp_ne_u32_e32 vcc_lo, 0, v10
	v_ashrrev_i32_e32 v10, 31, v54
	v_lshlrev_b32_e32 v53, 25, v4
	v_ashrrev_i32_e32 v7, 31, v7
	v_mul_lo_u32 v5, 0x84, v4
	v_xor_b32_e32 v6, vcc_lo, v6
	v_cmp_gt_i32_e32 vcc_lo, 0, v8
	v_not_b32_e32 v8, v9
	v_xor_b32_e32 v10, s19, v10
	v_cmp_gt_i32_e64 s19, 0, v9
	v_and_b32_e32 v6, exec_lo, v6
	v_not_b32_e32 v9, v50
	v_ashrrev_i32_e32 v8, 31, v8
	v_xor_b32_e32 v7, vcc_lo, v7
	v_cmp_gt_i32_e32 vcc_lo, 0, v50
	v_and_b32_e32 v6, v6, v10
	v_not_b32_e32 v10, v51
	v_ashrrev_i32_e32 v9, 31, v9
	v_xor_b32_e32 v8, s19, v8
	v_lshlrev_b32_e32 v4, 24, v4
	v_and_b32_e32 v6, v6, v7
	v_cmp_gt_i32_e64 s19, 0, v51
	v_not_b32_e32 v7, v53
	v_ashrrev_i32_e32 v10, 31, v10
	v_xor_b32_e32 v9, vcc_lo, v9
	v_and_b32_e32 v6, v6, v8
	v_cmp_gt_i32_e32 vcc_lo, 0, v53
	v_not_b32_e32 v8, v4
	v_ashrrev_i32_e32 v7, 31, v7
	v_xor_b32_e32 v10, s19, v10
	v_and_b32_e32 v6, v6, v9
	v_cmp_gt_i32_e64 s19, 0, v4
	v_ashrrev_i32_e32 v4, 31, v8
	v_xor_b32_e32 v7, vcc_lo, v7
	v_lshl_add_u32 v55, v3, 2, v5
	v_and_b32_e32 v6, v6, v10
	v_xor_b32_e32 v4, s19, v4
	ds_read_b32 v50, v55 offset:128
	v_and_b32_e32 v5, v6, v7
	; wave barrier
	v_and_b32_e32 v4, v5, v4
	v_mbcnt_lo_u32_b32 v51, v4, 0
	v_cmp_ne_u32_e64 s19, 0, v4
	v_cmp_eq_u32_e32 vcc_lo, 0, v51
	s_and_b32 s20, s19, vcc_lo
	s_and_saveexec_b32 s19, s20
	s_cbranch_execz .LBB866_43
; %bb.42:
	s_waitcnt lgkmcnt(0)
	v_bcnt_u32_b32 v4, v4, v50
	ds_write_b32 v55, v4 offset:128
.LBB866_43:
	s_or_b32 exec_lo, exec_lo, s19
	v_lshrrev_b32_e32 v4, s44, v23
	; wave barrier
	v_and_b32_e32 v4, s35, v4
	v_and_b32_e32 v6, 1, v4
	v_lshlrev_b32_e32 v7, 30, v4
	v_lshlrev_b32_e32 v8, 29, v4
	;; [unrolled: 1-line block ×4, first 2 shown]
	v_add_co_u32 v6, s19, v6, -1
	v_cndmask_b32_e64 v10, 0, 1, s19
	v_not_b32_e32 v57, v7
	v_cmp_gt_i32_e64 s19, 0, v7
	v_not_b32_e32 v7, v8
	v_lshlrev_b32_e32 v54, 26, v4
	v_cmp_ne_u32_e32 vcc_lo, 0, v10
	v_ashrrev_i32_e32 v10, 31, v57
	v_lshlrev_b32_e32 v56, 25, v4
	v_ashrrev_i32_e32 v7, 31, v7
	v_mul_lo_u32 v5, 0x84, v4
	v_xor_b32_e32 v6, vcc_lo, v6
	v_cmp_gt_i32_e32 vcc_lo, 0, v8
	v_not_b32_e32 v8, v9
	v_xor_b32_e32 v10, s19, v10
	v_cmp_gt_i32_e64 s19, 0, v9
	v_and_b32_e32 v6, exec_lo, v6
	v_not_b32_e32 v9, v53
	v_ashrrev_i32_e32 v8, 31, v8
	v_xor_b32_e32 v7, vcc_lo, v7
	v_cmp_gt_i32_e32 vcc_lo, 0, v53
	v_and_b32_e32 v6, v6, v10
	v_not_b32_e32 v10, v54
	v_ashrrev_i32_e32 v9, 31, v9
	v_xor_b32_e32 v8, s19, v8
	v_lshlrev_b32_e32 v4, 24, v4
	v_and_b32_e32 v6, v6, v7
	v_cmp_gt_i32_e64 s19, 0, v54
	v_not_b32_e32 v7, v56
	v_ashrrev_i32_e32 v10, 31, v10
	v_xor_b32_e32 v9, vcc_lo, v9
	v_and_b32_e32 v6, v6, v8
	v_cmp_gt_i32_e32 vcc_lo, 0, v56
	v_not_b32_e32 v8, v4
	v_ashrrev_i32_e32 v7, 31, v7
	v_xor_b32_e32 v10, s19, v10
	v_and_b32_e32 v6, v6, v9
	v_cmp_gt_i32_e64 s19, 0, v4
	v_ashrrev_i32_e32 v4, 31, v8
	v_xor_b32_e32 v7, vcc_lo, v7
	v_lshl_add_u32 v58, v3, 2, v5
	v_and_b32_e32 v6, v6, v10
	v_xor_b32_e32 v4, s19, v4
	ds_read_b32 v53, v58 offset:128
	v_and_b32_e32 v5, v6, v7
	; wave barrier
	v_and_b32_e32 v4, v5, v4
	v_mbcnt_lo_u32_b32 v54, v4, 0
	v_cmp_ne_u32_e64 s19, 0, v4
	v_cmp_eq_u32_e32 vcc_lo, 0, v54
	s_and_b32 s20, s19, vcc_lo
	s_and_saveexec_b32 s19, s20
	s_cbranch_execz .LBB866_45
; %bb.44:
	s_waitcnt lgkmcnt(0)
	v_bcnt_u32_b32 v4, v4, v53
	ds_write_b32 v58, v4 offset:128
.LBB866_45:
	s_or_b32 exec_lo, exec_lo, s19
	v_lshrrev_b32_e32 v4, s44, v26
	; wave barrier
	v_and_b32_e32 v4, s35, v4
	v_and_b32_e32 v6, 1, v4
	v_lshlrev_b32_e32 v7, 30, v4
	v_lshlrev_b32_e32 v8, 29, v4
	;; [unrolled: 1-line block ×4, first 2 shown]
	v_add_co_u32 v6, s19, v6, -1
	v_cndmask_b32_e64 v10, 0, 1, s19
	v_not_b32_e32 v60, v7
	v_cmp_gt_i32_e64 s19, 0, v7
	v_not_b32_e32 v7, v8
	v_lshlrev_b32_e32 v57, 26, v4
	v_cmp_ne_u32_e32 vcc_lo, 0, v10
	v_ashrrev_i32_e32 v10, 31, v60
	v_lshlrev_b32_e32 v59, 25, v4
	v_ashrrev_i32_e32 v7, 31, v7
	v_mul_lo_u32 v5, 0x84, v4
	v_xor_b32_e32 v6, vcc_lo, v6
	v_cmp_gt_i32_e32 vcc_lo, 0, v8
	v_not_b32_e32 v8, v9
	v_xor_b32_e32 v10, s19, v10
	v_cmp_gt_i32_e64 s19, 0, v9
	v_and_b32_e32 v6, exec_lo, v6
	v_not_b32_e32 v9, v56
	v_ashrrev_i32_e32 v8, 31, v8
	v_xor_b32_e32 v7, vcc_lo, v7
	v_cmp_gt_i32_e32 vcc_lo, 0, v56
	v_and_b32_e32 v6, v6, v10
	v_not_b32_e32 v10, v57
	v_ashrrev_i32_e32 v9, 31, v9
	v_xor_b32_e32 v8, s19, v8
	v_lshlrev_b32_e32 v4, 24, v4
	v_and_b32_e32 v6, v6, v7
	v_cmp_gt_i32_e64 s19, 0, v57
	v_not_b32_e32 v7, v59
	v_ashrrev_i32_e32 v10, 31, v10
	v_xor_b32_e32 v9, vcc_lo, v9
	v_and_b32_e32 v6, v6, v8
	v_cmp_gt_i32_e32 vcc_lo, 0, v59
	v_not_b32_e32 v8, v4
	v_ashrrev_i32_e32 v7, 31, v7
	v_xor_b32_e32 v10, s19, v10
	v_and_b32_e32 v6, v6, v9
	v_cmp_gt_i32_e64 s19, 0, v4
	v_ashrrev_i32_e32 v4, 31, v8
	v_xor_b32_e32 v7, vcc_lo, v7
	v_lshl_add_u32 v61, v3, 2, v5
	v_and_b32_e32 v6, v6, v10
	v_xor_b32_e32 v4, s19, v4
	ds_read_b32 v56, v61 offset:128
	v_and_b32_e32 v5, v6, v7
	; wave barrier
	v_and_b32_e32 v4, v5, v4
	v_mbcnt_lo_u32_b32 v57, v4, 0
	v_cmp_ne_u32_e64 s19, 0, v4
	v_cmp_eq_u32_e32 vcc_lo, 0, v57
	s_and_b32 s20, s19, vcc_lo
	s_and_saveexec_b32 s19, s20
	s_cbranch_execz .LBB866_47
; %bb.46:
	s_waitcnt lgkmcnt(0)
	v_bcnt_u32_b32 v4, v4, v56
	ds_write_b32 v61, v4 offset:128
.LBB866_47:
	s_or_b32 exec_lo, exec_lo, s19
	v_lshrrev_b32_e32 v4, s44, v25
	; wave barrier
	v_and_b32_e32 v4, s35, v4
	v_and_b32_e32 v6, 1, v4
	v_lshlrev_b32_e32 v7, 30, v4
	v_lshlrev_b32_e32 v8, 29, v4
	;; [unrolled: 1-line block ×4, first 2 shown]
	v_add_co_u32 v6, s19, v6, -1
	v_cndmask_b32_e64 v10, 0, 1, s19
	v_not_b32_e32 v63, v7
	v_cmp_gt_i32_e64 s19, 0, v7
	v_not_b32_e32 v7, v8
	v_lshlrev_b32_e32 v60, 26, v4
	v_cmp_ne_u32_e32 vcc_lo, 0, v10
	v_ashrrev_i32_e32 v10, 31, v63
	v_lshlrev_b32_e32 v62, 25, v4
	v_ashrrev_i32_e32 v7, 31, v7
	v_mul_lo_u32 v5, 0x84, v4
	v_xor_b32_e32 v6, vcc_lo, v6
	v_cmp_gt_i32_e32 vcc_lo, 0, v8
	v_not_b32_e32 v8, v9
	v_xor_b32_e32 v10, s19, v10
	v_cmp_gt_i32_e64 s19, 0, v9
	v_and_b32_e32 v6, exec_lo, v6
	v_not_b32_e32 v9, v59
	v_ashrrev_i32_e32 v8, 31, v8
	v_xor_b32_e32 v7, vcc_lo, v7
	v_cmp_gt_i32_e32 vcc_lo, 0, v59
	v_and_b32_e32 v6, v6, v10
	v_not_b32_e32 v10, v60
	v_ashrrev_i32_e32 v9, 31, v9
	v_xor_b32_e32 v8, s19, v8
	v_lshlrev_b32_e32 v4, 24, v4
	v_and_b32_e32 v6, v6, v7
	v_cmp_gt_i32_e64 s19, 0, v60
	v_not_b32_e32 v7, v62
	v_ashrrev_i32_e32 v10, 31, v10
	v_xor_b32_e32 v9, vcc_lo, v9
	v_and_b32_e32 v6, v6, v8
	v_cmp_gt_i32_e32 vcc_lo, 0, v62
	v_not_b32_e32 v8, v4
	v_ashrrev_i32_e32 v7, 31, v7
	v_xor_b32_e32 v10, s19, v10
	v_and_b32_e32 v6, v6, v9
	v_cmp_gt_i32_e64 s19, 0, v4
	v_ashrrev_i32_e32 v4, 31, v8
	v_xor_b32_e32 v7, vcc_lo, v7
	v_lshl_add_u32 v62, v3, 2, v5
	v_and_b32_e32 v6, v6, v10
	v_xor_b32_e32 v3, s19, v4
	ds_read_b32 v59, v62 offset:128
	v_and_b32_e32 v4, v6, v7
	; wave barrier
	v_and_b32_e32 v3, v4, v3
	v_mbcnt_lo_u32_b32 v60, v3, 0
	v_cmp_ne_u32_e64 s19, 0, v3
	v_cmp_eq_u32_e32 vcc_lo, 0, v60
	s_and_b32 s20, s19, vcc_lo
	s_and_saveexec_b32 s19, s20
	s_cbranch_execz .LBB866_49
; %bb.48:
	s_waitcnt lgkmcnt(0)
	v_bcnt_u32_b32 v3, v3, v59
	ds_write_b32 v62, v3 offset:128
.LBB866_49:
	s_or_b32 exec_lo, exec_lo, s19
	; wave barrier
	s_waitcnt lgkmcnt(0)
	s_barrier
	buffer_gl0_inv
	ds_read2_b32 v[9:10], v30 offset0:32 offset1:33
	ds_read2_b32 v[7:8], v30 offset0:34 offset1:35
	;; [unrolled: 1-line block ×4, first 2 shown]
	ds_read_b32 v63, v30 offset:160
	v_and_b32_e32 v66, 16, v11
	v_and_b32_e32 v67, 31, v0
	s_mov_b32 s24, exec_lo
	v_cmp_eq_u32_e64 s22, 0, v66
	s_waitcnt lgkmcnt(3)
	v_add3_u32 v64, v10, v9, v7
	s_waitcnt lgkmcnt(2)
	v_add3_u32 v64, v64, v8, v5
	;; [unrolled: 2-line block ×4, first 2 shown]
	v_and_b32_e32 v64, 15, v11
	v_mov_b32_dpp v65, v63 row_shr:1 row_mask:0xf bank_mask:0xf
	v_cmp_eq_u32_e32 vcc_lo, 0, v64
	v_cmp_lt_u32_e64 s19, 1, v64
	v_cmp_lt_u32_e64 s20, 3, v64
	;; [unrolled: 1-line block ×3, first 2 shown]
	v_cndmask_b32_e64 v65, v65, 0, vcc_lo
	v_add_nc_u32_e32 v63, v65, v63
	v_mov_b32_dpp v65, v63 row_shr:2 row_mask:0xf bank_mask:0xf
	v_cndmask_b32_e64 v65, 0, v65, s19
	v_add_nc_u32_e32 v63, v63, v65
	v_mov_b32_dpp v65, v63 row_shr:4 row_mask:0xf bank_mask:0xf
	v_cndmask_b32_e64 v65, 0, v65, s20
	;; [unrolled: 3-line block ×3, first 2 shown]
	v_bfe_i32 v65, v11, 4, 1
	v_add_nc_u32_e32 v63, v63, v64
	ds_swizzle_b32 v64, v63 offset:swizzle(BROADCAST,32,15)
	s_waitcnt lgkmcnt(0)
	v_and_b32_e32 v65, v65, v64
	v_lshrrev_b32_e32 v64, 5, v0
	v_add_nc_u32_e32 v63, v63, v65
	v_cmpx_eq_u32_e32 31, v67
; %bb.50:
	v_lshlrev_b32_e32 v65, 2, v64
	ds_write_b32 v65, v63
; %bb.51:
	s_or_b32 exec_lo, exec_lo, s24
	v_cmp_lt_u32_e64 s23, 31, v0
	s_mov_b32 s48, exec_lo
	s_waitcnt lgkmcnt(0)
	s_barrier
	buffer_gl0_inv
	v_cmpx_gt_u32_e32 32, v0
	s_cbranch_execz .LBB866_53
; %bb.52:
	v_lshlrev_b32_e32 v65, 2, v0
	ds_read_b32 v66, v65
	s_waitcnt lgkmcnt(0)
	v_mov_b32_dpp v67, v66 row_shr:1 row_mask:0xf bank_mask:0xf
	v_cndmask_b32_e64 v67, v67, 0, vcc_lo
	v_add_nc_u32_e32 v66, v67, v66
	v_mov_b32_dpp v67, v66 row_shr:2 row_mask:0xf bank_mask:0xf
	v_cndmask_b32_e64 v67, 0, v67, s19
	v_add_nc_u32_e32 v66, v66, v67
	v_mov_b32_dpp v67, v66 row_shr:4 row_mask:0xf bank_mask:0xf
	v_cndmask_b32_e64 v67, 0, v67, s20
	v_add_nc_u32_e32 v66, v66, v67
	v_mov_b32_dpp v67, v66 row_shr:8 row_mask:0xf bank_mask:0xf
	v_cndmask_b32_e64 v67, 0, v67, s21
	v_add_nc_u32_e32 v66, v66, v67
	ds_swizzle_b32 v67, v66 offset:swizzle(BROADCAST,32,15)
	s_waitcnt lgkmcnt(0)
	v_cndmask_b32_e64 v67, v67, 0, s22
	v_add_nc_u32_e32 v66, v66, v67
	ds_write_b32 v65, v66
.LBB866_53:
	s_or_b32 exec_lo, exec_lo, s48
	v_mov_b32_e32 v65, 0
	s_waitcnt lgkmcnt(0)
	s_barrier
	buffer_gl0_inv
	s_and_saveexec_b32 s19, s23
; %bb.54:
	v_lshl_add_u32 v64, v64, 2, -4
	ds_read_b32 v65, v64
; %bb.55:
	s_or_b32 exec_lo, exec_lo, s19
	v_sub_co_u32 v64, vcc_lo, v11, 1
	s_waitcnt lgkmcnt(0)
	v_add_nc_u32_e32 v63, v65, v63
	v_cmp_gt_i32_e64 s19, 0, v64
	v_cndmask_b32_e64 v64, v64, v11, s19
	v_cmp_lt_u32_e64 s19, 0xff, v0
	v_lshlrev_b32_e32 v64, 2, v64
	ds_bpermute_b32 v63, v64, v63
	s_waitcnt lgkmcnt(0)
	v_cndmask_b32_e32 v63, v63, v65, vcc_lo
	v_cmp_ne_u32_e32 vcc_lo, 0, v0
	v_cndmask_b32_e32 v63, 0, v63, vcc_lo
	v_cmp_gt_u32_e32 vcc_lo, 0x100, v0
	v_add_nc_u32_e32 v9, v63, v9
	v_add_nc_u32_e32 v10, v9, v10
	;; [unrolled: 1-line block ×8, first 2 shown]
	ds_write2_b32 v30, v63, v9 offset0:32 offset1:33
	ds_write2_b32 v30, v10, v7 offset0:34 offset1:35
	;; [unrolled: 1-line block ×4, first 2 shown]
	ds_write_b32 v30, v4 offset:160
	s_waitcnt lgkmcnt(0)
	s_barrier
	buffer_gl0_inv
	ds_read_b32 v31, v31 offset:128
	ds_read_b32 v34, v34 offset:128
	;; [unrolled: 1-line block ×12, first 2 shown]
                                        ; implicit-def: $vgpr9
                                        ; implicit-def: $vgpr10
	s_and_saveexec_b32 s21, vcc_lo
	s_cbranch_execz .LBB866_59
; %bb.56:
	v_mul_u32_u24_e32 v3, 0x84, v0
	v_add_nc_u32_e32 v4, 1, v0
	s_mov_b32 s22, exec_lo
	ds_read_b32 v9, v3 offset:128
	v_mov_b32_e32 v3, 0x3000
	v_cmpx_ne_u32_e32 0x100, v4
; %bb.57:
	v_mul_u32_u24_e32 v3, 0x84, v4
	ds_read_b32 v3, v3 offset:128
; %bb.58:
	s_or_b32 exec_lo, exec_lo, s22
	s_waitcnt lgkmcnt(0)
	v_sub_nc_u32_e32 v10, v3, v9
.LBB866_59:
	s_or_b32 exec_lo, exec_lo, s21
	v_mov_b32_e32 v4, 0
	v_lshlrev_b32_e32 v30, 2, v0
	s_waitcnt lgkmcnt(0)
	s_barrier
	buffer_gl0_inv
	s_and_saveexec_b32 s20, vcc_lo
	s_cbranch_execz .LBB866_69
; %bb.60:
	v_lshl_add_u32 v3, s6, 8, v0
	v_mov_b32_e32 v63, 0
	s_mov_b32 s21, 0
	s_mov_b32 s22, s6
                                        ; implicit-def: $sgpr23
	v_lshlrev_b64 v[5:6], 2, v[3:4]
	v_or_b32_e32 v3, 2.0, v10
	v_add_co_u32 v5, vcc_lo, s26, v5
	v_add_co_ci_u32_e64 v6, null, s27, v6, vcc_lo
	global_store_dword v[5:6], v3, off
	s_branch .LBB866_63
	.p2align	6
.LBB866_61:                             ;   in Loop: Header=BB866_63 Depth=1
	s_or_b32 exec_lo, exec_lo, s24
.LBB866_62:                             ;   in Loop: Header=BB866_63 Depth=1
	s_or_b32 exec_lo, exec_lo, s23
	v_and_b32_e32 v7, 0x3fffffff, v3
	v_cmp_gt_i32_e64 s23, -2.0, v3
	v_add_nc_u32_e32 v63, v7, v63
	s_and_b32 s24, exec_lo, s23
	s_or_b32 s21, s24, s21
	s_andn2_b32 exec_lo, exec_lo, s21
	s_cbranch_execz .LBB866_68
.LBB866_63:                             ; =>This Loop Header: Depth=1
                                        ;     Child Loop BB866_66 Depth 2
	s_or_b32 s23, s23, exec_lo
	s_cmp_eq_u32 s22, 0
	s_cbranch_scc1 .LBB866_67
; %bb.64:                               ;   in Loop: Header=BB866_63 Depth=1
	s_add_i32 s22, s22, -1
	s_mov_b32 s23, exec_lo
	v_lshl_or_b32 v3, s22, 8, v0
	v_lshlrev_b64 v[7:8], 2, v[3:4]
	v_add_co_u32 v7, vcc_lo, s26, v7
	v_add_co_ci_u32_e64 v8, null, s27, v8, vcc_lo
	global_load_dword v3, v[7:8], off glc dlc
	s_waitcnt vmcnt(0)
	v_cmpx_gt_u32_e32 2.0, v3
	s_cbranch_execz .LBB866_62
; %bb.65:                               ;   in Loop: Header=BB866_63 Depth=1
	s_mov_b32 s24, 0
.LBB866_66:                             ;   Parent Loop BB866_63 Depth=1
                                        ; =>  This Inner Loop Header: Depth=2
	global_load_dword v3, v[7:8], off glc dlc
	s_waitcnt vmcnt(0)
	v_cmp_lt_u32_e32 vcc_lo, 0x3fffffff, v3
	s_or_b32 s24, vcc_lo, s24
	s_andn2_b32 exec_lo, exec_lo, s24
	s_cbranch_execnz .LBB866_66
	s_branch .LBB866_61
.LBB866_67:                             ;   in Loop: Header=BB866_63 Depth=1
                                        ; implicit-def: $sgpr22
	s_and_b32 s24, exec_lo, s23
	s_or_b32 s21, s24, s21
	s_andn2_b32 exec_lo, exec_lo, s21
	s_cbranch_execnz .LBB866_63
.LBB866_68:
	s_or_b32 exec_lo, exec_lo, s21
	v_add_nc_u32_e32 v3, v63, v10
	v_sub_nc_u32_e32 v4, v63, v9
	v_or_b32_e32 v3, 0x80000000, v3
	global_store_dword v[5:6], v3, off
	global_load_dword v3, v30, s[28:29]
	s_waitcnt vmcnt(0)
	v_add_nc_u32_e32 v3, v4, v3
	ds_write_b32 v30, v3
.LBB866_69:
	s_or_b32 exec_lo, exec_lo, s20
	v_add_nc_u32_e32 v5, v31, v27
	v_add3_u32 v6, v29, v28, v34
	v_add3_u32 v7, v33, v32, v37
	v_add3_u32 v8, v36, v35, v40
	v_add3_u32 v27, v39, v38, v43
	v_add3_u32 v28, v42, v41, v46
	v_add3_u32 v29, v45, v44, v49
	v_add3_u32 v31, v48, v47, v52
	v_add3_u32 v32, v51, v50, v55
	v_add3_u32 v33, v54, v53, v58
	v_add3_u32 v34, v57, v56, v61
	v_add3_u32 v35, v60, v59, v62
	v_mov_b32_e32 v4, 0
	v_mov_b32_e32 v36, v5
	;; [unrolled: 1-line block ×14, first 2 shown]
	s_mov_b32 s20, 32
	s_mov_b32 s22, 0
	s_mov_b32 s21, -1
	s_branch .LBB866_71
.LBB866_70:                             ;   in Loop: Header=BB866_71 Depth=1
	s_or_b32 exec_lo, exec_lo, s23
	v_add_nc_u32_e32 v48, 0x2000, v48
	v_add_nc_u32_e32 v47, 0xffffe000, v47
	v_add_nc_u32_e32 v46, 0xffffe000, v46
	v_add_nc_u32_e32 v45, 0xffffe000, v45
	v_add_nc_u32_e32 v44, 0xffffe000, v44
	v_add_nc_u32_e32 v43, 0xffffe000, v43
	v_add_nc_u32_e32 v42, 0xffffe000, v42
	v_add_nc_u32_e32 v41, 0xffffe000, v41
	v_add_nc_u32_e32 v40, 0xffffe000, v40
	v_add_nc_u32_e32 v39, 0xffffe000, v39
	v_add_nc_u32_e32 v38, 0xffffe000, v38
	v_add_nc_u32_e32 v37, 0xffffe000, v37
	v_add_nc_u32_e32 v36, 0xffffe000, v36
	s_xor_b32 s22, s21, -1
	s_mov_b32 s21, 0
	s_and_b32 vcc_lo, exec_lo, s22
	s_mov_b32 s22, s20
	s_waitcnt_vscnt null, 0x0
	s_barrier
	buffer_gl0_inv
	s_cbranch_vccnz .LBB866_87
.LBB866_71:                             ; =>This Inner Loop Header: Depth=1
	v_min_u32_e32 v3, 0x2000, v36
	v_min_u32_e32 v49, 0x2000, v37
	;; [unrolled: 1-line block ×5, first 2 shown]
	v_lshlrev_b32_e32 v3, 2, v3
	v_lshlrev_b32_e32 v49, 2, v49
	v_min_u32_e32 v53, 0x2000, v41
	v_lshlrev_b32_e32 v50, 2, v50
	s_mov_b32 s23, exec_lo
	ds_write_b32 v3, v16 offset:1024
	ds_write_b32 v49, v15 offset:1024
	v_min_u32_e32 v3, 0x2000, v42
	v_lshlrev_b32_e32 v49, 2, v51
	v_lshlrev_b32_e32 v51, 2, v52
	;; [unrolled: 1-line block ×3, first 2 shown]
	ds_write_b32 v50, v18 offset:1024
	v_lshlrev_b32_e32 v3, 2, v3
	ds_write_b32 v49, v17 offset:1024
	ds_write_b32 v51, v20 offset:1024
	;; [unrolled: 1-line block ×3, first 2 shown]
	v_min_u32_e32 v49, 0x2000, v43
	v_min_u32_e32 v50, 0x2000, v45
	;; [unrolled: 1-line block ×3, first 2 shown]
	ds_write_b32 v3, v22 offset:1024
	v_min_u32_e32 v3, 0x2000, v44
	v_lshlrev_b32_e32 v49, 2, v49
	v_min_u32_e32 v52, 0x2000, v47
	v_lshlrev_b32_e32 v50, 2, v50
	v_lshlrev_b32_e32 v51, 2, v51
	;; [unrolled: 1-line block ×3, first 2 shown]
	ds_write_b32 v49, v21 offset:1024
	v_lshlrev_b32_e32 v49, 2, v52
	ds_write_b32 v3, v24 offset:1024
	ds_write_b32 v50, v23 offset:1024
	ds_write_b32 v51, v26 offset:1024
	ds_write_b32 v49, v25 offset:1024
	s_waitcnt lgkmcnt(0)
	s_waitcnt_vscnt null, 0x0
	s_barrier
	buffer_gl0_inv
	v_cmpx_gt_u32_e64 s25, v48
	s_cbranch_execz .LBB866_73
; %bb.72:                               ;   in Loop: Header=BB866_71 Depth=1
	ds_read_b32 v51, v30 offset:1024
	s_waitcnt lgkmcnt(0)
	v_lshrrev_b32_e32 v3, s44, v51
	v_and_b32_e32 v52, s35, v3
	v_lshlrev_b32_e32 v3, 2, v52
	ds_read_b32 v3, v3
	s_waitcnt lgkmcnt(0)
	v_add_nc_u32_e32 v3, v48, v3
	v_lshlrev_b64 v[49:50], 2, v[3:4]
	v_xor_b32_e32 v3, 0x80000000, v51
	v_mov_b32_e32 v51, s22
	v_add_co_u32 v49, vcc_lo, s38, v49
	v_add_co_ci_u32_e64 v50, null, s39, v50, vcc_lo
	buffer_store_dword v52, v51, s[0:3], 0 offen
	global_store_dword v[49:50], v3, off
.LBB866_73:                             ;   in Loop: Header=BB866_71 Depth=1
	s_or_b32 exec_lo, exec_lo, s23
	v_add_nc_u32_e32 v3, 0x400, v48
	s_mov_b32 s23, exec_lo
	v_cmpx_gt_u32_e64 s25, v3
	s_cbranch_execz .LBB866_75
; %bb.74:                               ;   in Loop: Header=BB866_71 Depth=1
	ds_read_b32 v51, v30 offset:5120
	s_waitcnt lgkmcnt(0)
	v_lshrrev_b32_e32 v3, s44, v51
	v_and_b32_e32 v52, s35, v3
	v_lshlrev_b32_e32 v3, 2, v52
	ds_read_b32 v3, v3
	s_waitcnt lgkmcnt(0)
	v_add3_u32 v3, v48, v3, 0x400
	v_lshlrev_b64 v[49:50], 2, v[3:4]
	v_xor_b32_e32 v3, 0x80000000, v51
	v_mov_b32_e32 v51, s22
	v_add_co_u32 v49, vcc_lo, s38, v49
	v_add_co_ci_u32_e64 v50, null, s39, v50, vcc_lo
	buffer_store_dword v52, v51, s[0:3], 0 offen offset:4
	global_store_dword v[49:50], v3, off
.LBB866_75:                             ;   in Loop: Header=BB866_71 Depth=1
	s_or_b32 exec_lo, exec_lo, s23
	v_add_nc_u32_e32 v3, 0x800, v48
	s_mov_b32 s23, exec_lo
	v_cmpx_gt_u32_e64 s25, v3
	s_cbranch_execz .LBB866_77
; %bb.76:                               ;   in Loop: Header=BB866_71 Depth=1
	ds_read_b32 v51, v30 offset:9216
	s_waitcnt lgkmcnt(0)
	v_lshrrev_b32_e32 v3, s44, v51
	v_and_b32_e32 v52, s35, v3
	v_lshlrev_b32_e32 v3, 2, v52
	ds_read_b32 v3, v3
	s_waitcnt lgkmcnt(0)
	v_add3_u32 v3, v48, v3, 0x800
	v_lshlrev_b64 v[49:50], 2, v[3:4]
	v_xor_b32_e32 v3, 0x80000000, v51
	v_mov_b32_e32 v51, s22
	v_add_co_u32 v49, vcc_lo, s38, v49
	v_add_co_ci_u32_e64 v50, null, s39, v50, vcc_lo
	buffer_store_dword v52, v51, s[0:3], 0 offen offset:8
	global_store_dword v[49:50], v3, off
.LBB866_77:                             ;   in Loop: Header=BB866_71 Depth=1
	;; [unrolled: 22-line block ×6, first 2 shown]
	s_or_b32 exec_lo, exec_lo, s23
	v_add_nc_u32_e32 v3, 0x1c00, v48
	s_mov_b32 s23, exec_lo
	v_cmpx_gt_u32_e64 s25, v3
	s_cbranch_execz .LBB866_70
; %bb.86:                               ;   in Loop: Header=BB866_71 Depth=1
	ds_read_b32 v51, v30 offset:29696
	s_waitcnt lgkmcnt(0)
	v_lshrrev_b32_e32 v3, s44, v51
	v_and_b32_e32 v52, s35, v3
	v_lshlrev_b32_e32 v3, 2, v52
	ds_read_b32 v3, v3
	s_waitcnt lgkmcnt(0)
	v_add3_u32 v3, v48, v3, 0x1c00
	v_lshlrev_b64 v[49:50], 2, v[3:4]
	v_xor_b32_e32 v3, 0x80000000, v51
	v_mov_b32_e32 v51, s22
	v_add_co_u32 v49, vcc_lo, s38, v49
	v_add_co_ci_u32_e64 v50, null, s39, v50, vcc_lo
	buffer_store_dword v52, v51, s[0:3], 0 offen offset:28
	global_store_dword v[49:50], v3, off
	s_branch .LBB866_70
.LBB866_87:
	s_add_u32 s21, s40, s46
	s_addc_u32 s22, s41, s47
	v_add_co_u32 v3, s21, s21, v13
	v_add_co_ci_u32_e64 v4, null, s22, 0, s21
                                        ; implicit-def: $vgpr13
	v_add_co_u32 v3, vcc_lo, v3, v14
	v_add_co_ci_u32_e64 v4, null, 0, v4, vcc_lo
	s_and_saveexec_b32 s21, s7
	s_cbranch_execz .LBB866_99
; %bb.88:
	global_load_dword v13, v[3:4], off
	s_or_b32 exec_lo, exec_lo, s21
                                        ; implicit-def: $vgpr14
	s_and_saveexec_b32 s7, s8
	s_cbranch_execnz .LBB866_100
.LBB866_89:
	s_or_b32 exec_lo, exec_lo, s7
                                        ; implicit-def: $vgpr15
	s_and_saveexec_b32 s7, s9
	s_cbranch_execz .LBB866_101
.LBB866_90:
	global_load_dword v15, v[3:4], off offset:256
	s_or_b32 exec_lo, exec_lo, s7
                                        ; implicit-def: $vgpr16
	s_and_saveexec_b32 s7, s10
	s_cbranch_execnz .LBB866_102
.LBB866_91:
	s_or_b32 exec_lo, exec_lo, s7
                                        ; implicit-def: $vgpr17
	s_and_saveexec_b32 s7, s11
	s_cbranch_execz .LBB866_103
.LBB866_92:
	global_load_dword v17, v[3:4], off offset:512
	s_or_b32 exec_lo, exec_lo, s7
                                        ; implicit-def: $vgpr18
	s_and_saveexec_b32 s7, s12
	s_cbranch_execnz .LBB866_104
.LBB866_93:
	s_or_b32 exec_lo, exec_lo, s7
                                        ; implicit-def: $vgpr19
	s_and_saveexec_b32 s7, s13
	s_cbranch_execz .LBB866_105
.LBB866_94:
	global_load_dword v19, v[3:4], off offset:768
	s_or_b32 exec_lo, exec_lo, s7
                                        ; implicit-def: $vgpr20
	s_and_saveexec_b32 s7, s14
	s_cbranch_execnz .LBB866_106
.LBB866_95:
	s_or_b32 exec_lo, exec_lo, s7
                                        ; implicit-def: $vgpr21
	s_and_saveexec_b32 s7, s15
	s_cbranch_execz .LBB866_107
.LBB866_96:
	global_load_dword v21, v[3:4], off offset:1024
	s_or_b32 exec_lo, exec_lo, s7
                                        ; implicit-def: $vgpr22
	s_and_saveexec_b32 s7, s16
	s_cbranch_execnz .LBB866_108
.LBB866_97:
	s_or_b32 exec_lo, exec_lo, s7
                                        ; implicit-def: $vgpr23
	s_and_saveexec_b32 s7, s17
	s_cbranch_execz .LBB866_109
.LBB866_98:
	global_load_dword v23, v[3:4], off offset:1280
	s_or_b32 exec_lo, exec_lo, s7
                                        ; implicit-def: $vgpr24
	s_and_saveexec_b32 s7, s18
	s_cbranch_execnz .LBB866_110
	s_branch .LBB866_111
.LBB866_99:
	s_or_b32 exec_lo, exec_lo, s21
                                        ; implicit-def: $vgpr14
	s_and_saveexec_b32 s7, s8
	s_cbranch_execz .LBB866_89
.LBB866_100:
	global_load_dword v14, v[3:4], off offset:128
	s_or_b32 exec_lo, exec_lo, s7
                                        ; implicit-def: $vgpr15
	s_and_saveexec_b32 s7, s9
	s_cbranch_execnz .LBB866_90
.LBB866_101:
	s_or_b32 exec_lo, exec_lo, s7
                                        ; implicit-def: $vgpr16
	s_and_saveexec_b32 s7, s10
	s_cbranch_execz .LBB866_91
.LBB866_102:
	global_load_dword v16, v[3:4], off offset:384
	s_or_b32 exec_lo, exec_lo, s7
                                        ; implicit-def: $vgpr17
	s_and_saveexec_b32 s7, s11
	s_cbranch_execnz .LBB866_92
.LBB866_103:
	s_or_b32 exec_lo, exec_lo, s7
                                        ; implicit-def: $vgpr18
	s_and_saveexec_b32 s7, s12
	s_cbranch_execz .LBB866_93
.LBB866_104:
	global_load_dword v18, v[3:4], off offset:640
	s_or_b32 exec_lo, exec_lo, s7
                                        ; implicit-def: $vgpr19
	s_and_saveexec_b32 s7, s13
	s_cbranch_execnz .LBB866_94
.LBB866_105:
	s_or_b32 exec_lo, exec_lo, s7
                                        ; implicit-def: $vgpr20
	s_and_saveexec_b32 s7, s14
	s_cbranch_execz .LBB866_95
.LBB866_106:
	global_load_dword v20, v[3:4], off offset:896
	s_or_b32 exec_lo, exec_lo, s7
                                        ; implicit-def: $vgpr21
	s_and_saveexec_b32 s7, s15
	s_cbranch_execnz .LBB866_96
.LBB866_107:
	s_or_b32 exec_lo, exec_lo, s7
                                        ; implicit-def: $vgpr22
	s_and_saveexec_b32 s7, s16
	s_cbranch_execz .LBB866_97
.LBB866_108:
	global_load_dword v22, v[3:4], off offset:1152
	s_or_b32 exec_lo, exec_lo, s7
                                        ; implicit-def: $vgpr23
	s_and_saveexec_b32 s7, s17
	s_cbranch_execnz .LBB866_98
.LBB866_109:
	s_or_b32 exec_lo, exec_lo, s7
                                        ; implicit-def: $vgpr24
	s_and_saveexec_b32 s7, s18
	s_cbranch_execz .LBB866_111
.LBB866_110:
	global_load_dword v24, v[3:4], off offset:1408
.LBB866_111:
	s_or_b32 exec_lo, exec_lo, s7
	v_mov_b32_e32 v4, 0
	v_mov_b32_e32 v25, v0
	s_mov_b32 s8, 0
	s_mov_b32 s7, -1
	s_branch .LBB866_113
.LBB866_112:                            ;   in Loop: Header=BB866_113 Depth=1
	s_or_b32 exec_lo, exec_lo, s9
	v_add_nc_u32_e32 v25, 0x2000, v25
	v_add_nc_u32_e32 v35, 0xffffe000, v35
	;; [unrolled: 1-line block ×13, first 2 shown]
	s_xor_b32 s8, s7, -1
	s_mov_b32 s7, 0
	s_and_b32 vcc_lo, exec_lo, s8
	s_mov_b32 s8, s20
	s_waitcnt_vscnt null, 0x0
	s_barrier
	buffer_gl0_inv
	s_cbranch_vccnz .LBB866_129
.LBB866_113:                            ; =>This Inner Loop Header: Depth=1
	v_min_u32_e32 v3, 0x2000, v5
	v_min_u32_e32 v26, 0x2000, v6
	;; [unrolled: 1-line block ×5, first 2 shown]
	v_lshlrev_b32_e32 v3, 2, v3
	v_lshlrev_b32_e32 v26, 2, v26
	v_min_u32_e32 v39, 0x2000, v28
	v_lshlrev_b32_e32 v36, 2, v36
	s_mov_b32 s9, exec_lo
	s_waitcnt vmcnt(0)
	ds_write_b32 v3, v13 offset:1024
	ds_write_b32 v26, v14 offset:1024
	v_min_u32_e32 v3, 0x2000, v29
	v_lshlrev_b32_e32 v26, 2, v37
	v_lshlrev_b32_e32 v37, 2, v38
	;; [unrolled: 1-line block ×3, first 2 shown]
	ds_write_b32 v36, v15 offset:1024
	v_lshlrev_b32_e32 v3, 2, v3
	ds_write_b32 v26, v16 offset:1024
	ds_write_b32 v37, v17 offset:1024
	;; [unrolled: 1-line block ×3, first 2 shown]
	v_min_u32_e32 v26, 0x2000, v31
	v_min_u32_e32 v36, 0x2000, v33
	;; [unrolled: 1-line block ×3, first 2 shown]
	ds_write_b32 v3, v19 offset:1024
	v_min_u32_e32 v3, 0x2000, v32
	v_lshlrev_b32_e32 v26, 2, v26
	v_min_u32_e32 v38, 0x2000, v35
	v_lshlrev_b32_e32 v36, 2, v36
	v_lshlrev_b32_e32 v37, 2, v37
	;; [unrolled: 1-line block ×3, first 2 shown]
	ds_write_b32 v26, v20 offset:1024
	v_lshlrev_b32_e32 v26, 2, v38
	ds_write_b32 v3, v21 offset:1024
	ds_write_b32 v36, v22 offset:1024
	;; [unrolled: 1-line block ×4, first 2 shown]
	s_waitcnt lgkmcnt(0)
	s_barrier
	buffer_gl0_inv
	v_cmpx_gt_u32_e64 s25, v25
	s_cbranch_execz .LBB866_115
; %bb.114:                              ;   in Loop: Header=BB866_113 Depth=1
	v_mov_b32_e32 v3, s8
	buffer_load_dword v3, v3, s[0:3], 0 offen
	s_waitcnt vmcnt(0)
	v_lshlrev_b32_e32 v3, 2, v3
	ds_read_b32 v3, v3
	ds_read_b32 v26, v30 offset:1024
	s_waitcnt lgkmcnt(1)
	v_add_nc_u32_e32 v3, v25, v3
	v_lshlrev_b64 v[36:37], 2, v[3:4]
	v_add_co_u32 v36, vcc_lo, s42, v36
	v_add_co_ci_u32_e64 v37, null, s43, v37, vcc_lo
	s_waitcnt lgkmcnt(0)
	global_store_dword v[36:37], v26, off
.LBB866_115:                            ;   in Loop: Header=BB866_113 Depth=1
	s_or_b32 exec_lo, exec_lo, s9
	v_add_nc_u32_e32 v3, 0x400, v25
	s_mov_b32 s9, exec_lo
	v_cmpx_gt_u32_e64 s25, v3
	s_cbranch_execz .LBB866_117
; %bb.116:                              ;   in Loop: Header=BB866_113 Depth=1
	v_mov_b32_e32 v3, s8
	buffer_load_dword v3, v3, s[0:3], 0 offen offset:4
	s_waitcnt vmcnt(0)
	v_lshlrev_b32_e32 v3, 2, v3
	ds_read_b32 v3, v3
	ds_read_b32 v26, v30 offset:5120
	s_waitcnt lgkmcnt(1)
	v_add3_u32 v3, v25, v3, 0x400
	v_lshlrev_b64 v[36:37], 2, v[3:4]
	v_add_co_u32 v36, vcc_lo, s42, v36
	v_add_co_ci_u32_e64 v37, null, s43, v37, vcc_lo
	s_waitcnt lgkmcnt(0)
	global_store_dword v[36:37], v26, off
.LBB866_117:                            ;   in Loop: Header=BB866_113 Depth=1
	s_or_b32 exec_lo, exec_lo, s9
	v_add_nc_u32_e32 v3, 0x800, v25
	s_mov_b32 s9, exec_lo
	v_cmpx_gt_u32_e64 s25, v3
	s_cbranch_execz .LBB866_119
; %bb.118:                              ;   in Loop: Header=BB866_113 Depth=1
	v_mov_b32_e32 v3, s8
	buffer_load_dword v3, v3, s[0:3], 0 offen offset:8
	s_waitcnt vmcnt(0)
	v_lshlrev_b32_e32 v3, 2, v3
	ds_read_b32 v3, v3
	ds_read_b32 v26, v30 offset:9216
	s_waitcnt lgkmcnt(1)
	v_add3_u32 v3, v25, v3, 0x800
	v_lshlrev_b64 v[36:37], 2, v[3:4]
	v_add_co_u32 v36, vcc_lo, s42, v36
	v_add_co_ci_u32_e64 v37, null, s43, v37, vcc_lo
	s_waitcnt lgkmcnt(0)
	global_store_dword v[36:37], v26, off
.LBB866_119:                            ;   in Loop: Header=BB866_113 Depth=1
	;; [unrolled: 20-line block ×6, first 2 shown]
	s_or_b32 exec_lo, exec_lo, s9
	v_add_nc_u32_e32 v3, 0x1c00, v25
	s_mov_b32 s9, exec_lo
	v_cmpx_gt_u32_e64 s25, v3
	s_cbranch_execz .LBB866_112
; %bb.128:                              ;   in Loop: Header=BB866_113 Depth=1
	v_mov_b32_e32 v3, s8
	buffer_load_dword v3, v3, s[0:3], 0 offen offset:28
	s_waitcnt vmcnt(0)
	v_lshlrev_b32_e32 v3, 2, v3
	ds_read_b32 v3, v3
	ds_read_b32 v26, v30 offset:29696
	s_waitcnt lgkmcnt(1)
	v_add3_u32 v3, v25, v3, 0x1c00
	v_lshlrev_b64 v[36:37], 2, v[3:4]
	v_add_co_u32 v36, vcc_lo, s42, v36
	v_add_co_ci_u32_e64 v37, null, s43, v37, vcc_lo
	s_waitcnt lgkmcnt(0)
	global_store_dword v[36:37], v26, off
	s_branch .LBB866_112
.LBB866_129:
	s_add_i32 s33, s33, -1
	s_cmp_eq_u32 s6, s33
	s_cselect_b32 s7, -1, 0
	s_xor_b32 s8, s19, -1
	s_and_b32 s8, s8, s7
	s_and_saveexec_b32 s7, s8
	s_cbranch_execz .LBB866_131
; %bb.130:
	ds_read_b32 v3, v30
	s_waitcnt lgkmcnt(0)
	v_add3_u32 v3, v9, v10, v3
	global_store_dword v30, v3, s[30:31]
.LBB866_131:
	s_or_b32 exec_lo, exec_lo, s7
	s_mov_b32 s7, 0
.LBB866_132:
	s_and_b32 vcc_lo, exec_lo, s7
	s_cbranch_vccz .LBB866_199
; %bb.133:
	s_mov_b32 s35, 0
	v_mul_u32_u24_e32 v3, 12, v12
	v_lshlrev_b32_e32 v9, 2, v11
	s_lshl_b64 s[12:13], s[34:35], 2
	v_mov_b32_e32 v22, 0
	s_add_u32 s7, s36, s12
	s_addc_u32 s8, s37, s13
	v_lshlrev_b32_e32 v10, 2, v3
	v_add_co_u32 v3, s7, s7, v9
	v_add_co_ci_u32_e64 v4, null, s8, 0, s7
	v_add_co_u32 v18, vcc_lo, v3, v10
	v_add_co_ci_u32_e64 v19, null, 0, v4, vcc_lo
	global_load_dword v12, v[18:19], off
	s_clause 0x1
	s_load_dword s7, s[4:5], 0x64
	s_load_dword s11, s[4:5], 0x58
	s_add_u32 s4, s4, 0x58
	s_addc_u32 s5, s5, 0
	s_waitcnt lgkmcnt(0)
	s_lshr_b32 s7, s7, 16
	s_cmp_lt_u32 s6, s11
	v_mad_u32_u24 v1, v2, s7, v1
	s_cselect_b32 s8, 12, 18
	s_add_u32 s4, s4, s8
	s_addc_u32 s5, s5, 0
	global_load_ushort v16, v22, s[4:5]
	s_clause 0xa
	global_load_dword v13, v[18:19], off offset:128
	global_load_dword v14, v[18:19], off offset:256
	;; [unrolled: 1-line block ×11, first 2 shown]
	s_lshl_b32 s4, -1, s45
	s_not_b32 s14, s4
	s_waitcnt vmcnt(12)
	v_xor_b32_e32 v12, 0x80000000, v12
	v_lshrrev_b32_e32 v18, s44, v12
	v_and_b32_e32 v18, s14, v18
	v_and_b32_e32 v19, 1, v18
	v_lshlrev_b32_e32 v21, 30, v18
	v_lshlrev_b32_e32 v23, 29, v18
	;; [unrolled: 1-line block ×4, first 2 shown]
	v_add_co_u32 v19, s4, v19, -1
	v_cndmask_b32_e64 v25, 0, 1, s4
	v_not_b32_e32 v29, v21
	v_cmp_gt_i32_e64 s4, 0, v21
	v_not_b32_e32 v21, v23
	v_lshlrev_b32_e32 v27, 26, v18
	v_cmp_ne_u32_e32 vcc_lo, 0, v25
	v_ashrrev_i32_e32 v29, 31, v29
	v_lshlrev_b32_e32 v28, 25, v18
	v_ashrrev_i32_e32 v21, 31, v21
	v_lshlrev_b32_e32 v25, 24, v18
	v_xor_b32_e32 v19, vcc_lo, v19
	v_cmp_gt_i32_e32 vcc_lo, 0, v23
	v_not_b32_e32 v23, v24
	v_xor_b32_e32 v29, s4, v29
	v_cmp_gt_i32_e64 s4, 0, v24
	v_and_b32_e32 v19, exec_lo, v19
	v_not_b32_e32 v24, v26
	v_ashrrev_i32_e32 v23, 31, v23
	v_xor_b32_e32 v21, vcc_lo, v21
	v_cmp_gt_i32_e32 vcc_lo, 0, v26
	v_and_b32_e32 v19, v19, v29
	v_not_b32_e32 v26, v27
	v_ashrrev_i32_e32 v24, 31, v24
	v_xor_b32_e32 v23, s4, v23
	v_cmp_gt_i32_e64 s4, 0, v27
	v_and_b32_e32 v19, v19, v21
	v_not_b32_e32 v21, v28
	v_ashrrev_i32_e32 v26, 31, v26
	v_xor_b32_e32 v24, vcc_lo, v24
	v_cmp_gt_i32_e32 vcc_lo, 0, v28
	v_and_b32_e32 v19, v19, v23
	v_not_b32_e32 v23, v25
	v_ashrrev_i32_e32 v21, 31, v21
	v_xor_b32_e32 v26, s4, v26
	v_cmp_gt_i32_e64 s4, 0, v25
	v_and_b32_e32 v19, v19, v24
	v_ashrrev_i32_e32 v23, 31, v23
	v_xor_b32_e32 v21, vcc_lo, v21
	s_waitcnt vmcnt(11)
	v_mad_u64_u32 v[1:2], null, v1, v16, v[0:1]
	v_and_b32_e32 v19, v19, v26
	v_xor_b32_e32 v23, s4, v23
	v_mul_lo_u32 v18, 0x84, v18
	v_and_b32_e32 v19, v19, v21
	v_mul_u32_u24_e32 v21, 36, v0
	v_lshrrev_b32_e32 v1, 5, v1
	ds_write2_b32 v21, v22, v22 offset0:32 offset1:33
	ds_write2_b32 v21, v22, v22 offset0:34 offset1:35
	;; [unrolled: 1-line block ×3, first 2 shown]
	v_and_b32_e32 v2, v19, v23
	ds_write2_b32 v21, v22, v22 offset0:38 offset1:39
	ds_write_b32 v21, v22 offset:160
	v_lshl_add_u32 v22, v1, 2, v18
	s_waitcnt vmcnt(0) lgkmcnt(0)
	s_waitcnt_vscnt null, 0x0
	s_barrier
	v_mbcnt_lo_u32_b32 v16, v2, 0
	v_cmp_ne_u32_e64 s4, 0, v2
	buffer_gl0_inv
	; wave barrier
	v_cmp_eq_u32_e32 vcc_lo, 0, v16
	s_and_b32 s5, s4, vcc_lo
	s_and_saveexec_b32 s4, s5
; %bb.134:
	v_bcnt_u32_b32 v2, v2, 0
	ds_write_b32 v22, v2 offset:128
; %bb.135:
	s_or_b32 exec_lo, exec_lo, s4
	v_xor_b32_e32 v13, 0x80000000, v13
	; wave barrier
	v_lshrrev_b32_e32 v2, s44, v13
	v_and_b32_e32 v2, s14, v2
	v_and_b32_e32 v19, 1, v2
	v_lshlrev_b32_e32 v23, 30, v2
	v_lshlrev_b32_e32 v24, 29, v2
	;; [unrolled: 1-line block ×4, first 2 shown]
	v_add_co_u32 v19, s4, v19, -1
	v_cndmask_b32_e64 v26, 0, 1, s4
	v_not_b32_e32 v30, v23
	v_cmp_gt_i32_e64 s4, 0, v23
	v_not_b32_e32 v23, v24
	v_lshlrev_b32_e32 v28, 26, v2
	v_cmp_ne_u32_e32 vcc_lo, 0, v26
	v_ashrrev_i32_e32 v26, 31, v30
	v_lshlrev_b32_e32 v29, 25, v2
	v_ashrrev_i32_e32 v23, 31, v23
	v_mul_lo_u32 v18, 0x84, v2
	v_xor_b32_e32 v19, vcc_lo, v19
	v_cmp_gt_i32_e32 vcc_lo, 0, v24
	v_not_b32_e32 v24, v25
	v_xor_b32_e32 v26, s4, v26
	v_cmp_gt_i32_e64 s4, 0, v25
	v_and_b32_e32 v19, exec_lo, v19
	v_not_b32_e32 v25, v27
	v_ashrrev_i32_e32 v24, 31, v24
	v_xor_b32_e32 v23, vcc_lo, v23
	v_cmp_gt_i32_e32 vcc_lo, 0, v27
	v_and_b32_e32 v19, v19, v26
	v_not_b32_e32 v26, v28
	v_ashrrev_i32_e32 v25, 31, v25
	v_xor_b32_e32 v24, s4, v24
	v_lshlrev_b32_e32 v2, 24, v2
	v_and_b32_e32 v19, v19, v23
	v_cmp_gt_i32_e64 s4, 0, v28
	v_not_b32_e32 v23, v29
	v_ashrrev_i32_e32 v26, 31, v26
	v_xor_b32_e32 v25, vcc_lo, v25
	v_and_b32_e32 v19, v19, v24
	v_cmp_gt_i32_e32 vcc_lo, 0, v29
	v_not_b32_e32 v24, v2
	v_ashrrev_i32_e32 v23, 31, v23
	v_xor_b32_e32 v26, s4, v26
	v_and_b32_e32 v19, v19, v25
	v_cmp_gt_i32_e64 s4, 0, v2
	v_ashrrev_i32_e32 v2, 31, v24
	v_xor_b32_e32 v23, vcc_lo, v23
	v_and_b32_e32 v19, v19, v26
	v_lshl_add_u32 v26, v1, 2, v18
	v_xor_b32_e32 v2, s4, v2
	v_and_b32_e32 v19, v19, v23
	ds_read_b32 v18, v26 offset:128
	; wave barrier
	v_and_b32_e32 v2, v19, v2
	v_mbcnt_lo_u32_b32 v19, v2, 0
	v_cmp_ne_u32_e64 s4, 0, v2
	v_cmp_eq_u32_e32 vcc_lo, 0, v19
	s_and_b32 s5, s4, vcc_lo
	s_and_saveexec_b32 s4, s5
	s_cbranch_execz .LBB866_137
; %bb.136:
	s_waitcnt lgkmcnt(0)
	v_bcnt_u32_b32 v2, v2, v18
	ds_write_b32 v26, v2 offset:128
.LBB866_137:
	s_or_b32 exec_lo, exec_lo, s4
	v_xor_b32_e32 v14, 0x80000000, v14
	; wave barrier
	v_lshrrev_b32_e32 v2, s44, v14
	v_and_b32_e32 v2, s14, v2
	v_and_b32_e32 v24, 1, v2
	v_lshlrev_b32_e32 v25, 30, v2
	v_lshlrev_b32_e32 v27, 29, v2
	;; [unrolled: 1-line block ×4, first 2 shown]
	v_add_co_u32 v24, s4, v24, -1
	v_cndmask_b32_e64 v29, 0, 1, s4
	v_not_b32_e32 v33, v25
	v_cmp_gt_i32_e64 s4, 0, v25
	v_not_b32_e32 v25, v27
	v_lshlrev_b32_e32 v31, 26, v2
	v_cmp_ne_u32_e32 vcc_lo, 0, v29
	v_ashrrev_i32_e32 v29, 31, v33
	v_lshlrev_b32_e32 v32, 25, v2
	v_ashrrev_i32_e32 v25, 31, v25
	v_mul_lo_u32 v23, 0x84, v2
	v_xor_b32_e32 v24, vcc_lo, v24
	v_cmp_gt_i32_e32 vcc_lo, 0, v27
	v_not_b32_e32 v27, v28
	v_xor_b32_e32 v29, s4, v29
	v_cmp_gt_i32_e64 s4, 0, v28
	v_and_b32_e32 v24, exec_lo, v24
	v_not_b32_e32 v28, v30
	v_ashrrev_i32_e32 v27, 31, v27
	v_xor_b32_e32 v25, vcc_lo, v25
	v_cmp_gt_i32_e32 vcc_lo, 0, v30
	v_and_b32_e32 v24, v24, v29
	v_not_b32_e32 v29, v31
	v_ashrrev_i32_e32 v28, 31, v28
	v_xor_b32_e32 v27, s4, v27
	v_lshlrev_b32_e32 v2, 24, v2
	v_and_b32_e32 v24, v24, v25
	v_cmp_gt_i32_e64 s4, 0, v31
	v_not_b32_e32 v25, v32
	v_ashrrev_i32_e32 v29, 31, v29
	v_xor_b32_e32 v28, vcc_lo, v28
	v_and_b32_e32 v24, v24, v27
	v_cmp_gt_i32_e32 vcc_lo, 0, v32
	v_not_b32_e32 v27, v2
	v_ashrrev_i32_e32 v25, 31, v25
	v_xor_b32_e32 v29, s4, v29
	v_and_b32_e32 v24, v24, v28
	v_cmp_gt_i32_e64 s4, 0, v2
	v_ashrrev_i32_e32 v2, 31, v27
	v_xor_b32_e32 v25, vcc_lo, v25
	v_lshl_add_u32 v30, v1, 2, v23
	v_and_b32_e32 v24, v24, v29
	v_xor_b32_e32 v2, s4, v2
	ds_read_b32 v23, v30 offset:128
	v_and_b32_e32 v24, v24, v25
	; wave barrier
	v_and_b32_e32 v2, v24, v2
	v_mbcnt_lo_u32_b32 v24, v2, 0
	v_cmp_ne_u32_e64 s4, 0, v2
	v_cmp_eq_u32_e32 vcc_lo, 0, v24
	s_and_b32 s5, s4, vcc_lo
	s_and_saveexec_b32 s4, s5
	s_cbranch_execz .LBB866_139
; %bb.138:
	s_waitcnt lgkmcnt(0)
	v_bcnt_u32_b32 v2, v2, v23
	ds_write_b32 v30, v2 offset:128
.LBB866_139:
	s_or_b32 exec_lo, exec_lo, s4
	v_xor_b32_e32 v15, 0x80000000, v15
	; wave barrier
	v_lshrrev_b32_e32 v2, s44, v15
	v_and_b32_e32 v2, s14, v2
	v_and_b32_e32 v27, 1, v2
	v_lshlrev_b32_e32 v28, 30, v2
	v_lshlrev_b32_e32 v29, 29, v2
	;; [unrolled: 1-line block ×4, first 2 shown]
	v_add_co_u32 v27, s4, v27, -1
	v_cndmask_b32_e64 v32, 0, 1, s4
	v_not_b32_e32 v36, v28
	v_cmp_gt_i32_e64 s4, 0, v28
	v_not_b32_e32 v28, v29
	v_lshlrev_b32_e32 v34, 26, v2
	v_cmp_ne_u32_e32 vcc_lo, 0, v32
	v_ashrrev_i32_e32 v32, 31, v36
	v_lshlrev_b32_e32 v35, 25, v2
	v_ashrrev_i32_e32 v28, 31, v28
	v_mul_lo_u32 v25, 0x84, v2
	v_xor_b32_e32 v27, vcc_lo, v27
	v_cmp_gt_i32_e32 vcc_lo, 0, v29
	v_not_b32_e32 v29, v31
	v_xor_b32_e32 v32, s4, v32
	v_cmp_gt_i32_e64 s4, 0, v31
	v_and_b32_e32 v27, exec_lo, v27
	v_not_b32_e32 v31, v33
	v_ashrrev_i32_e32 v29, 31, v29
	v_xor_b32_e32 v28, vcc_lo, v28
	v_cmp_gt_i32_e32 vcc_lo, 0, v33
	v_and_b32_e32 v27, v27, v32
	v_not_b32_e32 v32, v34
	v_ashrrev_i32_e32 v31, 31, v31
	v_xor_b32_e32 v29, s4, v29
	v_lshlrev_b32_e32 v2, 24, v2
	v_and_b32_e32 v27, v27, v28
	v_cmp_gt_i32_e64 s4, 0, v34
	v_not_b32_e32 v28, v35
	v_ashrrev_i32_e32 v32, 31, v32
	v_xor_b32_e32 v31, vcc_lo, v31
	v_and_b32_e32 v27, v27, v29
	v_cmp_gt_i32_e32 vcc_lo, 0, v35
	v_not_b32_e32 v29, v2
	v_ashrrev_i32_e32 v28, 31, v28
	v_xor_b32_e32 v32, s4, v32
	v_and_b32_e32 v27, v27, v31
	v_cmp_gt_i32_e64 s4, 0, v2
	v_ashrrev_i32_e32 v2, 31, v29
	v_xor_b32_e32 v28, vcc_lo, v28
	v_lshl_add_u32 v34, v1, 2, v25
	v_and_b32_e32 v27, v27, v32
	v_xor_b32_e32 v2, s4, v2
	v_and_b32_e32 v25, v27, v28
	ds_read_b32 v27, v34 offset:128
	; wave barrier
	v_and_b32_e32 v2, v25, v2
	v_mbcnt_lo_u32_b32 v28, v2, 0
	v_cmp_ne_u32_e64 s4, 0, v2
	v_cmp_eq_u32_e32 vcc_lo, 0, v28
	s_and_b32 s5, s4, vcc_lo
	s_and_saveexec_b32 s4, s5
	s_cbranch_execz .LBB866_141
; %bb.140:
	s_waitcnt lgkmcnt(0)
	v_bcnt_u32_b32 v2, v2, v27
	ds_write_b32 v34, v2 offset:128
.LBB866_141:
	s_or_b32 exec_lo, exec_lo, s4
	v_xor_b32_e32 v17, 0x80000000, v17
	; wave barrier
	v_lshrrev_b32_e32 v2, s44, v17
	v_and_b32_e32 v2, s14, v2
	v_and_b32_e32 v29, 1, v2
	v_lshlrev_b32_e32 v31, 30, v2
	v_lshlrev_b32_e32 v32, 29, v2
	;; [unrolled: 1-line block ×4, first 2 shown]
	v_add_co_u32 v29, s4, v29, -1
	v_cndmask_b32_e64 v35, 0, 1, s4
	v_not_b32_e32 v39, v31
	v_cmp_gt_i32_e64 s4, 0, v31
	v_not_b32_e32 v31, v32
	v_lshlrev_b32_e32 v37, 26, v2
	v_cmp_ne_u32_e32 vcc_lo, 0, v35
	v_ashrrev_i32_e32 v35, 31, v39
	v_lshlrev_b32_e32 v38, 25, v2
	v_ashrrev_i32_e32 v31, 31, v31
	v_mul_lo_u32 v25, 0x84, v2
	v_xor_b32_e32 v29, vcc_lo, v29
	v_cmp_gt_i32_e32 vcc_lo, 0, v32
	v_not_b32_e32 v32, v33
	v_xor_b32_e32 v35, s4, v35
	v_cmp_gt_i32_e64 s4, 0, v33
	v_and_b32_e32 v29, exec_lo, v29
	v_not_b32_e32 v33, v36
	v_ashrrev_i32_e32 v32, 31, v32
	v_xor_b32_e32 v31, vcc_lo, v31
	v_cmp_gt_i32_e32 vcc_lo, 0, v36
	v_and_b32_e32 v29, v29, v35
	v_not_b32_e32 v35, v37
	v_ashrrev_i32_e32 v33, 31, v33
	v_xor_b32_e32 v32, s4, v32
	v_lshlrev_b32_e32 v2, 24, v2
	v_and_b32_e32 v29, v29, v31
	v_cmp_gt_i32_e64 s4, 0, v37
	v_not_b32_e32 v31, v38
	v_ashrrev_i32_e32 v35, 31, v35
	v_xor_b32_e32 v33, vcc_lo, v33
	v_and_b32_e32 v29, v29, v32
	v_cmp_gt_i32_e32 vcc_lo, 0, v38
	v_not_b32_e32 v32, v2
	v_ashrrev_i32_e32 v31, 31, v31
	v_xor_b32_e32 v35, s4, v35
	v_and_b32_e32 v29, v29, v33
	v_cmp_gt_i32_e64 s4, 0, v2
	v_ashrrev_i32_e32 v2, 31, v32
	v_xor_b32_e32 v31, vcc_lo, v31
	v_lshl_add_u32 v38, v1, 2, v25
	v_and_b32_e32 v29, v29, v35
	v_xor_b32_e32 v2, s4, v2
	v_and_b32_e32 v25, v29, v31
	ds_read_b32 v31, v38 offset:128
	; wave barrier
	v_and_b32_e32 v2, v25, v2
	v_mbcnt_lo_u32_b32 v32, v2, 0
	v_cmp_ne_u32_e64 s4, 0, v2
	v_cmp_eq_u32_e32 vcc_lo, 0, v32
	s_and_b32 s5, s4, vcc_lo
	s_and_saveexec_b32 s4, s5
	s_cbranch_execz .LBB866_143
; %bb.142:
	s_waitcnt lgkmcnt(0)
	v_bcnt_u32_b32 v2, v2, v31
	ds_write_b32 v38, v2 offset:128
.LBB866_143:
	s_or_b32 exec_lo, exec_lo, s4
	v_xor_b32_e32 v20, 0x80000000, v20
	; wave barrier
	v_lshrrev_b32_e32 v2, s44, v20
	v_and_b32_e32 v2, s14, v2
	v_and_b32_e32 v29, 1, v2
	v_lshlrev_b32_e32 v33, 30, v2
	v_lshlrev_b32_e32 v35, 29, v2
	;; [unrolled: 1-line block ×4, first 2 shown]
	v_add_co_u32 v29, s4, v29, -1
	v_cndmask_b32_e64 v37, 0, 1, s4
	v_not_b32_e32 v42, v33
	v_cmp_gt_i32_e64 s4, 0, v33
	v_not_b32_e32 v33, v35
	v_lshlrev_b32_e32 v40, 26, v2
	v_cmp_ne_u32_e32 vcc_lo, 0, v37
	v_ashrrev_i32_e32 v37, 31, v42
	v_lshlrev_b32_e32 v41, 25, v2
	v_ashrrev_i32_e32 v33, 31, v33
	v_mul_lo_u32 v25, 0x84, v2
	v_xor_b32_e32 v29, vcc_lo, v29
	v_cmp_gt_i32_e32 vcc_lo, 0, v35
	v_not_b32_e32 v35, v36
	v_xor_b32_e32 v37, s4, v37
	v_cmp_gt_i32_e64 s4, 0, v36
	v_and_b32_e32 v29, exec_lo, v29
	v_not_b32_e32 v36, v39
	v_ashrrev_i32_e32 v35, 31, v35
	v_xor_b32_e32 v33, vcc_lo, v33
	v_cmp_gt_i32_e32 vcc_lo, 0, v39
	v_and_b32_e32 v29, v29, v37
	v_not_b32_e32 v37, v40
	v_ashrrev_i32_e32 v36, 31, v36
	v_xor_b32_e32 v35, s4, v35
	v_lshlrev_b32_e32 v2, 24, v2
	v_and_b32_e32 v29, v29, v33
	v_cmp_gt_i32_e64 s4, 0, v40
	v_not_b32_e32 v33, v41
	v_ashrrev_i32_e32 v37, 31, v37
	v_xor_b32_e32 v36, vcc_lo, v36
	v_and_b32_e32 v29, v29, v35
	v_cmp_gt_i32_e32 vcc_lo, 0, v41
	v_not_b32_e32 v35, v2
	v_ashrrev_i32_e32 v33, 31, v33
	v_xor_b32_e32 v37, s4, v37
	v_and_b32_e32 v29, v29, v36
	v_cmp_gt_i32_e64 s4, 0, v2
	v_ashrrev_i32_e32 v2, 31, v35
	v_xor_b32_e32 v33, vcc_lo, v33
	v_lshl_add_u32 v43, v1, 2, v25
	v_and_b32_e32 v29, v29, v37
	v_xor_b32_e32 v2, s4, v2
	ds_read_b32 v35, v43 offset:128
	v_and_b32_e32 v25, v29, v33
	; wave barrier
	v_and_b32_e32 v2, v25, v2
	v_mbcnt_lo_u32_b32 v36, v2, 0
	v_cmp_ne_u32_e64 s4, 0, v2
	v_cmp_eq_u32_e32 vcc_lo, 0, v36
	s_and_b32 s5, s4, vcc_lo
	s_and_saveexec_b32 s4, s5
	s_cbranch_execz .LBB866_145
; %bb.144:
	s_waitcnt lgkmcnt(0)
	v_bcnt_u32_b32 v2, v2, v35
	ds_write_b32 v43, v2 offset:128
.LBB866_145:
	s_or_b32 exec_lo, exec_lo, s4
	v_xor_b32_e32 v25, 0x80000000, v8
	; wave barrier
	v_lshrrev_b32_e32 v2, s44, v25
	v_and_b32_e32 v2, s14, v2
	v_and_b32_e32 v29, 1, v2
	v_lshlrev_b32_e32 v33, 30, v2
	v_lshlrev_b32_e32 v37, 29, v2
	;; [unrolled: 1-line block ×4, first 2 shown]
	v_add_co_u32 v29, s4, v29, -1
	v_cndmask_b32_e64 v40, 0, 1, s4
	v_not_b32_e32 v45, v33
	v_cmp_gt_i32_e64 s4, 0, v33
	v_not_b32_e32 v33, v37
	v_lshlrev_b32_e32 v42, 26, v2
	v_cmp_ne_u32_e32 vcc_lo, 0, v40
	v_ashrrev_i32_e32 v40, 31, v45
	v_lshlrev_b32_e32 v44, 25, v2
	v_ashrrev_i32_e32 v33, 31, v33
	v_mul_lo_u32 v8, 0x84, v2
	v_xor_b32_e32 v29, vcc_lo, v29
	v_cmp_gt_i32_e32 vcc_lo, 0, v37
	v_not_b32_e32 v37, v39
	v_xor_b32_e32 v40, s4, v40
	v_cmp_gt_i32_e64 s4, 0, v39
	v_and_b32_e32 v29, exec_lo, v29
	v_not_b32_e32 v39, v41
	v_ashrrev_i32_e32 v37, 31, v37
	v_xor_b32_e32 v33, vcc_lo, v33
	v_cmp_gt_i32_e32 vcc_lo, 0, v41
	v_and_b32_e32 v29, v29, v40
	v_not_b32_e32 v40, v42
	v_ashrrev_i32_e32 v39, 31, v39
	v_xor_b32_e32 v37, s4, v37
	v_lshlrev_b32_e32 v2, 24, v2
	v_and_b32_e32 v29, v29, v33
	v_cmp_gt_i32_e64 s4, 0, v42
	v_not_b32_e32 v33, v44
	v_ashrrev_i32_e32 v40, 31, v40
	v_xor_b32_e32 v39, vcc_lo, v39
	v_and_b32_e32 v29, v29, v37
	v_cmp_gt_i32_e32 vcc_lo, 0, v44
	v_not_b32_e32 v37, v2
	v_ashrrev_i32_e32 v33, 31, v33
	v_xor_b32_e32 v40, s4, v40
	v_and_b32_e32 v29, v29, v39
	v_cmp_gt_i32_e64 s4, 0, v2
	v_ashrrev_i32_e32 v2, 31, v37
	v_xor_b32_e32 v33, vcc_lo, v33
	v_lshl_add_u32 v47, v1, 2, v8
	v_and_b32_e32 v29, v29, v40
	v_xor_b32_e32 v2, s4, v2
	ds_read_b32 v39, v47 offset:128
	v_and_b32_e32 v8, v29, v33
	; wave barrier
	v_and_b32_e32 v2, v8, v2
	v_mbcnt_lo_u32_b32 v41, v2, 0
	v_cmp_ne_u32_e64 s4, 0, v2
	v_cmp_eq_u32_e32 vcc_lo, 0, v41
	s_and_b32 s5, s4, vcc_lo
	s_and_saveexec_b32 s4, s5
	s_cbranch_execz .LBB866_147
; %bb.146:
	s_waitcnt lgkmcnt(0)
	v_bcnt_u32_b32 v2, v2, v39
	ds_write_b32 v47, v2 offset:128
.LBB866_147:
	s_or_b32 exec_lo, exec_lo, s4
	v_xor_b32_e32 v29, 0x80000000, v7
	; wave barrier
	v_lshrrev_b32_e32 v2, s44, v29
	v_and_b32_e32 v2, s14, v2
	v_and_b32_e32 v8, 1, v2
	v_lshlrev_b32_e32 v33, 30, v2
	v_lshlrev_b32_e32 v37, 29, v2
	;; [unrolled: 1-line block ×4, first 2 shown]
	v_add_co_u32 v8, s4, v8, -1
	v_cndmask_b32_e64 v42, 0, 1, s4
	v_not_b32_e32 v48, v33
	v_cmp_gt_i32_e64 s4, 0, v33
	v_not_b32_e32 v33, v37
	v_lshlrev_b32_e32 v45, 26, v2
	v_cmp_ne_u32_e32 vcc_lo, 0, v42
	v_ashrrev_i32_e32 v42, 31, v48
	v_lshlrev_b32_e32 v46, 25, v2
	v_ashrrev_i32_e32 v33, 31, v33
	v_mul_lo_u32 v7, 0x84, v2
	v_xor_b32_e32 v8, vcc_lo, v8
	v_cmp_gt_i32_e32 vcc_lo, 0, v37
	v_not_b32_e32 v37, v40
	v_xor_b32_e32 v42, s4, v42
	v_cmp_gt_i32_e64 s4, 0, v40
	v_and_b32_e32 v8, exec_lo, v8
	v_not_b32_e32 v40, v44
	v_ashrrev_i32_e32 v37, 31, v37
	v_xor_b32_e32 v33, vcc_lo, v33
	v_cmp_gt_i32_e32 vcc_lo, 0, v44
	v_and_b32_e32 v8, v8, v42
	v_not_b32_e32 v42, v45
	v_ashrrev_i32_e32 v40, 31, v40
	v_xor_b32_e32 v37, s4, v37
	v_lshlrev_b32_e32 v2, 24, v2
	v_and_b32_e32 v8, v8, v33
	v_cmp_gt_i32_e64 s4, 0, v45
	v_not_b32_e32 v33, v46
	v_ashrrev_i32_e32 v42, 31, v42
	v_xor_b32_e32 v40, vcc_lo, v40
	v_and_b32_e32 v8, v8, v37
	v_cmp_gt_i32_e32 vcc_lo, 0, v46
	v_not_b32_e32 v37, v2
	v_ashrrev_i32_e32 v33, 31, v33
	v_xor_b32_e32 v42, s4, v42
	v_and_b32_e32 v8, v8, v40
	v_cmp_gt_i32_e64 s4, 0, v2
	v_ashrrev_i32_e32 v2, 31, v37
	v_xor_b32_e32 v33, vcc_lo, v33
	v_lshl_add_u32 v50, v1, 2, v7
	v_and_b32_e32 v8, v8, v42
	v_xor_b32_e32 v2, s4, v2
	ds_read_b32 v44, v50 offset:128
	v_and_b32_e32 v7, v8, v33
	; wave barrier
	v_and_b32_e32 v2, v7, v2
	v_mbcnt_lo_u32_b32 v45, v2, 0
	v_cmp_ne_u32_e64 s4, 0, v2
	v_cmp_eq_u32_e32 vcc_lo, 0, v45
	s_and_b32 s5, s4, vcc_lo
	s_and_saveexec_b32 s4, s5
	s_cbranch_execz .LBB866_149
; %bb.148:
	s_waitcnt lgkmcnt(0)
	v_bcnt_u32_b32 v2, v2, v44
	ds_write_b32 v50, v2 offset:128
.LBB866_149:
	s_or_b32 exec_lo, exec_lo, s4
	v_xor_b32_e32 v33, 0x80000000, v6
	; wave barrier
	v_lshrrev_b32_e32 v2, s44, v33
	v_and_b32_e32 v2, s14, v2
	v_and_b32_e32 v7, 1, v2
	v_lshlrev_b32_e32 v8, 30, v2
	v_lshlrev_b32_e32 v37, 29, v2
	;; [unrolled: 1-line block ×4, first 2 shown]
	v_add_co_u32 v7, s4, v7, -1
	v_cndmask_b32_e64 v42, 0, 1, s4
	v_not_b32_e32 v51, v8
	v_cmp_gt_i32_e64 s4, 0, v8
	v_not_b32_e32 v8, v37
	v_lshlrev_b32_e32 v48, 26, v2
	v_cmp_ne_u32_e32 vcc_lo, 0, v42
	v_ashrrev_i32_e32 v42, 31, v51
	v_lshlrev_b32_e32 v49, 25, v2
	v_ashrrev_i32_e32 v8, 31, v8
	v_mul_lo_u32 v6, 0x84, v2
	v_xor_b32_e32 v7, vcc_lo, v7
	v_cmp_gt_i32_e32 vcc_lo, 0, v37
	v_not_b32_e32 v37, v40
	v_xor_b32_e32 v42, s4, v42
	v_cmp_gt_i32_e64 s4, 0, v40
	v_and_b32_e32 v7, exec_lo, v7
	v_not_b32_e32 v40, v46
	v_ashrrev_i32_e32 v37, 31, v37
	v_xor_b32_e32 v8, vcc_lo, v8
	v_cmp_gt_i32_e32 vcc_lo, 0, v46
	v_and_b32_e32 v7, v7, v42
	v_not_b32_e32 v42, v48
	v_ashrrev_i32_e32 v40, 31, v40
	v_xor_b32_e32 v37, s4, v37
	v_lshlrev_b32_e32 v2, 24, v2
	v_and_b32_e32 v7, v7, v8
	v_cmp_gt_i32_e64 s4, 0, v48
	v_not_b32_e32 v8, v49
	v_ashrrev_i32_e32 v42, 31, v42
	v_xor_b32_e32 v40, vcc_lo, v40
	v_and_b32_e32 v7, v7, v37
	v_cmp_gt_i32_e32 vcc_lo, 0, v49
	v_not_b32_e32 v37, v2
	v_ashrrev_i32_e32 v8, 31, v8
	v_xor_b32_e32 v42, s4, v42
	v_and_b32_e32 v7, v7, v40
	v_cmp_gt_i32_e64 s4, 0, v2
	v_ashrrev_i32_e32 v2, 31, v37
	v_xor_b32_e32 v8, vcc_lo, v8
	v_lshl_add_u32 v53, v1, 2, v6
	v_and_b32_e32 v7, v7, v42
	v_xor_b32_e32 v2, s4, v2
	ds_read_b32 v48, v53 offset:128
	v_and_b32_e32 v6, v7, v8
	; wave barrier
	v_and_b32_e32 v2, v6, v2
	v_mbcnt_lo_u32_b32 v49, v2, 0
	v_cmp_ne_u32_e64 s4, 0, v2
	v_cmp_eq_u32_e32 vcc_lo, 0, v49
	s_and_b32 s5, s4, vcc_lo
	s_and_saveexec_b32 s4, s5
	s_cbranch_execz .LBB866_151
; %bb.150:
	s_waitcnt lgkmcnt(0)
	v_bcnt_u32_b32 v2, v2, v48
	ds_write_b32 v53, v2 offset:128
.LBB866_151:
	s_or_b32 exec_lo, exec_lo, s4
	v_xor_b32_e32 v37, 0x80000000, v5
	; wave barrier
	v_lshrrev_b32_e32 v2, s44, v37
	v_and_b32_e32 v2, s14, v2
	v_and_b32_e32 v6, 1, v2
	v_lshlrev_b32_e32 v7, 30, v2
	v_lshlrev_b32_e32 v8, 29, v2
	;; [unrolled: 1-line block ×4, first 2 shown]
	v_add_co_u32 v6, s4, v6, -1
	v_cndmask_b32_e64 v42, 0, 1, s4
	v_not_b32_e32 v54, v7
	v_cmp_gt_i32_e64 s4, 0, v7
	v_not_b32_e32 v7, v8
	v_lshlrev_b32_e32 v51, 26, v2
	v_cmp_ne_u32_e32 vcc_lo, 0, v42
	v_ashrrev_i32_e32 v42, 31, v54
	v_lshlrev_b32_e32 v52, 25, v2
	v_ashrrev_i32_e32 v7, 31, v7
	v_mul_lo_u32 v5, 0x84, v2
	v_xor_b32_e32 v6, vcc_lo, v6
	v_cmp_gt_i32_e32 vcc_lo, 0, v8
	v_not_b32_e32 v8, v40
	v_xor_b32_e32 v42, s4, v42
	v_cmp_gt_i32_e64 s4, 0, v40
	v_and_b32_e32 v6, exec_lo, v6
	v_not_b32_e32 v40, v46
	v_ashrrev_i32_e32 v8, 31, v8
	v_xor_b32_e32 v7, vcc_lo, v7
	v_cmp_gt_i32_e32 vcc_lo, 0, v46
	v_and_b32_e32 v6, v6, v42
	v_not_b32_e32 v42, v51
	v_ashrrev_i32_e32 v40, 31, v40
	v_xor_b32_e32 v8, s4, v8
	v_lshlrev_b32_e32 v2, 24, v2
	v_and_b32_e32 v6, v6, v7
	v_cmp_gt_i32_e64 s4, 0, v51
	v_not_b32_e32 v7, v52
	v_ashrrev_i32_e32 v42, 31, v42
	v_xor_b32_e32 v40, vcc_lo, v40
	v_and_b32_e32 v6, v6, v8
	v_cmp_gt_i32_e32 vcc_lo, 0, v52
	v_not_b32_e32 v8, v2
	v_ashrrev_i32_e32 v7, 31, v7
	v_xor_b32_e32 v42, s4, v42
	v_and_b32_e32 v6, v6, v40
	v_cmp_gt_i32_e64 s4, 0, v2
	v_ashrrev_i32_e32 v2, 31, v8
	v_xor_b32_e32 v7, vcc_lo, v7
	v_lshl_add_u32 v56, v1, 2, v5
	v_and_b32_e32 v6, v6, v42
	v_xor_b32_e32 v2, s4, v2
	ds_read_b32 v51, v56 offset:128
	v_and_b32_e32 v5, v6, v7
	; wave barrier
	v_and_b32_e32 v2, v5, v2
	v_mbcnt_lo_u32_b32 v52, v2, 0
	v_cmp_ne_u32_e64 s4, 0, v2
	v_cmp_eq_u32_e32 vcc_lo, 0, v52
	s_and_b32 s5, s4, vcc_lo
	s_and_saveexec_b32 s4, s5
	s_cbranch_execz .LBB866_153
; %bb.152:
	s_waitcnt lgkmcnt(0)
	v_bcnt_u32_b32 v2, v2, v51
	ds_write_b32 v56, v2 offset:128
.LBB866_153:
	s_or_b32 exec_lo, exec_lo, s4
	v_xor_b32_e32 v42, 0x80000000, v4
	; wave barrier
	v_lshrrev_b32_e32 v2, s44, v42
	v_and_b32_e32 v2, s14, v2
	v_and_b32_e32 v5, 1, v2
	v_lshlrev_b32_e32 v6, 30, v2
	v_lshlrev_b32_e32 v7, 29, v2
	;; [unrolled: 1-line block ×4, first 2 shown]
	v_add_co_u32 v5, s4, v5, -1
	v_cndmask_b32_e64 v40, 0, 1, s4
	v_not_b32_e32 v57, v6
	v_cmp_gt_i32_e64 s4, 0, v6
	v_not_b32_e32 v6, v7
	v_lshlrev_b32_e32 v54, 26, v2
	v_cmp_ne_u32_e32 vcc_lo, 0, v40
	v_ashrrev_i32_e32 v40, 31, v57
	v_lshlrev_b32_e32 v55, 25, v2
	v_ashrrev_i32_e32 v6, 31, v6
	v_mul_lo_u32 v4, 0x84, v2
	v_xor_b32_e32 v5, vcc_lo, v5
	v_cmp_gt_i32_e32 vcc_lo, 0, v7
	v_not_b32_e32 v7, v8
	v_xor_b32_e32 v40, s4, v40
	v_cmp_gt_i32_e64 s4, 0, v8
	v_and_b32_e32 v5, exec_lo, v5
	v_not_b32_e32 v8, v46
	v_ashrrev_i32_e32 v7, 31, v7
	v_xor_b32_e32 v6, vcc_lo, v6
	v_cmp_gt_i32_e32 vcc_lo, 0, v46
	v_and_b32_e32 v5, v5, v40
	v_not_b32_e32 v40, v54
	v_ashrrev_i32_e32 v8, 31, v8
	v_xor_b32_e32 v7, s4, v7
	v_lshlrev_b32_e32 v2, 24, v2
	v_and_b32_e32 v5, v5, v6
	v_cmp_gt_i32_e64 s4, 0, v54
	v_not_b32_e32 v6, v55
	v_ashrrev_i32_e32 v40, 31, v40
	v_xor_b32_e32 v8, vcc_lo, v8
	v_and_b32_e32 v5, v5, v7
	v_cmp_gt_i32_e32 vcc_lo, 0, v55
	v_not_b32_e32 v7, v2
	v_ashrrev_i32_e32 v6, 31, v6
	v_xor_b32_e32 v40, s4, v40
	v_and_b32_e32 v5, v5, v8
	v_cmp_gt_i32_e64 s4, 0, v2
	v_ashrrev_i32_e32 v2, 31, v7
	v_xor_b32_e32 v6, vcc_lo, v6
	v_lshl_add_u32 v59, v1, 2, v4
	v_and_b32_e32 v5, v5, v40
	v_xor_b32_e32 v2, s4, v2
	ds_read_b32 v54, v59 offset:128
	v_and_b32_e32 v4, v5, v6
	; wave barrier
	v_and_b32_e32 v2, v4, v2
	v_mbcnt_lo_u32_b32 v55, v2, 0
	v_cmp_ne_u32_e64 s4, 0, v2
	v_cmp_eq_u32_e32 vcc_lo, 0, v55
	s_and_b32 s5, s4, vcc_lo
	s_and_saveexec_b32 s4, s5
	s_cbranch_execz .LBB866_155
; %bb.154:
	s_waitcnt lgkmcnt(0)
	v_bcnt_u32_b32 v2, v2, v54
	ds_write_b32 v59, v2 offset:128
.LBB866_155:
	s_or_b32 exec_lo, exec_lo, s4
	v_xor_b32_e32 v46, 0x80000000, v3
	; wave barrier
	v_lshrrev_b32_e32 v2, s44, v46
	v_and_b32_e32 v2, s14, v2
	v_and_b32_e32 v4, 1, v2
	v_lshlrev_b32_e32 v5, 30, v2
	v_lshlrev_b32_e32 v6, 29, v2
	;; [unrolled: 1-line block ×4, first 2 shown]
	v_add_co_u32 v4, s4, v4, -1
	v_cndmask_b32_e64 v8, 0, 1, s4
	v_not_b32_e32 v60, v5
	v_cmp_gt_i32_e64 s4, 0, v5
	v_not_b32_e32 v5, v6
	v_lshlrev_b32_e32 v57, 26, v2
	v_cmp_ne_u32_e32 vcc_lo, 0, v8
	v_ashrrev_i32_e32 v8, 31, v60
	v_lshlrev_b32_e32 v58, 25, v2
	v_ashrrev_i32_e32 v5, 31, v5
	v_mul_lo_u32 v3, 0x84, v2
	v_xor_b32_e32 v4, vcc_lo, v4
	v_cmp_gt_i32_e32 vcc_lo, 0, v6
	v_not_b32_e32 v6, v7
	v_xor_b32_e32 v8, s4, v8
	v_cmp_gt_i32_e64 s4, 0, v7
	v_and_b32_e32 v4, exec_lo, v4
	v_not_b32_e32 v7, v40
	v_ashrrev_i32_e32 v6, 31, v6
	v_xor_b32_e32 v5, vcc_lo, v5
	v_cmp_gt_i32_e32 vcc_lo, 0, v40
	v_and_b32_e32 v4, v4, v8
	v_not_b32_e32 v8, v57
	v_ashrrev_i32_e32 v7, 31, v7
	v_xor_b32_e32 v6, s4, v6
	v_lshlrev_b32_e32 v2, 24, v2
	v_and_b32_e32 v4, v4, v5
	v_cmp_gt_i32_e64 s4, 0, v57
	v_not_b32_e32 v5, v58
	v_ashrrev_i32_e32 v8, 31, v8
	v_xor_b32_e32 v7, vcc_lo, v7
	v_and_b32_e32 v4, v4, v6
	v_cmp_gt_i32_e32 vcc_lo, 0, v58
	v_not_b32_e32 v6, v2
	v_ashrrev_i32_e32 v5, 31, v5
	v_xor_b32_e32 v8, s4, v8
	v_and_b32_e32 v4, v4, v7
	v_cmp_gt_i32_e64 s4, 0, v2
	v_ashrrev_i32_e32 v2, 31, v6
	v_xor_b32_e32 v5, vcc_lo, v5
	v_lshl_add_u32 v60, v1, 2, v3
	v_and_b32_e32 v4, v4, v8
	v_xor_b32_e32 v1, s4, v2
	ds_read_b32 v57, v60 offset:128
	v_and_b32_e32 v2, v4, v5
	; wave barrier
	v_and_b32_e32 v1, v2, v1
	v_mbcnt_lo_u32_b32 v58, v1, 0
	v_cmp_ne_u32_e64 s4, 0, v1
	v_cmp_eq_u32_e32 vcc_lo, 0, v58
	s_and_b32 s5, s4, vcc_lo
	s_and_saveexec_b32 s4, s5
	s_cbranch_execz .LBB866_157
; %bb.156:
	s_waitcnt lgkmcnt(0)
	v_bcnt_u32_b32 v1, v1, v57
	ds_write_b32 v60, v1 offset:128
.LBB866_157:
	s_or_b32 exec_lo, exec_lo, s4
	; wave barrier
	s_waitcnt lgkmcnt(0)
	s_barrier
	buffer_gl0_inv
	ds_read2_b32 v[7:8], v21 offset0:32 offset1:33
	ds_read2_b32 v[5:6], v21 offset0:34 offset1:35
	;; [unrolled: 1-line block ×4, first 2 shown]
	ds_read_b32 v40, v21 offset:160
	v_and_b32_e32 v63, 16, v11
	v_and_b32_e32 v64, 31, v0
	s_mov_b32 s10, exec_lo
	v_cmp_eq_u32_e64 s8, 0, v63
	s_waitcnt lgkmcnt(3)
	v_add3_u32 v61, v8, v7, v5
	s_waitcnt lgkmcnt(2)
	v_add3_u32 v61, v61, v6, v3
	;; [unrolled: 2-line block ×4, first 2 shown]
	v_and_b32_e32 v61, 15, v11
	v_mov_b32_dpp v62, v40 row_shr:1 row_mask:0xf bank_mask:0xf
	v_cmp_eq_u32_e32 vcc_lo, 0, v61
	v_cmp_lt_u32_e64 s4, 1, v61
	v_cmp_lt_u32_e64 s5, 3, v61
	v_cmp_lt_u32_e64 s7, 7, v61
	v_cndmask_b32_e64 v62, v62, 0, vcc_lo
	v_add_nc_u32_e32 v40, v62, v40
	v_mov_b32_dpp v62, v40 row_shr:2 row_mask:0xf bank_mask:0xf
	v_cndmask_b32_e64 v62, 0, v62, s4
	v_add_nc_u32_e32 v40, v40, v62
	v_mov_b32_dpp v62, v40 row_shr:4 row_mask:0xf bank_mask:0xf
	v_cndmask_b32_e64 v62, 0, v62, s5
	;; [unrolled: 3-line block ×3, first 2 shown]
	v_bfe_i32 v62, v11, 4, 1
	v_add_nc_u32_e32 v40, v40, v61
	ds_swizzle_b32 v61, v40 offset:swizzle(BROADCAST,32,15)
	s_waitcnt lgkmcnt(0)
	v_and_b32_e32 v61, v62, v61
	v_lshrrev_b32_e32 v62, 5, v0
	v_add_nc_u32_e32 v61, v40, v61
	v_cmpx_eq_u32_e32 31, v64
; %bb.158:
	v_lshlrev_b32_e32 v40, 2, v62
	ds_write_b32 v40, v61
; %bb.159:
	s_or_b32 exec_lo, exec_lo, s10
	v_cmp_lt_u32_e64 s9, 31, v0
	v_lshlrev_b32_e32 v40, 2, v0
	s_mov_b32 s15, exec_lo
	s_waitcnt lgkmcnt(0)
	s_barrier
	buffer_gl0_inv
	v_cmpx_gt_u32_e32 32, v0
	s_cbranch_execz .LBB866_161
; %bb.160:
	ds_read_b32 v63, v40
	s_waitcnt lgkmcnt(0)
	v_mov_b32_dpp v64, v63 row_shr:1 row_mask:0xf bank_mask:0xf
	v_cndmask_b32_e64 v64, v64, 0, vcc_lo
	v_add_nc_u32_e32 v63, v64, v63
	v_mov_b32_dpp v64, v63 row_shr:2 row_mask:0xf bank_mask:0xf
	v_cndmask_b32_e64 v64, 0, v64, s4
	v_add_nc_u32_e32 v63, v63, v64
	v_mov_b32_dpp v64, v63 row_shr:4 row_mask:0xf bank_mask:0xf
	v_cndmask_b32_e64 v64, 0, v64, s5
	;; [unrolled: 3-line block ×3, first 2 shown]
	v_add_nc_u32_e32 v63, v63, v64
	ds_swizzle_b32 v64, v63 offset:swizzle(BROADCAST,32,15)
	s_waitcnt lgkmcnt(0)
	v_cndmask_b32_e64 v64, v64, 0, s8
	v_add_nc_u32_e32 v63, v63, v64
	ds_write_b32 v40, v63
.LBB866_161:
	s_or_b32 exec_lo, exec_lo, s15
	v_mov_b32_e32 v63, 0
	s_waitcnt lgkmcnt(0)
	s_barrier
	buffer_gl0_inv
	s_and_saveexec_b32 s4, s9
; %bb.162:
	v_lshl_add_u32 v62, v62, 2, -4
	ds_read_b32 v63, v62
; %bb.163:
	s_or_b32 exec_lo, exec_lo, s4
	v_sub_co_u32 v62, vcc_lo, v11, 1
	s_waitcnt lgkmcnt(0)
	v_add_nc_u32_e32 v61, v63, v61
	v_cmp_gt_i32_e64 s4, 0, v62
	v_cndmask_b32_e64 v11, v62, v11, s4
	v_cmp_lt_u32_e64 s4, 0xff, v0
	v_lshlrev_b32_e32 v11, 2, v11
	ds_bpermute_b32 v11, v11, v61
	s_waitcnt lgkmcnt(0)
	v_cndmask_b32_e32 v11, v11, v63, vcc_lo
	v_cmp_ne_u32_e32 vcc_lo, 0, v0
	v_cndmask_b32_e32 v11, 0, v11, vcc_lo
	v_cmp_gt_u32_e32 vcc_lo, 0x100, v0
	v_add_nc_u32_e32 v7, v11, v7
	v_add_nc_u32_e32 v8, v7, v8
	;; [unrolled: 1-line block ×8, first 2 shown]
	ds_write2_b32 v21, v11, v7 offset0:32 offset1:33
	ds_write2_b32 v21, v8, v5 offset0:34 offset1:35
	;; [unrolled: 1-line block ×4, first 2 shown]
	ds_write_b32 v21, v2 offset:160
	s_waitcnt lgkmcnt(0)
	s_barrier
	buffer_gl0_inv
	ds_read_b32 v11, v22 offset:128
	ds_read_b32 v21, v26 offset:128
	;; [unrolled: 1-line block ×12, first 2 shown]
                                        ; implicit-def: $vgpr7
                                        ; implicit-def: $vgpr8
	s_and_saveexec_b32 s7, vcc_lo
	s_cbranch_execz .LBB866_167
; %bb.164:
	v_mul_u32_u24_e32 v1, 0x84, v0
	v_add_nc_u32_e32 v2, 1, v0
	s_mov_b32 s8, exec_lo
	ds_read_b32 v7, v1 offset:128
	v_mov_b32_e32 v1, 0x3000
	v_cmpx_ne_u32_e32 0x100, v2
; %bb.165:
	v_mul_u32_u24_e32 v1, 0x84, v2
	ds_read_b32 v1, v1 offset:128
; %bb.166:
	s_or_b32 exec_lo, exec_lo, s8
	s_waitcnt lgkmcnt(0)
	v_sub_nc_u32_e32 v8, v1, v7
.LBB866_167:
	s_or_b32 exec_lo, exec_lo, s7
	v_mov_b32_e32 v2, 0
	s_waitcnt lgkmcnt(0)
	s_barrier
	buffer_gl0_inv
	s_and_saveexec_b32 s5, vcc_lo
	s_cbranch_execz .LBB866_177
; %bb.168:
	v_lshl_add_u32 v1, s6, 8, v0
	v_mov_b32_e32 v59, 0
	s_mov_b32 s7, 0
	s_mov_b32 s8, s6
                                        ; implicit-def: $sgpr9
	v_lshlrev_b64 v[3:4], 2, v[1:2]
	v_or_b32_e32 v1, 2.0, v8
	v_add_co_u32 v3, vcc_lo, s26, v3
	v_add_co_ci_u32_e64 v4, null, s27, v4, vcc_lo
	global_store_dword v[3:4], v1, off
	s_branch .LBB866_171
	.p2align	6
.LBB866_169:                            ;   in Loop: Header=BB866_171 Depth=1
	s_or_b32 exec_lo, exec_lo, s10
.LBB866_170:                            ;   in Loop: Header=BB866_171 Depth=1
	s_or_b32 exec_lo, exec_lo, s9
	v_and_b32_e32 v5, 0x3fffffff, v1
	v_cmp_gt_i32_e64 s9, -2.0, v1
	v_add_nc_u32_e32 v59, v5, v59
	s_and_b32 s10, exec_lo, s9
	s_or_b32 s7, s10, s7
	s_andn2_b32 exec_lo, exec_lo, s7
	s_cbranch_execz .LBB866_176
.LBB866_171:                            ; =>This Loop Header: Depth=1
                                        ;     Child Loop BB866_174 Depth 2
	s_or_b32 s9, s9, exec_lo
	s_cmp_eq_u32 s8, 0
	s_cbranch_scc1 .LBB866_175
; %bb.172:                              ;   in Loop: Header=BB866_171 Depth=1
	s_add_i32 s8, s8, -1
	s_mov_b32 s9, exec_lo
	v_lshl_or_b32 v1, s8, 8, v0
	v_lshlrev_b64 v[5:6], 2, v[1:2]
	v_add_co_u32 v5, vcc_lo, s26, v5
	v_add_co_ci_u32_e64 v6, null, s27, v6, vcc_lo
	global_load_dword v1, v[5:6], off glc dlc
	s_waitcnt vmcnt(0)
	v_cmpx_gt_u32_e32 2.0, v1
	s_cbranch_execz .LBB866_170
; %bb.173:                              ;   in Loop: Header=BB866_171 Depth=1
	s_mov_b32 s10, 0
.LBB866_174:                            ;   Parent Loop BB866_171 Depth=1
                                        ; =>  This Inner Loop Header: Depth=2
	global_load_dword v1, v[5:6], off glc dlc
	s_waitcnt vmcnt(0)
	v_cmp_lt_u32_e32 vcc_lo, 0x3fffffff, v1
	s_or_b32 s10, vcc_lo, s10
	s_andn2_b32 exec_lo, exec_lo, s10
	s_cbranch_execnz .LBB866_174
	s_branch .LBB866_169
.LBB866_175:                            ;   in Loop: Header=BB866_171 Depth=1
                                        ; implicit-def: $sgpr8
	s_and_b32 s10, exec_lo, s9
	s_or_b32 s7, s10, s7
	s_andn2_b32 exec_lo, exec_lo, s7
	s_cbranch_execnz .LBB866_171
.LBB866_176:
	s_or_b32 exec_lo, exec_lo, s7
	v_add_nc_u32_e32 v1, v59, v8
	v_sub_nc_u32_e32 v2, v59, v7
	v_or_b32_e32 v1, 0x80000000, v1
	global_store_dword v[3:4], v1, off
	global_load_dword v1, v40, s[28:29]
	s_waitcnt vmcnt(0)
	v_add_nc_u32_e32 v1, v2, v1
	ds_write_b32 v40, v1
.LBB866_177:
	s_or_b32 exec_lo, exec_lo, s5
	v_add_nc_u32_e32 v3, v11, v16
	v_add3_u32 v4, v19, v18, v21
	v_add3_u32 v5, v24, v23, v22
	;; [unrolled: 1-line block ×11, first 2 shown]
	v_mov_b32_e32 v2, 0
	v_mov_b32_e32 v26, v3
	;; [unrolled: 1-line block ×13, first 2 shown]
	s_mov_b32 s5, 32
	s_mov_b32 s9, 0
	s_mov_b32 s7, 0
	s_mov_b32 s8, -1
	s_branch .LBB866_179
.LBB866_178:                            ;   in Loop: Header=BB866_179 Depth=1
	v_add_nc_u32_e32 v41, 0xffffe000, v41
	v_add_nc_u32_e32 v39, 0xffffe000, v39
	;; [unrolled: 1-line block ×12, first 2 shown]
	s_xor_b32 s9, s8, -1
	s_addk_i32 s7, 0x2000
	s_mov_b32 s8, 0
	s_and_b32 vcc_lo, exec_lo, s9
	s_mov_b32 s9, s5
	s_waitcnt_vscnt null, 0x0
	s_barrier
	buffer_gl0_inv
	s_cbranch_vccnz .LBB866_187
.LBB866_179:                            ; =>This Inner Loop Header: Depth=1
	v_min_u32_e32 v1, 0x2000, v26
	v_min_u32_e32 v43, 0x2000, v27
	;; [unrolled: 1-line block ×5, first 2 shown]
	v_lshlrev_b32_e32 v1, 2, v1
	v_lshlrev_b32_e32 v43, 2, v43
	v_min_u32_e32 v48, 0x2000, v32
	v_min_u32_e32 v49, 0x2000, v34
	v_mov_b32_e32 v57, s9
	ds_write_b32 v1, v12 offset:1024
	ds_write_b32 v43, v13 offset:1024
	v_lshlrev_b32_e32 v1, 2, v44
	v_lshlrev_b32_e32 v43, 2, v45
	;; [unrolled: 1-line block ×5, first 2 shown]
	ds_write_b32 v1, v14 offset:1024
	ds_write_b32 v43, v15 offset:1024
	;; [unrolled: 1-line block ×5, first 2 shown]
	v_min_u32_e32 v1, 0x2000, v35
	v_min_u32_e32 v43, 0x2000, v36
	;; [unrolled: 1-line block ×5, first 2 shown]
	v_lshlrev_b32_e32 v1, 2, v1
	v_lshlrev_b32_e32 v43, 2, v43
	v_lshlrev_b32_e32 v44, 2, v44
	v_lshlrev_b32_e32 v45, 2, v45
	v_lshlrev_b32_e32 v47, 2, v47
	ds_write_b32 v1, v29 offset:1024
	ds_write_b32 v43, v33 offset:1024
	;; [unrolled: 1-line block ×5, first 2 shown]
	s_waitcnt lgkmcnt(0)
	s_waitcnt_vscnt null, 0x0
	s_barrier
	buffer_gl0_inv
	ds_read2st64_b32 v[44:45], v40 offset0:4 offset1:20
	ds_read2st64_b32 v[47:48], v40 offset0:36 offset1:52
	s_add_i32 s10, s7, 0x1000
	s_cmpk_lt_u32 s10, 0x3000
	s_waitcnt lgkmcnt(1)
	v_lshrrev_b32_e32 v1, s44, v44
	v_xor_b32_e32 v58, 0x80000000, v44
	v_xor_b32_e32 v59, 0x80000000, v45
	s_waitcnt lgkmcnt(0)
	v_xor_b32_e32 v60, 0x80000000, v47
	v_xor_b32_e32 v61, 0x80000000, v48
	v_and_b32_e32 v49, s14, v1
	v_lshrrev_b32_e32 v1, s44, v45
	v_lshlrev_b32_e32 v43, 2, v49
	v_and_b32_e32 v50, s14, v1
	v_lshrrev_b32_e32 v1, s44, v47
	ds_read_b32 v51, v43
	v_and_b32_e32 v53, s14, v1
	v_lshrrev_b32_e32 v1, s44, v48
	v_and_b32_e32 v54, s14, v1
	v_lshlrev_b32_e32 v1, 2, v54
	ds_read_b32 v56, v1
	v_lshlrev_b32_e32 v43, 2, v50
	ds_read_b32 v52, v43
	;; [unrolled: 2-line block ×3, first 2 shown]
	v_add_nc_u32_e32 v43, s7, v0
	buffer_store_dword v49, v57, s[0:3], 0 offen
	buffer_store_dword v50, v57, s[0:3], 0 offen offset:4
	buffer_store_dword v53, v57, s[0:3], 0 offen offset:8
	s_waitcnt lgkmcnt(3)
	v_add_nc_u32_e32 v1, v43, v51
	v_lshlrev_b64 v[44:45], 2, v[1:2]
	s_waitcnt lgkmcnt(1)
	v_add3_u32 v1, v43, v52, 0x400
	v_add_co_u32 v44, vcc_lo, s38, v44
	v_lshlrev_b64 v[47:48], 2, v[1:2]
	s_waitcnt lgkmcnt(0)
	v_add3_u32 v1, v43, v55, 0x800
	v_add_co_ci_u32_e64 v45, null, s39, v45, vcc_lo
	v_lshlrev_b64 v[49:50], 2, v[1:2]
	v_add3_u32 v1, v43, v56, 0xc00
	v_add_co_u32 v47, vcc_lo, s38, v47
	v_add_co_ci_u32_e64 v48, null, s39, v48, vcc_lo
	v_lshlrev_b64 v[51:52], 2, v[1:2]
	v_add_co_u32 v49, vcc_lo, s38, v49
	v_add_co_ci_u32_e64 v50, null, s39, v50, vcc_lo
	v_add_co_u32 v51, vcc_lo, s38, v51
	v_add_co_ci_u32_e64 v52, null, s39, v52, vcc_lo
	global_store_dword v[44:45], v58, off
	global_store_dword v[47:48], v59, off
	global_store_dword v[49:50], v60, off
	global_store_dword v[51:52], v61, off
	buffer_store_dword v54, v57, s[0:3], 0 offen offset:12
	s_cbranch_scc0 .LBB866_183
; %bb.180:                              ;   in Loop: Header=BB866_179 Depth=1
	ds_read_b32 v47, v40 offset:17408
	s_waitcnt lgkmcnt(0)
	v_lshrrev_b32_e32 v1, s44, v47
	v_and_b32_e32 v48, s14, v1
	v_lshlrev_b32_e32 v1, 2, v48
	ds_read_b32 v1, v1
	s_waitcnt lgkmcnt(0)
	v_add3_u32 v1, v43, v1, 0x1000
	v_lshlrev_b64 v[44:45], 2, v[1:2]
	v_xor_b32_e32 v1, 0x80000000, v47
	v_mov_b32_e32 v47, s9
	v_add_co_u32 v44, vcc_lo, s38, v44
	v_add_co_ci_u32_e64 v45, null, s39, v45, vcc_lo
	buffer_store_dword v48, v47, s[0:3], 0 offen offset:16
	global_store_dword v[44:45], v1, off
	s_add_i32 s10, s7, 0x1400
	s_cmpk_gt_u32 s10, 0x2fff
	s_cbranch_scc0 .LBB866_184
.LBB866_181:                            ;   in Loop: Header=BB866_179 Depth=1
	s_add_i32 s10, s7, 0x1800
	s_cmpk_gt_u32 s10, 0x2fff
	s_cbranch_scc1 .LBB866_185
.LBB866_182:                            ;   in Loop: Header=BB866_179 Depth=1
	ds_read_b32 v47, v40 offset:25600
	s_waitcnt lgkmcnt(0)
	v_lshrrev_b32_e32 v1, s44, v47
	v_and_b32_e32 v48, s14, v1
	v_lshlrev_b32_e32 v1, 2, v48
	ds_read_b32 v1, v1
	s_waitcnt lgkmcnt(0)
	v_add3_u32 v1, v43, v1, 0x1800
	v_lshlrev_b64 v[44:45], 2, v[1:2]
	v_xor_b32_e32 v1, 0x80000000, v47
	v_mov_b32_e32 v47, s9
	v_add_co_u32 v44, vcc_lo, s38, v44
	v_add_co_ci_u32_e64 v45, null, s39, v45, vcc_lo
	buffer_store_dword v48, v47, s[0:3], 0 offen offset:24
	global_store_dword v[44:45], v1, off
	s_add_i32 s10, s7, 0x1c00
	s_cmpk_gt_u32 s10, 0x2fff
	s_cbranch_scc1 .LBB866_178
	s_branch .LBB866_186
.LBB866_183:                            ;   in Loop: Header=BB866_179 Depth=1
	s_add_i32 s10, s7, 0x1400
	s_cmpk_gt_u32 s10, 0x2fff
	s_cbranch_scc1 .LBB866_181
.LBB866_184:                            ;   in Loop: Header=BB866_179 Depth=1
	ds_read_b32 v47, v40 offset:21504
	s_waitcnt lgkmcnt(0)
	v_lshrrev_b32_e32 v1, s44, v47
	v_and_b32_e32 v48, s14, v1
	v_lshlrev_b32_e32 v1, 2, v48
	ds_read_b32 v1, v1
	s_waitcnt lgkmcnt(0)
	v_add3_u32 v1, v43, v1, 0x1400
	v_lshlrev_b64 v[44:45], 2, v[1:2]
	v_xor_b32_e32 v1, 0x80000000, v47
	v_mov_b32_e32 v47, s9
	v_add_co_u32 v44, vcc_lo, s38, v44
	v_add_co_ci_u32_e64 v45, null, s39, v45, vcc_lo
	buffer_store_dword v48, v47, s[0:3], 0 offen offset:20
	global_store_dword v[44:45], v1, off
	s_add_i32 s10, s7, 0x1800
	s_cmpk_gt_u32 s10, 0x2fff
	s_cbranch_scc0 .LBB866_182
.LBB866_185:                            ;   in Loop: Header=BB866_179 Depth=1
	s_add_i32 s10, s7, 0x1c00
	s_cmpk_gt_u32 s10, 0x2fff
	s_cbranch_scc1 .LBB866_178
.LBB866_186:                            ;   in Loop: Header=BB866_179 Depth=1
	ds_read_b32 v45, v40 offset:29696
	s_waitcnt lgkmcnt(0)
	v_lshrrev_b32_e32 v1, s44, v45
	v_and_b32_e32 v47, s14, v1
	v_lshlrev_b32_e32 v1, 2, v47
	ds_read_b32 v1, v1
	s_waitcnt lgkmcnt(0)
	v_add3_u32 v1, v43, v1, 0x1c00
	v_lshlrev_b64 v[43:44], 2, v[1:2]
	v_xor_b32_e32 v1, 0x80000000, v45
	v_mov_b32_e32 v45, s9
	v_add_co_u32 v43, vcc_lo, s38, v43
	v_add_co_ci_u32_e64 v44, null, s39, v44, vcc_lo
	buffer_store_dword v47, v45, s[0:3], 0 offen offset:28
	global_store_dword v[43:44], v1, off
	s_branch .LBB866_178
.LBB866_187:
	s_add_u32 s7, s40, s12
	s_addc_u32 s8, s41, s13
	v_add_co_u32 v1, s7, s7, v9
	v_add_co_ci_u32_e64 v2, null, s8, 0, s7
	s_mov_b32 s9, 0
	v_add_co_u32 v1, vcc_lo, v1, v10
	v_add_co_ci_u32_e64 v2, null, 0, v2, vcc_lo
	s_mov_b32 s8, -1
	s_mov_b32 s7, 0
	s_clause 0xb
	global_load_dword v9, v[1:2], off
	global_load_dword v10, v[1:2], off offset:128
	global_load_dword v12, v[1:2], off offset:256
	;; [unrolled: 1-line block ×11, first 2 shown]
	v_mov_b32_e32 v2, 0
	s_branch .LBB866_189
.LBB866_188:                            ;   in Loop: Header=BB866_189 Depth=1
	v_add_nc_u32_e32 v24, 0xffffe000, v24
	v_add_nc_u32_e32 v23, 0xffffe000, v23
	;; [unrolled: 1-line block ×12, first 2 shown]
	s_xor_b32 s9, s8, -1
	s_addk_i32 s7, 0x2000
	s_mov_b32 s8, 0
	s_and_b32 vcc_lo, exec_lo, s9
	s_mov_b32 s9, s5
	s_waitcnt_vscnt null, 0x0
	s_barrier
	buffer_gl0_inv
	s_cbranch_vccnz .LBB866_197
.LBB866_189:                            ; =>This Inner Loop Header: Depth=1
	v_min_u32_e32 v1, 0x2000, v3
	v_min_u32_e32 v29, 0x2000, v4
	;; [unrolled: 1-line block ×5, first 2 shown]
	v_lshlrev_b32_e32 v1, 2, v1
	v_lshlrev_b32_e32 v29, 2, v29
	v_min_u32_e32 v33, 0x2000, v16
	v_lshlrev_b32_e32 v30, 2, v30
	s_add_i32 s10, s7, 0x1000
	s_waitcnt vmcnt(11)
	ds_write_b32 v1, v9 offset:1024
	s_waitcnt vmcnt(10)
	ds_write_b32 v29, v10 offset:1024
	v_min_u32_e32 v1, 0x2000, v18
	v_lshlrev_b32_e32 v29, 2, v31
	v_lshlrev_b32_e32 v31, 2, v32
	;; [unrolled: 1-line block ×3, first 2 shown]
	s_waitcnt vmcnt(9)
	ds_write_b32 v30, v12 offset:1024
	v_lshlrev_b32_e32 v1, 2, v1
	s_waitcnt vmcnt(8)
	ds_write_b32 v29, v13 offset:1024
	s_waitcnt vmcnt(7)
	ds_write_b32 v31, v14 offset:1024
	s_waitcnt vmcnt(6)
	ds_write_b32 v32, v15 offset:1024
	v_min_u32_e32 v29, 0x2000, v19
	v_min_u32_e32 v30, 0x2000, v22
	;; [unrolled: 1-line block ×3, first 2 shown]
	s_waitcnt vmcnt(5)
	ds_write_b32 v1, v17 offset:1024
	v_min_u32_e32 v1, 0x2000, v21
	v_lshlrev_b32_e32 v29, 2, v29
	v_min_u32_e32 v32, 0x2000, v24
	v_lshlrev_b32_e32 v30, 2, v30
	v_lshlrev_b32_e32 v31, 2, v31
	;; [unrolled: 1-line block ×3, first 2 shown]
	s_waitcnt vmcnt(4)
	ds_write_b32 v29, v20 offset:1024
	v_lshlrev_b32_e32 v29, 2, v32
	s_waitcnt vmcnt(3)
	ds_write_b32 v1, v25 offset:1024
	s_waitcnt vmcnt(2)
	ds_write_b32 v30, v26 offset:1024
	;; [unrolled: 2-line block ×3, first 2 shown]
	v_mov_b32_e32 v1, s9
	s_waitcnt vmcnt(0)
	ds_write_b32 v29, v28 offset:1024
	s_waitcnt lgkmcnt(0)
	s_barrier
	buffer_gl0_inv
	s_clause 0x3
	buffer_load_dword v29, v1, s[0:3], 0 offen
	buffer_load_dword v30, v1, s[0:3], 0 offen offset:4
	buffer_load_dword v31, v1, s[0:3], 0 offen offset:8
	;; [unrolled: 1-line block ×3, first 2 shown]
	s_cmpk_lt_u32 s10, 0x3000
	s_waitcnt vmcnt(3)
	v_lshlrev_b32_e32 v29, 2, v29
	s_waitcnt vmcnt(0)
	v_lshlrev_b32_e32 v1, 2, v1
	ds_read_b32 v32, v29
	ds_read_b32 v41, v1
	v_lshlrev_b32_e32 v29, 2, v30
	ds_read_b32 v34, v29
	v_lshlrev_b32_e32 v29, 2, v31
	ds_read2st64_b32 v[30:31], v40 offset0:4 offset1:20
	ds_read_b32 v36, v29
	v_add_nc_u32_e32 v29, s7, v0
	s_waitcnt lgkmcnt(4)
	v_add_nc_u32_e32 v1, v29, v32
	v_lshlrev_b64 v[32:33], 2, v[1:2]
	s_waitcnt lgkmcnt(2)
	v_add3_u32 v1, v29, v34, 0x400
	v_add_co_u32 v32, vcc_lo, s42, v32
	v_lshlrev_b64 v[34:35], 2, v[1:2]
	s_waitcnt lgkmcnt(0)
	v_add3_u32 v1, v29, v36, 0x800
	ds_read2st64_b32 v[36:37], v40 offset0:36 offset1:52
	v_add_co_ci_u32_e64 v33, null, s43, v33, vcc_lo
	v_lshlrev_b64 v[38:39], 2, v[1:2]
	v_add3_u32 v1, v29, v41, 0xc00
	global_store_dword v[32:33], v30, off
	v_add_co_u32 v32, vcc_lo, s42, v34
	v_add_co_ci_u32_e64 v33, null, s43, v35, vcc_lo
	v_lshlrev_b64 v[34:35], 2, v[1:2]
	v_add_co_u32 v38, vcc_lo, s42, v38
	v_add_co_ci_u32_e64 v39, null, s43, v39, vcc_lo
	global_store_dword v[32:33], v31, off
	v_add_co_u32 v34, vcc_lo, s42, v34
	v_add_co_ci_u32_e64 v35, null, s43, v35, vcc_lo
	s_waitcnt lgkmcnt(0)
	global_store_dword v[38:39], v36, off
	global_store_dword v[34:35], v37, off
	s_cbranch_scc0 .LBB866_193
; %bb.190:                              ;   in Loop: Header=BB866_189 Depth=1
	v_mov_b32_e32 v1, s9
	buffer_load_dword v1, v1, s[0:3], 0 offen offset:16
	s_waitcnt vmcnt(0)
	v_lshlrev_b32_e32 v1, 2, v1
	ds_read_b32 v1, v1
	ds_read_b32 v32, v40 offset:17408
	s_waitcnt lgkmcnt(1)
	v_add3_u32 v1, v29, v1, 0x1000
	v_lshlrev_b64 v[30:31], 2, v[1:2]
	v_add_co_u32 v30, vcc_lo, s42, v30
	v_add_co_ci_u32_e64 v31, null, s43, v31, vcc_lo
	s_waitcnt lgkmcnt(0)
	global_store_dword v[30:31], v32, off
	s_add_i32 s10, s7, 0x1400
	s_cmpk_gt_u32 s10, 0x2fff
	s_cbranch_scc0 .LBB866_194
.LBB866_191:                            ;   in Loop: Header=BB866_189 Depth=1
	s_add_i32 s10, s7, 0x1800
	s_cmpk_gt_u32 s10, 0x2fff
	s_cbranch_scc1 .LBB866_195
.LBB866_192:                            ;   in Loop: Header=BB866_189 Depth=1
	v_mov_b32_e32 v1, s9
	buffer_load_dword v1, v1, s[0:3], 0 offen offset:24
	s_waitcnt vmcnt(0)
	v_lshlrev_b32_e32 v1, 2, v1
	ds_read_b32 v1, v1
	ds_read_b32 v32, v40 offset:25600
	s_waitcnt lgkmcnt(1)
	v_add3_u32 v1, v29, v1, 0x1800
	v_lshlrev_b64 v[30:31], 2, v[1:2]
	v_add_co_u32 v30, vcc_lo, s42, v30
	v_add_co_ci_u32_e64 v31, null, s43, v31, vcc_lo
	s_waitcnt lgkmcnt(0)
	global_store_dword v[30:31], v32, off
	s_add_i32 s10, s7, 0x1c00
	s_cmpk_gt_u32 s10, 0x2fff
	s_cbranch_scc1 .LBB866_188
	s_branch .LBB866_196
.LBB866_193:                            ;   in Loop: Header=BB866_189 Depth=1
	s_add_i32 s10, s7, 0x1400
	s_cmpk_gt_u32 s10, 0x2fff
	s_cbranch_scc1 .LBB866_191
.LBB866_194:                            ;   in Loop: Header=BB866_189 Depth=1
	v_mov_b32_e32 v1, s9
	buffer_load_dword v1, v1, s[0:3], 0 offen offset:20
	s_waitcnt vmcnt(0)
	v_lshlrev_b32_e32 v1, 2, v1
	ds_read_b32 v1, v1
	ds_read_b32 v32, v40 offset:21504
	s_waitcnt lgkmcnt(1)
	v_add3_u32 v1, v29, v1, 0x1400
	v_lshlrev_b64 v[30:31], 2, v[1:2]
	v_add_co_u32 v30, vcc_lo, s42, v30
	v_add_co_ci_u32_e64 v31, null, s43, v31, vcc_lo
	s_waitcnt lgkmcnt(0)
	global_store_dword v[30:31], v32, off
	s_add_i32 s10, s7, 0x1800
	s_cmpk_gt_u32 s10, 0x2fff
	s_cbranch_scc0 .LBB866_192
.LBB866_195:                            ;   in Loop: Header=BB866_189 Depth=1
	s_add_i32 s10, s7, 0x1c00
	s_cmpk_gt_u32 s10, 0x2fff
	s_cbranch_scc1 .LBB866_188
.LBB866_196:                            ;   in Loop: Header=BB866_189 Depth=1
	v_mov_b32_e32 v1, s9
	buffer_load_dword v1, v1, s[0:3], 0 offen offset:28
	s_waitcnt vmcnt(0)
	v_lshlrev_b32_e32 v1, 2, v1
	ds_read_b32 v1, v1
	ds_read_b32 v31, v40 offset:29696
	s_waitcnt lgkmcnt(1)
	v_add3_u32 v1, v29, v1, 0x1c00
	v_lshlrev_b64 v[29:30], 2, v[1:2]
	v_add_co_u32 v29, vcc_lo, s42, v29
	v_add_co_ci_u32_e64 v30, null, s43, v30, vcc_lo
	s_waitcnt lgkmcnt(0)
	global_store_dword v[29:30], v31, off
	s_branch .LBB866_188
.LBB866_197:
	s_add_i32 s11, s11, -1
	s_cmp_eq_u32 s6, s11
	s_cselect_b32 s5, -1, 0
	s_xor_b32 s4, s4, -1
	s_and_b32 s4, s4, s5
	s_and_saveexec_b32 s5, s4
	s_cbranch_execz .LBB866_199
; %bb.198:
	ds_read_b32 v0, v40
	s_waitcnt lgkmcnt(0)
	v_add3_u32 v0, v7, v8, v0
	global_store_dword v40, v0, s[30:31]
.LBB866_199:
	s_endpgm
	.section	.rodata,"a",@progbits
	.p2align	6, 0x0
	.amdhsa_kernel _ZN7rocprim17ROCPRIM_400000_NS6detail17trampoline_kernelINS0_14default_configENS1_35radix_sort_onesweep_config_selectorIiiEEZZNS1_29radix_sort_onesweep_iterationIS3_Lb0EN6thrust23THRUST_200600_302600_NS6detail15normal_iteratorINS8_10device_ptrIiEEEESD_SD_SD_jNS0_19identity_decomposerENS1_16block_id_wrapperIjLb0EEEEE10hipError_tT1_PNSt15iterator_traitsISI_E10value_typeET2_T3_PNSJ_ISO_E10value_typeET4_T5_PST_SU_PNS1_23onesweep_lookback_stateEbbT6_jjT7_P12ihipStream_tbENKUlT_T0_SI_SN_E_clISD_PiSD_S15_EEDaS11_S12_SI_SN_EUlS11_E_NS1_11comp_targetILNS1_3genE8ELNS1_11target_archE1030ELNS1_3gpuE2ELNS1_3repE0EEENS1_47radix_sort_onesweep_sort_config_static_selectorELNS0_4arch9wavefront6targetE0EEEvSI_
		.amdhsa_group_segment_fixed_size 37000
		.amdhsa_private_segment_fixed_size 64
		.amdhsa_kernarg_size 344
		.amdhsa_user_sgpr_count 6
		.amdhsa_user_sgpr_private_segment_buffer 1
		.amdhsa_user_sgpr_dispatch_ptr 0
		.amdhsa_user_sgpr_queue_ptr 0
		.amdhsa_user_sgpr_kernarg_segment_ptr 1
		.amdhsa_user_sgpr_dispatch_id 0
		.amdhsa_user_sgpr_flat_scratch_init 0
		.amdhsa_user_sgpr_private_segment_size 0
		.amdhsa_wavefront_size32 1
		.amdhsa_uses_dynamic_stack 0
		.amdhsa_system_sgpr_private_segment_wavefront_offset 1
		.amdhsa_system_sgpr_workgroup_id_x 1
		.amdhsa_system_sgpr_workgroup_id_y 0
		.amdhsa_system_sgpr_workgroup_id_z 0
		.amdhsa_system_sgpr_workgroup_info 0
		.amdhsa_system_vgpr_workitem_id 2
		.amdhsa_next_free_vgpr 68
		.amdhsa_next_free_sgpr 49
		.amdhsa_reserve_vcc 1
		.amdhsa_reserve_flat_scratch 0
		.amdhsa_float_round_mode_32 0
		.amdhsa_float_round_mode_16_64 0
		.amdhsa_float_denorm_mode_32 3
		.amdhsa_float_denorm_mode_16_64 3
		.amdhsa_dx10_clamp 1
		.amdhsa_ieee_mode 1
		.amdhsa_fp16_overflow 0
		.amdhsa_workgroup_processor_mode 1
		.amdhsa_memory_ordered 1
		.amdhsa_forward_progress 1
		.amdhsa_shared_vgpr_count 0
		.amdhsa_exception_fp_ieee_invalid_op 0
		.amdhsa_exception_fp_denorm_src 0
		.amdhsa_exception_fp_ieee_div_zero 0
		.amdhsa_exception_fp_ieee_overflow 0
		.amdhsa_exception_fp_ieee_underflow 0
		.amdhsa_exception_fp_ieee_inexact 0
		.amdhsa_exception_int_div_zero 0
	.end_amdhsa_kernel
	.section	.text._ZN7rocprim17ROCPRIM_400000_NS6detail17trampoline_kernelINS0_14default_configENS1_35radix_sort_onesweep_config_selectorIiiEEZZNS1_29radix_sort_onesweep_iterationIS3_Lb0EN6thrust23THRUST_200600_302600_NS6detail15normal_iteratorINS8_10device_ptrIiEEEESD_SD_SD_jNS0_19identity_decomposerENS1_16block_id_wrapperIjLb0EEEEE10hipError_tT1_PNSt15iterator_traitsISI_E10value_typeET2_T3_PNSJ_ISO_E10value_typeET4_T5_PST_SU_PNS1_23onesweep_lookback_stateEbbT6_jjT7_P12ihipStream_tbENKUlT_T0_SI_SN_E_clISD_PiSD_S15_EEDaS11_S12_SI_SN_EUlS11_E_NS1_11comp_targetILNS1_3genE8ELNS1_11target_archE1030ELNS1_3gpuE2ELNS1_3repE0EEENS1_47radix_sort_onesweep_sort_config_static_selectorELNS0_4arch9wavefront6targetE0EEEvSI_,"axG",@progbits,_ZN7rocprim17ROCPRIM_400000_NS6detail17trampoline_kernelINS0_14default_configENS1_35radix_sort_onesweep_config_selectorIiiEEZZNS1_29radix_sort_onesweep_iterationIS3_Lb0EN6thrust23THRUST_200600_302600_NS6detail15normal_iteratorINS8_10device_ptrIiEEEESD_SD_SD_jNS0_19identity_decomposerENS1_16block_id_wrapperIjLb0EEEEE10hipError_tT1_PNSt15iterator_traitsISI_E10value_typeET2_T3_PNSJ_ISO_E10value_typeET4_T5_PST_SU_PNS1_23onesweep_lookback_stateEbbT6_jjT7_P12ihipStream_tbENKUlT_T0_SI_SN_E_clISD_PiSD_S15_EEDaS11_S12_SI_SN_EUlS11_E_NS1_11comp_targetILNS1_3genE8ELNS1_11target_archE1030ELNS1_3gpuE2ELNS1_3repE0EEENS1_47radix_sort_onesweep_sort_config_static_selectorELNS0_4arch9wavefront6targetE0EEEvSI_,comdat
.Lfunc_end866:
	.size	_ZN7rocprim17ROCPRIM_400000_NS6detail17trampoline_kernelINS0_14default_configENS1_35radix_sort_onesweep_config_selectorIiiEEZZNS1_29radix_sort_onesweep_iterationIS3_Lb0EN6thrust23THRUST_200600_302600_NS6detail15normal_iteratorINS8_10device_ptrIiEEEESD_SD_SD_jNS0_19identity_decomposerENS1_16block_id_wrapperIjLb0EEEEE10hipError_tT1_PNSt15iterator_traitsISI_E10value_typeET2_T3_PNSJ_ISO_E10value_typeET4_T5_PST_SU_PNS1_23onesweep_lookback_stateEbbT6_jjT7_P12ihipStream_tbENKUlT_T0_SI_SN_E_clISD_PiSD_S15_EEDaS11_S12_SI_SN_EUlS11_E_NS1_11comp_targetILNS1_3genE8ELNS1_11target_archE1030ELNS1_3gpuE2ELNS1_3repE0EEENS1_47radix_sort_onesweep_sort_config_static_selectorELNS0_4arch9wavefront6targetE0EEEvSI_, .Lfunc_end866-_ZN7rocprim17ROCPRIM_400000_NS6detail17trampoline_kernelINS0_14default_configENS1_35radix_sort_onesweep_config_selectorIiiEEZZNS1_29radix_sort_onesweep_iterationIS3_Lb0EN6thrust23THRUST_200600_302600_NS6detail15normal_iteratorINS8_10device_ptrIiEEEESD_SD_SD_jNS0_19identity_decomposerENS1_16block_id_wrapperIjLb0EEEEE10hipError_tT1_PNSt15iterator_traitsISI_E10value_typeET2_T3_PNSJ_ISO_E10value_typeET4_T5_PST_SU_PNS1_23onesweep_lookback_stateEbbT6_jjT7_P12ihipStream_tbENKUlT_T0_SI_SN_E_clISD_PiSD_S15_EEDaS11_S12_SI_SN_EUlS11_E_NS1_11comp_targetILNS1_3genE8ELNS1_11target_archE1030ELNS1_3gpuE2ELNS1_3repE0EEENS1_47radix_sort_onesweep_sort_config_static_selectorELNS0_4arch9wavefront6targetE0EEEvSI_
                                        ; -- End function
	.set _ZN7rocprim17ROCPRIM_400000_NS6detail17trampoline_kernelINS0_14default_configENS1_35radix_sort_onesweep_config_selectorIiiEEZZNS1_29radix_sort_onesweep_iterationIS3_Lb0EN6thrust23THRUST_200600_302600_NS6detail15normal_iteratorINS8_10device_ptrIiEEEESD_SD_SD_jNS0_19identity_decomposerENS1_16block_id_wrapperIjLb0EEEEE10hipError_tT1_PNSt15iterator_traitsISI_E10value_typeET2_T3_PNSJ_ISO_E10value_typeET4_T5_PST_SU_PNS1_23onesweep_lookback_stateEbbT6_jjT7_P12ihipStream_tbENKUlT_T0_SI_SN_E_clISD_PiSD_S15_EEDaS11_S12_SI_SN_EUlS11_E_NS1_11comp_targetILNS1_3genE8ELNS1_11target_archE1030ELNS1_3gpuE2ELNS1_3repE0EEENS1_47radix_sort_onesweep_sort_config_static_selectorELNS0_4arch9wavefront6targetE0EEEvSI_.num_vgpr, 68
	.set _ZN7rocprim17ROCPRIM_400000_NS6detail17trampoline_kernelINS0_14default_configENS1_35radix_sort_onesweep_config_selectorIiiEEZZNS1_29radix_sort_onesweep_iterationIS3_Lb0EN6thrust23THRUST_200600_302600_NS6detail15normal_iteratorINS8_10device_ptrIiEEEESD_SD_SD_jNS0_19identity_decomposerENS1_16block_id_wrapperIjLb0EEEEE10hipError_tT1_PNSt15iterator_traitsISI_E10value_typeET2_T3_PNSJ_ISO_E10value_typeET4_T5_PST_SU_PNS1_23onesweep_lookback_stateEbbT6_jjT7_P12ihipStream_tbENKUlT_T0_SI_SN_E_clISD_PiSD_S15_EEDaS11_S12_SI_SN_EUlS11_E_NS1_11comp_targetILNS1_3genE8ELNS1_11target_archE1030ELNS1_3gpuE2ELNS1_3repE0EEENS1_47radix_sort_onesweep_sort_config_static_selectorELNS0_4arch9wavefront6targetE0EEEvSI_.num_agpr, 0
	.set _ZN7rocprim17ROCPRIM_400000_NS6detail17trampoline_kernelINS0_14default_configENS1_35radix_sort_onesweep_config_selectorIiiEEZZNS1_29radix_sort_onesweep_iterationIS3_Lb0EN6thrust23THRUST_200600_302600_NS6detail15normal_iteratorINS8_10device_ptrIiEEEESD_SD_SD_jNS0_19identity_decomposerENS1_16block_id_wrapperIjLb0EEEEE10hipError_tT1_PNSt15iterator_traitsISI_E10value_typeET2_T3_PNSJ_ISO_E10value_typeET4_T5_PST_SU_PNS1_23onesweep_lookback_stateEbbT6_jjT7_P12ihipStream_tbENKUlT_T0_SI_SN_E_clISD_PiSD_S15_EEDaS11_S12_SI_SN_EUlS11_E_NS1_11comp_targetILNS1_3genE8ELNS1_11target_archE1030ELNS1_3gpuE2ELNS1_3repE0EEENS1_47radix_sort_onesweep_sort_config_static_selectorELNS0_4arch9wavefront6targetE0EEEvSI_.numbered_sgpr, 49
	.set _ZN7rocprim17ROCPRIM_400000_NS6detail17trampoline_kernelINS0_14default_configENS1_35radix_sort_onesweep_config_selectorIiiEEZZNS1_29radix_sort_onesweep_iterationIS3_Lb0EN6thrust23THRUST_200600_302600_NS6detail15normal_iteratorINS8_10device_ptrIiEEEESD_SD_SD_jNS0_19identity_decomposerENS1_16block_id_wrapperIjLb0EEEEE10hipError_tT1_PNSt15iterator_traitsISI_E10value_typeET2_T3_PNSJ_ISO_E10value_typeET4_T5_PST_SU_PNS1_23onesweep_lookback_stateEbbT6_jjT7_P12ihipStream_tbENKUlT_T0_SI_SN_E_clISD_PiSD_S15_EEDaS11_S12_SI_SN_EUlS11_E_NS1_11comp_targetILNS1_3genE8ELNS1_11target_archE1030ELNS1_3gpuE2ELNS1_3repE0EEENS1_47radix_sort_onesweep_sort_config_static_selectorELNS0_4arch9wavefront6targetE0EEEvSI_.num_named_barrier, 0
	.set _ZN7rocprim17ROCPRIM_400000_NS6detail17trampoline_kernelINS0_14default_configENS1_35radix_sort_onesweep_config_selectorIiiEEZZNS1_29radix_sort_onesweep_iterationIS3_Lb0EN6thrust23THRUST_200600_302600_NS6detail15normal_iteratorINS8_10device_ptrIiEEEESD_SD_SD_jNS0_19identity_decomposerENS1_16block_id_wrapperIjLb0EEEEE10hipError_tT1_PNSt15iterator_traitsISI_E10value_typeET2_T3_PNSJ_ISO_E10value_typeET4_T5_PST_SU_PNS1_23onesweep_lookback_stateEbbT6_jjT7_P12ihipStream_tbENKUlT_T0_SI_SN_E_clISD_PiSD_S15_EEDaS11_S12_SI_SN_EUlS11_E_NS1_11comp_targetILNS1_3genE8ELNS1_11target_archE1030ELNS1_3gpuE2ELNS1_3repE0EEENS1_47radix_sort_onesweep_sort_config_static_selectorELNS0_4arch9wavefront6targetE0EEEvSI_.private_seg_size, 64
	.set _ZN7rocprim17ROCPRIM_400000_NS6detail17trampoline_kernelINS0_14default_configENS1_35radix_sort_onesweep_config_selectorIiiEEZZNS1_29radix_sort_onesweep_iterationIS3_Lb0EN6thrust23THRUST_200600_302600_NS6detail15normal_iteratorINS8_10device_ptrIiEEEESD_SD_SD_jNS0_19identity_decomposerENS1_16block_id_wrapperIjLb0EEEEE10hipError_tT1_PNSt15iterator_traitsISI_E10value_typeET2_T3_PNSJ_ISO_E10value_typeET4_T5_PST_SU_PNS1_23onesweep_lookback_stateEbbT6_jjT7_P12ihipStream_tbENKUlT_T0_SI_SN_E_clISD_PiSD_S15_EEDaS11_S12_SI_SN_EUlS11_E_NS1_11comp_targetILNS1_3genE8ELNS1_11target_archE1030ELNS1_3gpuE2ELNS1_3repE0EEENS1_47radix_sort_onesweep_sort_config_static_selectorELNS0_4arch9wavefront6targetE0EEEvSI_.uses_vcc, 1
	.set _ZN7rocprim17ROCPRIM_400000_NS6detail17trampoline_kernelINS0_14default_configENS1_35radix_sort_onesweep_config_selectorIiiEEZZNS1_29radix_sort_onesweep_iterationIS3_Lb0EN6thrust23THRUST_200600_302600_NS6detail15normal_iteratorINS8_10device_ptrIiEEEESD_SD_SD_jNS0_19identity_decomposerENS1_16block_id_wrapperIjLb0EEEEE10hipError_tT1_PNSt15iterator_traitsISI_E10value_typeET2_T3_PNSJ_ISO_E10value_typeET4_T5_PST_SU_PNS1_23onesweep_lookback_stateEbbT6_jjT7_P12ihipStream_tbENKUlT_T0_SI_SN_E_clISD_PiSD_S15_EEDaS11_S12_SI_SN_EUlS11_E_NS1_11comp_targetILNS1_3genE8ELNS1_11target_archE1030ELNS1_3gpuE2ELNS1_3repE0EEENS1_47radix_sort_onesweep_sort_config_static_selectorELNS0_4arch9wavefront6targetE0EEEvSI_.uses_flat_scratch, 0
	.set _ZN7rocprim17ROCPRIM_400000_NS6detail17trampoline_kernelINS0_14default_configENS1_35radix_sort_onesweep_config_selectorIiiEEZZNS1_29radix_sort_onesweep_iterationIS3_Lb0EN6thrust23THRUST_200600_302600_NS6detail15normal_iteratorINS8_10device_ptrIiEEEESD_SD_SD_jNS0_19identity_decomposerENS1_16block_id_wrapperIjLb0EEEEE10hipError_tT1_PNSt15iterator_traitsISI_E10value_typeET2_T3_PNSJ_ISO_E10value_typeET4_T5_PST_SU_PNS1_23onesweep_lookback_stateEbbT6_jjT7_P12ihipStream_tbENKUlT_T0_SI_SN_E_clISD_PiSD_S15_EEDaS11_S12_SI_SN_EUlS11_E_NS1_11comp_targetILNS1_3genE8ELNS1_11target_archE1030ELNS1_3gpuE2ELNS1_3repE0EEENS1_47radix_sort_onesweep_sort_config_static_selectorELNS0_4arch9wavefront6targetE0EEEvSI_.has_dyn_sized_stack, 0
	.set _ZN7rocprim17ROCPRIM_400000_NS6detail17trampoline_kernelINS0_14default_configENS1_35radix_sort_onesweep_config_selectorIiiEEZZNS1_29radix_sort_onesweep_iterationIS3_Lb0EN6thrust23THRUST_200600_302600_NS6detail15normal_iteratorINS8_10device_ptrIiEEEESD_SD_SD_jNS0_19identity_decomposerENS1_16block_id_wrapperIjLb0EEEEE10hipError_tT1_PNSt15iterator_traitsISI_E10value_typeET2_T3_PNSJ_ISO_E10value_typeET4_T5_PST_SU_PNS1_23onesweep_lookback_stateEbbT6_jjT7_P12ihipStream_tbENKUlT_T0_SI_SN_E_clISD_PiSD_S15_EEDaS11_S12_SI_SN_EUlS11_E_NS1_11comp_targetILNS1_3genE8ELNS1_11target_archE1030ELNS1_3gpuE2ELNS1_3repE0EEENS1_47radix_sort_onesweep_sort_config_static_selectorELNS0_4arch9wavefront6targetE0EEEvSI_.has_recursion, 0
	.set _ZN7rocprim17ROCPRIM_400000_NS6detail17trampoline_kernelINS0_14default_configENS1_35radix_sort_onesweep_config_selectorIiiEEZZNS1_29radix_sort_onesweep_iterationIS3_Lb0EN6thrust23THRUST_200600_302600_NS6detail15normal_iteratorINS8_10device_ptrIiEEEESD_SD_SD_jNS0_19identity_decomposerENS1_16block_id_wrapperIjLb0EEEEE10hipError_tT1_PNSt15iterator_traitsISI_E10value_typeET2_T3_PNSJ_ISO_E10value_typeET4_T5_PST_SU_PNS1_23onesweep_lookback_stateEbbT6_jjT7_P12ihipStream_tbENKUlT_T0_SI_SN_E_clISD_PiSD_S15_EEDaS11_S12_SI_SN_EUlS11_E_NS1_11comp_targetILNS1_3genE8ELNS1_11target_archE1030ELNS1_3gpuE2ELNS1_3repE0EEENS1_47radix_sort_onesweep_sort_config_static_selectorELNS0_4arch9wavefront6targetE0EEEvSI_.has_indirect_call, 0
	.section	.AMDGPU.csdata,"",@progbits
; Kernel info:
; codeLenInByte = 17368
; TotalNumSgprs: 51
; NumVgprs: 68
; ScratchSize: 64
; MemoryBound: 0
; FloatMode: 240
; IeeeMode: 1
; LDSByteSize: 37000 bytes/workgroup (compile time only)
; SGPRBlocks: 0
; VGPRBlocks: 8
; NumSGPRsForWavesPerEU: 51
; NumVGPRsForWavesPerEU: 68
; Occupancy: 12
; WaveLimiterHint : 1
; COMPUTE_PGM_RSRC2:SCRATCH_EN: 1
; COMPUTE_PGM_RSRC2:USER_SGPR: 6
; COMPUTE_PGM_RSRC2:TRAP_HANDLER: 0
; COMPUTE_PGM_RSRC2:TGID_X_EN: 1
; COMPUTE_PGM_RSRC2:TGID_Y_EN: 0
; COMPUTE_PGM_RSRC2:TGID_Z_EN: 0
; COMPUTE_PGM_RSRC2:TIDIG_COMP_CNT: 2
	.section	.text._ZN7rocprim17ROCPRIM_400000_NS6detail17trampoline_kernelINS0_14default_configENS1_35radix_sort_onesweep_config_selectorIiiEEZZNS1_29radix_sort_onesweep_iterationIS3_Lb0EN6thrust23THRUST_200600_302600_NS6detail15normal_iteratorINS8_10device_ptrIiEEEESD_SD_SD_jNS0_19identity_decomposerENS1_16block_id_wrapperIjLb0EEEEE10hipError_tT1_PNSt15iterator_traitsISI_E10value_typeET2_T3_PNSJ_ISO_E10value_typeET4_T5_PST_SU_PNS1_23onesweep_lookback_stateEbbT6_jjT7_P12ihipStream_tbENKUlT_T0_SI_SN_E_clIPiSD_S15_SD_EEDaS11_S12_SI_SN_EUlS11_E_NS1_11comp_targetILNS1_3genE0ELNS1_11target_archE4294967295ELNS1_3gpuE0ELNS1_3repE0EEENS1_47radix_sort_onesweep_sort_config_static_selectorELNS0_4arch9wavefront6targetE0EEEvSI_,"axG",@progbits,_ZN7rocprim17ROCPRIM_400000_NS6detail17trampoline_kernelINS0_14default_configENS1_35radix_sort_onesweep_config_selectorIiiEEZZNS1_29radix_sort_onesweep_iterationIS3_Lb0EN6thrust23THRUST_200600_302600_NS6detail15normal_iteratorINS8_10device_ptrIiEEEESD_SD_SD_jNS0_19identity_decomposerENS1_16block_id_wrapperIjLb0EEEEE10hipError_tT1_PNSt15iterator_traitsISI_E10value_typeET2_T3_PNSJ_ISO_E10value_typeET4_T5_PST_SU_PNS1_23onesweep_lookback_stateEbbT6_jjT7_P12ihipStream_tbENKUlT_T0_SI_SN_E_clIPiSD_S15_SD_EEDaS11_S12_SI_SN_EUlS11_E_NS1_11comp_targetILNS1_3genE0ELNS1_11target_archE4294967295ELNS1_3gpuE0ELNS1_3repE0EEENS1_47radix_sort_onesweep_sort_config_static_selectorELNS0_4arch9wavefront6targetE0EEEvSI_,comdat
	.protected	_ZN7rocprim17ROCPRIM_400000_NS6detail17trampoline_kernelINS0_14default_configENS1_35radix_sort_onesweep_config_selectorIiiEEZZNS1_29radix_sort_onesweep_iterationIS3_Lb0EN6thrust23THRUST_200600_302600_NS6detail15normal_iteratorINS8_10device_ptrIiEEEESD_SD_SD_jNS0_19identity_decomposerENS1_16block_id_wrapperIjLb0EEEEE10hipError_tT1_PNSt15iterator_traitsISI_E10value_typeET2_T3_PNSJ_ISO_E10value_typeET4_T5_PST_SU_PNS1_23onesweep_lookback_stateEbbT6_jjT7_P12ihipStream_tbENKUlT_T0_SI_SN_E_clIPiSD_S15_SD_EEDaS11_S12_SI_SN_EUlS11_E_NS1_11comp_targetILNS1_3genE0ELNS1_11target_archE4294967295ELNS1_3gpuE0ELNS1_3repE0EEENS1_47radix_sort_onesweep_sort_config_static_selectorELNS0_4arch9wavefront6targetE0EEEvSI_ ; -- Begin function _ZN7rocprim17ROCPRIM_400000_NS6detail17trampoline_kernelINS0_14default_configENS1_35radix_sort_onesweep_config_selectorIiiEEZZNS1_29radix_sort_onesweep_iterationIS3_Lb0EN6thrust23THRUST_200600_302600_NS6detail15normal_iteratorINS8_10device_ptrIiEEEESD_SD_SD_jNS0_19identity_decomposerENS1_16block_id_wrapperIjLb0EEEEE10hipError_tT1_PNSt15iterator_traitsISI_E10value_typeET2_T3_PNSJ_ISO_E10value_typeET4_T5_PST_SU_PNS1_23onesweep_lookback_stateEbbT6_jjT7_P12ihipStream_tbENKUlT_T0_SI_SN_E_clIPiSD_S15_SD_EEDaS11_S12_SI_SN_EUlS11_E_NS1_11comp_targetILNS1_3genE0ELNS1_11target_archE4294967295ELNS1_3gpuE0ELNS1_3repE0EEENS1_47radix_sort_onesweep_sort_config_static_selectorELNS0_4arch9wavefront6targetE0EEEvSI_
	.globl	_ZN7rocprim17ROCPRIM_400000_NS6detail17trampoline_kernelINS0_14default_configENS1_35radix_sort_onesweep_config_selectorIiiEEZZNS1_29radix_sort_onesweep_iterationIS3_Lb0EN6thrust23THRUST_200600_302600_NS6detail15normal_iteratorINS8_10device_ptrIiEEEESD_SD_SD_jNS0_19identity_decomposerENS1_16block_id_wrapperIjLb0EEEEE10hipError_tT1_PNSt15iterator_traitsISI_E10value_typeET2_T3_PNSJ_ISO_E10value_typeET4_T5_PST_SU_PNS1_23onesweep_lookback_stateEbbT6_jjT7_P12ihipStream_tbENKUlT_T0_SI_SN_E_clIPiSD_S15_SD_EEDaS11_S12_SI_SN_EUlS11_E_NS1_11comp_targetILNS1_3genE0ELNS1_11target_archE4294967295ELNS1_3gpuE0ELNS1_3repE0EEENS1_47radix_sort_onesweep_sort_config_static_selectorELNS0_4arch9wavefront6targetE0EEEvSI_
	.p2align	8
	.type	_ZN7rocprim17ROCPRIM_400000_NS6detail17trampoline_kernelINS0_14default_configENS1_35radix_sort_onesweep_config_selectorIiiEEZZNS1_29radix_sort_onesweep_iterationIS3_Lb0EN6thrust23THRUST_200600_302600_NS6detail15normal_iteratorINS8_10device_ptrIiEEEESD_SD_SD_jNS0_19identity_decomposerENS1_16block_id_wrapperIjLb0EEEEE10hipError_tT1_PNSt15iterator_traitsISI_E10value_typeET2_T3_PNSJ_ISO_E10value_typeET4_T5_PST_SU_PNS1_23onesweep_lookback_stateEbbT6_jjT7_P12ihipStream_tbENKUlT_T0_SI_SN_E_clIPiSD_S15_SD_EEDaS11_S12_SI_SN_EUlS11_E_NS1_11comp_targetILNS1_3genE0ELNS1_11target_archE4294967295ELNS1_3gpuE0ELNS1_3repE0EEENS1_47radix_sort_onesweep_sort_config_static_selectorELNS0_4arch9wavefront6targetE0EEEvSI_,@function
_ZN7rocprim17ROCPRIM_400000_NS6detail17trampoline_kernelINS0_14default_configENS1_35radix_sort_onesweep_config_selectorIiiEEZZNS1_29radix_sort_onesweep_iterationIS3_Lb0EN6thrust23THRUST_200600_302600_NS6detail15normal_iteratorINS8_10device_ptrIiEEEESD_SD_SD_jNS0_19identity_decomposerENS1_16block_id_wrapperIjLb0EEEEE10hipError_tT1_PNSt15iterator_traitsISI_E10value_typeET2_T3_PNSJ_ISO_E10value_typeET4_T5_PST_SU_PNS1_23onesweep_lookback_stateEbbT6_jjT7_P12ihipStream_tbENKUlT_T0_SI_SN_E_clIPiSD_S15_SD_EEDaS11_S12_SI_SN_EUlS11_E_NS1_11comp_targetILNS1_3genE0ELNS1_11target_archE4294967295ELNS1_3gpuE0ELNS1_3repE0EEENS1_47radix_sort_onesweep_sort_config_static_selectorELNS0_4arch9wavefront6targetE0EEEvSI_: ; @_ZN7rocprim17ROCPRIM_400000_NS6detail17trampoline_kernelINS0_14default_configENS1_35radix_sort_onesweep_config_selectorIiiEEZZNS1_29radix_sort_onesweep_iterationIS3_Lb0EN6thrust23THRUST_200600_302600_NS6detail15normal_iteratorINS8_10device_ptrIiEEEESD_SD_SD_jNS0_19identity_decomposerENS1_16block_id_wrapperIjLb0EEEEE10hipError_tT1_PNSt15iterator_traitsISI_E10value_typeET2_T3_PNSJ_ISO_E10value_typeET4_T5_PST_SU_PNS1_23onesweep_lookback_stateEbbT6_jjT7_P12ihipStream_tbENKUlT_T0_SI_SN_E_clIPiSD_S15_SD_EEDaS11_S12_SI_SN_EUlS11_E_NS1_11comp_targetILNS1_3genE0ELNS1_11target_archE4294967295ELNS1_3gpuE0ELNS1_3repE0EEENS1_47radix_sort_onesweep_sort_config_static_selectorELNS0_4arch9wavefront6targetE0EEEvSI_
; %bb.0:
	.section	.rodata,"a",@progbits
	.p2align	6, 0x0
	.amdhsa_kernel _ZN7rocprim17ROCPRIM_400000_NS6detail17trampoline_kernelINS0_14default_configENS1_35radix_sort_onesweep_config_selectorIiiEEZZNS1_29radix_sort_onesweep_iterationIS3_Lb0EN6thrust23THRUST_200600_302600_NS6detail15normal_iteratorINS8_10device_ptrIiEEEESD_SD_SD_jNS0_19identity_decomposerENS1_16block_id_wrapperIjLb0EEEEE10hipError_tT1_PNSt15iterator_traitsISI_E10value_typeET2_T3_PNSJ_ISO_E10value_typeET4_T5_PST_SU_PNS1_23onesweep_lookback_stateEbbT6_jjT7_P12ihipStream_tbENKUlT_T0_SI_SN_E_clIPiSD_S15_SD_EEDaS11_S12_SI_SN_EUlS11_E_NS1_11comp_targetILNS1_3genE0ELNS1_11target_archE4294967295ELNS1_3gpuE0ELNS1_3repE0EEENS1_47radix_sort_onesweep_sort_config_static_selectorELNS0_4arch9wavefront6targetE0EEEvSI_
		.amdhsa_group_segment_fixed_size 0
		.amdhsa_private_segment_fixed_size 0
		.amdhsa_kernarg_size 88
		.amdhsa_user_sgpr_count 6
		.amdhsa_user_sgpr_private_segment_buffer 1
		.amdhsa_user_sgpr_dispatch_ptr 0
		.amdhsa_user_sgpr_queue_ptr 0
		.amdhsa_user_sgpr_kernarg_segment_ptr 1
		.amdhsa_user_sgpr_dispatch_id 0
		.amdhsa_user_sgpr_flat_scratch_init 0
		.amdhsa_user_sgpr_private_segment_size 0
		.amdhsa_wavefront_size32 1
		.amdhsa_uses_dynamic_stack 0
		.amdhsa_system_sgpr_private_segment_wavefront_offset 0
		.amdhsa_system_sgpr_workgroup_id_x 1
		.amdhsa_system_sgpr_workgroup_id_y 0
		.amdhsa_system_sgpr_workgroup_id_z 0
		.amdhsa_system_sgpr_workgroup_info 0
		.amdhsa_system_vgpr_workitem_id 0
		.amdhsa_next_free_vgpr 1
		.amdhsa_next_free_sgpr 1
		.amdhsa_reserve_vcc 0
		.amdhsa_reserve_flat_scratch 0
		.amdhsa_float_round_mode_32 0
		.amdhsa_float_round_mode_16_64 0
		.amdhsa_float_denorm_mode_32 3
		.amdhsa_float_denorm_mode_16_64 3
		.amdhsa_dx10_clamp 1
		.amdhsa_ieee_mode 1
		.amdhsa_fp16_overflow 0
		.amdhsa_workgroup_processor_mode 1
		.amdhsa_memory_ordered 1
		.amdhsa_forward_progress 1
		.amdhsa_shared_vgpr_count 0
		.amdhsa_exception_fp_ieee_invalid_op 0
		.amdhsa_exception_fp_denorm_src 0
		.amdhsa_exception_fp_ieee_div_zero 0
		.amdhsa_exception_fp_ieee_overflow 0
		.amdhsa_exception_fp_ieee_underflow 0
		.amdhsa_exception_fp_ieee_inexact 0
		.amdhsa_exception_int_div_zero 0
	.end_amdhsa_kernel
	.section	.text._ZN7rocprim17ROCPRIM_400000_NS6detail17trampoline_kernelINS0_14default_configENS1_35radix_sort_onesweep_config_selectorIiiEEZZNS1_29radix_sort_onesweep_iterationIS3_Lb0EN6thrust23THRUST_200600_302600_NS6detail15normal_iteratorINS8_10device_ptrIiEEEESD_SD_SD_jNS0_19identity_decomposerENS1_16block_id_wrapperIjLb0EEEEE10hipError_tT1_PNSt15iterator_traitsISI_E10value_typeET2_T3_PNSJ_ISO_E10value_typeET4_T5_PST_SU_PNS1_23onesweep_lookback_stateEbbT6_jjT7_P12ihipStream_tbENKUlT_T0_SI_SN_E_clIPiSD_S15_SD_EEDaS11_S12_SI_SN_EUlS11_E_NS1_11comp_targetILNS1_3genE0ELNS1_11target_archE4294967295ELNS1_3gpuE0ELNS1_3repE0EEENS1_47radix_sort_onesweep_sort_config_static_selectorELNS0_4arch9wavefront6targetE0EEEvSI_,"axG",@progbits,_ZN7rocprim17ROCPRIM_400000_NS6detail17trampoline_kernelINS0_14default_configENS1_35radix_sort_onesweep_config_selectorIiiEEZZNS1_29radix_sort_onesweep_iterationIS3_Lb0EN6thrust23THRUST_200600_302600_NS6detail15normal_iteratorINS8_10device_ptrIiEEEESD_SD_SD_jNS0_19identity_decomposerENS1_16block_id_wrapperIjLb0EEEEE10hipError_tT1_PNSt15iterator_traitsISI_E10value_typeET2_T3_PNSJ_ISO_E10value_typeET4_T5_PST_SU_PNS1_23onesweep_lookback_stateEbbT6_jjT7_P12ihipStream_tbENKUlT_T0_SI_SN_E_clIPiSD_S15_SD_EEDaS11_S12_SI_SN_EUlS11_E_NS1_11comp_targetILNS1_3genE0ELNS1_11target_archE4294967295ELNS1_3gpuE0ELNS1_3repE0EEENS1_47radix_sort_onesweep_sort_config_static_selectorELNS0_4arch9wavefront6targetE0EEEvSI_,comdat
.Lfunc_end867:
	.size	_ZN7rocprim17ROCPRIM_400000_NS6detail17trampoline_kernelINS0_14default_configENS1_35radix_sort_onesweep_config_selectorIiiEEZZNS1_29radix_sort_onesweep_iterationIS3_Lb0EN6thrust23THRUST_200600_302600_NS6detail15normal_iteratorINS8_10device_ptrIiEEEESD_SD_SD_jNS0_19identity_decomposerENS1_16block_id_wrapperIjLb0EEEEE10hipError_tT1_PNSt15iterator_traitsISI_E10value_typeET2_T3_PNSJ_ISO_E10value_typeET4_T5_PST_SU_PNS1_23onesweep_lookback_stateEbbT6_jjT7_P12ihipStream_tbENKUlT_T0_SI_SN_E_clIPiSD_S15_SD_EEDaS11_S12_SI_SN_EUlS11_E_NS1_11comp_targetILNS1_3genE0ELNS1_11target_archE4294967295ELNS1_3gpuE0ELNS1_3repE0EEENS1_47radix_sort_onesweep_sort_config_static_selectorELNS0_4arch9wavefront6targetE0EEEvSI_, .Lfunc_end867-_ZN7rocprim17ROCPRIM_400000_NS6detail17trampoline_kernelINS0_14default_configENS1_35radix_sort_onesweep_config_selectorIiiEEZZNS1_29radix_sort_onesweep_iterationIS3_Lb0EN6thrust23THRUST_200600_302600_NS6detail15normal_iteratorINS8_10device_ptrIiEEEESD_SD_SD_jNS0_19identity_decomposerENS1_16block_id_wrapperIjLb0EEEEE10hipError_tT1_PNSt15iterator_traitsISI_E10value_typeET2_T3_PNSJ_ISO_E10value_typeET4_T5_PST_SU_PNS1_23onesweep_lookback_stateEbbT6_jjT7_P12ihipStream_tbENKUlT_T0_SI_SN_E_clIPiSD_S15_SD_EEDaS11_S12_SI_SN_EUlS11_E_NS1_11comp_targetILNS1_3genE0ELNS1_11target_archE4294967295ELNS1_3gpuE0ELNS1_3repE0EEENS1_47radix_sort_onesweep_sort_config_static_selectorELNS0_4arch9wavefront6targetE0EEEvSI_
                                        ; -- End function
	.set _ZN7rocprim17ROCPRIM_400000_NS6detail17trampoline_kernelINS0_14default_configENS1_35radix_sort_onesweep_config_selectorIiiEEZZNS1_29radix_sort_onesweep_iterationIS3_Lb0EN6thrust23THRUST_200600_302600_NS6detail15normal_iteratorINS8_10device_ptrIiEEEESD_SD_SD_jNS0_19identity_decomposerENS1_16block_id_wrapperIjLb0EEEEE10hipError_tT1_PNSt15iterator_traitsISI_E10value_typeET2_T3_PNSJ_ISO_E10value_typeET4_T5_PST_SU_PNS1_23onesweep_lookback_stateEbbT6_jjT7_P12ihipStream_tbENKUlT_T0_SI_SN_E_clIPiSD_S15_SD_EEDaS11_S12_SI_SN_EUlS11_E_NS1_11comp_targetILNS1_3genE0ELNS1_11target_archE4294967295ELNS1_3gpuE0ELNS1_3repE0EEENS1_47radix_sort_onesweep_sort_config_static_selectorELNS0_4arch9wavefront6targetE0EEEvSI_.num_vgpr, 0
	.set _ZN7rocprim17ROCPRIM_400000_NS6detail17trampoline_kernelINS0_14default_configENS1_35radix_sort_onesweep_config_selectorIiiEEZZNS1_29radix_sort_onesweep_iterationIS3_Lb0EN6thrust23THRUST_200600_302600_NS6detail15normal_iteratorINS8_10device_ptrIiEEEESD_SD_SD_jNS0_19identity_decomposerENS1_16block_id_wrapperIjLb0EEEEE10hipError_tT1_PNSt15iterator_traitsISI_E10value_typeET2_T3_PNSJ_ISO_E10value_typeET4_T5_PST_SU_PNS1_23onesweep_lookback_stateEbbT6_jjT7_P12ihipStream_tbENKUlT_T0_SI_SN_E_clIPiSD_S15_SD_EEDaS11_S12_SI_SN_EUlS11_E_NS1_11comp_targetILNS1_3genE0ELNS1_11target_archE4294967295ELNS1_3gpuE0ELNS1_3repE0EEENS1_47radix_sort_onesweep_sort_config_static_selectorELNS0_4arch9wavefront6targetE0EEEvSI_.num_agpr, 0
	.set _ZN7rocprim17ROCPRIM_400000_NS6detail17trampoline_kernelINS0_14default_configENS1_35radix_sort_onesweep_config_selectorIiiEEZZNS1_29radix_sort_onesweep_iterationIS3_Lb0EN6thrust23THRUST_200600_302600_NS6detail15normal_iteratorINS8_10device_ptrIiEEEESD_SD_SD_jNS0_19identity_decomposerENS1_16block_id_wrapperIjLb0EEEEE10hipError_tT1_PNSt15iterator_traitsISI_E10value_typeET2_T3_PNSJ_ISO_E10value_typeET4_T5_PST_SU_PNS1_23onesweep_lookback_stateEbbT6_jjT7_P12ihipStream_tbENKUlT_T0_SI_SN_E_clIPiSD_S15_SD_EEDaS11_S12_SI_SN_EUlS11_E_NS1_11comp_targetILNS1_3genE0ELNS1_11target_archE4294967295ELNS1_3gpuE0ELNS1_3repE0EEENS1_47radix_sort_onesweep_sort_config_static_selectorELNS0_4arch9wavefront6targetE0EEEvSI_.numbered_sgpr, 0
	.set _ZN7rocprim17ROCPRIM_400000_NS6detail17trampoline_kernelINS0_14default_configENS1_35radix_sort_onesweep_config_selectorIiiEEZZNS1_29radix_sort_onesweep_iterationIS3_Lb0EN6thrust23THRUST_200600_302600_NS6detail15normal_iteratorINS8_10device_ptrIiEEEESD_SD_SD_jNS0_19identity_decomposerENS1_16block_id_wrapperIjLb0EEEEE10hipError_tT1_PNSt15iterator_traitsISI_E10value_typeET2_T3_PNSJ_ISO_E10value_typeET4_T5_PST_SU_PNS1_23onesweep_lookback_stateEbbT6_jjT7_P12ihipStream_tbENKUlT_T0_SI_SN_E_clIPiSD_S15_SD_EEDaS11_S12_SI_SN_EUlS11_E_NS1_11comp_targetILNS1_3genE0ELNS1_11target_archE4294967295ELNS1_3gpuE0ELNS1_3repE0EEENS1_47radix_sort_onesweep_sort_config_static_selectorELNS0_4arch9wavefront6targetE0EEEvSI_.num_named_barrier, 0
	.set _ZN7rocprim17ROCPRIM_400000_NS6detail17trampoline_kernelINS0_14default_configENS1_35radix_sort_onesweep_config_selectorIiiEEZZNS1_29radix_sort_onesweep_iterationIS3_Lb0EN6thrust23THRUST_200600_302600_NS6detail15normal_iteratorINS8_10device_ptrIiEEEESD_SD_SD_jNS0_19identity_decomposerENS1_16block_id_wrapperIjLb0EEEEE10hipError_tT1_PNSt15iterator_traitsISI_E10value_typeET2_T3_PNSJ_ISO_E10value_typeET4_T5_PST_SU_PNS1_23onesweep_lookback_stateEbbT6_jjT7_P12ihipStream_tbENKUlT_T0_SI_SN_E_clIPiSD_S15_SD_EEDaS11_S12_SI_SN_EUlS11_E_NS1_11comp_targetILNS1_3genE0ELNS1_11target_archE4294967295ELNS1_3gpuE0ELNS1_3repE0EEENS1_47radix_sort_onesweep_sort_config_static_selectorELNS0_4arch9wavefront6targetE0EEEvSI_.private_seg_size, 0
	.set _ZN7rocprim17ROCPRIM_400000_NS6detail17trampoline_kernelINS0_14default_configENS1_35radix_sort_onesweep_config_selectorIiiEEZZNS1_29radix_sort_onesweep_iterationIS3_Lb0EN6thrust23THRUST_200600_302600_NS6detail15normal_iteratorINS8_10device_ptrIiEEEESD_SD_SD_jNS0_19identity_decomposerENS1_16block_id_wrapperIjLb0EEEEE10hipError_tT1_PNSt15iterator_traitsISI_E10value_typeET2_T3_PNSJ_ISO_E10value_typeET4_T5_PST_SU_PNS1_23onesweep_lookback_stateEbbT6_jjT7_P12ihipStream_tbENKUlT_T0_SI_SN_E_clIPiSD_S15_SD_EEDaS11_S12_SI_SN_EUlS11_E_NS1_11comp_targetILNS1_3genE0ELNS1_11target_archE4294967295ELNS1_3gpuE0ELNS1_3repE0EEENS1_47radix_sort_onesweep_sort_config_static_selectorELNS0_4arch9wavefront6targetE0EEEvSI_.uses_vcc, 0
	.set _ZN7rocprim17ROCPRIM_400000_NS6detail17trampoline_kernelINS0_14default_configENS1_35radix_sort_onesweep_config_selectorIiiEEZZNS1_29radix_sort_onesweep_iterationIS3_Lb0EN6thrust23THRUST_200600_302600_NS6detail15normal_iteratorINS8_10device_ptrIiEEEESD_SD_SD_jNS0_19identity_decomposerENS1_16block_id_wrapperIjLb0EEEEE10hipError_tT1_PNSt15iterator_traitsISI_E10value_typeET2_T3_PNSJ_ISO_E10value_typeET4_T5_PST_SU_PNS1_23onesweep_lookback_stateEbbT6_jjT7_P12ihipStream_tbENKUlT_T0_SI_SN_E_clIPiSD_S15_SD_EEDaS11_S12_SI_SN_EUlS11_E_NS1_11comp_targetILNS1_3genE0ELNS1_11target_archE4294967295ELNS1_3gpuE0ELNS1_3repE0EEENS1_47radix_sort_onesweep_sort_config_static_selectorELNS0_4arch9wavefront6targetE0EEEvSI_.uses_flat_scratch, 0
	.set _ZN7rocprim17ROCPRIM_400000_NS6detail17trampoline_kernelINS0_14default_configENS1_35radix_sort_onesweep_config_selectorIiiEEZZNS1_29radix_sort_onesweep_iterationIS3_Lb0EN6thrust23THRUST_200600_302600_NS6detail15normal_iteratorINS8_10device_ptrIiEEEESD_SD_SD_jNS0_19identity_decomposerENS1_16block_id_wrapperIjLb0EEEEE10hipError_tT1_PNSt15iterator_traitsISI_E10value_typeET2_T3_PNSJ_ISO_E10value_typeET4_T5_PST_SU_PNS1_23onesweep_lookback_stateEbbT6_jjT7_P12ihipStream_tbENKUlT_T0_SI_SN_E_clIPiSD_S15_SD_EEDaS11_S12_SI_SN_EUlS11_E_NS1_11comp_targetILNS1_3genE0ELNS1_11target_archE4294967295ELNS1_3gpuE0ELNS1_3repE0EEENS1_47radix_sort_onesweep_sort_config_static_selectorELNS0_4arch9wavefront6targetE0EEEvSI_.has_dyn_sized_stack, 0
	.set _ZN7rocprim17ROCPRIM_400000_NS6detail17trampoline_kernelINS0_14default_configENS1_35radix_sort_onesweep_config_selectorIiiEEZZNS1_29radix_sort_onesweep_iterationIS3_Lb0EN6thrust23THRUST_200600_302600_NS6detail15normal_iteratorINS8_10device_ptrIiEEEESD_SD_SD_jNS0_19identity_decomposerENS1_16block_id_wrapperIjLb0EEEEE10hipError_tT1_PNSt15iterator_traitsISI_E10value_typeET2_T3_PNSJ_ISO_E10value_typeET4_T5_PST_SU_PNS1_23onesweep_lookback_stateEbbT6_jjT7_P12ihipStream_tbENKUlT_T0_SI_SN_E_clIPiSD_S15_SD_EEDaS11_S12_SI_SN_EUlS11_E_NS1_11comp_targetILNS1_3genE0ELNS1_11target_archE4294967295ELNS1_3gpuE0ELNS1_3repE0EEENS1_47radix_sort_onesweep_sort_config_static_selectorELNS0_4arch9wavefront6targetE0EEEvSI_.has_recursion, 0
	.set _ZN7rocprim17ROCPRIM_400000_NS6detail17trampoline_kernelINS0_14default_configENS1_35radix_sort_onesweep_config_selectorIiiEEZZNS1_29radix_sort_onesweep_iterationIS3_Lb0EN6thrust23THRUST_200600_302600_NS6detail15normal_iteratorINS8_10device_ptrIiEEEESD_SD_SD_jNS0_19identity_decomposerENS1_16block_id_wrapperIjLb0EEEEE10hipError_tT1_PNSt15iterator_traitsISI_E10value_typeET2_T3_PNSJ_ISO_E10value_typeET4_T5_PST_SU_PNS1_23onesweep_lookback_stateEbbT6_jjT7_P12ihipStream_tbENKUlT_T0_SI_SN_E_clIPiSD_S15_SD_EEDaS11_S12_SI_SN_EUlS11_E_NS1_11comp_targetILNS1_3genE0ELNS1_11target_archE4294967295ELNS1_3gpuE0ELNS1_3repE0EEENS1_47radix_sort_onesweep_sort_config_static_selectorELNS0_4arch9wavefront6targetE0EEEvSI_.has_indirect_call, 0
	.section	.AMDGPU.csdata,"",@progbits
; Kernel info:
; codeLenInByte = 0
; TotalNumSgprs: 0
; NumVgprs: 0
; ScratchSize: 0
; MemoryBound: 0
; FloatMode: 240
; IeeeMode: 1
; LDSByteSize: 0 bytes/workgroup (compile time only)
; SGPRBlocks: 0
; VGPRBlocks: 0
; NumSGPRsForWavesPerEU: 1
; NumVGPRsForWavesPerEU: 1
; Occupancy: 16
; WaveLimiterHint : 0
; COMPUTE_PGM_RSRC2:SCRATCH_EN: 0
; COMPUTE_PGM_RSRC2:USER_SGPR: 6
; COMPUTE_PGM_RSRC2:TRAP_HANDLER: 0
; COMPUTE_PGM_RSRC2:TGID_X_EN: 1
; COMPUTE_PGM_RSRC2:TGID_Y_EN: 0
; COMPUTE_PGM_RSRC2:TGID_Z_EN: 0
; COMPUTE_PGM_RSRC2:TIDIG_COMP_CNT: 0
	.section	.text._ZN7rocprim17ROCPRIM_400000_NS6detail17trampoline_kernelINS0_14default_configENS1_35radix_sort_onesweep_config_selectorIiiEEZZNS1_29radix_sort_onesweep_iterationIS3_Lb0EN6thrust23THRUST_200600_302600_NS6detail15normal_iteratorINS8_10device_ptrIiEEEESD_SD_SD_jNS0_19identity_decomposerENS1_16block_id_wrapperIjLb0EEEEE10hipError_tT1_PNSt15iterator_traitsISI_E10value_typeET2_T3_PNSJ_ISO_E10value_typeET4_T5_PST_SU_PNS1_23onesweep_lookback_stateEbbT6_jjT7_P12ihipStream_tbENKUlT_T0_SI_SN_E_clIPiSD_S15_SD_EEDaS11_S12_SI_SN_EUlS11_E_NS1_11comp_targetILNS1_3genE6ELNS1_11target_archE950ELNS1_3gpuE13ELNS1_3repE0EEENS1_47radix_sort_onesweep_sort_config_static_selectorELNS0_4arch9wavefront6targetE0EEEvSI_,"axG",@progbits,_ZN7rocprim17ROCPRIM_400000_NS6detail17trampoline_kernelINS0_14default_configENS1_35radix_sort_onesweep_config_selectorIiiEEZZNS1_29radix_sort_onesweep_iterationIS3_Lb0EN6thrust23THRUST_200600_302600_NS6detail15normal_iteratorINS8_10device_ptrIiEEEESD_SD_SD_jNS0_19identity_decomposerENS1_16block_id_wrapperIjLb0EEEEE10hipError_tT1_PNSt15iterator_traitsISI_E10value_typeET2_T3_PNSJ_ISO_E10value_typeET4_T5_PST_SU_PNS1_23onesweep_lookback_stateEbbT6_jjT7_P12ihipStream_tbENKUlT_T0_SI_SN_E_clIPiSD_S15_SD_EEDaS11_S12_SI_SN_EUlS11_E_NS1_11comp_targetILNS1_3genE6ELNS1_11target_archE950ELNS1_3gpuE13ELNS1_3repE0EEENS1_47radix_sort_onesweep_sort_config_static_selectorELNS0_4arch9wavefront6targetE0EEEvSI_,comdat
	.protected	_ZN7rocprim17ROCPRIM_400000_NS6detail17trampoline_kernelINS0_14default_configENS1_35radix_sort_onesweep_config_selectorIiiEEZZNS1_29radix_sort_onesweep_iterationIS3_Lb0EN6thrust23THRUST_200600_302600_NS6detail15normal_iteratorINS8_10device_ptrIiEEEESD_SD_SD_jNS0_19identity_decomposerENS1_16block_id_wrapperIjLb0EEEEE10hipError_tT1_PNSt15iterator_traitsISI_E10value_typeET2_T3_PNSJ_ISO_E10value_typeET4_T5_PST_SU_PNS1_23onesweep_lookback_stateEbbT6_jjT7_P12ihipStream_tbENKUlT_T0_SI_SN_E_clIPiSD_S15_SD_EEDaS11_S12_SI_SN_EUlS11_E_NS1_11comp_targetILNS1_3genE6ELNS1_11target_archE950ELNS1_3gpuE13ELNS1_3repE0EEENS1_47radix_sort_onesweep_sort_config_static_selectorELNS0_4arch9wavefront6targetE0EEEvSI_ ; -- Begin function _ZN7rocprim17ROCPRIM_400000_NS6detail17trampoline_kernelINS0_14default_configENS1_35radix_sort_onesweep_config_selectorIiiEEZZNS1_29radix_sort_onesweep_iterationIS3_Lb0EN6thrust23THRUST_200600_302600_NS6detail15normal_iteratorINS8_10device_ptrIiEEEESD_SD_SD_jNS0_19identity_decomposerENS1_16block_id_wrapperIjLb0EEEEE10hipError_tT1_PNSt15iterator_traitsISI_E10value_typeET2_T3_PNSJ_ISO_E10value_typeET4_T5_PST_SU_PNS1_23onesweep_lookback_stateEbbT6_jjT7_P12ihipStream_tbENKUlT_T0_SI_SN_E_clIPiSD_S15_SD_EEDaS11_S12_SI_SN_EUlS11_E_NS1_11comp_targetILNS1_3genE6ELNS1_11target_archE950ELNS1_3gpuE13ELNS1_3repE0EEENS1_47radix_sort_onesweep_sort_config_static_selectorELNS0_4arch9wavefront6targetE0EEEvSI_
	.globl	_ZN7rocprim17ROCPRIM_400000_NS6detail17trampoline_kernelINS0_14default_configENS1_35radix_sort_onesweep_config_selectorIiiEEZZNS1_29radix_sort_onesweep_iterationIS3_Lb0EN6thrust23THRUST_200600_302600_NS6detail15normal_iteratorINS8_10device_ptrIiEEEESD_SD_SD_jNS0_19identity_decomposerENS1_16block_id_wrapperIjLb0EEEEE10hipError_tT1_PNSt15iterator_traitsISI_E10value_typeET2_T3_PNSJ_ISO_E10value_typeET4_T5_PST_SU_PNS1_23onesweep_lookback_stateEbbT6_jjT7_P12ihipStream_tbENKUlT_T0_SI_SN_E_clIPiSD_S15_SD_EEDaS11_S12_SI_SN_EUlS11_E_NS1_11comp_targetILNS1_3genE6ELNS1_11target_archE950ELNS1_3gpuE13ELNS1_3repE0EEENS1_47radix_sort_onesweep_sort_config_static_selectorELNS0_4arch9wavefront6targetE0EEEvSI_
	.p2align	8
	.type	_ZN7rocprim17ROCPRIM_400000_NS6detail17trampoline_kernelINS0_14default_configENS1_35radix_sort_onesweep_config_selectorIiiEEZZNS1_29radix_sort_onesweep_iterationIS3_Lb0EN6thrust23THRUST_200600_302600_NS6detail15normal_iteratorINS8_10device_ptrIiEEEESD_SD_SD_jNS0_19identity_decomposerENS1_16block_id_wrapperIjLb0EEEEE10hipError_tT1_PNSt15iterator_traitsISI_E10value_typeET2_T3_PNSJ_ISO_E10value_typeET4_T5_PST_SU_PNS1_23onesweep_lookback_stateEbbT6_jjT7_P12ihipStream_tbENKUlT_T0_SI_SN_E_clIPiSD_S15_SD_EEDaS11_S12_SI_SN_EUlS11_E_NS1_11comp_targetILNS1_3genE6ELNS1_11target_archE950ELNS1_3gpuE13ELNS1_3repE0EEENS1_47radix_sort_onesweep_sort_config_static_selectorELNS0_4arch9wavefront6targetE0EEEvSI_,@function
_ZN7rocprim17ROCPRIM_400000_NS6detail17trampoline_kernelINS0_14default_configENS1_35radix_sort_onesweep_config_selectorIiiEEZZNS1_29radix_sort_onesweep_iterationIS3_Lb0EN6thrust23THRUST_200600_302600_NS6detail15normal_iteratorINS8_10device_ptrIiEEEESD_SD_SD_jNS0_19identity_decomposerENS1_16block_id_wrapperIjLb0EEEEE10hipError_tT1_PNSt15iterator_traitsISI_E10value_typeET2_T3_PNSJ_ISO_E10value_typeET4_T5_PST_SU_PNS1_23onesweep_lookback_stateEbbT6_jjT7_P12ihipStream_tbENKUlT_T0_SI_SN_E_clIPiSD_S15_SD_EEDaS11_S12_SI_SN_EUlS11_E_NS1_11comp_targetILNS1_3genE6ELNS1_11target_archE950ELNS1_3gpuE13ELNS1_3repE0EEENS1_47radix_sort_onesweep_sort_config_static_selectorELNS0_4arch9wavefront6targetE0EEEvSI_: ; @_ZN7rocprim17ROCPRIM_400000_NS6detail17trampoline_kernelINS0_14default_configENS1_35radix_sort_onesweep_config_selectorIiiEEZZNS1_29radix_sort_onesweep_iterationIS3_Lb0EN6thrust23THRUST_200600_302600_NS6detail15normal_iteratorINS8_10device_ptrIiEEEESD_SD_SD_jNS0_19identity_decomposerENS1_16block_id_wrapperIjLb0EEEEE10hipError_tT1_PNSt15iterator_traitsISI_E10value_typeET2_T3_PNSJ_ISO_E10value_typeET4_T5_PST_SU_PNS1_23onesweep_lookback_stateEbbT6_jjT7_P12ihipStream_tbENKUlT_T0_SI_SN_E_clIPiSD_S15_SD_EEDaS11_S12_SI_SN_EUlS11_E_NS1_11comp_targetILNS1_3genE6ELNS1_11target_archE950ELNS1_3gpuE13ELNS1_3repE0EEENS1_47radix_sort_onesweep_sort_config_static_selectorELNS0_4arch9wavefront6targetE0EEEvSI_
; %bb.0:
	.section	.rodata,"a",@progbits
	.p2align	6, 0x0
	.amdhsa_kernel _ZN7rocprim17ROCPRIM_400000_NS6detail17trampoline_kernelINS0_14default_configENS1_35radix_sort_onesweep_config_selectorIiiEEZZNS1_29radix_sort_onesweep_iterationIS3_Lb0EN6thrust23THRUST_200600_302600_NS6detail15normal_iteratorINS8_10device_ptrIiEEEESD_SD_SD_jNS0_19identity_decomposerENS1_16block_id_wrapperIjLb0EEEEE10hipError_tT1_PNSt15iterator_traitsISI_E10value_typeET2_T3_PNSJ_ISO_E10value_typeET4_T5_PST_SU_PNS1_23onesweep_lookback_stateEbbT6_jjT7_P12ihipStream_tbENKUlT_T0_SI_SN_E_clIPiSD_S15_SD_EEDaS11_S12_SI_SN_EUlS11_E_NS1_11comp_targetILNS1_3genE6ELNS1_11target_archE950ELNS1_3gpuE13ELNS1_3repE0EEENS1_47radix_sort_onesweep_sort_config_static_selectorELNS0_4arch9wavefront6targetE0EEEvSI_
		.amdhsa_group_segment_fixed_size 0
		.amdhsa_private_segment_fixed_size 0
		.amdhsa_kernarg_size 88
		.amdhsa_user_sgpr_count 6
		.amdhsa_user_sgpr_private_segment_buffer 1
		.amdhsa_user_sgpr_dispatch_ptr 0
		.amdhsa_user_sgpr_queue_ptr 0
		.amdhsa_user_sgpr_kernarg_segment_ptr 1
		.amdhsa_user_sgpr_dispatch_id 0
		.amdhsa_user_sgpr_flat_scratch_init 0
		.amdhsa_user_sgpr_private_segment_size 0
		.amdhsa_wavefront_size32 1
		.amdhsa_uses_dynamic_stack 0
		.amdhsa_system_sgpr_private_segment_wavefront_offset 0
		.amdhsa_system_sgpr_workgroup_id_x 1
		.amdhsa_system_sgpr_workgroup_id_y 0
		.amdhsa_system_sgpr_workgroup_id_z 0
		.amdhsa_system_sgpr_workgroup_info 0
		.amdhsa_system_vgpr_workitem_id 0
		.amdhsa_next_free_vgpr 1
		.amdhsa_next_free_sgpr 1
		.amdhsa_reserve_vcc 0
		.amdhsa_reserve_flat_scratch 0
		.amdhsa_float_round_mode_32 0
		.amdhsa_float_round_mode_16_64 0
		.amdhsa_float_denorm_mode_32 3
		.amdhsa_float_denorm_mode_16_64 3
		.amdhsa_dx10_clamp 1
		.amdhsa_ieee_mode 1
		.amdhsa_fp16_overflow 0
		.amdhsa_workgroup_processor_mode 1
		.amdhsa_memory_ordered 1
		.amdhsa_forward_progress 1
		.amdhsa_shared_vgpr_count 0
		.amdhsa_exception_fp_ieee_invalid_op 0
		.amdhsa_exception_fp_denorm_src 0
		.amdhsa_exception_fp_ieee_div_zero 0
		.amdhsa_exception_fp_ieee_overflow 0
		.amdhsa_exception_fp_ieee_underflow 0
		.amdhsa_exception_fp_ieee_inexact 0
		.amdhsa_exception_int_div_zero 0
	.end_amdhsa_kernel
	.section	.text._ZN7rocprim17ROCPRIM_400000_NS6detail17trampoline_kernelINS0_14default_configENS1_35radix_sort_onesweep_config_selectorIiiEEZZNS1_29radix_sort_onesweep_iterationIS3_Lb0EN6thrust23THRUST_200600_302600_NS6detail15normal_iteratorINS8_10device_ptrIiEEEESD_SD_SD_jNS0_19identity_decomposerENS1_16block_id_wrapperIjLb0EEEEE10hipError_tT1_PNSt15iterator_traitsISI_E10value_typeET2_T3_PNSJ_ISO_E10value_typeET4_T5_PST_SU_PNS1_23onesweep_lookback_stateEbbT6_jjT7_P12ihipStream_tbENKUlT_T0_SI_SN_E_clIPiSD_S15_SD_EEDaS11_S12_SI_SN_EUlS11_E_NS1_11comp_targetILNS1_3genE6ELNS1_11target_archE950ELNS1_3gpuE13ELNS1_3repE0EEENS1_47radix_sort_onesweep_sort_config_static_selectorELNS0_4arch9wavefront6targetE0EEEvSI_,"axG",@progbits,_ZN7rocprim17ROCPRIM_400000_NS6detail17trampoline_kernelINS0_14default_configENS1_35radix_sort_onesweep_config_selectorIiiEEZZNS1_29radix_sort_onesweep_iterationIS3_Lb0EN6thrust23THRUST_200600_302600_NS6detail15normal_iteratorINS8_10device_ptrIiEEEESD_SD_SD_jNS0_19identity_decomposerENS1_16block_id_wrapperIjLb0EEEEE10hipError_tT1_PNSt15iterator_traitsISI_E10value_typeET2_T3_PNSJ_ISO_E10value_typeET4_T5_PST_SU_PNS1_23onesweep_lookback_stateEbbT6_jjT7_P12ihipStream_tbENKUlT_T0_SI_SN_E_clIPiSD_S15_SD_EEDaS11_S12_SI_SN_EUlS11_E_NS1_11comp_targetILNS1_3genE6ELNS1_11target_archE950ELNS1_3gpuE13ELNS1_3repE0EEENS1_47radix_sort_onesweep_sort_config_static_selectorELNS0_4arch9wavefront6targetE0EEEvSI_,comdat
.Lfunc_end868:
	.size	_ZN7rocprim17ROCPRIM_400000_NS6detail17trampoline_kernelINS0_14default_configENS1_35radix_sort_onesweep_config_selectorIiiEEZZNS1_29radix_sort_onesweep_iterationIS3_Lb0EN6thrust23THRUST_200600_302600_NS6detail15normal_iteratorINS8_10device_ptrIiEEEESD_SD_SD_jNS0_19identity_decomposerENS1_16block_id_wrapperIjLb0EEEEE10hipError_tT1_PNSt15iterator_traitsISI_E10value_typeET2_T3_PNSJ_ISO_E10value_typeET4_T5_PST_SU_PNS1_23onesweep_lookback_stateEbbT6_jjT7_P12ihipStream_tbENKUlT_T0_SI_SN_E_clIPiSD_S15_SD_EEDaS11_S12_SI_SN_EUlS11_E_NS1_11comp_targetILNS1_3genE6ELNS1_11target_archE950ELNS1_3gpuE13ELNS1_3repE0EEENS1_47radix_sort_onesweep_sort_config_static_selectorELNS0_4arch9wavefront6targetE0EEEvSI_, .Lfunc_end868-_ZN7rocprim17ROCPRIM_400000_NS6detail17trampoline_kernelINS0_14default_configENS1_35radix_sort_onesweep_config_selectorIiiEEZZNS1_29radix_sort_onesweep_iterationIS3_Lb0EN6thrust23THRUST_200600_302600_NS6detail15normal_iteratorINS8_10device_ptrIiEEEESD_SD_SD_jNS0_19identity_decomposerENS1_16block_id_wrapperIjLb0EEEEE10hipError_tT1_PNSt15iterator_traitsISI_E10value_typeET2_T3_PNSJ_ISO_E10value_typeET4_T5_PST_SU_PNS1_23onesweep_lookback_stateEbbT6_jjT7_P12ihipStream_tbENKUlT_T0_SI_SN_E_clIPiSD_S15_SD_EEDaS11_S12_SI_SN_EUlS11_E_NS1_11comp_targetILNS1_3genE6ELNS1_11target_archE950ELNS1_3gpuE13ELNS1_3repE0EEENS1_47radix_sort_onesweep_sort_config_static_selectorELNS0_4arch9wavefront6targetE0EEEvSI_
                                        ; -- End function
	.set _ZN7rocprim17ROCPRIM_400000_NS6detail17trampoline_kernelINS0_14default_configENS1_35radix_sort_onesweep_config_selectorIiiEEZZNS1_29radix_sort_onesweep_iterationIS3_Lb0EN6thrust23THRUST_200600_302600_NS6detail15normal_iteratorINS8_10device_ptrIiEEEESD_SD_SD_jNS0_19identity_decomposerENS1_16block_id_wrapperIjLb0EEEEE10hipError_tT1_PNSt15iterator_traitsISI_E10value_typeET2_T3_PNSJ_ISO_E10value_typeET4_T5_PST_SU_PNS1_23onesweep_lookback_stateEbbT6_jjT7_P12ihipStream_tbENKUlT_T0_SI_SN_E_clIPiSD_S15_SD_EEDaS11_S12_SI_SN_EUlS11_E_NS1_11comp_targetILNS1_3genE6ELNS1_11target_archE950ELNS1_3gpuE13ELNS1_3repE0EEENS1_47radix_sort_onesweep_sort_config_static_selectorELNS0_4arch9wavefront6targetE0EEEvSI_.num_vgpr, 0
	.set _ZN7rocprim17ROCPRIM_400000_NS6detail17trampoline_kernelINS0_14default_configENS1_35radix_sort_onesweep_config_selectorIiiEEZZNS1_29radix_sort_onesweep_iterationIS3_Lb0EN6thrust23THRUST_200600_302600_NS6detail15normal_iteratorINS8_10device_ptrIiEEEESD_SD_SD_jNS0_19identity_decomposerENS1_16block_id_wrapperIjLb0EEEEE10hipError_tT1_PNSt15iterator_traitsISI_E10value_typeET2_T3_PNSJ_ISO_E10value_typeET4_T5_PST_SU_PNS1_23onesweep_lookback_stateEbbT6_jjT7_P12ihipStream_tbENKUlT_T0_SI_SN_E_clIPiSD_S15_SD_EEDaS11_S12_SI_SN_EUlS11_E_NS1_11comp_targetILNS1_3genE6ELNS1_11target_archE950ELNS1_3gpuE13ELNS1_3repE0EEENS1_47radix_sort_onesweep_sort_config_static_selectorELNS0_4arch9wavefront6targetE0EEEvSI_.num_agpr, 0
	.set _ZN7rocprim17ROCPRIM_400000_NS6detail17trampoline_kernelINS0_14default_configENS1_35radix_sort_onesweep_config_selectorIiiEEZZNS1_29radix_sort_onesweep_iterationIS3_Lb0EN6thrust23THRUST_200600_302600_NS6detail15normal_iteratorINS8_10device_ptrIiEEEESD_SD_SD_jNS0_19identity_decomposerENS1_16block_id_wrapperIjLb0EEEEE10hipError_tT1_PNSt15iterator_traitsISI_E10value_typeET2_T3_PNSJ_ISO_E10value_typeET4_T5_PST_SU_PNS1_23onesweep_lookback_stateEbbT6_jjT7_P12ihipStream_tbENKUlT_T0_SI_SN_E_clIPiSD_S15_SD_EEDaS11_S12_SI_SN_EUlS11_E_NS1_11comp_targetILNS1_3genE6ELNS1_11target_archE950ELNS1_3gpuE13ELNS1_3repE0EEENS1_47radix_sort_onesweep_sort_config_static_selectorELNS0_4arch9wavefront6targetE0EEEvSI_.numbered_sgpr, 0
	.set _ZN7rocprim17ROCPRIM_400000_NS6detail17trampoline_kernelINS0_14default_configENS1_35radix_sort_onesweep_config_selectorIiiEEZZNS1_29radix_sort_onesweep_iterationIS3_Lb0EN6thrust23THRUST_200600_302600_NS6detail15normal_iteratorINS8_10device_ptrIiEEEESD_SD_SD_jNS0_19identity_decomposerENS1_16block_id_wrapperIjLb0EEEEE10hipError_tT1_PNSt15iterator_traitsISI_E10value_typeET2_T3_PNSJ_ISO_E10value_typeET4_T5_PST_SU_PNS1_23onesweep_lookback_stateEbbT6_jjT7_P12ihipStream_tbENKUlT_T0_SI_SN_E_clIPiSD_S15_SD_EEDaS11_S12_SI_SN_EUlS11_E_NS1_11comp_targetILNS1_3genE6ELNS1_11target_archE950ELNS1_3gpuE13ELNS1_3repE0EEENS1_47radix_sort_onesweep_sort_config_static_selectorELNS0_4arch9wavefront6targetE0EEEvSI_.num_named_barrier, 0
	.set _ZN7rocprim17ROCPRIM_400000_NS6detail17trampoline_kernelINS0_14default_configENS1_35radix_sort_onesweep_config_selectorIiiEEZZNS1_29radix_sort_onesweep_iterationIS3_Lb0EN6thrust23THRUST_200600_302600_NS6detail15normal_iteratorINS8_10device_ptrIiEEEESD_SD_SD_jNS0_19identity_decomposerENS1_16block_id_wrapperIjLb0EEEEE10hipError_tT1_PNSt15iterator_traitsISI_E10value_typeET2_T3_PNSJ_ISO_E10value_typeET4_T5_PST_SU_PNS1_23onesweep_lookback_stateEbbT6_jjT7_P12ihipStream_tbENKUlT_T0_SI_SN_E_clIPiSD_S15_SD_EEDaS11_S12_SI_SN_EUlS11_E_NS1_11comp_targetILNS1_3genE6ELNS1_11target_archE950ELNS1_3gpuE13ELNS1_3repE0EEENS1_47radix_sort_onesweep_sort_config_static_selectorELNS0_4arch9wavefront6targetE0EEEvSI_.private_seg_size, 0
	.set _ZN7rocprim17ROCPRIM_400000_NS6detail17trampoline_kernelINS0_14default_configENS1_35radix_sort_onesweep_config_selectorIiiEEZZNS1_29radix_sort_onesweep_iterationIS3_Lb0EN6thrust23THRUST_200600_302600_NS6detail15normal_iteratorINS8_10device_ptrIiEEEESD_SD_SD_jNS0_19identity_decomposerENS1_16block_id_wrapperIjLb0EEEEE10hipError_tT1_PNSt15iterator_traitsISI_E10value_typeET2_T3_PNSJ_ISO_E10value_typeET4_T5_PST_SU_PNS1_23onesweep_lookback_stateEbbT6_jjT7_P12ihipStream_tbENKUlT_T0_SI_SN_E_clIPiSD_S15_SD_EEDaS11_S12_SI_SN_EUlS11_E_NS1_11comp_targetILNS1_3genE6ELNS1_11target_archE950ELNS1_3gpuE13ELNS1_3repE0EEENS1_47radix_sort_onesweep_sort_config_static_selectorELNS0_4arch9wavefront6targetE0EEEvSI_.uses_vcc, 0
	.set _ZN7rocprim17ROCPRIM_400000_NS6detail17trampoline_kernelINS0_14default_configENS1_35radix_sort_onesweep_config_selectorIiiEEZZNS1_29radix_sort_onesweep_iterationIS3_Lb0EN6thrust23THRUST_200600_302600_NS6detail15normal_iteratorINS8_10device_ptrIiEEEESD_SD_SD_jNS0_19identity_decomposerENS1_16block_id_wrapperIjLb0EEEEE10hipError_tT1_PNSt15iterator_traitsISI_E10value_typeET2_T3_PNSJ_ISO_E10value_typeET4_T5_PST_SU_PNS1_23onesweep_lookback_stateEbbT6_jjT7_P12ihipStream_tbENKUlT_T0_SI_SN_E_clIPiSD_S15_SD_EEDaS11_S12_SI_SN_EUlS11_E_NS1_11comp_targetILNS1_3genE6ELNS1_11target_archE950ELNS1_3gpuE13ELNS1_3repE0EEENS1_47radix_sort_onesweep_sort_config_static_selectorELNS0_4arch9wavefront6targetE0EEEvSI_.uses_flat_scratch, 0
	.set _ZN7rocprim17ROCPRIM_400000_NS6detail17trampoline_kernelINS0_14default_configENS1_35radix_sort_onesweep_config_selectorIiiEEZZNS1_29radix_sort_onesweep_iterationIS3_Lb0EN6thrust23THRUST_200600_302600_NS6detail15normal_iteratorINS8_10device_ptrIiEEEESD_SD_SD_jNS0_19identity_decomposerENS1_16block_id_wrapperIjLb0EEEEE10hipError_tT1_PNSt15iterator_traitsISI_E10value_typeET2_T3_PNSJ_ISO_E10value_typeET4_T5_PST_SU_PNS1_23onesweep_lookback_stateEbbT6_jjT7_P12ihipStream_tbENKUlT_T0_SI_SN_E_clIPiSD_S15_SD_EEDaS11_S12_SI_SN_EUlS11_E_NS1_11comp_targetILNS1_3genE6ELNS1_11target_archE950ELNS1_3gpuE13ELNS1_3repE0EEENS1_47radix_sort_onesweep_sort_config_static_selectorELNS0_4arch9wavefront6targetE0EEEvSI_.has_dyn_sized_stack, 0
	.set _ZN7rocprim17ROCPRIM_400000_NS6detail17trampoline_kernelINS0_14default_configENS1_35radix_sort_onesweep_config_selectorIiiEEZZNS1_29radix_sort_onesweep_iterationIS3_Lb0EN6thrust23THRUST_200600_302600_NS6detail15normal_iteratorINS8_10device_ptrIiEEEESD_SD_SD_jNS0_19identity_decomposerENS1_16block_id_wrapperIjLb0EEEEE10hipError_tT1_PNSt15iterator_traitsISI_E10value_typeET2_T3_PNSJ_ISO_E10value_typeET4_T5_PST_SU_PNS1_23onesweep_lookback_stateEbbT6_jjT7_P12ihipStream_tbENKUlT_T0_SI_SN_E_clIPiSD_S15_SD_EEDaS11_S12_SI_SN_EUlS11_E_NS1_11comp_targetILNS1_3genE6ELNS1_11target_archE950ELNS1_3gpuE13ELNS1_3repE0EEENS1_47radix_sort_onesweep_sort_config_static_selectorELNS0_4arch9wavefront6targetE0EEEvSI_.has_recursion, 0
	.set _ZN7rocprim17ROCPRIM_400000_NS6detail17trampoline_kernelINS0_14default_configENS1_35radix_sort_onesweep_config_selectorIiiEEZZNS1_29radix_sort_onesweep_iterationIS3_Lb0EN6thrust23THRUST_200600_302600_NS6detail15normal_iteratorINS8_10device_ptrIiEEEESD_SD_SD_jNS0_19identity_decomposerENS1_16block_id_wrapperIjLb0EEEEE10hipError_tT1_PNSt15iterator_traitsISI_E10value_typeET2_T3_PNSJ_ISO_E10value_typeET4_T5_PST_SU_PNS1_23onesweep_lookback_stateEbbT6_jjT7_P12ihipStream_tbENKUlT_T0_SI_SN_E_clIPiSD_S15_SD_EEDaS11_S12_SI_SN_EUlS11_E_NS1_11comp_targetILNS1_3genE6ELNS1_11target_archE950ELNS1_3gpuE13ELNS1_3repE0EEENS1_47radix_sort_onesweep_sort_config_static_selectorELNS0_4arch9wavefront6targetE0EEEvSI_.has_indirect_call, 0
	.section	.AMDGPU.csdata,"",@progbits
; Kernel info:
; codeLenInByte = 0
; TotalNumSgprs: 0
; NumVgprs: 0
; ScratchSize: 0
; MemoryBound: 0
; FloatMode: 240
; IeeeMode: 1
; LDSByteSize: 0 bytes/workgroup (compile time only)
; SGPRBlocks: 0
; VGPRBlocks: 0
; NumSGPRsForWavesPerEU: 1
; NumVGPRsForWavesPerEU: 1
; Occupancy: 16
; WaveLimiterHint : 0
; COMPUTE_PGM_RSRC2:SCRATCH_EN: 0
; COMPUTE_PGM_RSRC2:USER_SGPR: 6
; COMPUTE_PGM_RSRC2:TRAP_HANDLER: 0
; COMPUTE_PGM_RSRC2:TGID_X_EN: 1
; COMPUTE_PGM_RSRC2:TGID_Y_EN: 0
; COMPUTE_PGM_RSRC2:TGID_Z_EN: 0
; COMPUTE_PGM_RSRC2:TIDIG_COMP_CNT: 0
	.section	.text._ZN7rocprim17ROCPRIM_400000_NS6detail17trampoline_kernelINS0_14default_configENS1_35radix_sort_onesweep_config_selectorIiiEEZZNS1_29radix_sort_onesweep_iterationIS3_Lb0EN6thrust23THRUST_200600_302600_NS6detail15normal_iteratorINS8_10device_ptrIiEEEESD_SD_SD_jNS0_19identity_decomposerENS1_16block_id_wrapperIjLb0EEEEE10hipError_tT1_PNSt15iterator_traitsISI_E10value_typeET2_T3_PNSJ_ISO_E10value_typeET4_T5_PST_SU_PNS1_23onesweep_lookback_stateEbbT6_jjT7_P12ihipStream_tbENKUlT_T0_SI_SN_E_clIPiSD_S15_SD_EEDaS11_S12_SI_SN_EUlS11_E_NS1_11comp_targetILNS1_3genE5ELNS1_11target_archE942ELNS1_3gpuE9ELNS1_3repE0EEENS1_47radix_sort_onesweep_sort_config_static_selectorELNS0_4arch9wavefront6targetE0EEEvSI_,"axG",@progbits,_ZN7rocprim17ROCPRIM_400000_NS6detail17trampoline_kernelINS0_14default_configENS1_35radix_sort_onesweep_config_selectorIiiEEZZNS1_29radix_sort_onesweep_iterationIS3_Lb0EN6thrust23THRUST_200600_302600_NS6detail15normal_iteratorINS8_10device_ptrIiEEEESD_SD_SD_jNS0_19identity_decomposerENS1_16block_id_wrapperIjLb0EEEEE10hipError_tT1_PNSt15iterator_traitsISI_E10value_typeET2_T3_PNSJ_ISO_E10value_typeET4_T5_PST_SU_PNS1_23onesweep_lookback_stateEbbT6_jjT7_P12ihipStream_tbENKUlT_T0_SI_SN_E_clIPiSD_S15_SD_EEDaS11_S12_SI_SN_EUlS11_E_NS1_11comp_targetILNS1_3genE5ELNS1_11target_archE942ELNS1_3gpuE9ELNS1_3repE0EEENS1_47radix_sort_onesweep_sort_config_static_selectorELNS0_4arch9wavefront6targetE0EEEvSI_,comdat
	.protected	_ZN7rocprim17ROCPRIM_400000_NS6detail17trampoline_kernelINS0_14default_configENS1_35radix_sort_onesweep_config_selectorIiiEEZZNS1_29radix_sort_onesweep_iterationIS3_Lb0EN6thrust23THRUST_200600_302600_NS6detail15normal_iteratorINS8_10device_ptrIiEEEESD_SD_SD_jNS0_19identity_decomposerENS1_16block_id_wrapperIjLb0EEEEE10hipError_tT1_PNSt15iterator_traitsISI_E10value_typeET2_T3_PNSJ_ISO_E10value_typeET4_T5_PST_SU_PNS1_23onesweep_lookback_stateEbbT6_jjT7_P12ihipStream_tbENKUlT_T0_SI_SN_E_clIPiSD_S15_SD_EEDaS11_S12_SI_SN_EUlS11_E_NS1_11comp_targetILNS1_3genE5ELNS1_11target_archE942ELNS1_3gpuE9ELNS1_3repE0EEENS1_47radix_sort_onesweep_sort_config_static_selectorELNS0_4arch9wavefront6targetE0EEEvSI_ ; -- Begin function _ZN7rocprim17ROCPRIM_400000_NS6detail17trampoline_kernelINS0_14default_configENS1_35radix_sort_onesweep_config_selectorIiiEEZZNS1_29radix_sort_onesweep_iterationIS3_Lb0EN6thrust23THRUST_200600_302600_NS6detail15normal_iteratorINS8_10device_ptrIiEEEESD_SD_SD_jNS0_19identity_decomposerENS1_16block_id_wrapperIjLb0EEEEE10hipError_tT1_PNSt15iterator_traitsISI_E10value_typeET2_T3_PNSJ_ISO_E10value_typeET4_T5_PST_SU_PNS1_23onesweep_lookback_stateEbbT6_jjT7_P12ihipStream_tbENKUlT_T0_SI_SN_E_clIPiSD_S15_SD_EEDaS11_S12_SI_SN_EUlS11_E_NS1_11comp_targetILNS1_3genE5ELNS1_11target_archE942ELNS1_3gpuE9ELNS1_3repE0EEENS1_47radix_sort_onesweep_sort_config_static_selectorELNS0_4arch9wavefront6targetE0EEEvSI_
	.globl	_ZN7rocprim17ROCPRIM_400000_NS6detail17trampoline_kernelINS0_14default_configENS1_35radix_sort_onesweep_config_selectorIiiEEZZNS1_29radix_sort_onesweep_iterationIS3_Lb0EN6thrust23THRUST_200600_302600_NS6detail15normal_iteratorINS8_10device_ptrIiEEEESD_SD_SD_jNS0_19identity_decomposerENS1_16block_id_wrapperIjLb0EEEEE10hipError_tT1_PNSt15iterator_traitsISI_E10value_typeET2_T3_PNSJ_ISO_E10value_typeET4_T5_PST_SU_PNS1_23onesweep_lookback_stateEbbT6_jjT7_P12ihipStream_tbENKUlT_T0_SI_SN_E_clIPiSD_S15_SD_EEDaS11_S12_SI_SN_EUlS11_E_NS1_11comp_targetILNS1_3genE5ELNS1_11target_archE942ELNS1_3gpuE9ELNS1_3repE0EEENS1_47radix_sort_onesweep_sort_config_static_selectorELNS0_4arch9wavefront6targetE0EEEvSI_
	.p2align	8
	.type	_ZN7rocprim17ROCPRIM_400000_NS6detail17trampoline_kernelINS0_14default_configENS1_35radix_sort_onesweep_config_selectorIiiEEZZNS1_29radix_sort_onesweep_iterationIS3_Lb0EN6thrust23THRUST_200600_302600_NS6detail15normal_iteratorINS8_10device_ptrIiEEEESD_SD_SD_jNS0_19identity_decomposerENS1_16block_id_wrapperIjLb0EEEEE10hipError_tT1_PNSt15iterator_traitsISI_E10value_typeET2_T3_PNSJ_ISO_E10value_typeET4_T5_PST_SU_PNS1_23onesweep_lookback_stateEbbT6_jjT7_P12ihipStream_tbENKUlT_T0_SI_SN_E_clIPiSD_S15_SD_EEDaS11_S12_SI_SN_EUlS11_E_NS1_11comp_targetILNS1_3genE5ELNS1_11target_archE942ELNS1_3gpuE9ELNS1_3repE0EEENS1_47radix_sort_onesweep_sort_config_static_selectorELNS0_4arch9wavefront6targetE0EEEvSI_,@function
_ZN7rocprim17ROCPRIM_400000_NS6detail17trampoline_kernelINS0_14default_configENS1_35radix_sort_onesweep_config_selectorIiiEEZZNS1_29radix_sort_onesweep_iterationIS3_Lb0EN6thrust23THRUST_200600_302600_NS6detail15normal_iteratorINS8_10device_ptrIiEEEESD_SD_SD_jNS0_19identity_decomposerENS1_16block_id_wrapperIjLb0EEEEE10hipError_tT1_PNSt15iterator_traitsISI_E10value_typeET2_T3_PNSJ_ISO_E10value_typeET4_T5_PST_SU_PNS1_23onesweep_lookback_stateEbbT6_jjT7_P12ihipStream_tbENKUlT_T0_SI_SN_E_clIPiSD_S15_SD_EEDaS11_S12_SI_SN_EUlS11_E_NS1_11comp_targetILNS1_3genE5ELNS1_11target_archE942ELNS1_3gpuE9ELNS1_3repE0EEENS1_47radix_sort_onesweep_sort_config_static_selectorELNS0_4arch9wavefront6targetE0EEEvSI_: ; @_ZN7rocprim17ROCPRIM_400000_NS6detail17trampoline_kernelINS0_14default_configENS1_35radix_sort_onesweep_config_selectorIiiEEZZNS1_29radix_sort_onesweep_iterationIS3_Lb0EN6thrust23THRUST_200600_302600_NS6detail15normal_iteratorINS8_10device_ptrIiEEEESD_SD_SD_jNS0_19identity_decomposerENS1_16block_id_wrapperIjLb0EEEEE10hipError_tT1_PNSt15iterator_traitsISI_E10value_typeET2_T3_PNSJ_ISO_E10value_typeET4_T5_PST_SU_PNS1_23onesweep_lookback_stateEbbT6_jjT7_P12ihipStream_tbENKUlT_T0_SI_SN_E_clIPiSD_S15_SD_EEDaS11_S12_SI_SN_EUlS11_E_NS1_11comp_targetILNS1_3genE5ELNS1_11target_archE942ELNS1_3gpuE9ELNS1_3repE0EEENS1_47radix_sort_onesweep_sort_config_static_selectorELNS0_4arch9wavefront6targetE0EEEvSI_
; %bb.0:
	.section	.rodata,"a",@progbits
	.p2align	6, 0x0
	.amdhsa_kernel _ZN7rocprim17ROCPRIM_400000_NS6detail17trampoline_kernelINS0_14default_configENS1_35radix_sort_onesweep_config_selectorIiiEEZZNS1_29radix_sort_onesweep_iterationIS3_Lb0EN6thrust23THRUST_200600_302600_NS6detail15normal_iteratorINS8_10device_ptrIiEEEESD_SD_SD_jNS0_19identity_decomposerENS1_16block_id_wrapperIjLb0EEEEE10hipError_tT1_PNSt15iterator_traitsISI_E10value_typeET2_T3_PNSJ_ISO_E10value_typeET4_T5_PST_SU_PNS1_23onesweep_lookback_stateEbbT6_jjT7_P12ihipStream_tbENKUlT_T0_SI_SN_E_clIPiSD_S15_SD_EEDaS11_S12_SI_SN_EUlS11_E_NS1_11comp_targetILNS1_3genE5ELNS1_11target_archE942ELNS1_3gpuE9ELNS1_3repE0EEENS1_47radix_sort_onesweep_sort_config_static_selectorELNS0_4arch9wavefront6targetE0EEEvSI_
		.amdhsa_group_segment_fixed_size 0
		.amdhsa_private_segment_fixed_size 0
		.amdhsa_kernarg_size 88
		.amdhsa_user_sgpr_count 6
		.amdhsa_user_sgpr_private_segment_buffer 1
		.amdhsa_user_sgpr_dispatch_ptr 0
		.amdhsa_user_sgpr_queue_ptr 0
		.amdhsa_user_sgpr_kernarg_segment_ptr 1
		.amdhsa_user_sgpr_dispatch_id 0
		.amdhsa_user_sgpr_flat_scratch_init 0
		.amdhsa_user_sgpr_private_segment_size 0
		.amdhsa_wavefront_size32 1
		.amdhsa_uses_dynamic_stack 0
		.amdhsa_system_sgpr_private_segment_wavefront_offset 0
		.amdhsa_system_sgpr_workgroup_id_x 1
		.amdhsa_system_sgpr_workgroup_id_y 0
		.amdhsa_system_sgpr_workgroup_id_z 0
		.amdhsa_system_sgpr_workgroup_info 0
		.amdhsa_system_vgpr_workitem_id 0
		.amdhsa_next_free_vgpr 1
		.amdhsa_next_free_sgpr 1
		.amdhsa_reserve_vcc 0
		.amdhsa_reserve_flat_scratch 0
		.amdhsa_float_round_mode_32 0
		.amdhsa_float_round_mode_16_64 0
		.amdhsa_float_denorm_mode_32 3
		.amdhsa_float_denorm_mode_16_64 3
		.amdhsa_dx10_clamp 1
		.amdhsa_ieee_mode 1
		.amdhsa_fp16_overflow 0
		.amdhsa_workgroup_processor_mode 1
		.amdhsa_memory_ordered 1
		.amdhsa_forward_progress 1
		.amdhsa_shared_vgpr_count 0
		.amdhsa_exception_fp_ieee_invalid_op 0
		.amdhsa_exception_fp_denorm_src 0
		.amdhsa_exception_fp_ieee_div_zero 0
		.amdhsa_exception_fp_ieee_overflow 0
		.amdhsa_exception_fp_ieee_underflow 0
		.amdhsa_exception_fp_ieee_inexact 0
		.amdhsa_exception_int_div_zero 0
	.end_amdhsa_kernel
	.section	.text._ZN7rocprim17ROCPRIM_400000_NS6detail17trampoline_kernelINS0_14default_configENS1_35radix_sort_onesweep_config_selectorIiiEEZZNS1_29radix_sort_onesweep_iterationIS3_Lb0EN6thrust23THRUST_200600_302600_NS6detail15normal_iteratorINS8_10device_ptrIiEEEESD_SD_SD_jNS0_19identity_decomposerENS1_16block_id_wrapperIjLb0EEEEE10hipError_tT1_PNSt15iterator_traitsISI_E10value_typeET2_T3_PNSJ_ISO_E10value_typeET4_T5_PST_SU_PNS1_23onesweep_lookback_stateEbbT6_jjT7_P12ihipStream_tbENKUlT_T0_SI_SN_E_clIPiSD_S15_SD_EEDaS11_S12_SI_SN_EUlS11_E_NS1_11comp_targetILNS1_3genE5ELNS1_11target_archE942ELNS1_3gpuE9ELNS1_3repE0EEENS1_47radix_sort_onesweep_sort_config_static_selectorELNS0_4arch9wavefront6targetE0EEEvSI_,"axG",@progbits,_ZN7rocprim17ROCPRIM_400000_NS6detail17trampoline_kernelINS0_14default_configENS1_35radix_sort_onesweep_config_selectorIiiEEZZNS1_29radix_sort_onesweep_iterationIS3_Lb0EN6thrust23THRUST_200600_302600_NS6detail15normal_iteratorINS8_10device_ptrIiEEEESD_SD_SD_jNS0_19identity_decomposerENS1_16block_id_wrapperIjLb0EEEEE10hipError_tT1_PNSt15iterator_traitsISI_E10value_typeET2_T3_PNSJ_ISO_E10value_typeET4_T5_PST_SU_PNS1_23onesweep_lookback_stateEbbT6_jjT7_P12ihipStream_tbENKUlT_T0_SI_SN_E_clIPiSD_S15_SD_EEDaS11_S12_SI_SN_EUlS11_E_NS1_11comp_targetILNS1_3genE5ELNS1_11target_archE942ELNS1_3gpuE9ELNS1_3repE0EEENS1_47radix_sort_onesweep_sort_config_static_selectorELNS0_4arch9wavefront6targetE0EEEvSI_,comdat
.Lfunc_end869:
	.size	_ZN7rocprim17ROCPRIM_400000_NS6detail17trampoline_kernelINS0_14default_configENS1_35radix_sort_onesweep_config_selectorIiiEEZZNS1_29radix_sort_onesweep_iterationIS3_Lb0EN6thrust23THRUST_200600_302600_NS6detail15normal_iteratorINS8_10device_ptrIiEEEESD_SD_SD_jNS0_19identity_decomposerENS1_16block_id_wrapperIjLb0EEEEE10hipError_tT1_PNSt15iterator_traitsISI_E10value_typeET2_T3_PNSJ_ISO_E10value_typeET4_T5_PST_SU_PNS1_23onesweep_lookback_stateEbbT6_jjT7_P12ihipStream_tbENKUlT_T0_SI_SN_E_clIPiSD_S15_SD_EEDaS11_S12_SI_SN_EUlS11_E_NS1_11comp_targetILNS1_3genE5ELNS1_11target_archE942ELNS1_3gpuE9ELNS1_3repE0EEENS1_47radix_sort_onesweep_sort_config_static_selectorELNS0_4arch9wavefront6targetE0EEEvSI_, .Lfunc_end869-_ZN7rocprim17ROCPRIM_400000_NS6detail17trampoline_kernelINS0_14default_configENS1_35radix_sort_onesweep_config_selectorIiiEEZZNS1_29radix_sort_onesweep_iterationIS3_Lb0EN6thrust23THRUST_200600_302600_NS6detail15normal_iteratorINS8_10device_ptrIiEEEESD_SD_SD_jNS0_19identity_decomposerENS1_16block_id_wrapperIjLb0EEEEE10hipError_tT1_PNSt15iterator_traitsISI_E10value_typeET2_T3_PNSJ_ISO_E10value_typeET4_T5_PST_SU_PNS1_23onesweep_lookback_stateEbbT6_jjT7_P12ihipStream_tbENKUlT_T0_SI_SN_E_clIPiSD_S15_SD_EEDaS11_S12_SI_SN_EUlS11_E_NS1_11comp_targetILNS1_3genE5ELNS1_11target_archE942ELNS1_3gpuE9ELNS1_3repE0EEENS1_47radix_sort_onesweep_sort_config_static_selectorELNS0_4arch9wavefront6targetE0EEEvSI_
                                        ; -- End function
	.set _ZN7rocprim17ROCPRIM_400000_NS6detail17trampoline_kernelINS0_14default_configENS1_35radix_sort_onesweep_config_selectorIiiEEZZNS1_29radix_sort_onesweep_iterationIS3_Lb0EN6thrust23THRUST_200600_302600_NS6detail15normal_iteratorINS8_10device_ptrIiEEEESD_SD_SD_jNS0_19identity_decomposerENS1_16block_id_wrapperIjLb0EEEEE10hipError_tT1_PNSt15iterator_traitsISI_E10value_typeET2_T3_PNSJ_ISO_E10value_typeET4_T5_PST_SU_PNS1_23onesweep_lookback_stateEbbT6_jjT7_P12ihipStream_tbENKUlT_T0_SI_SN_E_clIPiSD_S15_SD_EEDaS11_S12_SI_SN_EUlS11_E_NS1_11comp_targetILNS1_3genE5ELNS1_11target_archE942ELNS1_3gpuE9ELNS1_3repE0EEENS1_47radix_sort_onesweep_sort_config_static_selectorELNS0_4arch9wavefront6targetE0EEEvSI_.num_vgpr, 0
	.set _ZN7rocprim17ROCPRIM_400000_NS6detail17trampoline_kernelINS0_14default_configENS1_35radix_sort_onesweep_config_selectorIiiEEZZNS1_29radix_sort_onesweep_iterationIS3_Lb0EN6thrust23THRUST_200600_302600_NS6detail15normal_iteratorINS8_10device_ptrIiEEEESD_SD_SD_jNS0_19identity_decomposerENS1_16block_id_wrapperIjLb0EEEEE10hipError_tT1_PNSt15iterator_traitsISI_E10value_typeET2_T3_PNSJ_ISO_E10value_typeET4_T5_PST_SU_PNS1_23onesweep_lookback_stateEbbT6_jjT7_P12ihipStream_tbENKUlT_T0_SI_SN_E_clIPiSD_S15_SD_EEDaS11_S12_SI_SN_EUlS11_E_NS1_11comp_targetILNS1_3genE5ELNS1_11target_archE942ELNS1_3gpuE9ELNS1_3repE0EEENS1_47radix_sort_onesweep_sort_config_static_selectorELNS0_4arch9wavefront6targetE0EEEvSI_.num_agpr, 0
	.set _ZN7rocprim17ROCPRIM_400000_NS6detail17trampoline_kernelINS0_14default_configENS1_35radix_sort_onesweep_config_selectorIiiEEZZNS1_29radix_sort_onesweep_iterationIS3_Lb0EN6thrust23THRUST_200600_302600_NS6detail15normal_iteratorINS8_10device_ptrIiEEEESD_SD_SD_jNS0_19identity_decomposerENS1_16block_id_wrapperIjLb0EEEEE10hipError_tT1_PNSt15iterator_traitsISI_E10value_typeET2_T3_PNSJ_ISO_E10value_typeET4_T5_PST_SU_PNS1_23onesweep_lookback_stateEbbT6_jjT7_P12ihipStream_tbENKUlT_T0_SI_SN_E_clIPiSD_S15_SD_EEDaS11_S12_SI_SN_EUlS11_E_NS1_11comp_targetILNS1_3genE5ELNS1_11target_archE942ELNS1_3gpuE9ELNS1_3repE0EEENS1_47radix_sort_onesweep_sort_config_static_selectorELNS0_4arch9wavefront6targetE0EEEvSI_.numbered_sgpr, 0
	.set _ZN7rocprim17ROCPRIM_400000_NS6detail17trampoline_kernelINS0_14default_configENS1_35radix_sort_onesweep_config_selectorIiiEEZZNS1_29radix_sort_onesweep_iterationIS3_Lb0EN6thrust23THRUST_200600_302600_NS6detail15normal_iteratorINS8_10device_ptrIiEEEESD_SD_SD_jNS0_19identity_decomposerENS1_16block_id_wrapperIjLb0EEEEE10hipError_tT1_PNSt15iterator_traitsISI_E10value_typeET2_T3_PNSJ_ISO_E10value_typeET4_T5_PST_SU_PNS1_23onesweep_lookback_stateEbbT6_jjT7_P12ihipStream_tbENKUlT_T0_SI_SN_E_clIPiSD_S15_SD_EEDaS11_S12_SI_SN_EUlS11_E_NS1_11comp_targetILNS1_3genE5ELNS1_11target_archE942ELNS1_3gpuE9ELNS1_3repE0EEENS1_47radix_sort_onesweep_sort_config_static_selectorELNS0_4arch9wavefront6targetE0EEEvSI_.num_named_barrier, 0
	.set _ZN7rocprim17ROCPRIM_400000_NS6detail17trampoline_kernelINS0_14default_configENS1_35radix_sort_onesweep_config_selectorIiiEEZZNS1_29radix_sort_onesweep_iterationIS3_Lb0EN6thrust23THRUST_200600_302600_NS6detail15normal_iteratorINS8_10device_ptrIiEEEESD_SD_SD_jNS0_19identity_decomposerENS1_16block_id_wrapperIjLb0EEEEE10hipError_tT1_PNSt15iterator_traitsISI_E10value_typeET2_T3_PNSJ_ISO_E10value_typeET4_T5_PST_SU_PNS1_23onesweep_lookback_stateEbbT6_jjT7_P12ihipStream_tbENKUlT_T0_SI_SN_E_clIPiSD_S15_SD_EEDaS11_S12_SI_SN_EUlS11_E_NS1_11comp_targetILNS1_3genE5ELNS1_11target_archE942ELNS1_3gpuE9ELNS1_3repE0EEENS1_47radix_sort_onesweep_sort_config_static_selectorELNS0_4arch9wavefront6targetE0EEEvSI_.private_seg_size, 0
	.set _ZN7rocprim17ROCPRIM_400000_NS6detail17trampoline_kernelINS0_14default_configENS1_35radix_sort_onesweep_config_selectorIiiEEZZNS1_29radix_sort_onesweep_iterationIS3_Lb0EN6thrust23THRUST_200600_302600_NS6detail15normal_iteratorINS8_10device_ptrIiEEEESD_SD_SD_jNS0_19identity_decomposerENS1_16block_id_wrapperIjLb0EEEEE10hipError_tT1_PNSt15iterator_traitsISI_E10value_typeET2_T3_PNSJ_ISO_E10value_typeET4_T5_PST_SU_PNS1_23onesweep_lookback_stateEbbT6_jjT7_P12ihipStream_tbENKUlT_T0_SI_SN_E_clIPiSD_S15_SD_EEDaS11_S12_SI_SN_EUlS11_E_NS1_11comp_targetILNS1_3genE5ELNS1_11target_archE942ELNS1_3gpuE9ELNS1_3repE0EEENS1_47radix_sort_onesweep_sort_config_static_selectorELNS0_4arch9wavefront6targetE0EEEvSI_.uses_vcc, 0
	.set _ZN7rocprim17ROCPRIM_400000_NS6detail17trampoline_kernelINS0_14default_configENS1_35radix_sort_onesweep_config_selectorIiiEEZZNS1_29radix_sort_onesweep_iterationIS3_Lb0EN6thrust23THRUST_200600_302600_NS6detail15normal_iteratorINS8_10device_ptrIiEEEESD_SD_SD_jNS0_19identity_decomposerENS1_16block_id_wrapperIjLb0EEEEE10hipError_tT1_PNSt15iterator_traitsISI_E10value_typeET2_T3_PNSJ_ISO_E10value_typeET4_T5_PST_SU_PNS1_23onesweep_lookback_stateEbbT6_jjT7_P12ihipStream_tbENKUlT_T0_SI_SN_E_clIPiSD_S15_SD_EEDaS11_S12_SI_SN_EUlS11_E_NS1_11comp_targetILNS1_3genE5ELNS1_11target_archE942ELNS1_3gpuE9ELNS1_3repE0EEENS1_47radix_sort_onesweep_sort_config_static_selectorELNS0_4arch9wavefront6targetE0EEEvSI_.uses_flat_scratch, 0
	.set _ZN7rocprim17ROCPRIM_400000_NS6detail17trampoline_kernelINS0_14default_configENS1_35radix_sort_onesweep_config_selectorIiiEEZZNS1_29radix_sort_onesweep_iterationIS3_Lb0EN6thrust23THRUST_200600_302600_NS6detail15normal_iteratorINS8_10device_ptrIiEEEESD_SD_SD_jNS0_19identity_decomposerENS1_16block_id_wrapperIjLb0EEEEE10hipError_tT1_PNSt15iterator_traitsISI_E10value_typeET2_T3_PNSJ_ISO_E10value_typeET4_T5_PST_SU_PNS1_23onesweep_lookback_stateEbbT6_jjT7_P12ihipStream_tbENKUlT_T0_SI_SN_E_clIPiSD_S15_SD_EEDaS11_S12_SI_SN_EUlS11_E_NS1_11comp_targetILNS1_3genE5ELNS1_11target_archE942ELNS1_3gpuE9ELNS1_3repE0EEENS1_47radix_sort_onesweep_sort_config_static_selectorELNS0_4arch9wavefront6targetE0EEEvSI_.has_dyn_sized_stack, 0
	.set _ZN7rocprim17ROCPRIM_400000_NS6detail17trampoline_kernelINS0_14default_configENS1_35radix_sort_onesweep_config_selectorIiiEEZZNS1_29radix_sort_onesweep_iterationIS3_Lb0EN6thrust23THRUST_200600_302600_NS6detail15normal_iteratorINS8_10device_ptrIiEEEESD_SD_SD_jNS0_19identity_decomposerENS1_16block_id_wrapperIjLb0EEEEE10hipError_tT1_PNSt15iterator_traitsISI_E10value_typeET2_T3_PNSJ_ISO_E10value_typeET4_T5_PST_SU_PNS1_23onesweep_lookback_stateEbbT6_jjT7_P12ihipStream_tbENKUlT_T0_SI_SN_E_clIPiSD_S15_SD_EEDaS11_S12_SI_SN_EUlS11_E_NS1_11comp_targetILNS1_3genE5ELNS1_11target_archE942ELNS1_3gpuE9ELNS1_3repE0EEENS1_47radix_sort_onesweep_sort_config_static_selectorELNS0_4arch9wavefront6targetE0EEEvSI_.has_recursion, 0
	.set _ZN7rocprim17ROCPRIM_400000_NS6detail17trampoline_kernelINS0_14default_configENS1_35radix_sort_onesweep_config_selectorIiiEEZZNS1_29radix_sort_onesweep_iterationIS3_Lb0EN6thrust23THRUST_200600_302600_NS6detail15normal_iteratorINS8_10device_ptrIiEEEESD_SD_SD_jNS0_19identity_decomposerENS1_16block_id_wrapperIjLb0EEEEE10hipError_tT1_PNSt15iterator_traitsISI_E10value_typeET2_T3_PNSJ_ISO_E10value_typeET4_T5_PST_SU_PNS1_23onesweep_lookback_stateEbbT6_jjT7_P12ihipStream_tbENKUlT_T0_SI_SN_E_clIPiSD_S15_SD_EEDaS11_S12_SI_SN_EUlS11_E_NS1_11comp_targetILNS1_3genE5ELNS1_11target_archE942ELNS1_3gpuE9ELNS1_3repE0EEENS1_47radix_sort_onesweep_sort_config_static_selectorELNS0_4arch9wavefront6targetE0EEEvSI_.has_indirect_call, 0
	.section	.AMDGPU.csdata,"",@progbits
; Kernel info:
; codeLenInByte = 0
; TotalNumSgprs: 0
; NumVgprs: 0
; ScratchSize: 0
; MemoryBound: 0
; FloatMode: 240
; IeeeMode: 1
; LDSByteSize: 0 bytes/workgroup (compile time only)
; SGPRBlocks: 0
; VGPRBlocks: 0
; NumSGPRsForWavesPerEU: 1
; NumVGPRsForWavesPerEU: 1
; Occupancy: 16
; WaveLimiterHint : 0
; COMPUTE_PGM_RSRC2:SCRATCH_EN: 0
; COMPUTE_PGM_RSRC2:USER_SGPR: 6
; COMPUTE_PGM_RSRC2:TRAP_HANDLER: 0
; COMPUTE_PGM_RSRC2:TGID_X_EN: 1
; COMPUTE_PGM_RSRC2:TGID_Y_EN: 0
; COMPUTE_PGM_RSRC2:TGID_Z_EN: 0
; COMPUTE_PGM_RSRC2:TIDIG_COMP_CNT: 0
	.section	.text._ZN7rocprim17ROCPRIM_400000_NS6detail17trampoline_kernelINS0_14default_configENS1_35radix_sort_onesweep_config_selectorIiiEEZZNS1_29radix_sort_onesweep_iterationIS3_Lb0EN6thrust23THRUST_200600_302600_NS6detail15normal_iteratorINS8_10device_ptrIiEEEESD_SD_SD_jNS0_19identity_decomposerENS1_16block_id_wrapperIjLb0EEEEE10hipError_tT1_PNSt15iterator_traitsISI_E10value_typeET2_T3_PNSJ_ISO_E10value_typeET4_T5_PST_SU_PNS1_23onesweep_lookback_stateEbbT6_jjT7_P12ihipStream_tbENKUlT_T0_SI_SN_E_clIPiSD_S15_SD_EEDaS11_S12_SI_SN_EUlS11_E_NS1_11comp_targetILNS1_3genE2ELNS1_11target_archE906ELNS1_3gpuE6ELNS1_3repE0EEENS1_47radix_sort_onesweep_sort_config_static_selectorELNS0_4arch9wavefront6targetE0EEEvSI_,"axG",@progbits,_ZN7rocprim17ROCPRIM_400000_NS6detail17trampoline_kernelINS0_14default_configENS1_35radix_sort_onesweep_config_selectorIiiEEZZNS1_29radix_sort_onesweep_iterationIS3_Lb0EN6thrust23THRUST_200600_302600_NS6detail15normal_iteratorINS8_10device_ptrIiEEEESD_SD_SD_jNS0_19identity_decomposerENS1_16block_id_wrapperIjLb0EEEEE10hipError_tT1_PNSt15iterator_traitsISI_E10value_typeET2_T3_PNSJ_ISO_E10value_typeET4_T5_PST_SU_PNS1_23onesweep_lookback_stateEbbT6_jjT7_P12ihipStream_tbENKUlT_T0_SI_SN_E_clIPiSD_S15_SD_EEDaS11_S12_SI_SN_EUlS11_E_NS1_11comp_targetILNS1_3genE2ELNS1_11target_archE906ELNS1_3gpuE6ELNS1_3repE0EEENS1_47radix_sort_onesweep_sort_config_static_selectorELNS0_4arch9wavefront6targetE0EEEvSI_,comdat
	.protected	_ZN7rocprim17ROCPRIM_400000_NS6detail17trampoline_kernelINS0_14default_configENS1_35radix_sort_onesweep_config_selectorIiiEEZZNS1_29radix_sort_onesweep_iterationIS3_Lb0EN6thrust23THRUST_200600_302600_NS6detail15normal_iteratorINS8_10device_ptrIiEEEESD_SD_SD_jNS0_19identity_decomposerENS1_16block_id_wrapperIjLb0EEEEE10hipError_tT1_PNSt15iterator_traitsISI_E10value_typeET2_T3_PNSJ_ISO_E10value_typeET4_T5_PST_SU_PNS1_23onesweep_lookback_stateEbbT6_jjT7_P12ihipStream_tbENKUlT_T0_SI_SN_E_clIPiSD_S15_SD_EEDaS11_S12_SI_SN_EUlS11_E_NS1_11comp_targetILNS1_3genE2ELNS1_11target_archE906ELNS1_3gpuE6ELNS1_3repE0EEENS1_47radix_sort_onesweep_sort_config_static_selectorELNS0_4arch9wavefront6targetE0EEEvSI_ ; -- Begin function _ZN7rocprim17ROCPRIM_400000_NS6detail17trampoline_kernelINS0_14default_configENS1_35radix_sort_onesweep_config_selectorIiiEEZZNS1_29radix_sort_onesweep_iterationIS3_Lb0EN6thrust23THRUST_200600_302600_NS6detail15normal_iteratorINS8_10device_ptrIiEEEESD_SD_SD_jNS0_19identity_decomposerENS1_16block_id_wrapperIjLb0EEEEE10hipError_tT1_PNSt15iterator_traitsISI_E10value_typeET2_T3_PNSJ_ISO_E10value_typeET4_T5_PST_SU_PNS1_23onesweep_lookback_stateEbbT6_jjT7_P12ihipStream_tbENKUlT_T0_SI_SN_E_clIPiSD_S15_SD_EEDaS11_S12_SI_SN_EUlS11_E_NS1_11comp_targetILNS1_3genE2ELNS1_11target_archE906ELNS1_3gpuE6ELNS1_3repE0EEENS1_47radix_sort_onesweep_sort_config_static_selectorELNS0_4arch9wavefront6targetE0EEEvSI_
	.globl	_ZN7rocprim17ROCPRIM_400000_NS6detail17trampoline_kernelINS0_14default_configENS1_35radix_sort_onesweep_config_selectorIiiEEZZNS1_29radix_sort_onesweep_iterationIS3_Lb0EN6thrust23THRUST_200600_302600_NS6detail15normal_iteratorINS8_10device_ptrIiEEEESD_SD_SD_jNS0_19identity_decomposerENS1_16block_id_wrapperIjLb0EEEEE10hipError_tT1_PNSt15iterator_traitsISI_E10value_typeET2_T3_PNSJ_ISO_E10value_typeET4_T5_PST_SU_PNS1_23onesweep_lookback_stateEbbT6_jjT7_P12ihipStream_tbENKUlT_T0_SI_SN_E_clIPiSD_S15_SD_EEDaS11_S12_SI_SN_EUlS11_E_NS1_11comp_targetILNS1_3genE2ELNS1_11target_archE906ELNS1_3gpuE6ELNS1_3repE0EEENS1_47radix_sort_onesweep_sort_config_static_selectorELNS0_4arch9wavefront6targetE0EEEvSI_
	.p2align	8
	.type	_ZN7rocprim17ROCPRIM_400000_NS6detail17trampoline_kernelINS0_14default_configENS1_35radix_sort_onesweep_config_selectorIiiEEZZNS1_29radix_sort_onesweep_iterationIS3_Lb0EN6thrust23THRUST_200600_302600_NS6detail15normal_iteratorINS8_10device_ptrIiEEEESD_SD_SD_jNS0_19identity_decomposerENS1_16block_id_wrapperIjLb0EEEEE10hipError_tT1_PNSt15iterator_traitsISI_E10value_typeET2_T3_PNSJ_ISO_E10value_typeET4_T5_PST_SU_PNS1_23onesweep_lookback_stateEbbT6_jjT7_P12ihipStream_tbENKUlT_T0_SI_SN_E_clIPiSD_S15_SD_EEDaS11_S12_SI_SN_EUlS11_E_NS1_11comp_targetILNS1_3genE2ELNS1_11target_archE906ELNS1_3gpuE6ELNS1_3repE0EEENS1_47radix_sort_onesweep_sort_config_static_selectorELNS0_4arch9wavefront6targetE0EEEvSI_,@function
_ZN7rocprim17ROCPRIM_400000_NS6detail17trampoline_kernelINS0_14default_configENS1_35radix_sort_onesweep_config_selectorIiiEEZZNS1_29radix_sort_onesweep_iterationIS3_Lb0EN6thrust23THRUST_200600_302600_NS6detail15normal_iteratorINS8_10device_ptrIiEEEESD_SD_SD_jNS0_19identity_decomposerENS1_16block_id_wrapperIjLb0EEEEE10hipError_tT1_PNSt15iterator_traitsISI_E10value_typeET2_T3_PNSJ_ISO_E10value_typeET4_T5_PST_SU_PNS1_23onesweep_lookback_stateEbbT6_jjT7_P12ihipStream_tbENKUlT_T0_SI_SN_E_clIPiSD_S15_SD_EEDaS11_S12_SI_SN_EUlS11_E_NS1_11comp_targetILNS1_3genE2ELNS1_11target_archE906ELNS1_3gpuE6ELNS1_3repE0EEENS1_47radix_sort_onesweep_sort_config_static_selectorELNS0_4arch9wavefront6targetE0EEEvSI_: ; @_ZN7rocprim17ROCPRIM_400000_NS6detail17trampoline_kernelINS0_14default_configENS1_35radix_sort_onesweep_config_selectorIiiEEZZNS1_29radix_sort_onesweep_iterationIS3_Lb0EN6thrust23THRUST_200600_302600_NS6detail15normal_iteratorINS8_10device_ptrIiEEEESD_SD_SD_jNS0_19identity_decomposerENS1_16block_id_wrapperIjLb0EEEEE10hipError_tT1_PNSt15iterator_traitsISI_E10value_typeET2_T3_PNSJ_ISO_E10value_typeET4_T5_PST_SU_PNS1_23onesweep_lookback_stateEbbT6_jjT7_P12ihipStream_tbENKUlT_T0_SI_SN_E_clIPiSD_S15_SD_EEDaS11_S12_SI_SN_EUlS11_E_NS1_11comp_targetILNS1_3genE2ELNS1_11target_archE906ELNS1_3gpuE6ELNS1_3repE0EEENS1_47radix_sort_onesweep_sort_config_static_selectorELNS0_4arch9wavefront6targetE0EEEvSI_
; %bb.0:
	.section	.rodata,"a",@progbits
	.p2align	6, 0x0
	.amdhsa_kernel _ZN7rocprim17ROCPRIM_400000_NS6detail17trampoline_kernelINS0_14default_configENS1_35radix_sort_onesweep_config_selectorIiiEEZZNS1_29radix_sort_onesweep_iterationIS3_Lb0EN6thrust23THRUST_200600_302600_NS6detail15normal_iteratorINS8_10device_ptrIiEEEESD_SD_SD_jNS0_19identity_decomposerENS1_16block_id_wrapperIjLb0EEEEE10hipError_tT1_PNSt15iterator_traitsISI_E10value_typeET2_T3_PNSJ_ISO_E10value_typeET4_T5_PST_SU_PNS1_23onesweep_lookback_stateEbbT6_jjT7_P12ihipStream_tbENKUlT_T0_SI_SN_E_clIPiSD_S15_SD_EEDaS11_S12_SI_SN_EUlS11_E_NS1_11comp_targetILNS1_3genE2ELNS1_11target_archE906ELNS1_3gpuE6ELNS1_3repE0EEENS1_47radix_sort_onesweep_sort_config_static_selectorELNS0_4arch9wavefront6targetE0EEEvSI_
		.amdhsa_group_segment_fixed_size 0
		.amdhsa_private_segment_fixed_size 0
		.amdhsa_kernarg_size 88
		.amdhsa_user_sgpr_count 6
		.amdhsa_user_sgpr_private_segment_buffer 1
		.amdhsa_user_sgpr_dispatch_ptr 0
		.amdhsa_user_sgpr_queue_ptr 0
		.amdhsa_user_sgpr_kernarg_segment_ptr 1
		.amdhsa_user_sgpr_dispatch_id 0
		.amdhsa_user_sgpr_flat_scratch_init 0
		.amdhsa_user_sgpr_private_segment_size 0
		.amdhsa_wavefront_size32 1
		.amdhsa_uses_dynamic_stack 0
		.amdhsa_system_sgpr_private_segment_wavefront_offset 0
		.amdhsa_system_sgpr_workgroup_id_x 1
		.amdhsa_system_sgpr_workgroup_id_y 0
		.amdhsa_system_sgpr_workgroup_id_z 0
		.amdhsa_system_sgpr_workgroup_info 0
		.amdhsa_system_vgpr_workitem_id 0
		.amdhsa_next_free_vgpr 1
		.amdhsa_next_free_sgpr 1
		.amdhsa_reserve_vcc 0
		.amdhsa_reserve_flat_scratch 0
		.amdhsa_float_round_mode_32 0
		.amdhsa_float_round_mode_16_64 0
		.amdhsa_float_denorm_mode_32 3
		.amdhsa_float_denorm_mode_16_64 3
		.amdhsa_dx10_clamp 1
		.amdhsa_ieee_mode 1
		.amdhsa_fp16_overflow 0
		.amdhsa_workgroup_processor_mode 1
		.amdhsa_memory_ordered 1
		.amdhsa_forward_progress 1
		.amdhsa_shared_vgpr_count 0
		.amdhsa_exception_fp_ieee_invalid_op 0
		.amdhsa_exception_fp_denorm_src 0
		.amdhsa_exception_fp_ieee_div_zero 0
		.amdhsa_exception_fp_ieee_overflow 0
		.amdhsa_exception_fp_ieee_underflow 0
		.amdhsa_exception_fp_ieee_inexact 0
		.amdhsa_exception_int_div_zero 0
	.end_amdhsa_kernel
	.section	.text._ZN7rocprim17ROCPRIM_400000_NS6detail17trampoline_kernelINS0_14default_configENS1_35radix_sort_onesweep_config_selectorIiiEEZZNS1_29radix_sort_onesweep_iterationIS3_Lb0EN6thrust23THRUST_200600_302600_NS6detail15normal_iteratorINS8_10device_ptrIiEEEESD_SD_SD_jNS0_19identity_decomposerENS1_16block_id_wrapperIjLb0EEEEE10hipError_tT1_PNSt15iterator_traitsISI_E10value_typeET2_T3_PNSJ_ISO_E10value_typeET4_T5_PST_SU_PNS1_23onesweep_lookback_stateEbbT6_jjT7_P12ihipStream_tbENKUlT_T0_SI_SN_E_clIPiSD_S15_SD_EEDaS11_S12_SI_SN_EUlS11_E_NS1_11comp_targetILNS1_3genE2ELNS1_11target_archE906ELNS1_3gpuE6ELNS1_3repE0EEENS1_47radix_sort_onesweep_sort_config_static_selectorELNS0_4arch9wavefront6targetE0EEEvSI_,"axG",@progbits,_ZN7rocprim17ROCPRIM_400000_NS6detail17trampoline_kernelINS0_14default_configENS1_35radix_sort_onesweep_config_selectorIiiEEZZNS1_29radix_sort_onesweep_iterationIS3_Lb0EN6thrust23THRUST_200600_302600_NS6detail15normal_iteratorINS8_10device_ptrIiEEEESD_SD_SD_jNS0_19identity_decomposerENS1_16block_id_wrapperIjLb0EEEEE10hipError_tT1_PNSt15iterator_traitsISI_E10value_typeET2_T3_PNSJ_ISO_E10value_typeET4_T5_PST_SU_PNS1_23onesweep_lookback_stateEbbT6_jjT7_P12ihipStream_tbENKUlT_T0_SI_SN_E_clIPiSD_S15_SD_EEDaS11_S12_SI_SN_EUlS11_E_NS1_11comp_targetILNS1_3genE2ELNS1_11target_archE906ELNS1_3gpuE6ELNS1_3repE0EEENS1_47radix_sort_onesweep_sort_config_static_selectorELNS0_4arch9wavefront6targetE0EEEvSI_,comdat
.Lfunc_end870:
	.size	_ZN7rocprim17ROCPRIM_400000_NS6detail17trampoline_kernelINS0_14default_configENS1_35radix_sort_onesweep_config_selectorIiiEEZZNS1_29radix_sort_onesweep_iterationIS3_Lb0EN6thrust23THRUST_200600_302600_NS6detail15normal_iteratorINS8_10device_ptrIiEEEESD_SD_SD_jNS0_19identity_decomposerENS1_16block_id_wrapperIjLb0EEEEE10hipError_tT1_PNSt15iterator_traitsISI_E10value_typeET2_T3_PNSJ_ISO_E10value_typeET4_T5_PST_SU_PNS1_23onesweep_lookback_stateEbbT6_jjT7_P12ihipStream_tbENKUlT_T0_SI_SN_E_clIPiSD_S15_SD_EEDaS11_S12_SI_SN_EUlS11_E_NS1_11comp_targetILNS1_3genE2ELNS1_11target_archE906ELNS1_3gpuE6ELNS1_3repE0EEENS1_47radix_sort_onesweep_sort_config_static_selectorELNS0_4arch9wavefront6targetE0EEEvSI_, .Lfunc_end870-_ZN7rocprim17ROCPRIM_400000_NS6detail17trampoline_kernelINS0_14default_configENS1_35radix_sort_onesweep_config_selectorIiiEEZZNS1_29radix_sort_onesweep_iterationIS3_Lb0EN6thrust23THRUST_200600_302600_NS6detail15normal_iteratorINS8_10device_ptrIiEEEESD_SD_SD_jNS0_19identity_decomposerENS1_16block_id_wrapperIjLb0EEEEE10hipError_tT1_PNSt15iterator_traitsISI_E10value_typeET2_T3_PNSJ_ISO_E10value_typeET4_T5_PST_SU_PNS1_23onesweep_lookback_stateEbbT6_jjT7_P12ihipStream_tbENKUlT_T0_SI_SN_E_clIPiSD_S15_SD_EEDaS11_S12_SI_SN_EUlS11_E_NS1_11comp_targetILNS1_3genE2ELNS1_11target_archE906ELNS1_3gpuE6ELNS1_3repE0EEENS1_47radix_sort_onesweep_sort_config_static_selectorELNS0_4arch9wavefront6targetE0EEEvSI_
                                        ; -- End function
	.set _ZN7rocprim17ROCPRIM_400000_NS6detail17trampoline_kernelINS0_14default_configENS1_35radix_sort_onesweep_config_selectorIiiEEZZNS1_29radix_sort_onesweep_iterationIS3_Lb0EN6thrust23THRUST_200600_302600_NS6detail15normal_iteratorINS8_10device_ptrIiEEEESD_SD_SD_jNS0_19identity_decomposerENS1_16block_id_wrapperIjLb0EEEEE10hipError_tT1_PNSt15iterator_traitsISI_E10value_typeET2_T3_PNSJ_ISO_E10value_typeET4_T5_PST_SU_PNS1_23onesweep_lookback_stateEbbT6_jjT7_P12ihipStream_tbENKUlT_T0_SI_SN_E_clIPiSD_S15_SD_EEDaS11_S12_SI_SN_EUlS11_E_NS1_11comp_targetILNS1_3genE2ELNS1_11target_archE906ELNS1_3gpuE6ELNS1_3repE0EEENS1_47radix_sort_onesweep_sort_config_static_selectorELNS0_4arch9wavefront6targetE0EEEvSI_.num_vgpr, 0
	.set _ZN7rocprim17ROCPRIM_400000_NS6detail17trampoline_kernelINS0_14default_configENS1_35radix_sort_onesweep_config_selectorIiiEEZZNS1_29radix_sort_onesweep_iterationIS3_Lb0EN6thrust23THRUST_200600_302600_NS6detail15normal_iteratorINS8_10device_ptrIiEEEESD_SD_SD_jNS0_19identity_decomposerENS1_16block_id_wrapperIjLb0EEEEE10hipError_tT1_PNSt15iterator_traitsISI_E10value_typeET2_T3_PNSJ_ISO_E10value_typeET4_T5_PST_SU_PNS1_23onesweep_lookback_stateEbbT6_jjT7_P12ihipStream_tbENKUlT_T0_SI_SN_E_clIPiSD_S15_SD_EEDaS11_S12_SI_SN_EUlS11_E_NS1_11comp_targetILNS1_3genE2ELNS1_11target_archE906ELNS1_3gpuE6ELNS1_3repE0EEENS1_47radix_sort_onesweep_sort_config_static_selectorELNS0_4arch9wavefront6targetE0EEEvSI_.num_agpr, 0
	.set _ZN7rocprim17ROCPRIM_400000_NS6detail17trampoline_kernelINS0_14default_configENS1_35radix_sort_onesweep_config_selectorIiiEEZZNS1_29radix_sort_onesweep_iterationIS3_Lb0EN6thrust23THRUST_200600_302600_NS6detail15normal_iteratorINS8_10device_ptrIiEEEESD_SD_SD_jNS0_19identity_decomposerENS1_16block_id_wrapperIjLb0EEEEE10hipError_tT1_PNSt15iterator_traitsISI_E10value_typeET2_T3_PNSJ_ISO_E10value_typeET4_T5_PST_SU_PNS1_23onesweep_lookback_stateEbbT6_jjT7_P12ihipStream_tbENKUlT_T0_SI_SN_E_clIPiSD_S15_SD_EEDaS11_S12_SI_SN_EUlS11_E_NS1_11comp_targetILNS1_3genE2ELNS1_11target_archE906ELNS1_3gpuE6ELNS1_3repE0EEENS1_47radix_sort_onesweep_sort_config_static_selectorELNS0_4arch9wavefront6targetE0EEEvSI_.numbered_sgpr, 0
	.set _ZN7rocprim17ROCPRIM_400000_NS6detail17trampoline_kernelINS0_14default_configENS1_35radix_sort_onesweep_config_selectorIiiEEZZNS1_29radix_sort_onesweep_iterationIS3_Lb0EN6thrust23THRUST_200600_302600_NS6detail15normal_iteratorINS8_10device_ptrIiEEEESD_SD_SD_jNS0_19identity_decomposerENS1_16block_id_wrapperIjLb0EEEEE10hipError_tT1_PNSt15iterator_traitsISI_E10value_typeET2_T3_PNSJ_ISO_E10value_typeET4_T5_PST_SU_PNS1_23onesweep_lookback_stateEbbT6_jjT7_P12ihipStream_tbENKUlT_T0_SI_SN_E_clIPiSD_S15_SD_EEDaS11_S12_SI_SN_EUlS11_E_NS1_11comp_targetILNS1_3genE2ELNS1_11target_archE906ELNS1_3gpuE6ELNS1_3repE0EEENS1_47radix_sort_onesweep_sort_config_static_selectorELNS0_4arch9wavefront6targetE0EEEvSI_.num_named_barrier, 0
	.set _ZN7rocprim17ROCPRIM_400000_NS6detail17trampoline_kernelINS0_14default_configENS1_35radix_sort_onesweep_config_selectorIiiEEZZNS1_29radix_sort_onesweep_iterationIS3_Lb0EN6thrust23THRUST_200600_302600_NS6detail15normal_iteratorINS8_10device_ptrIiEEEESD_SD_SD_jNS0_19identity_decomposerENS1_16block_id_wrapperIjLb0EEEEE10hipError_tT1_PNSt15iterator_traitsISI_E10value_typeET2_T3_PNSJ_ISO_E10value_typeET4_T5_PST_SU_PNS1_23onesweep_lookback_stateEbbT6_jjT7_P12ihipStream_tbENKUlT_T0_SI_SN_E_clIPiSD_S15_SD_EEDaS11_S12_SI_SN_EUlS11_E_NS1_11comp_targetILNS1_3genE2ELNS1_11target_archE906ELNS1_3gpuE6ELNS1_3repE0EEENS1_47radix_sort_onesweep_sort_config_static_selectorELNS0_4arch9wavefront6targetE0EEEvSI_.private_seg_size, 0
	.set _ZN7rocprim17ROCPRIM_400000_NS6detail17trampoline_kernelINS0_14default_configENS1_35radix_sort_onesweep_config_selectorIiiEEZZNS1_29radix_sort_onesweep_iterationIS3_Lb0EN6thrust23THRUST_200600_302600_NS6detail15normal_iteratorINS8_10device_ptrIiEEEESD_SD_SD_jNS0_19identity_decomposerENS1_16block_id_wrapperIjLb0EEEEE10hipError_tT1_PNSt15iterator_traitsISI_E10value_typeET2_T3_PNSJ_ISO_E10value_typeET4_T5_PST_SU_PNS1_23onesweep_lookback_stateEbbT6_jjT7_P12ihipStream_tbENKUlT_T0_SI_SN_E_clIPiSD_S15_SD_EEDaS11_S12_SI_SN_EUlS11_E_NS1_11comp_targetILNS1_3genE2ELNS1_11target_archE906ELNS1_3gpuE6ELNS1_3repE0EEENS1_47radix_sort_onesweep_sort_config_static_selectorELNS0_4arch9wavefront6targetE0EEEvSI_.uses_vcc, 0
	.set _ZN7rocprim17ROCPRIM_400000_NS6detail17trampoline_kernelINS0_14default_configENS1_35radix_sort_onesweep_config_selectorIiiEEZZNS1_29radix_sort_onesweep_iterationIS3_Lb0EN6thrust23THRUST_200600_302600_NS6detail15normal_iteratorINS8_10device_ptrIiEEEESD_SD_SD_jNS0_19identity_decomposerENS1_16block_id_wrapperIjLb0EEEEE10hipError_tT1_PNSt15iterator_traitsISI_E10value_typeET2_T3_PNSJ_ISO_E10value_typeET4_T5_PST_SU_PNS1_23onesweep_lookback_stateEbbT6_jjT7_P12ihipStream_tbENKUlT_T0_SI_SN_E_clIPiSD_S15_SD_EEDaS11_S12_SI_SN_EUlS11_E_NS1_11comp_targetILNS1_3genE2ELNS1_11target_archE906ELNS1_3gpuE6ELNS1_3repE0EEENS1_47radix_sort_onesweep_sort_config_static_selectorELNS0_4arch9wavefront6targetE0EEEvSI_.uses_flat_scratch, 0
	.set _ZN7rocprim17ROCPRIM_400000_NS6detail17trampoline_kernelINS0_14default_configENS1_35radix_sort_onesweep_config_selectorIiiEEZZNS1_29radix_sort_onesweep_iterationIS3_Lb0EN6thrust23THRUST_200600_302600_NS6detail15normal_iteratorINS8_10device_ptrIiEEEESD_SD_SD_jNS0_19identity_decomposerENS1_16block_id_wrapperIjLb0EEEEE10hipError_tT1_PNSt15iterator_traitsISI_E10value_typeET2_T3_PNSJ_ISO_E10value_typeET4_T5_PST_SU_PNS1_23onesweep_lookback_stateEbbT6_jjT7_P12ihipStream_tbENKUlT_T0_SI_SN_E_clIPiSD_S15_SD_EEDaS11_S12_SI_SN_EUlS11_E_NS1_11comp_targetILNS1_3genE2ELNS1_11target_archE906ELNS1_3gpuE6ELNS1_3repE0EEENS1_47radix_sort_onesweep_sort_config_static_selectorELNS0_4arch9wavefront6targetE0EEEvSI_.has_dyn_sized_stack, 0
	.set _ZN7rocprim17ROCPRIM_400000_NS6detail17trampoline_kernelINS0_14default_configENS1_35radix_sort_onesweep_config_selectorIiiEEZZNS1_29radix_sort_onesweep_iterationIS3_Lb0EN6thrust23THRUST_200600_302600_NS6detail15normal_iteratorINS8_10device_ptrIiEEEESD_SD_SD_jNS0_19identity_decomposerENS1_16block_id_wrapperIjLb0EEEEE10hipError_tT1_PNSt15iterator_traitsISI_E10value_typeET2_T3_PNSJ_ISO_E10value_typeET4_T5_PST_SU_PNS1_23onesweep_lookback_stateEbbT6_jjT7_P12ihipStream_tbENKUlT_T0_SI_SN_E_clIPiSD_S15_SD_EEDaS11_S12_SI_SN_EUlS11_E_NS1_11comp_targetILNS1_3genE2ELNS1_11target_archE906ELNS1_3gpuE6ELNS1_3repE0EEENS1_47radix_sort_onesweep_sort_config_static_selectorELNS0_4arch9wavefront6targetE0EEEvSI_.has_recursion, 0
	.set _ZN7rocprim17ROCPRIM_400000_NS6detail17trampoline_kernelINS0_14default_configENS1_35radix_sort_onesweep_config_selectorIiiEEZZNS1_29radix_sort_onesweep_iterationIS3_Lb0EN6thrust23THRUST_200600_302600_NS6detail15normal_iteratorINS8_10device_ptrIiEEEESD_SD_SD_jNS0_19identity_decomposerENS1_16block_id_wrapperIjLb0EEEEE10hipError_tT1_PNSt15iterator_traitsISI_E10value_typeET2_T3_PNSJ_ISO_E10value_typeET4_T5_PST_SU_PNS1_23onesweep_lookback_stateEbbT6_jjT7_P12ihipStream_tbENKUlT_T0_SI_SN_E_clIPiSD_S15_SD_EEDaS11_S12_SI_SN_EUlS11_E_NS1_11comp_targetILNS1_3genE2ELNS1_11target_archE906ELNS1_3gpuE6ELNS1_3repE0EEENS1_47radix_sort_onesweep_sort_config_static_selectorELNS0_4arch9wavefront6targetE0EEEvSI_.has_indirect_call, 0
	.section	.AMDGPU.csdata,"",@progbits
; Kernel info:
; codeLenInByte = 0
; TotalNumSgprs: 0
; NumVgprs: 0
; ScratchSize: 0
; MemoryBound: 0
; FloatMode: 240
; IeeeMode: 1
; LDSByteSize: 0 bytes/workgroup (compile time only)
; SGPRBlocks: 0
; VGPRBlocks: 0
; NumSGPRsForWavesPerEU: 1
; NumVGPRsForWavesPerEU: 1
; Occupancy: 16
; WaveLimiterHint : 0
; COMPUTE_PGM_RSRC2:SCRATCH_EN: 0
; COMPUTE_PGM_RSRC2:USER_SGPR: 6
; COMPUTE_PGM_RSRC2:TRAP_HANDLER: 0
; COMPUTE_PGM_RSRC2:TGID_X_EN: 1
; COMPUTE_PGM_RSRC2:TGID_Y_EN: 0
; COMPUTE_PGM_RSRC2:TGID_Z_EN: 0
; COMPUTE_PGM_RSRC2:TIDIG_COMP_CNT: 0
	.section	.text._ZN7rocprim17ROCPRIM_400000_NS6detail17trampoline_kernelINS0_14default_configENS1_35radix_sort_onesweep_config_selectorIiiEEZZNS1_29radix_sort_onesweep_iterationIS3_Lb0EN6thrust23THRUST_200600_302600_NS6detail15normal_iteratorINS8_10device_ptrIiEEEESD_SD_SD_jNS0_19identity_decomposerENS1_16block_id_wrapperIjLb0EEEEE10hipError_tT1_PNSt15iterator_traitsISI_E10value_typeET2_T3_PNSJ_ISO_E10value_typeET4_T5_PST_SU_PNS1_23onesweep_lookback_stateEbbT6_jjT7_P12ihipStream_tbENKUlT_T0_SI_SN_E_clIPiSD_S15_SD_EEDaS11_S12_SI_SN_EUlS11_E_NS1_11comp_targetILNS1_3genE4ELNS1_11target_archE910ELNS1_3gpuE8ELNS1_3repE0EEENS1_47radix_sort_onesweep_sort_config_static_selectorELNS0_4arch9wavefront6targetE0EEEvSI_,"axG",@progbits,_ZN7rocprim17ROCPRIM_400000_NS6detail17trampoline_kernelINS0_14default_configENS1_35radix_sort_onesweep_config_selectorIiiEEZZNS1_29radix_sort_onesweep_iterationIS3_Lb0EN6thrust23THRUST_200600_302600_NS6detail15normal_iteratorINS8_10device_ptrIiEEEESD_SD_SD_jNS0_19identity_decomposerENS1_16block_id_wrapperIjLb0EEEEE10hipError_tT1_PNSt15iterator_traitsISI_E10value_typeET2_T3_PNSJ_ISO_E10value_typeET4_T5_PST_SU_PNS1_23onesweep_lookback_stateEbbT6_jjT7_P12ihipStream_tbENKUlT_T0_SI_SN_E_clIPiSD_S15_SD_EEDaS11_S12_SI_SN_EUlS11_E_NS1_11comp_targetILNS1_3genE4ELNS1_11target_archE910ELNS1_3gpuE8ELNS1_3repE0EEENS1_47radix_sort_onesweep_sort_config_static_selectorELNS0_4arch9wavefront6targetE0EEEvSI_,comdat
	.protected	_ZN7rocprim17ROCPRIM_400000_NS6detail17trampoline_kernelINS0_14default_configENS1_35radix_sort_onesweep_config_selectorIiiEEZZNS1_29radix_sort_onesweep_iterationIS3_Lb0EN6thrust23THRUST_200600_302600_NS6detail15normal_iteratorINS8_10device_ptrIiEEEESD_SD_SD_jNS0_19identity_decomposerENS1_16block_id_wrapperIjLb0EEEEE10hipError_tT1_PNSt15iterator_traitsISI_E10value_typeET2_T3_PNSJ_ISO_E10value_typeET4_T5_PST_SU_PNS1_23onesweep_lookback_stateEbbT6_jjT7_P12ihipStream_tbENKUlT_T0_SI_SN_E_clIPiSD_S15_SD_EEDaS11_S12_SI_SN_EUlS11_E_NS1_11comp_targetILNS1_3genE4ELNS1_11target_archE910ELNS1_3gpuE8ELNS1_3repE0EEENS1_47radix_sort_onesweep_sort_config_static_selectorELNS0_4arch9wavefront6targetE0EEEvSI_ ; -- Begin function _ZN7rocprim17ROCPRIM_400000_NS6detail17trampoline_kernelINS0_14default_configENS1_35radix_sort_onesweep_config_selectorIiiEEZZNS1_29radix_sort_onesweep_iterationIS3_Lb0EN6thrust23THRUST_200600_302600_NS6detail15normal_iteratorINS8_10device_ptrIiEEEESD_SD_SD_jNS0_19identity_decomposerENS1_16block_id_wrapperIjLb0EEEEE10hipError_tT1_PNSt15iterator_traitsISI_E10value_typeET2_T3_PNSJ_ISO_E10value_typeET4_T5_PST_SU_PNS1_23onesweep_lookback_stateEbbT6_jjT7_P12ihipStream_tbENKUlT_T0_SI_SN_E_clIPiSD_S15_SD_EEDaS11_S12_SI_SN_EUlS11_E_NS1_11comp_targetILNS1_3genE4ELNS1_11target_archE910ELNS1_3gpuE8ELNS1_3repE0EEENS1_47radix_sort_onesweep_sort_config_static_selectorELNS0_4arch9wavefront6targetE0EEEvSI_
	.globl	_ZN7rocprim17ROCPRIM_400000_NS6detail17trampoline_kernelINS0_14default_configENS1_35radix_sort_onesweep_config_selectorIiiEEZZNS1_29radix_sort_onesweep_iterationIS3_Lb0EN6thrust23THRUST_200600_302600_NS6detail15normal_iteratorINS8_10device_ptrIiEEEESD_SD_SD_jNS0_19identity_decomposerENS1_16block_id_wrapperIjLb0EEEEE10hipError_tT1_PNSt15iterator_traitsISI_E10value_typeET2_T3_PNSJ_ISO_E10value_typeET4_T5_PST_SU_PNS1_23onesweep_lookback_stateEbbT6_jjT7_P12ihipStream_tbENKUlT_T0_SI_SN_E_clIPiSD_S15_SD_EEDaS11_S12_SI_SN_EUlS11_E_NS1_11comp_targetILNS1_3genE4ELNS1_11target_archE910ELNS1_3gpuE8ELNS1_3repE0EEENS1_47radix_sort_onesweep_sort_config_static_selectorELNS0_4arch9wavefront6targetE0EEEvSI_
	.p2align	8
	.type	_ZN7rocprim17ROCPRIM_400000_NS6detail17trampoline_kernelINS0_14default_configENS1_35radix_sort_onesweep_config_selectorIiiEEZZNS1_29radix_sort_onesweep_iterationIS3_Lb0EN6thrust23THRUST_200600_302600_NS6detail15normal_iteratorINS8_10device_ptrIiEEEESD_SD_SD_jNS0_19identity_decomposerENS1_16block_id_wrapperIjLb0EEEEE10hipError_tT1_PNSt15iterator_traitsISI_E10value_typeET2_T3_PNSJ_ISO_E10value_typeET4_T5_PST_SU_PNS1_23onesweep_lookback_stateEbbT6_jjT7_P12ihipStream_tbENKUlT_T0_SI_SN_E_clIPiSD_S15_SD_EEDaS11_S12_SI_SN_EUlS11_E_NS1_11comp_targetILNS1_3genE4ELNS1_11target_archE910ELNS1_3gpuE8ELNS1_3repE0EEENS1_47radix_sort_onesweep_sort_config_static_selectorELNS0_4arch9wavefront6targetE0EEEvSI_,@function
_ZN7rocprim17ROCPRIM_400000_NS6detail17trampoline_kernelINS0_14default_configENS1_35radix_sort_onesweep_config_selectorIiiEEZZNS1_29radix_sort_onesweep_iterationIS3_Lb0EN6thrust23THRUST_200600_302600_NS6detail15normal_iteratorINS8_10device_ptrIiEEEESD_SD_SD_jNS0_19identity_decomposerENS1_16block_id_wrapperIjLb0EEEEE10hipError_tT1_PNSt15iterator_traitsISI_E10value_typeET2_T3_PNSJ_ISO_E10value_typeET4_T5_PST_SU_PNS1_23onesweep_lookback_stateEbbT6_jjT7_P12ihipStream_tbENKUlT_T0_SI_SN_E_clIPiSD_S15_SD_EEDaS11_S12_SI_SN_EUlS11_E_NS1_11comp_targetILNS1_3genE4ELNS1_11target_archE910ELNS1_3gpuE8ELNS1_3repE0EEENS1_47radix_sort_onesweep_sort_config_static_selectorELNS0_4arch9wavefront6targetE0EEEvSI_: ; @_ZN7rocprim17ROCPRIM_400000_NS6detail17trampoline_kernelINS0_14default_configENS1_35radix_sort_onesweep_config_selectorIiiEEZZNS1_29radix_sort_onesweep_iterationIS3_Lb0EN6thrust23THRUST_200600_302600_NS6detail15normal_iteratorINS8_10device_ptrIiEEEESD_SD_SD_jNS0_19identity_decomposerENS1_16block_id_wrapperIjLb0EEEEE10hipError_tT1_PNSt15iterator_traitsISI_E10value_typeET2_T3_PNSJ_ISO_E10value_typeET4_T5_PST_SU_PNS1_23onesweep_lookback_stateEbbT6_jjT7_P12ihipStream_tbENKUlT_T0_SI_SN_E_clIPiSD_S15_SD_EEDaS11_S12_SI_SN_EUlS11_E_NS1_11comp_targetILNS1_3genE4ELNS1_11target_archE910ELNS1_3gpuE8ELNS1_3repE0EEENS1_47radix_sort_onesweep_sort_config_static_selectorELNS0_4arch9wavefront6targetE0EEEvSI_
; %bb.0:
	.section	.rodata,"a",@progbits
	.p2align	6, 0x0
	.amdhsa_kernel _ZN7rocprim17ROCPRIM_400000_NS6detail17trampoline_kernelINS0_14default_configENS1_35radix_sort_onesweep_config_selectorIiiEEZZNS1_29radix_sort_onesweep_iterationIS3_Lb0EN6thrust23THRUST_200600_302600_NS6detail15normal_iteratorINS8_10device_ptrIiEEEESD_SD_SD_jNS0_19identity_decomposerENS1_16block_id_wrapperIjLb0EEEEE10hipError_tT1_PNSt15iterator_traitsISI_E10value_typeET2_T3_PNSJ_ISO_E10value_typeET4_T5_PST_SU_PNS1_23onesweep_lookback_stateEbbT6_jjT7_P12ihipStream_tbENKUlT_T0_SI_SN_E_clIPiSD_S15_SD_EEDaS11_S12_SI_SN_EUlS11_E_NS1_11comp_targetILNS1_3genE4ELNS1_11target_archE910ELNS1_3gpuE8ELNS1_3repE0EEENS1_47radix_sort_onesweep_sort_config_static_selectorELNS0_4arch9wavefront6targetE0EEEvSI_
		.amdhsa_group_segment_fixed_size 0
		.amdhsa_private_segment_fixed_size 0
		.amdhsa_kernarg_size 88
		.amdhsa_user_sgpr_count 6
		.amdhsa_user_sgpr_private_segment_buffer 1
		.amdhsa_user_sgpr_dispatch_ptr 0
		.amdhsa_user_sgpr_queue_ptr 0
		.amdhsa_user_sgpr_kernarg_segment_ptr 1
		.amdhsa_user_sgpr_dispatch_id 0
		.amdhsa_user_sgpr_flat_scratch_init 0
		.amdhsa_user_sgpr_private_segment_size 0
		.amdhsa_wavefront_size32 1
		.amdhsa_uses_dynamic_stack 0
		.amdhsa_system_sgpr_private_segment_wavefront_offset 0
		.amdhsa_system_sgpr_workgroup_id_x 1
		.amdhsa_system_sgpr_workgroup_id_y 0
		.amdhsa_system_sgpr_workgroup_id_z 0
		.amdhsa_system_sgpr_workgroup_info 0
		.amdhsa_system_vgpr_workitem_id 0
		.amdhsa_next_free_vgpr 1
		.amdhsa_next_free_sgpr 1
		.amdhsa_reserve_vcc 0
		.amdhsa_reserve_flat_scratch 0
		.amdhsa_float_round_mode_32 0
		.amdhsa_float_round_mode_16_64 0
		.amdhsa_float_denorm_mode_32 3
		.amdhsa_float_denorm_mode_16_64 3
		.amdhsa_dx10_clamp 1
		.amdhsa_ieee_mode 1
		.amdhsa_fp16_overflow 0
		.amdhsa_workgroup_processor_mode 1
		.amdhsa_memory_ordered 1
		.amdhsa_forward_progress 1
		.amdhsa_shared_vgpr_count 0
		.amdhsa_exception_fp_ieee_invalid_op 0
		.amdhsa_exception_fp_denorm_src 0
		.amdhsa_exception_fp_ieee_div_zero 0
		.amdhsa_exception_fp_ieee_overflow 0
		.amdhsa_exception_fp_ieee_underflow 0
		.amdhsa_exception_fp_ieee_inexact 0
		.amdhsa_exception_int_div_zero 0
	.end_amdhsa_kernel
	.section	.text._ZN7rocprim17ROCPRIM_400000_NS6detail17trampoline_kernelINS0_14default_configENS1_35radix_sort_onesweep_config_selectorIiiEEZZNS1_29radix_sort_onesweep_iterationIS3_Lb0EN6thrust23THRUST_200600_302600_NS6detail15normal_iteratorINS8_10device_ptrIiEEEESD_SD_SD_jNS0_19identity_decomposerENS1_16block_id_wrapperIjLb0EEEEE10hipError_tT1_PNSt15iterator_traitsISI_E10value_typeET2_T3_PNSJ_ISO_E10value_typeET4_T5_PST_SU_PNS1_23onesweep_lookback_stateEbbT6_jjT7_P12ihipStream_tbENKUlT_T0_SI_SN_E_clIPiSD_S15_SD_EEDaS11_S12_SI_SN_EUlS11_E_NS1_11comp_targetILNS1_3genE4ELNS1_11target_archE910ELNS1_3gpuE8ELNS1_3repE0EEENS1_47radix_sort_onesweep_sort_config_static_selectorELNS0_4arch9wavefront6targetE0EEEvSI_,"axG",@progbits,_ZN7rocprim17ROCPRIM_400000_NS6detail17trampoline_kernelINS0_14default_configENS1_35radix_sort_onesweep_config_selectorIiiEEZZNS1_29radix_sort_onesweep_iterationIS3_Lb0EN6thrust23THRUST_200600_302600_NS6detail15normal_iteratorINS8_10device_ptrIiEEEESD_SD_SD_jNS0_19identity_decomposerENS1_16block_id_wrapperIjLb0EEEEE10hipError_tT1_PNSt15iterator_traitsISI_E10value_typeET2_T3_PNSJ_ISO_E10value_typeET4_T5_PST_SU_PNS1_23onesweep_lookback_stateEbbT6_jjT7_P12ihipStream_tbENKUlT_T0_SI_SN_E_clIPiSD_S15_SD_EEDaS11_S12_SI_SN_EUlS11_E_NS1_11comp_targetILNS1_3genE4ELNS1_11target_archE910ELNS1_3gpuE8ELNS1_3repE0EEENS1_47radix_sort_onesweep_sort_config_static_selectorELNS0_4arch9wavefront6targetE0EEEvSI_,comdat
.Lfunc_end871:
	.size	_ZN7rocprim17ROCPRIM_400000_NS6detail17trampoline_kernelINS0_14default_configENS1_35radix_sort_onesweep_config_selectorIiiEEZZNS1_29radix_sort_onesweep_iterationIS3_Lb0EN6thrust23THRUST_200600_302600_NS6detail15normal_iteratorINS8_10device_ptrIiEEEESD_SD_SD_jNS0_19identity_decomposerENS1_16block_id_wrapperIjLb0EEEEE10hipError_tT1_PNSt15iterator_traitsISI_E10value_typeET2_T3_PNSJ_ISO_E10value_typeET4_T5_PST_SU_PNS1_23onesweep_lookback_stateEbbT6_jjT7_P12ihipStream_tbENKUlT_T0_SI_SN_E_clIPiSD_S15_SD_EEDaS11_S12_SI_SN_EUlS11_E_NS1_11comp_targetILNS1_3genE4ELNS1_11target_archE910ELNS1_3gpuE8ELNS1_3repE0EEENS1_47radix_sort_onesweep_sort_config_static_selectorELNS0_4arch9wavefront6targetE0EEEvSI_, .Lfunc_end871-_ZN7rocprim17ROCPRIM_400000_NS6detail17trampoline_kernelINS0_14default_configENS1_35radix_sort_onesweep_config_selectorIiiEEZZNS1_29radix_sort_onesweep_iterationIS3_Lb0EN6thrust23THRUST_200600_302600_NS6detail15normal_iteratorINS8_10device_ptrIiEEEESD_SD_SD_jNS0_19identity_decomposerENS1_16block_id_wrapperIjLb0EEEEE10hipError_tT1_PNSt15iterator_traitsISI_E10value_typeET2_T3_PNSJ_ISO_E10value_typeET4_T5_PST_SU_PNS1_23onesweep_lookback_stateEbbT6_jjT7_P12ihipStream_tbENKUlT_T0_SI_SN_E_clIPiSD_S15_SD_EEDaS11_S12_SI_SN_EUlS11_E_NS1_11comp_targetILNS1_3genE4ELNS1_11target_archE910ELNS1_3gpuE8ELNS1_3repE0EEENS1_47radix_sort_onesweep_sort_config_static_selectorELNS0_4arch9wavefront6targetE0EEEvSI_
                                        ; -- End function
	.set _ZN7rocprim17ROCPRIM_400000_NS6detail17trampoline_kernelINS0_14default_configENS1_35radix_sort_onesweep_config_selectorIiiEEZZNS1_29radix_sort_onesweep_iterationIS3_Lb0EN6thrust23THRUST_200600_302600_NS6detail15normal_iteratorINS8_10device_ptrIiEEEESD_SD_SD_jNS0_19identity_decomposerENS1_16block_id_wrapperIjLb0EEEEE10hipError_tT1_PNSt15iterator_traitsISI_E10value_typeET2_T3_PNSJ_ISO_E10value_typeET4_T5_PST_SU_PNS1_23onesweep_lookback_stateEbbT6_jjT7_P12ihipStream_tbENKUlT_T0_SI_SN_E_clIPiSD_S15_SD_EEDaS11_S12_SI_SN_EUlS11_E_NS1_11comp_targetILNS1_3genE4ELNS1_11target_archE910ELNS1_3gpuE8ELNS1_3repE0EEENS1_47radix_sort_onesweep_sort_config_static_selectorELNS0_4arch9wavefront6targetE0EEEvSI_.num_vgpr, 0
	.set _ZN7rocprim17ROCPRIM_400000_NS6detail17trampoline_kernelINS0_14default_configENS1_35radix_sort_onesweep_config_selectorIiiEEZZNS1_29radix_sort_onesweep_iterationIS3_Lb0EN6thrust23THRUST_200600_302600_NS6detail15normal_iteratorINS8_10device_ptrIiEEEESD_SD_SD_jNS0_19identity_decomposerENS1_16block_id_wrapperIjLb0EEEEE10hipError_tT1_PNSt15iterator_traitsISI_E10value_typeET2_T3_PNSJ_ISO_E10value_typeET4_T5_PST_SU_PNS1_23onesweep_lookback_stateEbbT6_jjT7_P12ihipStream_tbENKUlT_T0_SI_SN_E_clIPiSD_S15_SD_EEDaS11_S12_SI_SN_EUlS11_E_NS1_11comp_targetILNS1_3genE4ELNS1_11target_archE910ELNS1_3gpuE8ELNS1_3repE0EEENS1_47radix_sort_onesweep_sort_config_static_selectorELNS0_4arch9wavefront6targetE0EEEvSI_.num_agpr, 0
	.set _ZN7rocprim17ROCPRIM_400000_NS6detail17trampoline_kernelINS0_14default_configENS1_35radix_sort_onesweep_config_selectorIiiEEZZNS1_29radix_sort_onesweep_iterationIS3_Lb0EN6thrust23THRUST_200600_302600_NS6detail15normal_iteratorINS8_10device_ptrIiEEEESD_SD_SD_jNS0_19identity_decomposerENS1_16block_id_wrapperIjLb0EEEEE10hipError_tT1_PNSt15iterator_traitsISI_E10value_typeET2_T3_PNSJ_ISO_E10value_typeET4_T5_PST_SU_PNS1_23onesweep_lookback_stateEbbT6_jjT7_P12ihipStream_tbENKUlT_T0_SI_SN_E_clIPiSD_S15_SD_EEDaS11_S12_SI_SN_EUlS11_E_NS1_11comp_targetILNS1_3genE4ELNS1_11target_archE910ELNS1_3gpuE8ELNS1_3repE0EEENS1_47radix_sort_onesweep_sort_config_static_selectorELNS0_4arch9wavefront6targetE0EEEvSI_.numbered_sgpr, 0
	.set _ZN7rocprim17ROCPRIM_400000_NS6detail17trampoline_kernelINS0_14default_configENS1_35radix_sort_onesweep_config_selectorIiiEEZZNS1_29radix_sort_onesweep_iterationIS3_Lb0EN6thrust23THRUST_200600_302600_NS6detail15normal_iteratorINS8_10device_ptrIiEEEESD_SD_SD_jNS0_19identity_decomposerENS1_16block_id_wrapperIjLb0EEEEE10hipError_tT1_PNSt15iterator_traitsISI_E10value_typeET2_T3_PNSJ_ISO_E10value_typeET4_T5_PST_SU_PNS1_23onesweep_lookback_stateEbbT6_jjT7_P12ihipStream_tbENKUlT_T0_SI_SN_E_clIPiSD_S15_SD_EEDaS11_S12_SI_SN_EUlS11_E_NS1_11comp_targetILNS1_3genE4ELNS1_11target_archE910ELNS1_3gpuE8ELNS1_3repE0EEENS1_47radix_sort_onesweep_sort_config_static_selectorELNS0_4arch9wavefront6targetE0EEEvSI_.num_named_barrier, 0
	.set _ZN7rocprim17ROCPRIM_400000_NS6detail17trampoline_kernelINS0_14default_configENS1_35radix_sort_onesweep_config_selectorIiiEEZZNS1_29radix_sort_onesweep_iterationIS3_Lb0EN6thrust23THRUST_200600_302600_NS6detail15normal_iteratorINS8_10device_ptrIiEEEESD_SD_SD_jNS0_19identity_decomposerENS1_16block_id_wrapperIjLb0EEEEE10hipError_tT1_PNSt15iterator_traitsISI_E10value_typeET2_T3_PNSJ_ISO_E10value_typeET4_T5_PST_SU_PNS1_23onesweep_lookback_stateEbbT6_jjT7_P12ihipStream_tbENKUlT_T0_SI_SN_E_clIPiSD_S15_SD_EEDaS11_S12_SI_SN_EUlS11_E_NS1_11comp_targetILNS1_3genE4ELNS1_11target_archE910ELNS1_3gpuE8ELNS1_3repE0EEENS1_47radix_sort_onesweep_sort_config_static_selectorELNS0_4arch9wavefront6targetE0EEEvSI_.private_seg_size, 0
	.set _ZN7rocprim17ROCPRIM_400000_NS6detail17trampoline_kernelINS0_14default_configENS1_35radix_sort_onesweep_config_selectorIiiEEZZNS1_29radix_sort_onesweep_iterationIS3_Lb0EN6thrust23THRUST_200600_302600_NS6detail15normal_iteratorINS8_10device_ptrIiEEEESD_SD_SD_jNS0_19identity_decomposerENS1_16block_id_wrapperIjLb0EEEEE10hipError_tT1_PNSt15iterator_traitsISI_E10value_typeET2_T3_PNSJ_ISO_E10value_typeET4_T5_PST_SU_PNS1_23onesweep_lookback_stateEbbT6_jjT7_P12ihipStream_tbENKUlT_T0_SI_SN_E_clIPiSD_S15_SD_EEDaS11_S12_SI_SN_EUlS11_E_NS1_11comp_targetILNS1_3genE4ELNS1_11target_archE910ELNS1_3gpuE8ELNS1_3repE0EEENS1_47radix_sort_onesweep_sort_config_static_selectorELNS0_4arch9wavefront6targetE0EEEvSI_.uses_vcc, 0
	.set _ZN7rocprim17ROCPRIM_400000_NS6detail17trampoline_kernelINS0_14default_configENS1_35radix_sort_onesweep_config_selectorIiiEEZZNS1_29radix_sort_onesweep_iterationIS3_Lb0EN6thrust23THRUST_200600_302600_NS6detail15normal_iteratorINS8_10device_ptrIiEEEESD_SD_SD_jNS0_19identity_decomposerENS1_16block_id_wrapperIjLb0EEEEE10hipError_tT1_PNSt15iterator_traitsISI_E10value_typeET2_T3_PNSJ_ISO_E10value_typeET4_T5_PST_SU_PNS1_23onesweep_lookback_stateEbbT6_jjT7_P12ihipStream_tbENKUlT_T0_SI_SN_E_clIPiSD_S15_SD_EEDaS11_S12_SI_SN_EUlS11_E_NS1_11comp_targetILNS1_3genE4ELNS1_11target_archE910ELNS1_3gpuE8ELNS1_3repE0EEENS1_47radix_sort_onesweep_sort_config_static_selectorELNS0_4arch9wavefront6targetE0EEEvSI_.uses_flat_scratch, 0
	.set _ZN7rocprim17ROCPRIM_400000_NS6detail17trampoline_kernelINS0_14default_configENS1_35radix_sort_onesweep_config_selectorIiiEEZZNS1_29radix_sort_onesweep_iterationIS3_Lb0EN6thrust23THRUST_200600_302600_NS6detail15normal_iteratorINS8_10device_ptrIiEEEESD_SD_SD_jNS0_19identity_decomposerENS1_16block_id_wrapperIjLb0EEEEE10hipError_tT1_PNSt15iterator_traitsISI_E10value_typeET2_T3_PNSJ_ISO_E10value_typeET4_T5_PST_SU_PNS1_23onesweep_lookback_stateEbbT6_jjT7_P12ihipStream_tbENKUlT_T0_SI_SN_E_clIPiSD_S15_SD_EEDaS11_S12_SI_SN_EUlS11_E_NS1_11comp_targetILNS1_3genE4ELNS1_11target_archE910ELNS1_3gpuE8ELNS1_3repE0EEENS1_47radix_sort_onesweep_sort_config_static_selectorELNS0_4arch9wavefront6targetE0EEEvSI_.has_dyn_sized_stack, 0
	.set _ZN7rocprim17ROCPRIM_400000_NS6detail17trampoline_kernelINS0_14default_configENS1_35radix_sort_onesweep_config_selectorIiiEEZZNS1_29radix_sort_onesweep_iterationIS3_Lb0EN6thrust23THRUST_200600_302600_NS6detail15normal_iteratorINS8_10device_ptrIiEEEESD_SD_SD_jNS0_19identity_decomposerENS1_16block_id_wrapperIjLb0EEEEE10hipError_tT1_PNSt15iterator_traitsISI_E10value_typeET2_T3_PNSJ_ISO_E10value_typeET4_T5_PST_SU_PNS1_23onesweep_lookback_stateEbbT6_jjT7_P12ihipStream_tbENKUlT_T0_SI_SN_E_clIPiSD_S15_SD_EEDaS11_S12_SI_SN_EUlS11_E_NS1_11comp_targetILNS1_3genE4ELNS1_11target_archE910ELNS1_3gpuE8ELNS1_3repE0EEENS1_47radix_sort_onesweep_sort_config_static_selectorELNS0_4arch9wavefront6targetE0EEEvSI_.has_recursion, 0
	.set _ZN7rocprim17ROCPRIM_400000_NS6detail17trampoline_kernelINS0_14default_configENS1_35radix_sort_onesweep_config_selectorIiiEEZZNS1_29radix_sort_onesweep_iterationIS3_Lb0EN6thrust23THRUST_200600_302600_NS6detail15normal_iteratorINS8_10device_ptrIiEEEESD_SD_SD_jNS0_19identity_decomposerENS1_16block_id_wrapperIjLb0EEEEE10hipError_tT1_PNSt15iterator_traitsISI_E10value_typeET2_T3_PNSJ_ISO_E10value_typeET4_T5_PST_SU_PNS1_23onesweep_lookback_stateEbbT6_jjT7_P12ihipStream_tbENKUlT_T0_SI_SN_E_clIPiSD_S15_SD_EEDaS11_S12_SI_SN_EUlS11_E_NS1_11comp_targetILNS1_3genE4ELNS1_11target_archE910ELNS1_3gpuE8ELNS1_3repE0EEENS1_47radix_sort_onesweep_sort_config_static_selectorELNS0_4arch9wavefront6targetE0EEEvSI_.has_indirect_call, 0
	.section	.AMDGPU.csdata,"",@progbits
; Kernel info:
; codeLenInByte = 0
; TotalNumSgprs: 0
; NumVgprs: 0
; ScratchSize: 0
; MemoryBound: 0
; FloatMode: 240
; IeeeMode: 1
; LDSByteSize: 0 bytes/workgroup (compile time only)
; SGPRBlocks: 0
; VGPRBlocks: 0
; NumSGPRsForWavesPerEU: 1
; NumVGPRsForWavesPerEU: 1
; Occupancy: 16
; WaveLimiterHint : 0
; COMPUTE_PGM_RSRC2:SCRATCH_EN: 0
; COMPUTE_PGM_RSRC2:USER_SGPR: 6
; COMPUTE_PGM_RSRC2:TRAP_HANDLER: 0
; COMPUTE_PGM_RSRC2:TGID_X_EN: 1
; COMPUTE_PGM_RSRC2:TGID_Y_EN: 0
; COMPUTE_PGM_RSRC2:TGID_Z_EN: 0
; COMPUTE_PGM_RSRC2:TIDIG_COMP_CNT: 0
	.section	.text._ZN7rocprim17ROCPRIM_400000_NS6detail17trampoline_kernelINS0_14default_configENS1_35radix_sort_onesweep_config_selectorIiiEEZZNS1_29radix_sort_onesweep_iterationIS3_Lb0EN6thrust23THRUST_200600_302600_NS6detail15normal_iteratorINS8_10device_ptrIiEEEESD_SD_SD_jNS0_19identity_decomposerENS1_16block_id_wrapperIjLb0EEEEE10hipError_tT1_PNSt15iterator_traitsISI_E10value_typeET2_T3_PNSJ_ISO_E10value_typeET4_T5_PST_SU_PNS1_23onesweep_lookback_stateEbbT6_jjT7_P12ihipStream_tbENKUlT_T0_SI_SN_E_clIPiSD_S15_SD_EEDaS11_S12_SI_SN_EUlS11_E_NS1_11comp_targetILNS1_3genE3ELNS1_11target_archE908ELNS1_3gpuE7ELNS1_3repE0EEENS1_47radix_sort_onesweep_sort_config_static_selectorELNS0_4arch9wavefront6targetE0EEEvSI_,"axG",@progbits,_ZN7rocprim17ROCPRIM_400000_NS6detail17trampoline_kernelINS0_14default_configENS1_35radix_sort_onesweep_config_selectorIiiEEZZNS1_29radix_sort_onesweep_iterationIS3_Lb0EN6thrust23THRUST_200600_302600_NS6detail15normal_iteratorINS8_10device_ptrIiEEEESD_SD_SD_jNS0_19identity_decomposerENS1_16block_id_wrapperIjLb0EEEEE10hipError_tT1_PNSt15iterator_traitsISI_E10value_typeET2_T3_PNSJ_ISO_E10value_typeET4_T5_PST_SU_PNS1_23onesweep_lookback_stateEbbT6_jjT7_P12ihipStream_tbENKUlT_T0_SI_SN_E_clIPiSD_S15_SD_EEDaS11_S12_SI_SN_EUlS11_E_NS1_11comp_targetILNS1_3genE3ELNS1_11target_archE908ELNS1_3gpuE7ELNS1_3repE0EEENS1_47radix_sort_onesweep_sort_config_static_selectorELNS0_4arch9wavefront6targetE0EEEvSI_,comdat
	.protected	_ZN7rocprim17ROCPRIM_400000_NS6detail17trampoline_kernelINS0_14default_configENS1_35radix_sort_onesweep_config_selectorIiiEEZZNS1_29radix_sort_onesweep_iterationIS3_Lb0EN6thrust23THRUST_200600_302600_NS6detail15normal_iteratorINS8_10device_ptrIiEEEESD_SD_SD_jNS0_19identity_decomposerENS1_16block_id_wrapperIjLb0EEEEE10hipError_tT1_PNSt15iterator_traitsISI_E10value_typeET2_T3_PNSJ_ISO_E10value_typeET4_T5_PST_SU_PNS1_23onesweep_lookback_stateEbbT6_jjT7_P12ihipStream_tbENKUlT_T0_SI_SN_E_clIPiSD_S15_SD_EEDaS11_S12_SI_SN_EUlS11_E_NS1_11comp_targetILNS1_3genE3ELNS1_11target_archE908ELNS1_3gpuE7ELNS1_3repE0EEENS1_47radix_sort_onesweep_sort_config_static_selectorELNS0_4arch9wavefront6targetE0EEEvSI_ ; -- Begin function _ZN7rocprim17ROCPRIM_400000_NS6detail17trampoline_kernelINS0_14default_configENS1_35radix_sort_onesweep_config_selectorIiiEEZZNS1_29radix_sort_onesweep_iterationIS3_Lb0EN6thrust23THRUST_200600_302600_NS6detail15normal_iteratorINS8_10device_ptrIiEEEESD_SD_SD_jNS0_19identity_decomposerENS1_16block_id_wrapperIjLb0EEEEE10hipError_tT1_PNSt15iterator_traitsISI_E10value_typeET2_T3_PNSJ_ISO_E10value_typeET4_T5_PST_SU_PNS1_23onesweep_lookback_stateEbbT6_jjT7_P12ihipStream_tbENKUlT_T0_SI_SN_E_clIPiSD_S15_SD_EEDaS11_S12_SI_SN_EUlS11_E_NS1_11comp_targetILNS1_3genE3ELNS1_11target_archE908ELNS1_3gpuE7ELNS1_3repE0EEENS1_47radix_sort_onesweep_sort_config_static_selectorELNS0_4arch9wavefront6targetE0EEEvSI_
	.globl	_ZN7rocprim17ROCPRIM_400000_NS6detail17trampoline_kernelINS0_14default_configENS1_35radix_sort_onesweep_config_selectorIiiEEZZNS1_29radix_sort_onesweep_iterationIS3_Lb0EN6thrust23THRUST_200600_302600_NS6detail15normal_iteratorINS8_10device_ptrIiEEEESD_SD_SD_jNS0_19identity_decomposerENS1_16block_id_wrapperIjLb0EEEEE10hipError_tT1_PNSt15iterator_traitsISI_E10value_typeET2_T3_PNSJ_ISO_E10value_typeET4_T5_PST_SU_PNS1_23onesweep_lookback_stateEbbT6_jjT7_P12ihipStream_tbENKUlT_T0_SI_SN_E_clIPiSD_S15_SD_EEDaS11_S12_SI_SN_EUlS11_E_NS1_11comp_targetILNS1_3genE3ELNS1_11target_archE908ELNS1_3gpuE7ELNS1_3repE0EEENS1_47radix_sort_onesweep_sort_config_static_selectorELNS0_4arch9wavefront6targetE0EEEvSI_
	.p2align	8
	.type	_ZN7rocprim17ROCPRIM_400000_NS6detail17trampoline_kernelINS0_14default_configENS1_35radix_sort_onesweep_config_selectorIiiEEZZNS1_29radix_sort_onesweep_iterationIS3_Lb0EN6thrust23THRUST_200600_302600_NS6detail15normal_iteratorINS8_10device_ptrIiEEEESD_SD_SD_jNS0_19identity_decomposerENS1_16block_id_wrapperIjLb0EEEEE10hipError_tT1_PNSt15iterator_traitsISI_E10value_typeET2_T3_PNSJ_ISO_E10value_typeET4_T5_PST_SU_PNS1_23onesweep_lookback_stateEbbT6_jjT7_P12ihipStream_tbENKUlT_T0_SI_SN_E_clIPiSD_S15_SD_EEDaS11_S12_SI_SN_EUlS11_E_NS1_11comp_targetILNS1_3genE3ELNS1_11target_archE908ELNS1_3gpuE7ELNS1_3repE0EEENS1_47radix_sort_onesweep_sort_config_static_selectorELNS0_4arch9wavefront6targetE0EEEvSI_,@function
_ZN7rocprim17ROCPRIM_400000_NS6detail17trampoline_kernelINS0_14default_configENS1_35radix_sort_onesweep_config_selectorIiiEEZZNS1_29radix_sort_onesweep_iterationIS3_Lb0EN6thrust23THRUST_200600_302600_NS6detail15normal_iteratorINS8_10device_ptrIiEEEESD_SD_SD_jNS0_19identity_decomposerENS1_16block_id_wrapperIjLb0EEEEE10hipError_tT1_PNSt15iterator_traitsISI_E10value_typeET2_T3_PNSJ_ISO_E10value_typeET4_T5_PST_SU_PNS1_23onesweep_lookback_stateEbbT6_jjT7_P12ihipStream_tbENKUlT_T0_SI_SN_E_clIPiSD_S15_SD_EEDaS11_S12_SI_SN_EUlS11_E_NS1_11comp_targetILNS1_3genE3ELNS1_11target_archE908ELNS1_3gpuE7ELNS1_3repE0EEENS1_47radix_sort_onesweep_sort_config_static_selectorELNS0_4arch9wavefront6targetE0EEEvSI_: ; @_ZN7rocprim17ROCPRIM_400000_NS6detail17trampoline_kernelINS0_14default_configENS1_35radix_sort_onesweep_config_selectorIiiEEZZNS1_29radix_sort_onesweep_iterationIS3_Lb0EN6thrust23THRUST_200600_302600_NS6detail15normal_iteratorINS8_10device_ptrIiEEEESD_SD_SD_jNS0_19identity_decomposerENS1_16block_id_wrapperIjLb0EEEEE10hipError_tT1_PNSt15iterator_traitsISI_E10value_typeET2_T3_PNSJ_ISO_E10value_typeET4_T5_PST_SU_PNS1_23onesweep_lookback_stateEbbT6_jjT7_P12ihipStream_tbENKUlT_T0_SI_SN_E_clIPiSD_S15_SD_EEDaS11_S12_SI_SN_EUlS11_E_NS1_11comp_targetILNS1_3genE3ELNS1_11target_archE908ELNS1_3gpuE7ELNS1_3repE0EEENS1_47radix_sort_onesweep_sort_config_static_selectorELNS0_4arch9wavefront6targetE0EEEvSI_
; %bb.0:
	.section	.rodata,"a",@progbits
	.p2align	6, 0x0
	.amdhsa_kernel _ZN7rocprim17ROCPRIM_400000_NS6detail17trampoline_kernelINS0_14default_configENS1_35radix_sort_onesweep_config_selectorIiiEEZZNS1_29radix_sort_onesweep_iterationIS3_Lb0EN6thrust23THRUST_200600_302600_NS6detail15normal_iteratorINS8_10device_ptrIiEEEESD_SD_SD_jNS0_19identity_decomposerENS1_16block_id_wrapperIjLb0EEEEE10hipError_tT1_PNSt15iterator_traitsISI_E10value_typeET2_T3_PNSJ_ISO_E10value_typeET4_T5_PST_SU_PNS1_23onesweep_lookback_stateEbbT6_jjT7_P12ihipStream_tbENKUlT_T0_SI_SN_E_clIPiSD_S15_SD_EEDaS11_S12_SI_SN_EUlS11_E_NS1_11comp_targetILNS1_3genE3ELNS1_11target_archE908ELNS1_3gpuE7ELNS1_3repE0EEENS1_47radix_sort_onesweep_sort_config_static_selectorELNS0_4arch9wavefront6targetE0EEEvSI_
		.amdhsa_group_segment_fixed_size 0
		.amdhsa_private_segment_fixed_size 0
		.amdhsa_kernarg_size 88
		.amdhsa_user_sgpr_count 6
		.amdhsa_user_sgpr_private_segment_buffer 1
		.amdhsa_user_sgpr_dispatch_ptr 0
		.amdhsa_user_sgpr_queue_ptr 0
		.amdhsa_user_sgpr_kernarg_segment_ptr 1
		.amdhsa_user_sgpr_dispatch_id 0
		.amdhsa_user_sgpr_flat_scratch_init 0
		.amdhsa_user_sgpr_private_segment_size 0
		.amdhsa_wavefront_size32 1
		.amdhsa_uses_dynamic_stack 0
		.amdhsa_system_sgpr_private_segment_wavefront_offset 0
		.amdhsa_system_sgpr_workgroup_id_x 1
		.amdhsa_system_sgpr_workgroup_id_y 0
		.amdhsa_system_sgpr_workgroup_id_z 0
		.amdhsa_system_sgpr_workgroup_info 0
		.amdhsa_system_vgpr_workitem_id 0
		.amdhsa_next_free_vgpr 1
		.amdhsa_next_free_sgpr 1
		.amdhsa_reserve_vcc 0
		.amdhsa_reserve_flat_scratch 0
		.amdhsa_float_round_mode_32 0
		.amdhsa_float_round_mode_16_64 0
		.amdhsa_float_denorm_mode_32 3
		.amdhsa_float_denorm_mode_16_64 3
		.amdhsa_dx10_clamp 1
		.amdhsa_ieee_mode 1
		.amdhsa_fp16_overflow 0
		.amdhsa_workgroup_processor_mode 1
		.amdhsa_memory_ordered 1
		.amdhsa_forward_progress 1
		.amdhsa_shared_vgpr_count 0
		.amdhsa_exception_fp_ieee_invalid_op 0
		.amdhsa_exception_fp_denorm_src 0
		.amdhsa_exception_fp_ieee_div_zero 0
		.amdhsa_exception_fp_ieee_overflow 0
		.amdhsa_exception_fp_ieee_underflow 0
		.amdhsa_exception_fp_ieee_inexact 0
		.amdhsa_exception_int_div_zero 0
	.end_amdhsa_kernel
	.section	.text._ZN7rocprim17ROCPRIM_400000_NS6detail17trampoline_kernelINS0_14default_configENS1_35radix_sort_onesweep_config_selectorIiiEEZZNS1_29radix_sort_onesweep_iterationIS3_Lb0EN6thrust23THRUST_200600_302600_NS6detail15normal_iteratorINS8_10device_ptrIiEEEESD_SD_SD_jNS0_19identity_decomposerENS1_16block_id_wrapperIjLb0EEEEE10hipError_tT1_PNSt15iterator_traitsISI_E10value_typeET2_T3_PNSJ_ISO_E10value_typeET4_T5_PST_SU_PNS1_23onesweep_lookback_stateEbbT6_jjT7_P12ihipStream_tbENKUlT_T0_SI_SN_E_clIPiSD_S15_SD_EEDaS11_S12_SI_SN_EUlS11_E_NS1_11comp_targetILNS1_3genE3ELNS1_11target_archE908ELNS1_3gpuE7ELNS1_3repE0EEENS1_47radix_sort_onesweep_sort_config_static_selectorELNS0_4arch9wavefront6targetE0EEEvSI_,"axG",@progbits,_ZN7rocprim17ROCPRIM_400000_NS6detail17trampoline_kernelINS0_14default_configENS1_35radix_sort_onesweep_config_selectorIiiEEZZNS1_29radix_sort_onesweep_iterationIS3_Lb0EN6thrust23THRUST_200600_302600_NS6detail15normal_iteratorINS8_10device_ptrIiEEEESD_SD_SD_jNS0_19identity_decomposerENS1_16block_id_wrapperIjLb0EEEEE10hipError_tT1_PNSt15iterator_traitsISI_E10value_typeET2_T3_PNSJ_ISO_E10value_typeET4_T5_PST_SU_PNS1_23onesweep_lookback_stateEbbT6_jjT7_P12ihipStream_tbENKUlT_T0_SI_SN_E_clIPiSD_S15_SD_EEDaS11_S12_SI_SN_EUlS11_E_NS1_11comp_targetILNS1_3genE3ELNS1_11target_archE908ELNS1_3gpuE7ELNS1_3repE0EEENS1_47radix_sort_onesweep_sort_config_static_selectorELNS0_4arch9wavefront6targetE0EEEvSI_,comdat
.Lfunc_end872:
	.size	_ZN7rocprim17ROCPRIM_400000_NS6detail17trampoline_kernelINS0_14default_configENS1_35radix_sort_onesweep_config_selectorIiiEEZZNS1_29radix_sort_onesweep_iterationIS3_Lb0EN6thrust23THRUST_200600_302600_NS6detail15normal_iteratorINS8_10device_ptrIiEEEESD_SD_SD_jNS0_19identity_decomposerENS1_16block_id_wrapperIjLb0EEEEE10hipError_tT1_PNSt15iterator_traitsISI_E10value_typeET2_T3_PNSJ_ISO_E10value_typeET4_T5_PST_SU_PNS1_23onesweep_lookback_stateEbbT6_jjT7_P12ihipStream_tbENKUlT_T0_SI_SN_E_clIPiSD_S15_SD_EEDaS11_S12_SI_SN_EUlS11_E_NS1_11comp_targetILNS1_3genE3ELNS1_11target_archE908ELNS1_3gpuE7ELNS1_3repE0EEENS1_47radix_sort_onesweep_sort_config_static_selectorELNS0_4arch9wavefront6targetE0EEEvSI_, .Lfunc_end872-_ZN7rocprim17ROCPRIM_400000_NS6detail17trampoline_kernelINS0_14default_configENS1_35radix_sort_onesweep_config_selectorIiiEEZZNS1_29radix_sort_onesweep_iterationIS3_Lb0EN6thrust23THRUST_200600_302600_NS6detail15normal_iteratorINS8_10device_ptrIiEEEESD_SD_SD_jNS0_19identity_decomposerENS1_16block_id_wrapperIjLb0EEEEE10hipError_tT1_PNSt15iterator_traitsISI_E10value_typeET2_T3_PNSJ_ISO_E10value_typeET4_T5_PST_SU_PNS1_23onesweep_lookback_stateEbbT6_jjT7_P12ihipStream_tbENKUlT_T0_SI_SN_E_clIPiSD_S15_SD_EEDaS11_S12_SI_SN_EUlS11_E_NS1_11comp_targetILNS1_3genE3ELNS1_11target_archE908ELNS1_3gpuE7ELNS1_3repE0EEENS1_47radix_sort_onesweep_sort_config_static_selectorELNS0_4arch9wavefront6targetE0EEEvSI_
                                        ; -- End function
	.set _ZN7rocprim17ROCPRIM_400000_NS6detail17trampoline_kernelINS0_14default_configENS1_35radix_sort_onesweep_config_selectorIiiEEZZNS1_29radix_sort_onesweep_iterationIS3_Lb0EN6thrust23THRUST_200600_302600_NS6detail15normal_iteratorINS8_10device_ptrIiEEEESD_SD_SD_jNS0_19identity_decomposerENS1_16block_id_wrapperIjLb0EEEEE10hipError_tT1_PNSt15iterator_traitsISI_E10value_typeET2_T3_PNSJ_ISO_E10value_typeET4_T5_PST_SU_PNS1_23onesweep_lookback_stateEbbT6_jjT7_P12ihipStream_tbENKUlT_T0_SI_SN_E_clIPiSD_S15_SD_EEDaS11_S12_SI_SN_EUlS11_E_NS1_11comp_targetILNS1_3genE3ELNS1_11target_archE908ELNS1_3gpuE7ELNS1_3repE0EEENS1_47radix_sort_onesweep_sort_config_static_selectorELNS0_4arch9wavefront6targetE0EEEvSI_.num_vgpr, 0
	.set _ZN7rocprim17ROCPRIM_400000_NS6detail17trampoline_kernelINS0_14default_configENS1_35radix_sort_onesweep_config_selectorIiiEEZZNS1_29radix_sort_onesweep_iterationIS3_Lb0EN6thrust23THRUST_200600_302600_NS6detail15normal_iteratorINS8_10device_ptrIiEEEESD_SD_SD_jNS0_19identity_decomposerENS1_16block_id_wrapperIjLb0EEEEE10hipError_tT1_PNSt15iterator_traitsISI_E10value_typeET2_T3_PNSJ_ISO_E10value_typeET4_T5_PST_SU_PNS1_23onesweep_lookback_stateEbbT6_jjT7_P12ihipStream_tbENKUlT_T0_SI_SN_E_clIPiSD_S15_SD_EEDaS11_S12_SI_SN_EUlS11_E_NS1_11comp_targetILNS1_3genE3ELNS1_11target_archE908ELNS1_3gpuE7ELNS1_3repE0EEENS1_47radix_sort_onesweep_sort_config_static_selectorELNS0_4arch9wavefront6targetE0EEEvSI_.num_agpr, 0
	.set _ZN7rocprim17ROCPRIM_400000_NS6detail17trampoline_kernelINS0_14default_configENS1_35radix_sort_onesweep_config_selectorIiiEEZZNS1_29radix_sort_onesweep_iterationIS3_Lb0EN6thrust23THRUST_200600_302600_NS6detail15normal_iteratorINS8_10device_ptrIiEEEESD_SD_SD_jNS0_19identity_decomposerENS1_16block_id_wrapperIjLb0EEEEE10hipError_tT1_PNSt15iterator_traitsISI_E10value_typeET2_T3_PNSJ_ISO_E10value_typeET4_T5_PST_SU_PNS1_23onesweep_lookback_stateEbbT6_jjT7_P12ihipStream_tbENKUlT_T0_SI_SN_E_clIPiSD_S15_SD_EEDaS11_S12_SI_SN_EUlS11_E_NS1_11comp_targetILNS1_3genE3ELNS1_11target_archE908ELNS1_3gpuE7ELNS1_3repE0EEENS1_47radix_sort_onesweep_sort_config_static_selectorELNS0_4arch9wavefront6targetE0EEEvSI_.numbered_sgpr, 0
	.set _ZN7rocprim17ROCPRIM_400000_NS6detail17trampoline_kernelINS0_14default_configENS1_35radix_sort_onesweep_config_selectorIiiEEZZNS1_29radix_sort_onesweep_iterationIS3_Lb0EN6thrust23THRUST_200600_302600_NS6detail15normal_iteratorINS8_10device_ptrIiEEEESD_SD_SD_jNS0_19identity_decomposerENS1_16block_id_wrapperIjLb0EEEEE10hipError_tT1_PNSt15iterator_traitsISI_E10value_typeET2_T3_PNSJ_ISO_E10value_typeET4_T5_PST_SU_PNS1_23onesweep_lookback_stateEbbT6_jjT7_P12ihipStream_tbENKUlT_T0_SI_SN_E_clIPiSD_S15_SD_EEDaS11_S12_SI_SN_EUlS11_E_NS1_11comp_targetILNS1_3genE3ELNS1_11target_archE908ELNS1_3gpuE7ELNS1_3repE0EEENS1_47radix_sort_onesweep_sort_config_static_selectorELNS0_4arch9wavefront6targetE0EEEvSI_.num_named_barrier, 0
	.set _ZN7rocprim17ROCPRIM_400000_NS6detail17trampoline_kernelINS0_14default_configENS1_35radix_sort_onesweep_config_selectorIiiEEZZNS1_29radix_sort_onesweep_iterationIS3_Lb0EN6thrust23THRUST_200600_302600_NS6detail15normal_iteratorINS8_10device_ptrIiEEEESD_SD_SD_jNS0_19identity_decomposerENS1_16block_id_wrapperIjLb0EEEEE10hipError_tT1_PNSt15iterator_traitsISI_E10value_typeET2_T3_PNSJ_ISO_E10value_typeET4_T5_PST_SU_PNS1_23onesweep_lookback_stateEbbT6_jjT7_P12ihipStream_tbENKUlT_T0_SI_SN_E_clIPiSD_S15_SD_EEDaS11_S12_SI_SN_EUlS11_E_NS1_11comp_targetILNS1_3genE3ELNS1_11target_archE908ELNS1_3gpuE7ELNS1_3repE0EEENS1_47radix_sort_onesweep_sort_config_static_selectorELNS0_4arch9wavefront6targetE0EEEvSI_.private_seg_size, 0
	.set _ZN7rocprim17ROCPRIM_400000_NS6detail17trampoline_kernelINS0_14default_configENS1_35radix_sort_onesweep_config_selectorIiiEEZZNS1_29radix_sort_onesweep_iterationIS3_Lb0EN6thrust23THRUST_200600_302600_NS6detail15normal_iteratorINS8_10device_ptrIiEEEESD_SD_SD_jNS0_19identity_decomposerENS1_16block_id_wrapperIjLb0EEEEE10hipError_tT1_PNSt15iterator_traitsISI_E10value_typeET2_T3_PNSJ_ISO_E10value_typeET4_T5_PST_SU_PNS1_23onesweep_lookback_stateEbbT6_jjT7_P12ihipStream_tbENKUlT_T0_SI_SN_E_clIPiSD_S15_SD_EEDaS11_S12_SI_SN_EUlS11_E_NS1_11comp_targetILNS1_3genE3ELNS1_11target_archE908ELNS1_3gpuE7ELNS1_3repE0EEENS1_47radix_sort_onesweep_sort_config_static_selectorELNS0_4arch9wavefront6targetE0EEEvSI_.uses_vcc, 0
	.set _ZN7rocprim17ROCPRIM_400000_NS6detail17trampoline_kernelINS0_14default_configENS1_35radix_sort_onesweep_config_selectorIiiEEZZNS1_29radix_sort_onesweep_iterationIS3_Lb0EN6thrust23THRUST_200600_302600_NS6detail15normal_iteratorINS8_10device_ptrIiEEEESD_SD_SD_jNS0_19identity_decomposerENS1_16block_id_wrapperIjLb0EEEEE10hipError_tT1_PNSt15iterator_traitsISI_E10value_typeET2_T3_PNSJ_ISO_E10value_typeET4_T5_PST_SU_PNS1_23onesweep_lookback_stateEbbT6_jjT7_P12ihipStream_tbENKUlT_T0_SI_SN_E_clIPiSD_S15_SD_EEDaS11_S12_SI_SN_EUlS11_E_NS1_11comp_targetILNS1_3genE3ELNS1_11target_archE908ELNS1_3gpuE7ELNS1_3repE0EEENS1_47radix_sort_onesweep_sort_config_static_selectorELNS0_4arch9wavefront6targetE0EEEvSI_.uses_flat_scratch, 0
	.set _ZN7rocprim17ROCPRIM_400000_NS6detail17trampoline_kernelINS0_14default_configENS1_35radix_sort_onesweep_config_selectorIiiEEZZNS1_29radix_sort_onesweep_iterationIS3_Lb0EN6thrust23THRUST_200600_302600_NS6detail15normal_iteratorINS8_10device_ptrIiEEEESD_SD_SD_jNS0_19identity_decomposerENS1_16block_id_wrapperIjLb0EEEEE10hipError_tT1_PNSt15iterator_traitsISI_E10value_typeET2_T3_PNSJ_ISO_E10value_typeET4_T5_PST_SU_PNS1_23onesweep_lookback_stateEbbT6_jjT7_P12ihipStream_tbENKUlT_T0_SI_SN_E_clIPiSD_S15_SD_EEDaS11_S12_SI_SN_EUlS11_E_NS1_11comp_targetILNS1_3genE3ELNS1_11target_archE908ELNS1_3gpuE7ELNS1_3repE0EEENS1_47radix_sort_onesweep_sort_config_static_selectorELNS0_4arch9wavefront6targetE0EEEvSI_.has_dyn_sized_stack, 0
	.set _ZN7rocprim17ROCPRIM_400000_NS6detail17trampoline_kernelINS0_14default_configENS1_35radix_sort_onesweep_config_selectorIiiEEZZNS1_29radix_sort_onesweep_iterationIS3_Lb0EN6thrust23THRUST_200600_302600_NS6detail15normal_iteratorINS8_10device_ptrIiEEEESD_SD_SD_jNS0_19identity_decomposerENS1_16block_id_wrapperIjLb0EEEEE10hipError_tT1_PNSt15iterator_traitsISI_E10value_typeET2_T3_PNSJ_ISO_E10value_typeET4_T5_PST_SU_PNS1_23onesweep_lookback_stateEbbT6_jjT7_P12ihipStream_tbENKUlT_T0_SI_SN_E_clIPiSD_S15_SD_EEDaS11_S12_SI_SN_EUlS11_E_NS1_11comp_targetILNS1_3genE3ELNS1_11target_archE908ELNS1_3gpuE7ELNS1_3repE0EEENS1_47radix_sort_onesweep_sort_config_static_selectorELNS0_4arch9wavefront6targetE0EEEvSI_.has_recursion, 0
	.set _ZN7rocprim17ROCPRIM_400000_NS6detail17trampoline_kernelINS0_14default_configENS1_35radix_sort_onesweep_config_selectorIiiEEZZNS1_29radix_sort_onesweep_iterationIS3_Lb0EN6thrust23THRUST_200600_302600_NS6detail15normal_iteratorINS8_10device_ptrIiEEEESD_SD_SD_jNS0_19identity_decomposerENS1_16block_id_wrapperIjLb0EEEEE10hipError_tT1_PNSt15iterator_traitsISI_E10value_typeET2_T3_PNSJ_ISO_E10value_typeET4_T5_PST_SU_PNS1_23onesweep_lookback_stateEbbT6_jjT7_P12ihipStream_tbENKUlT_T0_SI_SN_E_clIPiSD_S15_SD_EEDaS11_S12_SI_SN_EUlS11_E_NS1_11comp_targetILNS1_3genE3ELNS1_11target_archE908ELNS1_3gpuE7ELNS1_3repE0EEENS1_47radix_sort_onesweep_sort_config_static_selectorELNS0_4arch9wavefront6targetE0EEEvSI_.has_indirect_call, 0
	.section	.AMDGPU.csdata,"",@progbits
; Kernel info:
; codeLenInByte = 0
; TotalNumSgprs: 0
; NumVgprs: 0
; ScratchSize: 0
; MemoryBound: 0
; FloatMode: 240
; IeeeMode: 1
; LDSByteSize: 0 bytes/workgroup (compile time only)
; SGPRBlocks: 0
; VGPRBlocks: 0
; NumSGPRsForWavesPerEU: 1
; NumVGPRsForWavesPerEU: 1
; Occupancy: 16
; WaveLimiterHint : 0
; COMPUTE_PGM_RSRC2:SCRATCH_EN: 0
; COMPUTE_PGM_RSRC2:USER_SGPR: 6
; COMPUTE_PGM_RSRC2:TRAP_HANDLER: 0
; COMPUTE_PGM_RSRC2:TGID_X_EN: 1
; COMPUTE_PGM_RSRC2:TGID_Y_EN: 0
; COMPUTE_PGM_RSRC2:TGID_Z_EN: 0
; COMPUTE_PGM_RSRC2:TIDIG_COMP_CNT: 0
	.section	.text._ZN7rocprim17ROCPRIM_400000_NS6detail17trampoline_kernelINS0_14default_configENS1_35radix_sort_onesweep_config_selectorIiiEEZZNS1_29radix_sort_onesweep_iterationIS3_Lb0EN6thrust23THRUST_200600_302600_NS6detail15normal_iteratorINS8_10device_ptrIiEEEESD_SD_SD_jNS0_19identity_decomposerENS1_16block_id_wrapperIjLb0EEEEE10hipError_tT1_PNSt15iterator_traitsISI_E10value_typeET2_T3_PNSJ_ISO_E10value_typeET4_T5_PST_SU_PNS1_23onesweep_lookback_stateEbbT6_jjT7_P12ihipStream_tbENKUlT_T0_SI_SN_E_clIPiSD_S15_SD_EEDaS11_S12_SI_SN_EUlS11_E_NS1_11comp_targetILNS1_3genE10ELNS1_11target_archE1201ELNS1_3gpuE5ELNS1_3repE0EEENS1_47radix_sort_onesweep_sort_config_static_selectorELNS0_4arch9wavefront6targetE0EEEvSI_,"axG",@progbits,_ZN7rocprim17ROCPRIM_400000_NS6detail17trampoline_kernelINS0_14default_configENS1_35radix_sort_onesweep_config_selectorIiiEEZZNS1_29radix_sort_onesweep_iterationIS3_Lb0EN6thrust23THRUST_200600_302600_NS6detail15normal_iteratorINS8_10device_ptrIiEEEESD_SD_SD_jNS0_19identity_decomposerENS1_16block_id_wrapperIjLb0EEEEE10hipError_tT1_PNSt15iterator_traitsISI_E10value_typeET2_T3_PNSJ_ISO_E10value_typeET4_T5_PST_SU_PNS1_23onesweep_lookback_stateEbbT6_jjT7_P12ihipStream_tbENKUlT_T0_SI_SN_E_clIPiSD_S15_SD_EEDaS11_S12_SI_SN_EUlS11_E_NS1_11comp_targetILNS1_3genE10ELNS1_11target_archE1201ELNS1_3gpuE5ELNS1_3repE0EEENS1_47radix_sort_onesweep_sort_config_static_selectorELNS0_4arch9wavefront6targetE0EEEvSI_,comdat
	.protected	_ZN7rocprim17ROCPRIM_400000_NS6detail17trampoline_kernelINS0_14default_configENS1_35radix_sort_onesweep_config_selectorIiiEEZZNS1_29radix_sort_onesweep_iterationIS3_Lb0EN6thrust23THRUST_200600_302600_NS6detail15normal_iteratorINS8_10device_ptrIiEEEESD_SD_SD_jNS0_19identity_decomposerENS1_16block_id_wrapperIjLb0EEEEE10hipError_tT1_PNSt15iterator_traitsISI_E10value_typeET2_T3_PNSJ_ISO_E10value_typeET4_T5_PST_SU_PNS1_23onesweep_lookback_stateEbbT6_jjT7_P12ihipStream_tbENKUlT_T0_SI_SN_E_clIPiSD_S15_SD_EEDaS11_S12_SI_SN_EUlS11_E_NS1_11comp_targetILNS1_3genE10ELNS1_11target_archE1201ELNS1_3gpuE5ELNS1_3repE0EEENS1_47radix_sort_onesweep_sort_config_static_selectorELNS0_4arch9wavefront6targetE0EEEvSI_ ; -- Begin function _ZN7rocprim17ROCPRIM_400000_NS6detail17trampoline_kernelINS0_14default_configENS1_35radix_sort_onesweep_config_selectorIiiEEZZNS1_29radix_sort_onesweep_iterationIS3_Lb0EN6thrust23THRUST_200600_302600_NS6detail15normal_iteratorINS8_10device_ptrIiEEEESD_SD_SD_jNS0_19identity_decomposerENS1_16block_id_wrapperIjLb0EEEEE10hipError_tT1_PNSt15iterator_traitsISI_E10value_typeET2_T3_PNSJ_ISO_E10value_typeET4_T5_PST_SU_PNS1_23onesweep_lookback_stateEbbT6_jjT7_P12ihipStream_tbENKUlT_T0_SI_SN_E_clIPiSD_S15_SD_EEDaS11_S12_SI_SN_EUlS11_E_NS1_11comp_targetILNS1_3genE10ELNS1_11target_archE1201ELNS1_3gpuE5ELNS1_3repE0EEENS1_47radix_sort_onesweep_sort_config_static_selectorELNS0_4arch9wavefront6targetE0EEEvSI_
	.globl	_ZN7rocprim17ROCPRIM_400000_NS6detail17trampoline_kernelINS0_14default_configENS1_35radix_sort_onesweep_config_selectorIiiEEZZNS1_29radix_sort_onesweep_iterationIS3_Lb0EN6thrust23THRUST_200600_302600_NS6detail15normal_iteratorINS8_10device_ptrIiEEEESD_SD_SD_jNS0_19identity_decomposerENS1_16block_id_wrapperIjLb0EEEEE10hipError_tT1_PNSt15iterator_traitsISI_E10value_typeET2_T3_PNSJ_ISO_E10value_typeET4_T5_PST_SU_PNS1_23onesweep_lookback_stateEbbT6_jjT7_P12ihipStream_tbENKUlT_T0_SI_SN_E_clIPiSD_S15_SD_EEDaS11_S12_SI_SN_EUlS11_E_NS1_11comp_targetILNS1_3genE10ELNS1_11target_archE1201ELNS1_3gpuE5ELNS1_3repE0EEENS1_47radix_sort_onesweep_sort_config_static_selectorELNS0_4arch9wavefront6targetE0EEEvSI_
	.p2align	8
	.type	_ZN7rocprim17ROCPRIM_400000_NS6detail17trampoline_kernelINS0_14default_configENS1_35radix_sort_onesweep_config_selectorIiiEEZZNS1_29radix_sort_onesweep_iterationIS3_Lb0EN6thrust23THRUST_200600_302600_NS6detail15normal_iteratorINS8_10device_ptrIiEEEESD_SD_SD_jNS0_19identity_decomposerENS1_16block_id_wrapperIjLb0EEEEE10hipError_tT1_PNSt15iterator_traitsISI_E10value_typeET2_T3_PNSJ_ISO_E10value_typeET4_T5_PST_SU_PNS1_23onesweep_lookback_stateEbbT6_jjT7_P12ihipStream_tbENKUlT_T0_SI_SN_E_clIPiSD_S15_SD_EEDaS11_S12_SI_SN_EUlS11_E_NS1_11comp_targetILNS1_3genE10ELNS1_11target_archE1201ELNS1_3gpuE5ELNS1_3repE0EEENS1_47radix_sort_onesweep_sort_config_static_selectorELNS0_4arch9wavefront6targetE0EEEvSI_,@function
_ZN7rocprim17ROCPRIM_400000_NS6detail17trampoline_kernelINS0_14default_configENS1_35radix_sort_onesweep_config_selectorIiiEEZZNS1_29radix_sort_onesweep_iterationIS3_Lb0EN6thrust23THRUST_200600_302600_NS6detail15normal_iteratorINS8_10device_ptrIiEEEESD_SD_SD_jNS0_19identity_decomposerENS1_16block_id_wrapperIjLb0EEEEE10hipError_tT1_PNSt15iterator_traitsISI_E10value_typeET2_T3_PNSJ_ISO_E10value_typeET4_T5_PST_SU_PNS1_23onesweep_lookback_stateEbbT6_jjT7_P12ihipStream_tbENKUlT_T0_SI_SN_E_clIPiSD_S15_SD_EEDaS11_S12_SI_SN_EUlS11_E_NS1_11comp_targetILNS1_3genE10ELNS1_11target_archE1201ELNS1_3gpuE5ELNS1_3repE0EEENS1_47radix_sort_onesweep_sort_config_static_selectorELNS0_4arch9wavefront6targetE0EEEvSI_: ; @_ZN7rocprim17ROCPRIM_400000_NS6detail17trampoline_kernelINS0_14default_configENS1_35radix_sort_onesweep_config_selectorIiiEEZZNS1_29radix_sort_onesweep_iterationIS3_Lb0EN6thrust23THRUST_200600_302600_NS6detail15normal_iteratorINS8_10device_ptrIiEEEESD_SD_SD_jNS0_19identity_decomposerENS1_16block_id_wrapperIjLb0EEEEE10hipError_tT1_PNSt15iterator_traitsISI_E10value_typeET2_T3_PNSJ_ISO_E10value_typeET4_T5_PST_SU_PNS1_23onesweep_lookback_stateEbbT6_jjT7_P12ihipStream_tbENKUlT_T0_SI_SN_E_clIPiSD_S15_SD_EEDaS11_S12_SI_SN_EUlS11_E_NS1_11comp_targetILNS1_3genE10ELNS1_11target_archE1201ELNS1_3gpuE5ELNS1_3repE0EEENS1_47radix_sort_onesweep_sort_config_static_selectorELNS0_4arch9wavefront6targetE0EEEvSI_
; %bb.0:
	.section	.rodata,"a",@progbits
	.p2align	6, 0x0
	.amdhsa_kernel _ZN7rocprim17ROCPRIM_400000_NS6detail17trampoline_kernelINS0_14default_configENS1_35radix_sort_onesweep_config_selectorIiiEEZZNS1_29radix_sort_onesweep_iterationIS3_Lb0EN6thrust23THRUST_200600_302600_NS6detail15normal_iteratorINS8_10device_ptrIiEEEESD_SD_SD_jNS0_19identity_decomposerENS1_16block_id_wrapperIjLb0EEEEE10hipError_tT1_PNSt15iterator_traitsISI_E10value_typeET2_T3_PNSJ_ISO_E10value_typeET4_T5_PST_SU_PNS1_23onesweep_lookback_stateEbbT6_jjT7_P12ihipStream_tbENKUlT_T0_SI_SN_E_clIPiSD_S15_SD_EEDaS11_S12_SI_SN_EUlS11_E_NS1_11comp_targetILNS1_3genE10ELNS1_11target_archE1201ELNS1_3gpuE5ELNS1_3repE0EEENS1_47radix_sort_onesweep_sort_config_static_selectorELNS0_4arch9wavefront6targetE0EEEvSI_
		.amdhsa_group_segment_fixed_size 0
		.amdhsa_private_segment_fixed_size 0
		.amdhsa_kernarg_size 88
		.amdhsa_user_sgpr_count 6
		.amdhsa_user_sgpr_private_segment_buffer 1
		.amdhsa_user_sgpr_dispatch_ptr 0
		.amdhsa_user_sgpr_queue_ptr 0
		.amdhsa_user_sgpr_kernarg_segment_ptr 1
		.amdhsa_user_sgpr_dispatch_id 0
		.amdhsa_user_sgpr_flat_scratch_init 0
		.amdhsa_user_sgpr_private_segment_size 0
		.amdhsa_wavefront_size32 1
		.amdhsa_uses_dynamic_stack 0
		.amdhsa_system_sgpr_private_segment_wavefront_offset 0
		.amdhsa_system_sgpr_workgroup_id_x 1
		.amdhsa_system_sgpr_workgroup_id_y 0
		.amdhsa_system_sgpr_workgroup_id_z 0
		.amdhsa_system_sgpr_workgroup_info 0
		.amdhsa_system_vgpr_workitem_id 0
		.amdhsa_next_free_vgpr 1
		.amdhsa_next_free_sgpr 1
		.amdhsa_reserve_vcc 0
		.amdhsa_reserve_flat_scratch 0
		.amdhsa_float_round_mode_32 0
		.amdhsa_float_round_mode_16_64 0
		.amdhsa_float_denorm_mode_32 3
		.amdhsa_float_denorm_mode_16_64 3
		.amdhsa_dx10_clamp 1
		.amdhsa_ieee_mode 1
		.amdhsa_fp16_overflow 0
		.amdhsa_workgroup_processor_mode 1
		.amdhsa_memory_ordered 1
		.amdhsa_forward_progress 1
		.amdhsa_shared_vgpr_count 0
		.amdhsa_exception_fp_ieee_invalid_op 0
		.amdhsa_exception_fp_denorm_src 0
		.amdhsa_exception_fp_ieee_div_zero 0
		.amdhsa_exception_fp_ieee_overflow 0
		.amdhsa_exception_fp_ieee_underflow 0
		.amdhsa_exception_fp_ieee_inexact 0
		.amdhsa_exception_int_div_zero 0
	.end_amdhsa_kernel
	.section	.text._ZN7rocprim17ROCPRIM_400000_NS6detail17trampoline_kernelINS0_14default_configENS1_35radix_sort_onesweep_config_selectorIiiEEZZNS1_29radix_sort_onesweep_iterationIS3_Lb0EN6thrust23THRUST_200600_302600_NS6detail15normal_iteratorINS8_10device_ptrIiEEEESD_SD_SD_jNS0_19identity_decomposerENS1_16block_id_wrapperIjLb0EEEEE10hipError_tT1_PNSt15iterator_traitsISI_E10value_typeET2_T3_PNSJ_ISO_E10value_typeET4_T5_PST_SU_PNS1_23onesweep_lookback_stateEbbT6_jjT7_P12ihipStream_tbENKUlT_T0_SI_SN_E_clIPiSD_S15_SD_EEDaS11_S12_SI_SN_EUlS11_E_NS1_11comp_targetILNS1_3genE10ELNS1_11target_archE1201ELNS1_3gpuE5ELNS1_3repE0EEENS1_47radix_sort_onesweep_sort_config_static_selectorELNS0_4arch9wavefront6targetE0EEEvSI_,"axG",@progbits,_ZN7rocprim17ROCPRIM_400000_NS6detail17trampoline_kernelINS0_14default_configENS1_35radix_sort_onesweep_config_selectorIiiEEZZNS1_29radix_sort_onesweep_iterationIS3_Lb0EN6thrust23THRUST_200600_302600_NS6detail15normal_iteratorINS8_10device_ptrIiEEEESD_SD_SD_jNS0_19identity_decomposerENS1_16block_id_wrapperIjLb0EEEEE10hipError_tT1_PNSt15iterator_traitsISI_E10value_typeET2_T3_PNSJ_ISO_E10value_typeET4_T5_PST_SU_PNS1_23onesweep_lookback_stateEbbT6_jjT7_P12ihipStream_tbENKUlT_T0_SI_SN_E_clIPiSD_S15_SD_EEDaS11_S12_SI_SN_EUlS11_E_NS1_11comp_targetILNS1_3genE10ELNS1_11target_archE1201ELNS1_3gpuE5ELNS1_3repE0EEENS1_47radix_sort_onesweep_sort_config_static_selectorELNS0_4arch9wavefront6targetE0EEEvSI_,comdat
.Lfunc_end873:
	.size	_ZN7rocprim17ROCPRIM_400000_NS6detail17trampoline_kernelINS0_14default_configENS1_35radix_sort_onesweep_config_selectorIiiEEZZNS1_29radix_sort_onesweep_iterationIS3_Lb0EN6thrust23THRUST_200600_302600_NS6detail15normal_iteratorINS8_10device_ptrIiEEEESD_SD_SD_jNS0_19identity_decomposerENS1_16block_id_wrapperIjLb0EEEEE10hipError_tT1_PNSt15iterator_traitsISI_E10value_typeET2_T3_PNSJ_ISO_E10value_typeET4_T5_PST_SU_PNS1_23onesweep_lookback_stateEbbT6_jjT7_P12ihipStream_tbENKUlT_T0_SI_SN_E_clIPiSD_S15_SD_EEDaS11_S12_SI_SN_EUlS11_E_NS1_11comp_targetILNS1_3genE10ELNS1_11target_archE1201ELNS1_3gpuE5ELNS1_3repE0EEENS1_47radix_sort_onesweep_sort_config_static_selectorELNS0_4arch9wavefront6targetE0EEEvSI_, .Lfunc_end873-_ZN7rocprim17ROCPRIM_400000_NS6detail17trampoline_kernelINS0_14default_configENS1_35radix_sort_onesweep_config_selectorIiiEEZZNS1_29radix_sort_onesweep_iterationIS3_Lb0EN6thrust23THRUST_200600_302600_NS6detail15normal_iteratorINS8_10device_ptrIiEEEESD_SD_SD_jNS0_19identity_decomposerENS1_16block_id_wrapperIjLb0EEEEE10hipError_tT1_PNSt15iterator_traitsISI_E10value_typeET2_T3_PNSJ_ISO_E10value_typeET4_T5_PST_SU_PNS1_23onesweep_lookback_stateEbbT6_jjT7_P12ihipStream_tbENKUlT_T0_SI_SN_E_clIPiSD_S15_SD_EEDaS11_S12_SI_SN_EUlS11_E_NS1_11comp_targetILNS1_3genE10ELNS1_11target_archE1201ELNS1_3gpuE5ELNS1_3repE0EEENS1_47radix_sort_onesweep_sort_config_static_selectorELNS0_4arch9wavefront6targetE0EEEvSI_
                                        ; -- End function
	.set _ZN7rocprim17ROCPRIM_400000_NS6detail17trampoline_kernelINS0_14default_configENS1_35radix_sort_onesweep_config_selectorIiiEEZZNS1_29radix_sort_onesweep_iterationIS3_Lb0EN6thrust23THRUST_200600_302600_NS6detail15normal_iteratorINS8_10device_ptrIiEEEESD_SD_SD_jNS0_19identity_decomposerENS1_16block_id_wrapperIjLb0EEEEE10hipError_tT1_PNSt15iterator_traitsISI_E10value_typeET2_T3_PNSJ_ISO_E10value_typeET4_T5_PST_SU_PNS1_23onesweep_lookback_stateEbbT6_jjT7_P12ihipStream_tbENKUlT_T0_SI_SN_E_clIPiSD_S15_SD_EEDaS11_S12_SI_SN_EUlS11_E_NS1_11comp_targetILNS1_3genE10ELNS1_11target_archE1201ELNS1_3gpuE5ELNS1_3repE0EEENS1_47radix_sort_onesweep_sort_config_static_selectorELNS0_4arch9wavefront6targetE0EEEvSI_.num_vgpr, 0
	.set _ZN7rocprim17ROCPRIM_400000_NS6detail17trampoline_kernelINS0_14default_configENS1_35radix_sort_onesweep_config_selectorIiiEEZZNS1_29radix_sort_onesweep_iterationIS3_Lb0EN6thrust23THRUST_200600_302600_NS6detail15normal_iteratorINS8_10device_ptrIiEEEESD_SD_SD_jNS0_19identity_decomposerENS1_16block_id_wrapperIjLb0EEEEE10hipError_tT1_PNSt15iterator_traitsISI_E10value_typeET2_T3_PNSJ_ISO_E10value_typeET4_T5_PST_SU_PNS1_23onesweep_lookback_stateEbbT6_jjT7_P12ihipStream_tbENKUlT_T0_SI_SN_E_clIPiSD_S15_SD_EEDaS11_S12_SI_SN_EUlS11_E_NS1_11comp_targetILNS1_3genE10ELNS1_11target_archE1201ELNS1_3gpuE5ELNS1_3repE0EEENS1_47radix_sort_onesweep_sort_config_static_selectorELNS0_4arch9wavefront6targetE0EEEvSI_.num_agpr, 0
	.set _ZN7rocprim17ROCPRIM_400000_NS6detail17trampoline_kernelINS0_14default_configENS1_35radix_sort_onesweep_config_selectorIiiEEZZNS1_29radix_sort_onesweep_iterationIS3_Lb0EN6thrust23THRUST_200600_302600_NS6detail15normal_iteratorINS8_10device_ptrIiEEEESD_SD_SD_jNS0_19identity_decomposerENS1_16block_id_wrapperIjLb0EEEEE10hipError_tT1_PNSt15iterator_traitsISI_E10value_typeET2_T3_PNSJ_ISO_E10value_typeET4_T5_PST_SU_PNS1_23onesweep_lookback_stateEbbT6_jjT7_P12ihipStream_tbENKUlT_T0_SI_SN_E_clIPiSD_S15_SD_EEDaS11_S12_SI_SN_EUlS11_E_NS1_11comp_targetILNS1_3genE10ELNS1_11target_archE1201ELNS1_3gpuE5ELNS1_3repE0EEENS1_47radix_sort_onesweep_sort_config_static_selectorELNS0_4arch9wavefront6targetE0EEEvSI_.numbered_sgpr, 0
	.set _ZN7rocprim17ROCPRIM_400000_NS6detail17trampoline_kernelINS0_14default_configENS1_35radix_sort_onesweep_config_selectorIiiEEZZNS1_29radix_sort_onesweep_iterationIS3_Lb0EN6thrust23THRUST_200600_302600_NS6detail15normal_iteratorINS8_10device_ptrIiEEEESD_SD_SD_jNS0_19identity_decomposerENS1_16block_id_wrapperIjLb0EEEEE10hipError_tT1_PNSt15iterator_traitsISI_E10value_typeET2_T3_PNSJ_ISO_E10value_typeET4_T5_PST_SU_PNS1_23onesweep_lookback_stateEbbT6_jjT7_P12ihipStream_tbENKUlT_T0_SI_SN_E_clIPiSD_S15_SD_EEDaS11_S12_SI_SN_EUlS11_E_NS1_11comp_targetILNS1_3genE10ELNS1_11target_archE1201ELNS1_3gpuE5ELNS1_3repE0EEENS1_47radix_sort_onesweep_sort_config_static_selectorELNS0_4arch9wavefront6targetE0EEEvSI_.num_named_barrier, 0
	.set _ZN7rocprim17ROCPRIM_400000_NS6detail17trampoline_kernelINS0_14default_configENS1_35radix_sort_onesweep_config_selectorIiiEEZZNS1_29radix_sort_onesweep_iterationIS3_Lb0EN6thrust23THRUST_200600_302600_NS6detail15normal_iteratorINS8_10device_ptrIiEEEESD_SD_SD_jNS0_19identity_decomposerENS1_16block_id_wrapperIjLb0EEEEE10hipError_tT1_PNSt15iterator_traitsISI_E10value_typeET2_T3_PNSJ_ISO_E10value_typeET4_T5_PST_SU_PNS1_23onesweep_lookback_stateEbbT6_jjT7_P12ihipStream_tbENKUlT_T0_SI_SN_E_clIPiSD_S15_SD_EEDaS11_S12_SI_SN_EUlS11_E_NS1_11comp_targetILNS1_3genE10ELNS1_11target_archE1201ELNS1_3gpuE5ELNS1_3repE0EEENS1_47radix_sort_onesweep_sort_config_static_selectorELNS0_4arch9wavefront6targetE0EEEvSI_.private_seg_size, 0
	.set _ZN7rocprim17ROCPRIM_400000_NS6detail17trampoline_kernelINS0_14default_configENS1_35radix_sort_onesweep_config_selectorIiiEEZZNS1_29radix_sort_onesweep_iterationIS3_Lb0EN6thrust23THRUST_200600_302600_NS6detail15normal_iteratorINS8_10device_ptrIiEEEESD_SD_SD_jNS0_19identity_decomposerENS1_16block_id_wrapperIjLb0EEEEE10hipError_tT1_PNSt15iterator_traitsISI_E10value_typeET2_T3_PNSJ_ISO_E10value_typeET4_T5_PST_SU_PNS1_23onesweep_lookback_stateEbbT6_jjT7_P12ihipStream_tbENKUlT_T0_SI_SN_E_clIPiSD_S15_SD_EEDaS11_S12_SI_SN_EUlS11_E_NS1_11comp_targetILNS1_3genE10ELNS1_11target_archE1201ELNS1_3gpuE5ELNS1_3repE0EEENS1_47radix_sort_onesweep_sort_config_static_selectorELNS0_4arch9wavefront6targetE0EEEvSI_.uses_vcc, 0
	.set _ZN7rocprim17ROCPRIM_400000_NS6detail17trampoline_kernelINS0_14default_configENS1_35radix_sort_onesweep_config_selectorIiiEEZZNS1_29radix_sort_onesweep_iterationIS3_Lb0EN6thrust23THRUST_200600_302600_NS6detail15normal_iteratorINS8_10device_ptrIiEEEESD_SD_SD_jNS0_19identity_decomposerENS1_16block_id_wrapperIjLb0EEEEE10hipError_tT1_PNSt15iterator_traitsISI_E10value_typeET2_T3_PNSJ_ISO_E10value_typeET4_T5_PST_SU_PNS1_23onesweep_lookback_stateEbbT6_jjT7_P12ihipStream_tbENKUlT_T0_SI_SN_E_clIPiSD_S15_SD_EEDaS11_S12_SI_SN_EUlS11_E_NS1_11comp_targetILNS1_3genE10ELNS1_11target_archE1201ELNS1_3gpuE5ELNS1_3repE0EEENS1_47radix_sort_onesweep_sort_config_static_selectorELNS0_4arch9wavefront6targetE0EEEvSI_.uses_flat_scratch, 0
	.set _ZN7rocprim17ROCPRIM_400000_NS6detail17trampoline_kernelINS0_14default_configENS1_35radix_sort_onesweep_config_selectorIiiEEZZNS1_29radix_sort_onesweep_iterationIS3_Lb0EN6thrust23THRUST_200600_302600_NS6detail15normal_iteratorINS8_10device_ptrIiEEEESD_SD_SD_jNS0_19identity_decomposerENS1_16block_id_wrapperIjLb0EEEEE10hipError_tT1_PNSt15iterator_traitsISI_E10value_typeET2_T3_PNSJ_ISO_E10value_typeET4_T5_PST_SU_PNS1_23onesweep_lookback_stateEbbT6_jjT7_P12ihipStream_tbENKUlT_T0_SI_SN_E_clIPiSD_S15_SD_EEDaS11_S12_SI_SN_EUlS11_E_NS1_11comp_targetILNS1_3genE10ELNS1_11target_archE1201ELNS1_3gpuE5ELNS1_3repE0EEENS1_47radix_sort_onesweep_sort_config_static_selectorELNS0_4arch9wavefront6targetE0EEEvSI_.has_dyn_sized_stack, 0
	.set _ZN7rocprim17ROCPRIM_400000_NS6detail17trampoline_kernelINS0_14default_configENS1_35radix_sort_onesweep_config_selectorIiiEEZZNS1_29radix_sort_onesweep_iterationIS3_Lb0EN6thrust23THRUST_200600_302600_NS6detail15normal_iteratorINS8_10device_ptrIiEEEESD_SD_SD_jNS0_19identity_decomposerENS1_16block_id_wrapperIjLb0EEEEE10hipError_tT1_PNSt15iterator_traitsISI_E10value_typeET2_T3_PNSJ_ISO_E10value_typeET4_T5_PST_SU_PNS1_23onesweep_lookback_stateEbbT6_jjT7_P12ihipStream_tbENKUlT_T0_SI_SN_E_clIPiSD_S15_SD_EEDaS11_S12_SI_SN_EUlS11_E_NS1_11comp_targetILNS1_3genE10ELNS1_11target_archE1201ELNS1_3gpuE5ELNS1_3repE0EEENS1_47radix_sort_onesweep_sort_config_static_selectorELNS0_4arch9wavefront6targetE0EEEvSI_.has_recursion, 0
	.set _ZN7rocprim17ROCPRIM_400000_NS6detail17trampoline_kernelINS0_14default_configENS1_35radix_sort_onesweep_config_selectorIiiEEZZNS1_29radix_sort_onesweep_iterationIS3_Lb0EN6thrust23THRUST_200600_302600_NS6detail15normal_iteratorINS8_10device_ptrIiEEEESD_SD_SD_jNS0_19identity_decomposerENS1_16block_id_wrapperIjLb0EEEEE10hipError_tT1_PNSt15iterator_traitsISI_E10value_typeET2_T3_PNSJ_ISO_E10value_typeET4_T5_PST_SU_PNS1_23onesweep_lookback_stateEbbT6_jjT7_P12ihipStream_tbENKUlT_T0_SI_SN_E_clIPiSD_S15_SD_EEDaS11_S12_SI_SN_EUlS11_E_NS1_11comp_targetILNS1_3genE10ELNS1_11target_archE1201ELNS1_3gpuE5ELNS1_3repE0EEENS1_47radix_sort_onesweep_sort_config_static_selectorELNS0_4arch9wavefront6targetE0EEEvSI_.has_indirect_call, 0
	.section	.AMDGPU.csdata,"",@progbits
; Kernel info:
; codeLenInByte = 0
; TotalNumSgprs: 0
; NumVgprs: 0
; ScratchSize: 0
; MemoryBound: 0
; FloatMode: 240
; IeeeMode: 1
; LDSByteSize: 0 bytes/workgroup (compile time only)
; SGPRBlocks: 0
; VGPRBlocks: 0
; NumSGPRsForWavesPerEU: 1
; NumVGPRsForWavesPerEU: 1
; Occupancy: 16
; WaveLimiterHint : 0
; COMPUTE_PGM_RSRC2:SCRATCH_EN: 0
; COMPUTE_PGM_RSRC2:USER_SGPR: 6
; COMPUTE_PGM_RSRC2:TRAP_HANDLER: 0
; COMPUTE_PGM_RSRC2:TGID_X_EN: 1
; COMPUTE_PGM_RSRC2:TGID_Y_EN: 0
; COMPUTE_PGM_RSRC2:TGID_Z_EN: 0
; COMPUTE_PGM_RSRC2:TIDIG_COMP_CNT: 0
	.section	.text._ZN7rocprim17ROCPRIM_400000_NS6detail17trampoline_kernelINS0_14default_configENS1_35radix_sort_onesweep_config_selectorIiiEEZZNS1_29radix_sort_onesweep_iterationIS3_Lb0EN6thrust23THRUST_200600_302600_NS6detail15normal_iteratorINS8_10device_ptrIiEEEESD_SD_SD_jNS0_19identity_decomposerENS1_16block_id_wrapperIjLb0EEEEE10hipError_tT1_PNSt15iterator_traitsISI_E10value_typeET2_T3_PNSJ_ISO_E10value_typeET4_T5_PST_SU_PNS1_23onesweep_lookback_stateEbbT6_jjT7_P12ihipStream_tbENKUlT_T0_SI_SN_E_clIPiSD_S15_SD_EEDaS11_S12_SI_SN_EUlS11_E_NS1_11comp_targetILNS1_3genE9ELNS1_11target_archE1100ELNS1_3gpuE3ELNS1_3repE0EEENS1_47radix_sort_onesweep_sort_config_static_selectorELNS0_4arch9wavefront6targetE0EEEvSI_,"axG",@progbits,_ZN7rocprim17ROCPRIM_400000_NS6detail17trampoline_kernelINS0_14default_configENS1_35radix_sort_onesweep_config_selectorIiiEEZZNS1_29radix_sort_onesweep_iterationIS3_Lb0EN6thrust23THRUST_200600_302600_NS6detail15normal_iteratorINS8_10device_ptrIiEEEESD_SD_SD_jNS0_19identity_decomposerENS1_16block_id_wrapperIjLb0EEEEE10hipError_tT1_PNSt15iterator_traitsISI_E10value_typeET2_T3_PNSJ_ISO_E10value_typeET4_T5_PST_SU_PNS1_23onesweep_lookback_stateEbbT6_jjT7_P12ihipStream_tbENKUlT_T0_SI_SN_E_clIPiSD_S15_SD_EEDaS11_S12_SI_SN_EUlS11_E_NS1_11comp_targetILNS1_3genE9ELNS1_11target_archE1100ELNS1_3gpuE3ELNS1_3repE0EEENS1_47radix_sort_onesweep_sort_config_static_selectorELNS0_4arch9wavefront6targetE0EEEvSI_,comdat
	.protected	_ZN7rocprim17ROCPRIM_400000_NS6detail17trampoline_kernelINS0_14default_configENS1_35radix_sort_onesweep_config_selectorIiiEEZZNS1_29radix_sort_onesweep_iterationIS3_Lb0EN6thrust23THRUST_200600_302600_NS6detail15normal_iteratorINS8_10device_ptrIiEEEESD_SD_SD_jNS0_19identity_decomposerENS1_16block_id_wrapperIjLb0EEEEE10hipError_tT1_PNSt15iterator_traitsISI_E10value_typeET2_T3_PNSJ_ISO_E10value_typeET4_T5_PST_SU_PNS1_23onesweep_lookback_stateEbbT6_jjT7_P12ihipStream_tbENKUlT_T0_SI_SN_E_clIPiSD_S15_SD_EEDaS11_S12_SI_SN_EUlS11_E_NS1_11comp_targetILNS1_3genE9ELNS1_11target_archE1100ELNS1_3gpuE3ELNS1_3repE0EEENS1_47radix_sort_onesweep_sort_config_static_selectorELNS0_4arch9wavefront6targetE0EEEvSI_ ; -- Begin function _ZN7rocprim17ROCPRIM_400000_NS6detail17trampoline_kernelINS0_14default_configENS1_35radix_sort_onesweep_config_selectorIiiEEZZNS1_29radix_sort_onesweep_iterationIS3_Lb0EN6thrust23THRUST_200600_302600_NS6detail15normal_iteratorINS8_10device_ptrIiEEEESD_SD_SD_jNS0_19identity_decomposerENS1_16block_id_wrapperIjLb0EEEEE10hipError_tT1_PNSt15iterator_traitsISI_E10value_typeET2_T3_PNSJ_ISO_E10value_typeET4_T5_PST_SU_PNS1_23onesweep_lookback_stateEbbT6_jjT7_P12ihipStream_tbENKUlT_T0_SI_SN_E_clIPiSD_S15_SD_EEDaS11_S12_SI_SN_EUlS11_E_NS1_11comp_targetILNS1_3genE9ELNS1_11target_archE1100ELNS1_3gpuE3ELNS1_3repE0EEENS1_47radix_sort_onesweep_sort_config_static_selectorELNS0_4arch9wavefront6targetE0EEEvSI_
	.globl	_ZN7rocprim17ROCPRIM_400000_NS6detail17trampoline_kernelINS0_14default_configENS1_35radix_sort_onesweep_config_selectorIiiEEZZNS1_29radix_sort_onesweep_iterationIS3_Lb0EN6thrust23THRUST_200600_302600_NS6detail15normal_iteratorINS8_10device_ptrIiEEEESD_SD_SD_jNS0_19identity_decomposerENS1_16block_id_wrapperIjLb0EEEEE10hipError_tT1_PNSt15iterator_traitsISI_E10value_typeET2_T3_PNSJ_ISO_E10value_typeET4_T5_PST_SU_PNS1_23onesweep_lookback_stateEbbT6_jjT7_P12ihipStream_tbENKUlT_T0_SI_SN_E_clIPiSD_S15_SD_EEDaS11_S12_SI_SN_EUlS11_E_NS1_11comp_targetILNS1_3genE9ELNS1_11target_archE1100ELNS1_3gpuE3ELNS1_3repE0EEENS1_47radix_sort_onesweep_sort_config_static_selectorELNS0_4arch9wavefront6targetE0EEEvSI_
	.p2align	8
	.type	_ZN7rocprim17ROCPRIM_400000_NS6detail17trampoline_kernelINS0_14default_configENS1_35radix_sort_onesweep_config_selectorIiiEEZZNS1_29radix_sort_onesweep_iterationIS3_Lb0EN6thrust23THRUST_200600_302600_NS6detail15normal_iteratorINS8_10device_ptrIiEEEESD_SD_SD_jNS0_19identity_decomposerENS1_16block_id_wrapperIjLb0EEEEE10hipError_tT1_PNSt15iterator_traitsISI_E10value_typeET2_T3_PNSJ_ISO_E10value_typeET4_T5_PST_SU_PNS1_23onesweep_lookback_stateEbbT6_jjT7_P12ihipStream_tbENKUlT_T0_SI_SN_E_clIPiSD_S15_SD_EEDaS11_S12_SI_SN_EUlS11_E_NS1_11comp_targetILNS1_3genE9ELNS1_11target_archE1100ELNS1_3gpuE3ELNS1_3repE0EEENS1_47radix_sort_onesweep_sort_config_static_selectorELNS0_4arch9wavefront6targetE0EEEvSI_,@function
_ZN7rocprim17ROCPRIM_400000_NS6detail17trampoline_kernelINS0_14default_configENS1_35radix_sort_onesweep_config_selectorIiiEEZZNS1_29radix_sort_onesweep_iterationIS3_Lb0EN6thrust23THRUST_200600_302600_NS6detail15normal_iteratorINS8_10device_ptrIiEEEESD_SD_SD_jNS0_19identity_decomposerENS1_16block_id_wrapperIjLb0EEEEE10hipError_tT1_PNSt15iterator_traitsISI_E10value_typeET2_T3_PNSJ_ISO_E10value_typeET4_T5_PST_SU_PNS1_23onesweep_lookback_stateEbbT6_jjT7_P12ihipStream_tbENKUlT_T0_SI_SN_E_clIPiSD_S15_SD_EEDaS11_S12_SI_SN_EUlS11_E_NS1_11comp_targetILNS1_3genE9ELNS1_11target_archE1100ELNS1_3gpuE3ELNS1_3repE0EEENS1_47radix_sort_onesweep_sort_config_static_selectorELNS0_4arch9wavefront6targetE0EEEvSI_: ; @_ZN7rocprim17ROCPRIM_400000_NS6detail17trampoline_kernelINS0_14default_configENS1_35radix_sort_onesweep_config_selectorIiiEEZZNS1_29radix_sort_onesweep_iterationIS3_Lb0EN6thrust23THRUST_200600_302600_NS6detail15normal_iteratorINS8_10device_ptrIiEEEESD_SD_SD_jNS0_19identity_decomposerENS1_16block_id_wrapperIjLb0EEEEE10hipError_tT1_PNSt15iterator_traitsISI_E10value_typeET2_T3_PNSJ_ISO_E10value_typeET4_T5_PST_SU_PNS1_23onesweep_lookback_stateEbbT6_jjT7_P12ihipStream_tbENKUlT_T0_SI_SN_E_clIPiSD_S15_SD_EEDaS11_S12_SI_SN_EUlS11_E_NS1_11comp_targetILNS1_3genE9ELNS1_11target_archE1100ELNS1_3gpuE3ELNS1_3repE0EEENS1_47radix_sort_onesweep_sort_config_static_selectorELNS0_4arch9wavefront6targetE0EEEvSI_
; %bb.0:
	.section	.rodata,"a",@progbits
	.p2align	6, 0x0
	.amdhsa_kernel _ZN7rocprim17ROCPRIM_400000_NS6detail17trampoline_kernelINS0_14default_configENS1_35radix_sort_onesweep_config_selectorIiiEEZZNS1_29radix_sort_onesweep_iterationIS3_Lb0EN6thrust23THRUST_200600_302600_NS6detail15normal_iteratorINS8_10device_ptrIiEEEESD_SD_SD_jNS0_19identity_decomposerENS1_16block_id_wrapperIjLb0EEEEE10hipError_tT1_PNSt15iterator_traitsISI_E10value_typeET2_T3_PNSJ_ISO_E10value_typeET4_T5_PST_SU_PNS1_23onesweep_lookback_stateEbbT6_jjT7_P12ihipStream_tbENKUlT_T0_SI_SN_E_clIPiSD_S15_SD_EEDaS11_S12_SI_SN_EUlS11_E_NS1_11comp_targetILNS1_3genE9ELNS1_11target_archE1100ELNS1_3gpuE3ELNS1_3repE0EEENS1_47radix_sort_onesweep_sort_config_static_selectorELNS0_4arch9wavefront6targetE0EEEvSI_
		.amdhsa_group_segment_fixed_size 0
		.amdhsa_private_segment_fixed_size 0
		.amdhsa_kernarg_size 88
		.amdhsa_user_sgpr_count 6
		.amdhsa_user_sgpr_private_segment_buffer 1
		.amdhsa_user_sgpr_dispatch_ptr 0
		.amdhsa_user_sgpr_queue_ptr 0
		.amdhsa_user_sgpr_kernarg_segment_ptr 1
		.amdhsa_user_sgpr_dispatch_id 0
		.amdhsa_user_sgpr_flat_scratch_init 0
		.amdhsa_user_sgpr_private_segment_size 0
		.amdhsa_wavefront_size32 1
		.amdhsa_uses_dynamic_stack 0
		.amdhsa_system_sgpr_private_segment_wavefront_offset 0
		.amdhsa_system_sgpr_workgroup_id_x 1
		.amdhsa_system_sgpr_workgroup_id_y 0
		.amdhsa_system_sgpr_workgroup_id_z 0
		.amdhsa_system_sgpr_workgroup_info 0
		.amdhsa_system_vgpr_workitem_id 0
		.amdhsa_next_free_vgpr 1
		.amdhsa_next_free_sgpr 1
		.amdhsa_reserve_vcc 0
		.amdhsa_reserve_flat_scratch 0
		.amdhsa_float_round_mode_32 0
		.amdhsa_float_round_mode_16_64 0
		.amdhsa_float_denorm_mode_32 3
		.amdhsa_float_denorm_mode_16_64 3
		.amdhsa_dx10_clamp 1
		.amdhsa_ieee_mode 1
		.amdhsa_fp16_overflow 0
		.amdhsa_workgroup_processor_mode 1
		.amdhsa_memory_ordered 1
		.amdhsa_forward_progress 1
		.amdhsa_shared_vgpr_count 0
		.amdhsa_exception_fp_ieee_invalid_op 0
		.amdhsa_exception_fp_denorm_src 0
		.amdhsa_exception_fp_ieee_div_zero 0
		.amdhsa_exception_fp_ieee_overflow 0
		.amdhsa_exception_fp_ieee_underflow 0
		.amdhsa_exception_fp_ieee_inexact 0
		.amdhsa_exception_int_div_zero 0
	.end_amdhsa_kernel
	.section	.text._ZN7rocprim17ROCPRIM_400000_NS6detail17trampoline_kernelINS0_14default_configENS1_35radix_sort_onesweep_config_selectorIiiEEZZNS1_29radix_sort_onesweep_iterationIS3_Lb0EN6thrust23THRUST_200600_302600_NS6detail15normal_iteratorINS8_10device_ptrIiEEEESD_SD_SD_jNS0_19identity_decomposerENS1_16block_id_wrapperIjLb0EEEEE10hipError_tT1_PNSt15iterator_traitsISI_E10value_typeET2_T3_PNSJ_ISO_E10value_typeET4_T5_PST_SU_PNS1_23onesweep_lookback_stateEbbT6_jjT7_P12ihipStream_tbENKUlT_T0_SI_SN_E_clIPiSD_S15_SD_EEDaS11_S12_SI_SN_EUlS11_E_NS1_11comp_targetILNS1_3genE9ELNS1_11target_archE1100ELNS1_3gpuE3ELNS1_3repE0EEENS1_47radix_sort_onesweep_sort_config_static_selectorELNS0_4arch9wavefront6targetE0EEEvSI_,"axG",@progbits,_ZN7rocprim17ROCPRIM_400000_NS6detail17trampoline_kernelINS0_14default_configENS1_35radix_sort_onesweep_config_selectorIiiEEZZNS1_29radix_sort_onesweep_iterationIS3_Lb0EN6thrust23THRUST_200600_302600_NS6detail15normal_iteratorINS8_10device_ptrIiEEEESD_SD_SD_jNS0_19identity_decomposerENS1_16block_id_wrapperIjLb0EEEEE10hipError_tT1_PNSt15iterator_traitsISI_E10value_typeET2_T3_PNSJ_ISO_E10value_typeET4_T5_PST_SU_PNS1_23onesweep_lookback_stateEbbT6_jjT7_P12ihipStream_tbENKUlT_T0_SI_SN_E_clIPiSD_S15_SD_EEDaS11_S12_SI_SN_EUlS11_E_NS1_11comp_targetILNS1_3genE9ELNS1_11target_archE1100ELNS1_3gpuE3ELNS1_3repE0EEENS1_47radix_sort_onesweep_sort_config_static_selectorELNS0_4arch9wavefront6targetE0EEEvSI_,comdat
.Lfunc_end874:
	.size	_ZN7rocprim17ROCPRIM_400000_NS6detail17trampoline_kernelINS0_14default_configENS1_35radix_sort_onesweep_config_selectorIiiEEZZNS1_29radix_sort_onesweep_iterationIS3_Lb0EN6thrust23THRUST_200600_302600_NS6detail15normal_iteratorINS8_10device_ptrIiEEEESD_SD_SD_jNS0_19identity_decomposerENS1_16block_id_wrapperIjLb0EEEEE10hipError_tT1_PNSt15iterator_traitsISI_E10value_typeET2_T3_PNSJ_ISO_E10value_typeET4_T5_PST_SU_PNS1_23onesweep_lookback_stateEbbT6_jjT7_P12ihipStream_tbENKUlT_T0_SI_SN_E_clIPiSD_S15_SD_EEDaS11_S12_SI_SN_EUlS11_E_NS1_11comp_targetILNS1_3genE9ELNS1_11target_archE1100ELNS1_3gpuE3ELNS1_3repE0EEENS1_47radix_sort_onesweep_sort_config_static_selectorELNS0_4arch9wavefront6targetE0EEEvSI_, .Lfunc_end874-_ZN7rocprim17ROCPRIM_400000_NS6detail17trampoline_kernelINS0_14default_configENS1_35radix_sort_onesweep_config_selectorIiiEEZZNS1_29radix_sort_onesweep_iterationIS3_Lb0EN6thrust23THRUST_200600_302600_NS6detail15normal_iteratorINS8_10device_ptrIiEEEESD_SD_SD_jNS0_19identity_decomposerENS1_16block_id_wrapperIjLb0EEEEE10hipError_tT1_PNSt15iterator_traitsISI_E10value_typeET2_T3_PNSJ_ISO_E10value_typeET4_T5_PST_SU_PNS1_23onesweep_lookback_stateEbbT6_jjT7_P12ihipStream_tbENKUlT_T0_SI_SN_E_clIPiSD_S15_SD_EEDaS11_S12_SI_SN_EUlS11_E_NS1_11comp_targetILNS1_3genE9ELNS1_11target_archE1100ELNS1_3gpuE3ELNS1_3repE0EEENS1_47radix_sort_onesweep_sort_config_static_selectorELNS0_4arch9wavefront6targetE0EEEvSI_
                                        ; -- End function
	.set _ZN7rocprim17ROCPRIM_400000_NS6detail17trampoline_kernelINS0_14default_configENS1_35radix_sort_onesweep_config_selectorIiiEEZZNS1_29radix_sort_onesweep_iterationIS3_Lb0EN6thrust23THRUST_200600_302600_NS6detail15normal_iteratorINS8_10device_ptrIiEEEESD_SD_SD_jNS0_19identity_decomposerENS1_16block_id_wrapperIjLb0EEEEE10hipError_tT1_PNSt15iterator_traitsISI_E10value_typeET2_T3_PNSJ_ISO_E10value_typeET4_T5_PST_SU_PNS1_23onesweep_lookback_stateEbbT6_jjT7_P12ihipStream_tbENKUlT_T0_SI_SN_E_clIPiSD_S15_SD_EEDaS11_S12_SI_SN_EUlS11_E_NS1_11comp_targetILNS1_3genE9ELNS1_11target_archE1100ELNS1_3gpuE3ELNS1_3repE0EEENS1_47radix_sort_onesweep_sort_config_static_selectorELNS0_4arch9wavefront6targetE0EEEvSI_.num_vgpr, 0
	.set _ZN7rocprim17ROCPRIM_400000_NS6detail17trampoline_kernelINS0_14default_configENS1_35radix_sort_onesweep_config_selectorIiiEEZZNS1_29radix_sort_onesweep_iterationIS3_Lb0EN6thrust23THRUST_200600_302600_NS6detail15normal_iteratorINS8_10device_ptrIiEEEESD_SD_SD_jNS0_19identity_decomposerENS1_16block_id_wrapperIjLb0EEEEE10hipError_tT1_PNSt15iterator_traitsISI_E10value_typeET2_T3_PNSJ_ISO_E10value_typeET4_T5_PST_SU_PNS1_23onesweep_lookback_stateEbbT6_jjT7_P12ihipStream_tbENKUlT_T0_SI_SN_E_clIPiSD_S15_SD_EEDaS11_S12_SI_SN_EUlS11_E_NS1_11comp_targetILNS1_3genE9ELNS1_11target_archE1100ELNS1_3gpuE3ELNS1_3repE0EEENS1_47radix_sort_onesweep_sort_config_static_selectorELNS0_4arch9wavefront6targetE0EEEvSI_.num_agpr, 0
	.set _ZN7rocprim17ROCPRIM_400000_NS6detail17trampoline_kernelINS0_14default_configENS1_35radix_sort_onesweep_config_selectorIiiEEZZNS1_29radix_sort_onesweep_iterationIS3_Lb0EN6thrust23THRUST_200600_302600_NS6detail15normal_iteratorINS8_10device_ptrIiEEEESD_SD_SD_jNS0_19identity_decomposerENS1_16block_id_wrapperIjLb0EEEEE10hipError_tT1_PNSt15iterator_traitsISI_E10value_typeET2_T3_PNSJ_ISO_E10value_typeET4_T5_PST_SU_PNS1_23onesweep_lookback_stateEbbT6_jjT7_P12ihipStream_tbENKUlT_T0_SI_SN_E_clIPiSD_S15_SD_EEDaS11_S12_SI_SN_EUlS11_E_NS1_11comp_targetILNS1_3genE9ELNS1_11target_archE1100ELNS1_3gpuE3ELNS1_3repE0EEENS1_47radix_sort_onesweep_sort_config_static_selectorELNS0_4arch9wavefront6targetE0EEEvSI_.numbered_sgpr, 0
	.set _ZN7rocprim17ROCPRIM_400000_NS6detail17trampoline_kernelINS0_14default_configENS1_35radix_sort_onesweep_config_selectorIiiEEZZNS1_29radix_sort_onesweep_iterationIS3_Lb0EN6thrust23THRUST_200600_302600_NS6detail15normal_iteratorINS8_10device_ptrIiEEEESD_SD_SD_jNS0_19identity_decomposerENS1_16block_id_wrapperIjLb0EEEEE10hipError_tT1_PNSt15iterator_traitsISI_E10value_typeET2_T3_PNSJ_ISO_E10value_typeET4_T5_PST_SU_PNS1_23onesweep_lookback_stateEbbT6_jjT7_P12ihipStream_tbENKUlT_T0_SI_SN_E_clIPiSD_S15_SD_EEDaS11_S12_SI_SN_EUlS11_E_NS1_11comp_targetILNS1_3genE9ELNS1_11target_archE1100ELNS1_3gpuE3ELNS1_3repE0EEENS1_47radix_sort_onesweep_sort_config_static_selectorELNS0_4arch9wavefront6targetE0EEEvSI_.num_named_barrier, 0
	.set _ZN7rocprim17ROCPRIM_400000_NS6detail17trampoline_kernelINS0_14default_configENS1_35radix_sort_onesweep_config_selectorIiiEEZZNS1_29radix_sort_onesweep_iterationIS3_Lb0EN6thrust23THRUST_200600_302600_NS6detail15normal_iteratorINS8_10device_ptrIiEEEESD_SD_SD_jNS0_19identity_decomposerENS1_16block_id_wrapperIjLb0EEEEE10hipError_tT1_PNSt15iterator_traitsISI_E10value_typeET2_T3_PNSJ_ISO_E10value_typeET4_T5_PST_SU_PNS1_23onesweep_lookback_stateEbbT6_jjT7_P12ihipStream_tbENKUlT_T0_SI_SN_E_clIPiSD_S15_SD_EEDaS11_S12_SI_SN_EUlS11_E_NS1_11comp_targetILNS1_3genE9ELNS1_11target_archE1100ELNS1_3gpuE3ELNS1_3repE0EEENS1_47radix_sort_onesweep_sort_config_static_selectorELNS0_4arch9wavefront6targetE0EEEvSI_.private_seg_size, 0
	.set _ZN7rocprim17ROCPRIM_400000_NS6detail17trampoline_kernelINS0_14default_configENS1_35radix_sort_onesweep_config_selectorIiiEEZZNS1_29radix_sort_onesweep_iterationIS3_Lb0EN6thrust23THRUST_200600_302600_NS6detail15normal_iteratorINS8_10device_ptrIiEEEESD_SD_SD_jNS0_19identity_decomposerENS1_16block_id_wrapperIjLb0EEEEE10hipError_tT1_PNSt15iterator_traitsISI_E10value_typeET2_T3_PNSJ_ISO_E10value_typeET4_T5_PST_SU_PNS1_23onesweep_lookback_stateEbbT6_jjT7_P12ihipStream_tbENKUlT_T0_SI_SN_E_clIPiSD_S15_SD_EEDaS11_S12_SI_SN_EUlS11_E_NS1_11comp_targetILNS1_3genE9ELNS1_11target_archE1100ELNS1_3gpuE3ELNS1_3repE0EEENS1_47radix_sort_onesweep_sort_config_static_selectorELNS0_4arch9wavefront6targetE0EEEvSI_.uses_vcc, 0
	.set _ZN7rocprim17ROCPRIM_400000_NS6detail17trampoline_kernelINS0_14default_configENS1_35radix_sort_onesweep_config_selectorIiiEEZZNS1_29radix_sort_onesweep_iterationIS3_Lb0EN6thrust23THRUST_200600_302600_NS6detail15normal_iteratorINS8_10device_ptrIiEEEESD_SD_SD_jNS0_19identity_decomposerENS1_16block_id_wrapperIjLb0EEEEE10hipError_tT1_PNSt15iterator_traitsISI_E10value_typeET2_T3_PNSJ_ISO_E10value_typeET4_T5_PST_SU_PNS1_23onesweep_lookback_stateEbbT6_jjT7_P12ihipStream_tbENKUlT_T0_SI_SN_E_clIPiSD_S15_SD_EEDaS11_S12_SI_SN_EUlS11_E_NS1_11comp_targetILNS1_3genE9ELNS1_11target_archE1100ELNS1_3gpuE3ELNS1_3repE0EEENS1_47radix_sort_onesweep_sort_config_static_selectorELNS0_4arch9wavefront6targetE0EEEvSI_.uses_flat_scratch, 0
	.set _ZN7rocprim17ROCPRIM_400000_NS6detail17trampoline_kernelINS0_14default_configENS1_35radix_sort_onesweep_config_selectorIiiEEZZNS1_29radix_sort_onesweep_iterationIS3_Lb0EN6thrust23THRUST_200600_302600_NS6detail15normal_iteratorINS8_10device_ptrIiEEEESD_SD_SD_jNS0_19identity_decomposerENS1_16block_id_wrapperIjLb0EEEEE10hipError_tT1_PNSt15iterator_traitsISI_E10value_typeET2_T3_PNSJ_ISO_E10value_typeET4_T5_PST_SU_PNS1_23onesweep_lookback_stateEbbT6_jjT7_P12ihipStream_tbENKUlT_T0_SI_SN_E_clIPiSD_S15_SD_EEDaS11_S12_SI_SN_EUlS11_E_NS1_11comp_targetILNS1_3genE9ELNS1_11target_archE1100ELNS1_3gpuE3ELNS1_3repE0EEENS1_47radix_sort_onesweep_sort_config_static_selectorELNS0_4arch9wavefront6targetE0EEEvSI_.has_dyn_sized_stack, 0
	.set _ZN7rocprim17ROCPRIM_400000_NS6detail17trampoline_kernelINS0_14default_configENS1_35radix_sort_onesweep_config_selectorIiiEEZZNS1_29radix_sort_onesweep_iterationIS3_Lb0EN6thrust23THRUST_200600_302600_NS6detail15normal_iteratorINS8_10device_ptrIiEEEESD_SD_SD_jNS0_19identity_decomposerENS1_16block_id_wrapperIjLb0EEEEE10hipError_tT1_PNSt15iterator_traitsISI_E10value_typeET2_T3_PNSJ_ISO_E10value_typeET4_T5_PST_SU_PNS1_23onesweep_lookback_stateEbbT6_jjT7_P12ihipStream_tbENKUlT_T0_SI_SN_E_clIPiSD_S15_SD_EEDaS11_S12_SI_SN_EUlS11_E_NS1_11comp_targetILNS1_3genE9ELNS1_11target_archE1100ELNS1_3gpuE3ELNS1_3repE0EEENS1_47radix_sort_onesweep_sort_config_static_selectorELNS0_4arch9wavefront6targetE0EEEvSI_.has_recursion, 0
	.set _ZN7rocprim17ROCPRIM_400000_NS6detail17trampoline_kernelINS0_14default_configENS1_35radix_sort_onesweep_config_selectorIiiEEZZNS1_29radix_sort_onesweep_iterationIS3_Lb0EN6thrust23THRUST_200600_302600_NS6detail15normal_iteratorINS8_10device_ptrIiEEEESD_SD_SD_jNS0_19identity_decomposerENS1_16block_id_wrapperIjLb0EEEEE10hipError_tT1_PNSt15iterator_traitsISI_E10value_typeET2_T3_PNSJ_ISO_E10value_typeET4_T5_PST_SU_PNS1_23onesweep_lookback_stateEbbT6_jjT7_P12ihipStream_tbENKUlT_T0_SI_SN_E_clIPiSD_S15_SD_EEDaS11_S12_SI_SN_EUlS11_E_NS1_11comp_targetILNS1_3genE9ELNS1_11target_archE1100ELNS1_3gpuE3ELNS1_3repE0EEENS1_47radix_sort_onesweep_sort_config_static_selectorELNS0_4arch9wavefront6targetE0EEEvSI_.has_indirect_call, 0
	.section	.AMDGPU.csdata,"",@progbits
; Kernel info:
; codeLenInByte = 0
; TotalNumSgprs: 0
; NumVgprs: 0
; ScratchSize: 0
; MemoryBound: 0
; FloatMode: 240
; IeeeMode: 1
; LDSByteSize: 0 bytes/workgroup (compile time only)
; SGPRBlocks: 0
; VGPRBlocks: 0
; NumSGPRsForWavesPerEU: 1
; NumVGPRsForWavesPerEU: 1
; Occupancy: 16
; WaveLimiterHint : 0
; COMPUTE_PGM_RSRC2:SCRATCH_EN: 0
; COMPUTE_PGM_RSRC2:USER_SGPR: 6
; COMPUTE_PGM_RSRC2:TRAP_HANDLER: 0
; COMPUTE_PGM_RSRC2:TGID_X_EN: 1
; COMPUTE_PGM_RSRC2:TGID_Y_EN: 0
; COMPUTE_PGM_RSRC2:TGID_Z_EN: 0
; COMPUTE_PGM_RSRC2:TIDIG_COMP_CNT: 0
	.section	.text._ZN7rocprim17ROCPRIM_400000_NS6detail17trampoline_kernelINS0_14default_configENS1_35radix_sort_onesweep_config_selectorIiiEEZZNS1_29radix_sort_onesweep_iterationIS3_Lb0EN6thrust23THRUST_200600_302600_NS6detail15normal_iteratorINS8_10device_ptrIiEEEESD_SD_SD_jNS0_19identity_decomposerENS1_16block_id_wrapperIjLb0EEEEE10hipError_tT1_PNSt15iterator_traitsISI_E10value_typeET2_T3_PNSJ_ISO_E10value_typeET4_T5_PST_SU_PNS1_23onesweep_lookback_stateEbbT6_jjT7_P12ihipStream_tbENKUlT_T0_SI_SN_E_clIPiSD_S15_SD_EEDaS11_S12_SI_SN_EUlS11_E_NS1_11comp_targetILNS1_3genE8ELNS1_11target_archE1030ELNS1_3gpuE2ELNS1_3repE0EEENS1_47radix_sort_onesweep_sort_config_static_selectorELNS0_4arch9wavefront6targetE0EEEvSI_,"axG",@progbits,_ZN7rocprim17ROCPRIM_400000_NS6detail17trampoline_kernelINS0_14default_configENS1_35radix_sort_onesweep_config_selectorIiiEEZZNS1_29radix_sort_onesweep_iterationIS3_Lb0EN6thrust23THRUST_200600_302600_NS6detail15normal_iteratorINS8_10device_ptrIiEEEESD_SD_SD_jNS0_19identity_decomposerENS1_16block_id_wrapperIjLb0EEEEE10hipError_tT1_PNSt15iterator_traitsISI_E10value_typeET2_T3_PNSJ_ISO_E10value_typeET4_T5_PST_SU_PNS1_23onesweep_lookback_stateEbbT6_jjT7_P12ihipStream_tbENKUlT_T0_SI_SN_E_clIPiSD_S15_SD_EEDaS11_S12_SI_SN_EUlS11_E_NS1_11comp_targetILNS1_3genE8ELNS1_11target_archE1030ELNS1_3gpuE2ELNS1_3repE0EEENS1_47radix_sort_onesweep_sort_config_static_selectorELNS0_4arch9wavefront6targetE0EEEvSI_,comdat
	.protected	_ZN7rocprim17ROCPRIM_400000_NS6detail17trampoline_kernelINS0_14default_configENS1_35radix_sort_onesweep_config_selectorIiiEEZZNS1_29radix_sort_onesweep_iterationIS3_Lb0EN6thrust23THRUST_200600_302600_NS6detail15normal_iteratorINS8_10device_ptrIiEEEESD_SD_SD_jNS0_19identity_decomposerENS1_16block_id_wrapperIjLb0EEEEE10hipError_tT1_PNSt15iterator_traitsISI_E10value_typeET2_T3_PNSJ_ISO_E10value_typeET4_T5_PST_SU_PNS1_23onesweep_lookback_stateEbbT6_jjT7_P12ihipStream_tbENKUlT_T0_SI_SN_E_clIPiSD_S15_SD_EEDaS11_S12_SI_SN_EUlS11_E_NS1_11comp_targetILNS1_3genE8ELNS1_11target_archE1030ELNS1_3gpuE2ELNS1_3repE0EEENS1_47radix_sort_onesweep_sort_config_static_selectorELNS0_4arch9wavefront6targetE0EEEvSI_ ; -- Begin function _ZN7rocprim17ROCPRIM_400000_NS6detail17trampoline_kernelINS0_14default_configENS1_35radix_sort_onesweep_config_selectorIiiEEZZNS1_29radix_sort_onesweep_iterationIS3_Lb0EN6thrust23THRUST_200600_302600_NS6detail15normal_iteratorINS8_10device_ptrIiEEEESD_SD_SD_jNS0_19identity_decomposerENS1_16block_id_wrapperIjLb0EEEEE10hipError_tT1_PNSt15iterator_traitsISI_E10value_typeET2_T3_PNSJ_ISO_E10value_typeET4_T5_PST_SU_PNS1_23onesweep_lookback_stateEbbT6_jjT7_P12ihipStream_tbENKUlT_T0_SI_SN_E_clIPiSD_S15_SD_EEDaS11_S12_SI_SN_EUlS11_E_NS1_11comp_targetILNS1_3genE8ELNS1_11target_archE1030ELNS1_3gpuE2ELNS1_3repE0EEENS1_47radix_sort_onesweep_sort_config_static_selectorELNS0_4arch9wavefront6targetE0EEEvSI_
	.globl	_ZN7rocprim17ROCPRIM_400000_NS6detail17trampoline_kernelINS0_14default_configENS1_35radix_sort_onesweep_config_selectorIiiEEZZNS1_29radix_sort_onesweep_iterationIS3_Lb0EN6thrust23THRUST_200600_302600_NS6detail15normal_iteratorINS8_10device_ptrIiEEEESD_SD_SD_jNS0_19identity_decomposerENS1_16block_id_wrapperIjLb0EEEEE10hipError_tT1_PNSt15iterator_traitsISI_E10value_typeET2_T3_PNSJ_ISO_E10value_typeET4_T5_PST_SU_PNS1_23onesweep_lookback_stateEbbT6_jjT7_P12ihipStream_tbENKUlT_T0_SI_SN_E_clIPiSD_S15_SD_EEDaS11_S12_SI_SN_EUlS11_E_NS1_11comp_targetILNS1_3genE8ELNS1_11target_archE1030ELNS1_3gpuE2ELNS1_3repE0EEENS1_47radix_sort_onesweep_sort_config_static_selectorELNS0_4arch9wavefront6targetE0EEEvSI_
	.p2align	8
	.type	_ZN7rocprim17ROCPRIM_400000_NS6detail17trampoline_kernelINS0_14default_configENS1_35radix_sort_onesweep_config_selectorIiiEEZZNS1_29radix_sort_onesweep_iterationIS3_Lb0EN6thrust23THRUST_200600_302600_NS6detail15normal_iteratorINS8_10device_ptrIiEEEESD_SD_SD_jNS0_19identity_decomposerENS1_16block_id_wrapperIjLb0EEEEE10hipError_tT1_PNSt15iterator_traitsISI_E10value_typeET2_T3_PNSJ_ISO_E10value_typeET4_T5_PST_SU_PNS1_23onesweep_lookback_stateEbbT6_jjT7_P12ihipStream_tbENKUlT_T0_SI_SN_E_clIPiSD_S15_SD_EEDaS11_S12_SI_SN_EUlS11_E_NS1_11comp_targetILNS1_3genE8ELNS1_11target_archE1030ELNS1_3gpuE2ELNS1_3repE0EEENS1_47radix_sort_onesweep_sort_config_static_selectorELNS0_4arch9wavefront6targetE0EEEvSI_,@function
_ZN7rocprim17ROCPRIM_400000_NS6detail17trampoline_kernelINS0_14default_configENS1_35radix_sort_onesweep_config_selectorIiiEEZZNS1_29radix_sort_onesweep_iterationIS3_Lb0EN6thrust23THRUST_200600_302600_NS6detail15normal_iteratorINS8_10device_ptrIiEEEESD_SD_SD_jNS0_19identity_decomposerENS1_16block_id_wrapperIjLb0EEEEE10hipError_tT1_PNSt15iterator_traitsISI_E10value_typeET2_T3_PNSJ_ISO_E10value_typeET4_T5_PST_SU_PNS1_23onesweep_lookback_stateEbbT6_jjT7_P12ihipStream_tbENKUlT_T0_SI_SN_E_clIPiSD_S15_SD_EEDaS11_S12_SI_SN_EUlS11_E_NS1_11comp_targetILNS1_3genE8ELNS1_11target_archE1030ELNS1_3gpuE2ELNS1_3repE0EEENS1_47radix_sort_onesweep_sort_config_static_selectorELNS0_4arch9wavefront6targetE0EEEvSI_: ; @_ZN7rocprim17ROCPRIM_400000_NS6detail17trampoline_kernelINS0_14default_configENS1_35radix_sort_onesweep_config_selectorIiiEEZZNS1_29radix_sort_onesweep_iterationIS3_Lb0EN6thrust23THRUST_200600_302600_NS6detail15normal_iteratorINS8_10device_ptrIiEEEESD_SD_SD_jNS0_19identity_decomposerENS1_16block_id_wrapperIjLb0EEEEE10hipError_tT1_PNSt15iterator_traitsISI_E10value_typeET2_T3_PNSJ_ISO_E10value_typeET4_T5_PST_SU_PNS1_23onesweep_lookback_stateEbbT6_jjT7_P12ihipStream_tbENKUlT_T0_SI_SN_E_clIPiSD_S15_SD_EEDaS11_S12_SI_SN_EUlS11_E_NS1_11comp_targetILNS1_3genE8ELNS1_11target_archE1030ELNS1_3gpuE2ELNS1_3repE0EEENS1_47radix_sort_onesweep_sort_config_static_selectorELNS0_4arch9wavefront6targetE0EEEvSI_
; %bb.0:
	s_clause 0x3
	s_load_dwordx4 s[44:47], s[4:5], 0x44
	s_load_dwordx8 s[36:43], s[4:5], 0x0
	s_load_dwordx4 s[28:31], s[4:5], 0x28
	s_load_dwordx2 s[26:27], s[4:5], 0x38
	v_mbcnt_lo_u32_b32 v11, -1, 0
	v_and_b32_e32 v12, 0x3e0, v0
	s_add_u32 s0, s0, s7
	s_addc_u32 s1, s1, 0
	s_mov_b32 s7, -1
	s_mul_i32 s34, s6, 0x3000
	s_waitcnt lgkmcnt(0)
	s_cmp_ge_u32 s6, s46
	s_cbranch_scc0 .LBB875_132
; %bb.1:
	s_load_dword s25, s[4:5], 0x20
	s_mov_b32 s35, 0
	s_mul_i32 s7, s46, 0xffffd000
	v_mul_u32_u24_e32 v3, 12, v12
	v_lshlrev_b32_e32 v13, 2, v11
	s_lshl_b64 s[46:47], s[34:35], 2
	v_mov_b32_e32 v15, -1
	v_mov_b32_e32 v16, -1
	v_lshlrev_b32_e32 v14, 2, v3
	v_or_b32_e32 v5, v11, v3
	s_waitcnt lgkmcnt(0)
	s_add_i32 s25, s25, s7
	s_add_u32 s7, s36, s46
	s_addc_u32 s8, s37, s47
	v_add_co_u32 v3, s7, s7, v13
	v_add_co_ci_u32_e64 v4, null, s8, 0, s7
	v_cmp_gt_u32_e64 s7, s25, v5
	v_add_co_u32 v3, vcc_lo, v3, v14
	v_add_co_ci_u32_e64 v4, null, 0, v4, vcc_lo
	s_and_saveexec_b32 s8, s7
	s_cbranch_execz .LBB875_3
; %bb.2:
	global_load_dword v6, v[3:4], off
	s_waitcnt vmcnt(0)
	v_xor_b32_e32 v16, 0x80000000, v6
.LBB875_3:
	s_or_b32 exec_lo, exec_lo, s8
	v_or_b32_e32 v6, 32, v5
	v_cmp_gt_u32_e64 s8, s25, v6
	s_and_saveexec_b32 s9, s8
	s_cbranch_execz .LBB875_5
; %bb.4:
	global_load_dword v6, v[3:4], off offset:128
	s_waitcnt vmcnt(0)
	v_xor_b32_e32 v15, 0x80000000, v6
.LBB875_5:
	s_or_b32 exec_lo, exec_lo, s9
	v_or_b32_e32 v6, 64, v5
	v_mov_b32_e32 v17, -1
	v_mov_b32_e32 v18, -1
	v_cmp_gt_u32_e64 s9, s25, v6
	s_and_saveexec_b32 s10, s9
	s_cbranch_execz .LBB875_7
; %bb.6:
	global_load_dword v6, v[3:4], off offset:256
	s_waitcnt vmcnt(0)
	v_xor_b32_e32 v18, 0x80000000, v6
.LBB875_7:
	s_or_b32 exec_lo, exec_lo, s10
	v_or_b32_e32 v6, 0x60, v5
	v_cmp_gt_u32_e64 s10, s25, v6
	s_and_saveexec_b32 s11, s10
	s_cbranch_execz .LBB875_9
; %bb.8:
	global_load_dword v6, v[3:4], off offset:384
	s_waitcnt vmcnt(0)
	v_xor_b32_e32 v17, 0x80000000, v6
.LBB875_9:
	s_or_b32 exec_lo, exec_lo, s11
	v_add_nc_u32_e32 v6, 0x80, v5
	v_mov_b32_e32 v19, -1
	v_mov_b32_e32 v20, -1
	v_cmp_gt_u32_e64 s11, s25, v6
	s_and_saveexec_b32 s12, s11
	s_cbranch_execz .LBB875_11
; %bb.10:
	global_load_dword v6, v[3:4], off offset:512
	s_waitcnt vmcnt(0)
	v_xor_b32_e32 v20, 0x80000000, v6
.LBB875_11:
	s_or_b32 exec_lo, exec_lo, s12
	v_add_nc_u32_e32 v6, 0xa0, v5
	v_cmp_gt_u32_e64 s12, s25, v6
	s_and_saveexec_b32 s13, s12
	s_cbranch_execz .LBB875_13
; %bb.12:
	global_load_dword v6, v[3:4], off offset:640
	s_waitcnt vmcnt(0)
	v_xor_b32_e32 v19, 0x80000000, v6
.LBB875_13:
	s_or_b32 exec_lo, exec_lo, s13
	v_add_nc_u32_e32 v6, 0xc0, v5
	v_mov_b32_e32 v21, -1
	v_mov_b32_e32 v22, -1
	v_cmp_gt_u32_e64 s13, s25, v6
	s_and_saveexec_b32 s14, s13
	s_cbranch_execz .LBB875_15
; %bb.14:
	global_load_dword v6, v[3:4], off offset:768
	s_waitcnt vmcnt(0)
	v_xor_b32_e32 v22, 0x80000000, v6
.LBB875_15:
	s_or_b32 exec_lo, exec_lo, s14
	v_add_nc_u32_e32 v6, 0xe0, v5
	;; [unrolled: 22-line block ×4, first 2 shown]
	v_cmp_gt_u32_e64 s18, s25, v5
	s_and_saveexec_b32 s19, s18
	s_cbranch_execz .LBB875_25
; %bb.24:
	global_load_dword v3, v[3:4], off offset:1408
	s_waitcnt vmcnt(0)
	v_xor_b32_e32 v25, 0x80000000, v3
.LBB875_25:
	s_or_b32 exec_lo, exec_lo, s19
	s_clause 0x1
	s_load_dword s19, s[4:5], 0x64
	s_load_dword s33, s[4:5], 0x58
	s_add_u32 s20, s4, 0x58
	s_addc_u32 s21, s5, 0
	v_mov_b32_e32 v5, 0
	v_lshrrev_b32_e32 v4, s44, v16
	s_waitcnt lgkmcnt(0)
	s_lshr_b32 s22, s19, 16
	s_cmp_lt_u32 s6, s33
	s_cselect_b32 s19, 12, 18
	s_add_u32 s20, s20, s19
	s_addc_u32 s21, s21, 0
	s_lshl_b32 s19, -1, s45
	global_load_ushort v3, v5, s[20:21]
	s_not_b32 s35, s19
	v_and_b32_e32 v6, s35, v4
	v_and_b32_e32 v4, 1, v6
	v_lshlrev_b32_e32 v7, 30, v6
	v_lshlrev_b32_e32 v8, 29, v6
	;; [unrolled: 1-line block ×4, first 2 shown]
	v_add_co_u32 v4, s19, v4, -1
	v_cndmask_b32_e64 v10, 0, 1, s19
	v_not_b32_e32 v30, v7
	v_cmp_gt_i32_e64 s19, 0, v7
	v_not_b32_e32 v7, v8
	v_lshlrev_b32_e32 v28, 26, v6
	v_cmp_ne_u32_e32 vcc_lo, 0, v10
	v_ashrrev_i32_e32 v30, 31, v30
	v_lshlrev_b32_e32 v29, 25, v6
	v_ashrrev_i32_e32 v7, 31, v7
	v_lshlrev_b32_e32 v10, 24, v6
	v_xor_b32_e32 v4, vcc_lo, v4
	v_cmp_gt_i32_e32 vcc_lo, 0, v8
	v_not_b32_e32 v8, v9
	v_xor_b32_e32 v30, s19, v30
	v_cmp_gt_i32_e64 s19, 0, v9
	v_and_b32_e32 v4, exec_lo, v4
	v_not_b32_e32 v9, v27
	v_ashrrev_i32_e32 v8, 31, v8
	v_xor_b32_e32 v7, vcc_lo, v7
	v_cmp_gt_i32_e32 vcc_lo, 0, v27
	v_and_b32_e32 v4, v4, v30
	v_not_b32_e32 v27, v28
	v_ashrrev_i32_e32 v9, 31, v9
	v_xor_b32_e32 v8, s19, v8
	v_cmp_gt_i32_e64 s19, 0, v28
	v_and_b32_e32 v4, v4, v7
	v_not_b32_e32 v7, v29
	v_ashrrev_i32_e32 v27, 31, v27
	v_xor_b32_e32 v9, vcc_lo, v9
	v_cmp_gt_i32_e32 vcc_lo, 0, v29
	v_and_b32_e32 v4, v4, v8
	v_not_b32_e32 v8, v10
	v_ashrrev_i32_e32 v7, 31, v7
	v_xor_b32_e32 v27, s19, v27
	v_cmp_gt_i32_e64 s19, 0, v10
	v_and_b32_e32 v4, v4, v9
	v_ashrrev_i32_e32 v8, 31, v8
	v_xor_b32_e32 v7, vcc_lo, v7
	v_mad_u32_u24 v9, v2, s22, v1
	v_mul_lo_u32 v6, 0x84, v6
	v_and_b32_e32 v4, v4, v27
	v_xor_b32_e32 v8, s19, v8
	v_mul_u32_u24_e32 v30, 36, v0
	ds_write2_b32 v30, v5, v5 offset0:32 offset1:33
	ds_write2_b32 v30, v5, v5 offset0:34 offset1:35
	;; [unrolled: 1-line block ×3, first 2 shown]
	v_and_b32_e32 v7, v4, v7
	ds_write2_b32 v30, v5, v5 offset0:38 offset1:39
	ds_write_b32 v30, v5 offset:160
	s_waitcnt vmcnt(0) lgkmcnt(0)
	s_barrier
	buffer_gl0_inv
	; wave barrier
	v_mad_u64_u32 v[3:4], null, v9, v3, v[0:1]
	v_and_b32_e32 v4, v7, v8
	v_mbcnt_lo_u32_b32 v27, v4, 0
	v_lshrrev_b32_e32 v3, 5, v3
	v_cmp_ne_u32_e64 s19, 0, v4
	v_cmp_eq_u32_e32 vcc_lo, 0, v27
	v_lshl_add_u32 v31, v3, 2, v6
	s_and_b32 s20, s19, vcc_lo
	s_and_saveexec_b32 s19, s20
; %bb.26:
	v_bcnt_u32_b32 v4, v4, 0
	ds_write_b32 v31, v4 offset:128
; %bb.27:
	s_or_b32 exec_lo, exec_lo, s19
	v_lshrrev_b32_e32 v4, s44, v15
	; wave barrier
	v_and_b32_e32 v4, s35, v4
	v_and_b32_e32 v6, 1, v4
	v_lshlrev_b32_e32 v7, 30, v4
	v_lshlrev_b32_e32 v8, 29, v4
	;; [unrolled: 1-line block ×4, first 2 shown]
	v_add_co_u32 v6, s19, v6, -1
	v_cndmask_b32_e64 v10, 0, 1, s19
	v_not_b32_e32 v33, v7
	v_cmp_gt_i32_e64 s19, 0, v7
	v_not_b32_e32 v7, v8
	v_lshlrev_b32_e32 v29, 26, v4
	v_cmp_ne_u32_e32 vcc_lo, 0, v10
	v_ashrrev_i32_e32 v10, 31, v33
	v_lshlrev_b32_e32 v32, 25, v4
	v_ashrrev_i32_e32 v7, 31, v7
	v_mul_lo_u32 v5, 0x84, v4
	v_xor_b32_e32 v6, vcc_lo, v6
	v_cmp_gt_i32_e32 vcc_lo, 0, v8
	v_not_b32_e32 v8, v9
	v_xor_b32_e32 v10, s19, v10
	v_cmp_gt_i32_e64 s19, 0, v9
	v_and_b32_e32 v6, exec_lo, v6
	v_not_b32_e32 v9, v28
	v_ashrrev_i32_e32 v8, 31, v8
	v_xor_b32_e32 v7, vcc_lo, v7
	v_cmp_gt_i32_e32 vcc_lo, 0, v28
	v_and_b32_e32 v6, v6, v10
	v_not_b32_e32 v10, v29
	v_ashrrev_i32_e32 v9, 31, v9
	v_xor_b32_e32 v8, s19, v8
	v_lshlrev_b32_e32 v4, 24, v4
	v_and_b32_e32 v6, v6, v7
	v_cmp_gt_i32_e64 s19, 0, v29
	v_not_b32_e32 v7, v32
	v_ashrrev_i32_e32 v10, 31, v10
	v_xor_b32_e32 v9, vcc_lo, v9
	v_and_b32_e32 v6, v6, v8
	v_cmp_gt_i32_e32 vcc_lo, 0, v32
	v_not_b32_e32 v8, v4
	v_ashrrev_i32_e32 v7, 31, v7
	v_xor_b32_e32 v10, s19, v10
	v_and_b32_e32 v6, v6, v9
	v_cmp_gt_i32_e64 s19, 0, v4
	v_ashrrev_i32_e32 v4, 31, v8
	v_xor_b32_e32 v7, vcc_lo, v7
	v_lshl_add_u32 v34, v3, 2, v5
	v_and_b32_e32 v6, v6, v10
	v_xor_b32_e32 v4, s19, v4
	ds_read_b32 v28, v34 offset:128
	v_and_b32_e32 v5, v6, v7
	; wave barrier
	v_and_b32_e32 v4, v5, v4
	v_mbcnt_lo_u32_b32 v29, v4, 0
	v_cmp_ne_u32_e64 s19, 0, v4
	v_cmp_eq_u32_e32 vcc_lo, 0, v29
	s_and_b32 s20, s19, vcc_lo
	s_and_saveexec_b32 s19, s20
	s_cbranch_execz .LBB875_29
; %bb.28:
	s_waitcnt lgkmcnt(0)
	v_bcnt_u32_b32 v4, v4, v28
	ds_write_b32 v34, v4 offset:128
.LBB875_29:
	s_or_b32 exec_lo, exec_lo, s19
	v_lshrrev_b32_e32 v4, s44, v18
	; wave barrier
	v_and_b32_e32 v4, s35, v4
	v_and_b32_e32 v6, 1, v4
	v_lshlrev_b32_e32 v7, 30, v4
	v_lshlrev_b32_e32 v8, 29, v4
	;; [unrolled: 1-line block ×4, first 2 shown]
	v_add_co_u32 v6, s19, v6, -1
	v_cndmask_b32_e64 v10, 0, 1, s19
	v_not_b32_e32 v36, v7
	v_cmp_gt_i32_e64 s19, 0, v7
	v_not_b32_e32 v7, v8
	v_lshlrev_b32_e32 v33, 26, v4
	v_cmp_ne_u32_e32 vcc_lo, 0, v10
	v_ashrrev_i32_e32 v10, 31, v36
	v_lshlrev_b32_e32 v35, 25, v4
	v_ashrrev_i32_e32 v7, 31, v7
	v_mul_lo_u32 v5, 0x84, v4
	v_xor_b32_e32 v6, vcc_lo, v6
	v_cmp_gt_i32_e32 vcc_lo, 0, v8
	v_not_b32_e32 v8, v9
	v_xor_b32_e32 v10, s19, v10
	v_cmp_gt_i32_e64 s19, 0, v9
	v_and_b32_e32 v6, exec_lo, v6
	v_not_b32_e32 v9, v32
	v_ashrrev_i32_e32 v8, 31, v8
	v_xor_b32_e32 v7, vcc_lo, v7
	v_cmp_gt_i32_e32 vcc_lo, 0, v32
	v_and_b32_e32 v6, v6, v10
	v_not_b32_e32 v10, v33
	v_ashrrev_i32_e32 v9, 31, v9
	v_xor_b32_e32 v8, s19, v8
	v_lshlrev_b32_e32 v4, 24, v4
	v_and_b32_e32 v6, v6, v7
	v_cmp_gt_i32_e64 s19, 0, v33
	v_not_b32_e32 v7, v35
	v_ashrrev_i32_e32 v10, 31, v10
	v_xor_b32_e32 v9, vcc_lo, v9
	v_and_b32_e32 v6, v6, v8
	v_cmp_gt_i32_e32 vcc_lo, 0, v35
	v_not_b32_e32 v8, v4
	v_ashrrev_i32_e32 v7, 31, v7
	v_xor_b32_e32 v10, s19, v10
	v_and_b32_e32 v6, v6, v9
	v_cmp_gt_i32_e64 s19, 0, v4
	v_ashrrev_i32_e32 v4, 31, v8
	v_xor_b32_e32 v7, vcc_lo, v7
	v_lshl_add_u32 v37, v3, 2, v5
	v_and_b32_e32 v6, v6, v10
	v_xor_b32_e32 v4, s19, v4
	ds_read_b32 v32, v37 offset:128
	v_and_b32_e32 v5, v6, v7
	; wave barrier
	v_and_b32_e32 v4, v5, v4
	v_mbcnt_lo_u32_b32 v33, v4, 0
	v_cmp_ne_u32_e64 s19, 0, v4
	v_cmp_eq_u32_e32 vcc_lo, 0, v33
	s_and_b32 s20, s19, vcc_lo
	s_and_saveexec_b32 s19, s20
	s_cbranch_execz .LBB875_31
; %bb.30:
	s_waitcnt lgkmcnt(0)
	v_bcnt_u32_b32 v4, v4, v32
	ds_write_b32 v37, v4 offset:128
.LBB875_31:
	s_or_b32 exec_lo, exec_lo, s19
	v_lshrrev_b32_e32 v4, s44, v17
	; wave barrier
	v_and_b32_e32 v4, s35, v4
	v_and_b32_e32 v6, 1, v4
	v_lshlrev_b32_e32 v7, 30, v4
	v_lshlrev_b32_e32 v8, 29, v4
	;; [unrolled: 1-line block ×4, first 2 shown]
	v_add_co_u32 v6, s19, v6, -1
	v_cndmask_b32_e64 v10, 0, 1, s19
	v_not_b32_e32 v39, v7
	v_cmp_gt_i32_e64 s19, 0, v7
	v_not_b32_e32 v7, v8
	v_lshlrev_b32_e32 v36, 26, v4
	v_cmp_ne_u32_e32 vcc_lo, 0, v10
	v_ashrrev_i32_e32 v10, 31, v39
	v_lshlrev_b32_e32 v38, 25, v4
	v_ashrrev_i32_e32 v7, 31, v7
	v_mul_lo_u32 v5, 0x84, v4
	v_xor_b32_e32 v6, vcc_lo, v6
	v_cmp_gt_i32_e32 vcc_lo, 0, v8
	v_not_b32_e32 v8, v9
	v_xor_b32_e32 v10, s19, v10
	v_cmp_gt_i32_e64 s19, 0, v9
	v_and_b32_e32 v6, exec_lo, v6
	v_not_b32_e32 v9, v35
	v_ashrrev_i32_e32 v8, 31, v8
	v_xor_b32_e32 v7, vcc_lo, v7
	v_cmp_gt_i32_e32 vcc_lo, 0, v35
	v_and_b32_e32 v6, v6, v10
	v_not_b32_e32 v10, v36
	v_ashrrev_i32_e32 v9, 31, v9
	v_xor_b32_e32 v8, s19, v8
	v_lshlrev_b32_e32 v4, 24, v4
	v_and_b32_e32 v6, v6, v7
	v_cmp_gt_i32_e64 s19, 0, v36
	v_not_b32_e32 v7, v38
	v_ashrrev_i32_e32 v10, 31, v10
	v_xor_b32_e32 v9, vcc_lo, v9
	v_and_b32_e32 v6, v6, v8
	v_cmp_gt_i32_e32 vcc_lo, 0, v38
	v_not_b32_e32 v8, v4
	v_ashrrev_i32_e32 v7, 31, v7
	v_xor_b32_e32 v10, s19, v10
	v_and_b32_e32 v6, v6, v9
	v_cmp_gt_i32_e64 s19, 0, v4
	v_ashrrev_i32_e32 v4, 31, v8
	v_xor_b32_e32 v7, vcc_lo, v7
	v_lshl_add_u32 v40, v3, 2, v5
	v_and_b32_e32 v6, v6, v10
	v_xor_b32_e32 v4, s19, v4
	ds_read_b32 v35, v40 offset:128
	v_and_b32_e32 v5, v6, v7
	; wave barrier
	v_and_b32_e32 v4, v5, v4
	v_mbcnt_lo_u32_b32 v36, v4, 0
	v_cmp_ne_u32_e64 s19, 0, v4
	v_cmp_eq_u32_e32 vcc_lo, 0, v36
	s_and_b32 s20, s19, vcc_lo
	s_and_saveexec_b32 s19, s20
	s_cbranch_execz .LBB875_33
; %bb.32:
	s_waitcnt lgkmcnt(0)
	v_bcnt_u32_b32 v4, v4, v35
	ds_write_b32 v40, v4 offset:128
.LBB875_33:
	s_or_b32 exec_lo, exec_lo, s19
	v_lshrrev_b32_e32 v4, s44, v20
	; wave barrier
	v_and_b32_e32 v4, s35, v4
	v_and_b32_e32 v6, 1, v4
	v_lshlrev_b32_e32 v7, 30, v4
	v_lshlrev_b32_e32 v8, 29, v4
	;; [unrolled: 1-line block ×4, first 2 shown]
	v_add_co_u32 v6, s19, v6, -1
	v_cndmask_b32_e64 v10, 0, 1, s19
	v_not_b32_e32 v42, v7
	v_cmp_gt_i32_e64 s19, 0, v7
	v_not_b32_e32 v7, v8
	v_lshlrev_b32_e32 v39, 26, v4
	v_cmp_ne_u32_e32 vcc_lo, 0, v10
	v_ashrrev_i32_e32 v10, 31, v42
	v_lshlrev_b32_e32 v41, 25, v4
	v_ashrrev_i32_e32 v7, 31, v7
	v_mul_lo_u32 v5, 0x84, v4
	v_xor_b32_e32 v6, vcc_lo, v6
	v_cmp_gt_i32_e32 vcc_lo, 0, v8
	v_not_b32_e32 v8, v9
	v_xor_b32_e32 v10, s19, v10
	v_cmp_gt_i32_e64 s19, 0, v9
	v_and_b32_e32 v6, exec_lo, v6
	v_not_b32_e32 v9, v38
	v_ashrrev_i32_e32 v8, 31, v8
	v_xor_b32_e32 v7, vcc_lo, v7
	v_cmp_gt_i32_e32 vcc_lo, 0, v38
	v_and_b32_e32 v6, v6, v10
	v_not_b32_e32 v10, v39
	v_ashrrev_i32_e32 v9, 31, v9
	v_xor_b32_e32 v8, s19, v8
	v_lshlrev_b32_e32 v4, 24, v4
	v_and_b32_e32 v6, v6, v7
	v_cmp_gt_i32_e64 s19, 0, v39
	v_not_b32_e32 v7, v41
	v_ashrrev_i32_e32 v10, 31, v10
	v_xor_b32_e32 v9, vcc_lo, v9
	v_and_b32_e32 v6, v6, v8
	v_cmp_gt_i32_e32 vcc_lo, 0, v41
	v_not_b32_e32 v8, v4
	v_ashrrev_i32_e32 v7, 31, v7
	v_xor_b32_e32 v10, s19, v10
	v_and_b32_e32 v6, v6, v9
	v_cmp_gt_i32_e64 s19, 0, v4
	v_ashrrev_i32_e32 v4, 31, v8
	v_xor_b32_e32 v7, vcc_lo, v7
	v_lshl_add_u32 v43, v3, 2, v5
	v_and_b32_e32 v6, v6, v10
	v_xor_b32_e32 v4, s19, v4
	ds_read_b32 v38, v43 offset:128
	v_and_b32_e32 v5, v6, v7
	; wave barrier
	v_and_b32_e32 v4, v5, v4
	v_mbcnt_lo_u32_b32 v39, v4, 0
	v_cmp_ne_u32_e64 s19, 0, v4
	v_cmp_eq_u32_e32 vcc_lo, 0, v39
	s_and_b32 s20, s19, vcc_lo
	s_and_saveexec_b32 s19, s20
	s_cbranch_execz .LBB875_35
; %bb.34:
	s_waitcnt lgkmcnt(0)
	v_bcnt_u32_b32 v4, v4, v38
	ds_write_b32 v43, v4 offset:128
.LBB875_35:
	s_or_b32 exec_lo, exec_lo, s19
	v_lshrrev_b32_e32 v4, s44, v19
	; wave barrier
	v_and_b32_e32 v4, s35, v4
	v_and_b32_e32 v6, 1, v4
	v_lshlrev_b32_e32 v7, 30, v4
	v_lshlrev_b32_e32 v8, 29, v4
	;; [unrolled: 1-line block ×4, first 2 shown]
	v_add_co_u32 v6, s19, v6, -1
	v_cndmask_b32_e64 v10, 0, 1, s19
	v_not_b32_e32 v45, v7
	v_cmp_gt_i32_e64 s19, 0, v7
	v_not_b32_e32 v7, v8
	v_lshlrev_b32_e32 v42, 26, v4
	v_cmp_ne_u32_e32 vcc_lo, 0, v10
	v_ashrrev_i32_e32 v10, 31, v45
	v_lshlrev_b32_e32 v44, 25, v4
	v_ashrrev_i32_e32 v7, 31, v7
	v_mul_lo_u32 v5, 0x84, v4
	v_xor_b32_e32 v6, vcc_lo, v6
	v_cmp_gt_i32_e32 vcc_lo, 0, v8
	v_not_b32_e32 v8, v9
	v_xor_b32_e32 v10, s19, v10
	v_cmp_gt_i32_e64 s19, 0, v9
	v_and_b32_e32 v6, exec_lo, v6
	v_not_b32_e32 v9, v41
	v_ashrrev_i32_e32 v8, 31, v8
	v_xor_b32_e32 v7, vcc_lo, v7
	v_cmp_gt_i32_e32 vcc_lo, 0, v41
	v_and_b32_e32 v6, v6, v10
	v_not_b32_e32 v10, v42
	v_ashrrev_i32_e32 v9, 31, v9
	v_xor_b32_e32 v8, s19, v8
	v_lshlrev_b32_e32 v4, 24, v4
	v_and_b32_e32 v6, v6, v7
	v_cmp_gt_i32_e64 s19, 0, v42
	v_not_b32_e32 v7, v44
	v_ashrrev_i32_e32 v10, 31, v10
	v_xor_b32_e32 v9, vcc_lo, v9
	v_and_b32_e32 v6, v6, v8
	v_cmp_gt_i32_e32 vcc_lo, 0, v44
	v_not_b32_e32 v8, v4
	v_ashrrev_i32_e32 v7, 31, v7
	v_xor_b32_e32 v10, s19, v10
	v_and_b32_e32 v6, v6, v9
	v_cmp_gt_i32_e64 s19, 0, v4
	v_ashrrev_i32_e32 v4, 31, v8
	v_xor_b32_e32 v7, vcc_lo, v7
	v_lshl_add_u32 v46, v3, 2, v5
	v_and_b32_e32 v6, v6, v10
	v_xor_b32_e32 v4, s19, v4
	ds_read_b32 v41, v46 offset:128
	v_and_b32_e32 v5, v6, v7
	; wave barrier
	v_and_b32_e32 v4, v5, v4
	v_mbcnt_lo_u32_b32 v42, v4, 0
	v_cmp_ne_u32_e64 s19, 0, v4
	v_cmp_eq_u32_e32 vcc_lo, 0, v42
	s_and_b32 s20, s19, vcc_lo
	s_and_saveexec_b32 s19, s20
	s_cbranch_execz .LBB875_37
; %bb.36:
	s_waitcnt lgkmcnt(0)
	v_bcnt_u32_b32 v4, v4, v41
	ds_write_b32 v46, v4 offset:128
.LBB875_37:
	s_or_b32 exec_lo, exec_lo, s19
	v_lshrrev_b32_e32 v4, s44, v22
	; wave barrier
	v_and_b32_e32 v4, s35, v4
	v_and_b32_e32 v6, 1, v4
	v_lshlrev_b32_e32 v7, 30, v4
	v_lshlrev_b32_e32 v8, 29, v4
	;; [unrolled: 1-line block ×4, first 2 shown]
	v_add_co_u32 v6, s19, v6, -1
	v_cndmask_b32_e64 v10, 0, 1, s19
	v_not_b32_e32 v48, v7
	v_cmp_gt_i32_e64 s19, 0, v7
	v_not_b32_e32 v7, v8
	v_lshlrev_b32_e32 v45, 26, v4
	v_cmp_ne_u32_e32 vcc_lo, 0, v10
	v_ashrrev_i32_e32 v10, 31, v48
	v_lshlrev_b32_e32 v47, 25, v4
	v_ashrrev_i32_e32 v7, 31, v7
	v_mul_lo_u32 v5, 0x84, v4
	v_xor_b32_e32 v6, vcc_lo, v6
	v_cmp_gt_i32_e32 vcc_lo, 0, v8
	v_not_b32_e32 v8, v9
	v_xor_b32_e32 v10, s19, v10
	v_cmp_gt_i32_e64 s19, 0, v9
	v_and_b32_e32 v6, exec_lo, v6
	v_not_b32_e32 v9, v44
	v_ashrrev_i32_e32 v8, 31, v8
	v_xor_b32_e32 v7, vcc_lo, v7
	v_cmp_gt_i32_e32 vcc_lo, 0, v44
	v_and_b32_e32 v6, v6, v10
	v_not_b32_e32 v10, v45
	v_ashrrev_i32_e32 v9, 31, v9
	v_xor_b32_e32 v8, s19, v8
	v_lshlrev_b32_e32 v4, 24, v4
	v_and_b32_e32 v6, v6, v7
	v_cmp_gt_i32_e64 s19, 0, v45
	v_not_b32_e32 v7, v47
	v_ashrrev_i32_e32 v10, 31, v10
	v_xor_b32_e32 v9, vcc_lo, v9
	v_and_b32_e32 v6, v6, v8
	v_cmp_gt_i32_e32 vcc_lo, 0, v47
	v_not_b32_e32 v8, v4
	v_ashrrev_i32_e32 v7, 31, v7
	v_xor_b32_e32 v10, s19, v10
	v_and_b32_e32 v6, v6, v9
	v_cmp_gt_i32_e64 s19, 0, v4
	v_ashrrev_i32_e32 v4, 31, v8
	v_xor_b32_e32 v7, vcc_lo, v7
	v_lshl_add_u32 v49, v3, 2, v5
	v_and_b32_e32 v6, v6, v10
	v_xor_b32_e32 v4, s19, v4
	ds_read_b32 v44, v49 offset:128
	v_and_b32_e32 v5, v6, v7
	; wave barrier
	v_and_b32_e32 v4, v5, v4
	v_mbcnt_lo_u32_b32 v45, v4, 0
	v_cmp_ne_u32_e64 s19, 0, v4
	v_cmp_eq_u32_e32 vcc_lo, 0, v45
	s_and_b32 s20, s19, vcc_lo
	s_and_saveexec_b32 s19, s20
	s_cbranch_execz .LBB875_39
; %bb.38:
	s_waitcnt lgkmcnt(0)
	v_bcnt_u32_b32 v4, v4, v44
	ds_write_b32 v49, v4 offset:128
.LBB875_39:
	s_or_b32 exec_lo, exec_lo, s19
	v_lshrrev_b32_e32 v4, s44, v21
	; wave barrier
	v_and_b32_e32 v4, s35, v4
	v_and_b32_e32 v6, 1, v4
	v_lshlrev_b32_e32 v7, 30, v4
	v_lshlrev_b32_e32 v8, 29, v4
	;; [unrolled: 1-line block ×4, first 2 shown]
	v_add_co_u32 v6, s19, v6, -1
	v_cndmask_b32_e64 v10, 0, 1, s19
	v_not_b32_e32 v51, v7
	v_cmp_gt_i32_e64 s19, 0, v7
	v_not_b32_e32 v7, v8
	v_lshlrev_b32_e32 v48, 26, v4
	v_cmp_ne_u32_e32 vcc_lo, 0, v10
	v_ashrrev_i32_e32 v10, 31, v51
	v_lshlrev_b32_e32 v50, 25, v4
	v_ashrrev_i32_e32 v7, 31, v7
	v_mul_lo_u32 v5, 0x84, v4
	v_xor_b32_e32 v6, vcc_lo, v6
	v_cmp_gt_i32_e32 vcc_lo, 0, v8
	v_not_b32_e32 v8, v9
	v_xor_b32_e32 v10, s19, v10
	v_cmp_gt_i32_e64 s19, 0, v9
	v_and_b32_e32 v6, exec_lo, v6
	v_not_b32_e32 v9, v47
	v_ashrrev_i32_e32 v8, 31, v8
	v_xor_b32_e32 v7, vcc_lo, v7
	v_cmp_gt_i32_e32 vcc_lo, 0, v47
	v_and_b32_e32 v6, v6, v10
	v_not_b32_e32 v10, v48
	v_ashrrev_i32_e32 v9, 31, v9
	v_xor_b32_e32 v8, s19, v8
	v_lshlrev_b32_e32 v4, 24, v4
	v_and_b32_e32 v6, v6, v7
	v_cmp_gt_i32_e64 s19, 0, v48
	v_not_b32_e32 v7, v50
	v_ashrrev_i32_e32 v10, 31, v10
	v_xor_b32_e32 v9, vcc_lo, v9
	v_and_b32_e32 v6, v6, v8
	v_cmp_gt_i32_e32 vcc_lo, 0, v50
	v_not_b32_e32 v8, v4
	v_ashrrev_i32_e32 v7, 31, v7
	v_xor_b32_e32 v10, s19, v10
	v_and_b32_e32 v6, v6, v9
	v_cmp_gt_i32_e64 s19, 0, v4
	v_ashrrev_i32_e32 v4, 31, v8
	v_xor_b32_e32 v7, vcc_lo, v7
	v_lshl_add_u32 v52, v3, 2, v5
	v_and_b32_e32 v6, v6, v10
	v_xor_b32_e32 v4, s19, v4
	ds_read_b32 v47, v52 offset:128
	v_and_b32_e32 v5, v6, v7
	; wave barrier
	v_and_b32_e32 v4, v5, v4
	v_mbcnt_lo_u32_b32 v48, v4, 0
	v_cmp_ne_u32_e64 s19, 0, v4
	v_cmp_eq_u32_e32 vcc_lo, 0, v48
	s_and_b32 s20, s19, vcc_lo
	s_and_saveexec_b32 s19, s20
	s_cbranch_execz .LBB875_41
; %bb.40:
	s_waitcnt lgkmcnt(0)
	v_bcnt_u32_b32 v4, v4, v47
	ds_write_b32 v52, v4 offset:128
.LBB875_41:
	s_or_b32 exec_lo, exec_lo, s19
	v_lshrrev_b32_e32 v4, s44, v24
	; wave barrier
	v_and_b32_e32 v4, s35, v4
	v_and_b32_e32 v6, 1, v4
	v_lshlrev_b32_e32 v7, 30, v4
	v_lshlrev_b32_e32 v8, 29, v4
	;; [unrolled: 1-line block ×4, first 2 shown]
	v_add_co_u32 v6, s19, v6, -1
	v_cndmask_b32_e64 v10, 0, 1, s19
	v_not_b32_e32 v54, v7
	v_cmp_gt_i32_e64 s19, 0, v7
	v_not_b32_e32 v7, v8
	v_lshlrev_b32_e32 v51, 26, v4
	v_cmp_ne_u32_e32 vcc_lo, 0, v10
	v_ashrrev_i32_e32 v10, 31, v54
	v_lshlrev_b32_e32 v53, 25, v4
	v_ashrrev_i32_e32 v7, 31, v7
	v_mul_lo_u32 v5, 0x84, v4
	v_xor_b32_e32 v6, vcc_lo, v6
	v_cmp_gt_i32_e32 vcc_lo, 0, v8
	v_not_b32_e32 v8, v9
	v_xor_b32_e32 v10, s19, v10
	v_cmp_gt_i32_e64 s19, 0, v9
	v_and_b32_e32 v6, exec_lo, v6
	v_not_b32_e32 v9, v50
	v_ashrrev_i32_e32 v8, 31, v8
	v_xor_b32_e32 v7, vcc_lo, v7
	v_cmp_gt_i32_e32 vcc_lo, 0, v50
	v_and_b32_e32 v6, v6, v10
	v_not_b32_e32 v10, v51
	v_ashrrev_i32_e32 v9, 31, v9
	v_xor_b32_e32 v8, s19, v8
	v_lshlrev_b32_e32 v4, 24, v4
	v_and_b32_e32 v6, v6, v7
	v_cmp_gt_i32_e64 s19, 0, v51
	v_not_b32_e32 v7, v53
	v_ashrrev_i32_e32 v10, 31, v10
	v_xor_b32_e32 v9, vcc_lo, v9
	v_and_b32_e32 v6, v6, v8
	v_cmp_gt_i32_e32 vcc_lo, 0, v53
	v_not_b32_e32 v8, v4
	v_ashrrev_i32_e32 v7, 31, v7
	v_xor_b32_e32 v10, s19, v10
	v_and_b32_e32 v6, v6, v9
	v_cmp_gt_i32_e64 s19, 0, v4
	v_ashrrev_i32_e32 v4, 31, v8
	v_xor_b32_e32 v7, vcc_lo, v7
	v_lshl_add_u32 v55, v3, 2, v5
	v_and_b32_e32 v6, v6, v10
	v_xor_b32_e32 v4, s19, v4
	ds_read_b32 v50, v55 offset:128
	v_and_b32_e32 v5, v6, v7
	; wave barrier
	v_and_b32_e32 v4, v5, v4
	v_mbcnt_lo_u32_b32 v51, v4, 0
	v_cmp_ne_u32_e64 s19, 0, v4
	v_cmp_eq_u32_e32 vcc_lo, 0, v51
	s_and_b32 s20, s19, vcc_lo
	s_and_saveexec_b32 s19, s20
	s_cbranch_execz .LBB875_43
; %bb.42:
	s_waitcnt lgkmcnt(0)
	v_bcnt_u32_b32 v4, v4, v50
	ds_write_b32 v55, v4 offset:128
.LBB875_43:
	s_or_b32 exec_lo, exec_lo, s19
	v_lshrrev_b32_e32 v4, s44, v23
	; wave barrier
	v_and_b32_e32 v4, s35, v4
	v_and_b32_e32 v6, 1, v4
	v_lshlrev_b32_e32 v7, 30, v4
	v_lshlrev_b32_e32 v8, 29, v4
	v_lshlrev_b32_e32 v9, 28, v4
	v_lshlrev_b32_e32 v53, 27, v4
	v_add_co_u32 v6, s19, v6, -1
	v_cndmask_b32_e64 v10, 0, 1, s19
	v_not_b32_e32 v57, v7
	v_cmp_gt_i32_e64 s19, 0, v7
	v_not_b32_e32 v7, v8
	v_lshlrev_b32_e32 v54, 26, v4
	v_cmp_ne_u32_e32 vcc_lo, 0, v10
	v_ashrrev_i32_e32 v10, 31, v57
	v_lshlrev_b32_e32 v56, 25, v4
	v_ashrrev_i32_e32 v7, 31, v7
	v_mul_lo_u32 v5, 0x84, v4
	v_xor_b32_e32 v6, vcc_lo, v6
	v_cmp_gt_i32_e32 vcc_lo, 0, v8
	v_not_b32_e32 v8, v9
	v_xor_b32_e32 v10, s19, v10
	v_cmp_gt_i32_e64 s19, 0, v9
	v_and_b32_e32 v6, exec_lo, v6
	v_not_b32_e32 v9, v53
	v_ashrrev_i32_e32 v8, 31, v8
	v_xor_b32_e32 v7, vcc_lo, v7
	v_cmp_gt_i32_e32 vcc_lo, 0, v53
	v_and_b32_e32 v6, v6, v10
	v_not_b32_e32 v10, v54
	v_ashrrev_i32_e32 v9, 31, v9
	v_xor_b32_e32 v8, s19, v8
	v_lshlrev_b32_e32 v4, 24, v4
	v_and_b32_e32 v6, v6, v7
	v_cmp_gt_i32_e64 s19, 0, v54
	v_not_b32_e32 v7, v56
	v_ashrrev_i32_e32 v10, 31, v10
	v_xor_b32_e32 v9, vcc_lo, v9
	v_and_b32_e32 v6, v6, v8
	v_cmp_gt_i32_e32 vcc_lo, 0, v56
	v_not_b32_e32 v8, v4
	v_ashrrev_i32_e32 v7, 31, v7
	v_xor_b32_e32 v10, s19, v10
	v_and_b32_e32 v6, v6, v9
	v_cmp_gt_i32_e64 s19, 0, v4
	v_ashrrev_i32_e32 v4, 31, v8
	v_xor_b32_e32 v7, vcc_lo, v7
	v_lshl_add_u32 v58, v3, 2, v5
	v_and_b32_e32 v6, v6, v10
	v_xor_b32_e32 v4, s19, v4
	ds_read_b32 v53, v58 offset:128
	v_and_b32_e32 v5, v6, v7
	; wave barrier
	v_and_b32_e32 v4, v5, v4
	v_mbcnt_lo_u32_b32 v54, v4, 0
	v_cmp_ne_u32_e64 s19, 0, v4
	v_cmp_eq_u32_e32 vcc_lo, 0, v54
	s_and_b32 s20, s19, vcc_lo
	s_and_saveexec_b32 s19, s20
	s_cbranch_execz .LBB875_45
; %bb.44:
	s_waitcnt lgkmcnt(0)
	v_bcnt_u32_b32 v4, v4, v53
	ds_write_b32 v58, v4 offset:128
.LBB875_45:
	s_or_b32 exec_lo, exec_lo, s19
	v_lshrrev_b32_e32 v4, s44, v26
	; wave barrier
	v_and_b32_e32 v4, s35, v4
	v_and_b32_e32 v6, 1, v4
	v_lshlrev_b32_e32 v7, 30, v4
	v_lshlrev_b32_e32 v8, 29, v4
	;; [unrolled: 1-line block ×4, first 2 shown]
	v_add_co_u32 v6, s19, v6, -1
	v_cndmask_b32_e64 v10, 0, 1, s19
	v_not_b32_e32 v60, v7
	v_cmp_gt_i32_e64 s19, 0, v7
	v_not_b32_e32 v7, v8
	v_lshlrev_b32_e32 v57, 26, v4
	v_cmp_ne_u32_e32 vcc_lo, 0, v10
	v_ashrrev_i32_e32 v10, 31, v60
	v_lshlrev_b32_e32 v59, 25, v4
	v_ashrrev_i32_e32 v7, 31, v7
	v_mul_lo_u32 v5, 0x84, v4
	v_xor_b32_e32 v6, vcc_lo, v6
	v_cmp_gt_i32_e32 vcc_lo, 0, v8
	v_not_b32_e32 v8, v9
	v_xor_b32_e32 v10, s19, v10
	v_cmp_gt_i32_e64 s19, 0, v9
	v_and_b32_e32 v6, exec_lo, v6
	v_not_b32_e32 v9, v56
	v_ashrrev_i32_e32 v8, 31, v8
	v_xor_b32_e32 v7, vcc_lo, v7
	v_cmp_gt_i32_e32 vcc_lo, 0, v56
	v_and_b32_e32 v6, v6, v10
	v_not_b32_e32 v10, v57
	v_ashrrev_i32_e32 v9, 31, v9
	v_xor_b32_e32 v8, s19, v8
	v_lshlrev_b32_e32 v4, 24, v4
	v_and_b32_e32 v6, v6, v7
	v_cmp_gt_i32_e64 s19, 0, v57
	v_not_b32_e32 v7, v59
	v_ashrrev_i32_e32 v10, 31, v10
	v_xor_b32_e32 v9, vcc_lo, v9
	v_and_b32_e32 v6, v6, v8
	v_cmp_gt_i32_e32 vcc_lo, 0, v59
	v_not_b32_e32 v8, v4
	v_ashrrev_i32_e32 v7, 31, v7
	v_xor_b32_e32 v10, s19, v10
	v_and_b32_e32 v6, v6, v9
	v_cmp_gt_i32_e64 s19, 0, v4
	v_ashrrev_i32_e32 v4, 31, v8
	v_xor_b32_e32 v7, vcc_lo, v7
	v_lshl_add_u32 v61, v3, 2, v5
	v_and_b32_e32 v6, v6, v10
	v_xor_b32_e32 v4, s19, v4
	ds_read_b32 v56, v61 offset:128
	v_and_b32_e32 v5, v6, v7
	; wave barrier
	v_and_b32_e32 v4, v5, v4
	v_mbcnt_lo_u32_b32 v57, v4, 0
	v_cmp_ne_u32_e64 s19, 0, v4
	v_cmp_eq_u32_e32 vcc_lo, 0, v57
	s_and_b32 s20, s19, vcc_lo
	s_and_saveexec_b32 s19, s20
	s_cbranch_execz .LBB875_47
; %bb.46:
	s_waitcnt lgkmcnt(0)
	v_bcnt_u32_b32 v4, v4, v56
	ds_write_b32 v61, v4 offset:128
.LBB875_47:
	s_or_b32 exec_lo, exec_lo, s19
	v_lshrrev_b32_e32 v4, s44, v25
	; wave barrier
	v_and_b32_e32 v4, s35, v4
	v_and_b32_e32 v6, 1, v4
	v_lshlrev_b32_e32 v7, 30, v4
	v_lshlrev_b32_e32 v8, 29, v4
	;; [unrolled: 1-line block ×4, first 2 shown]
	v_add_co_u32 v6, s19, v6, -1
	v_cndmask_b32_e64 v10, 0, 1, s19
	v_not_b32_e32 v63, v7
	v_cmp_gt_i32_e64 s19, 0, v7
	v_not_b32_e32 v7, v8
	v_lshlrev_b32_e32 v60, 26, v4
	v_cmp_ne_u32_e32 vcc_lo, 0, v10
	v_ashrrev_i32_e32 v10, 31, v63
	v_lshlrev_b32_e32 v62, 25, v4
	v_ashrrev_i32_e32 v7, 31, v7
	v_mul_lo_u32 v5, 0x84, v4
	v_xor_b32_e32 v6, vcc_lo, v6
	v_cmp_gt_i32_e32 vcc_lo, 0, v8
	v_not_b32_e32 v8, v9
	v_xor_b32_e32 v10, s19, v10
	v_cmp_gt_i32_e64 s19, 0, v9
	v_and_b32_e32 v6, exec_lo, v6
	v_not_b32_e32 v9, v59
	v_ashrrev_i32_e32 v8, 31, v8
	v_xor_b32_e32 v7, vcc_lo, v7
	v_cmp_gt_i32_e32 vcc_lo, 0, v59
	v_and_b32_e32 v6, v6, v10
	v_not_b32_e32 v10, v60
	v_ashrrev_i32_e32 v9, 31, v9
	v_xor_b32_e32 v8, s19, v8
	v_lshlrev_b32_e32 v4, 24, v4
	v_and_b32_e32 v6, v6, v7
	v_cmp_gt_i32_e64 s19, 0, v60
	v_not_b32_e32 v7, v62
	v_ashrrev_i32_e32 v10, 31, v10
	v_xor_b32_e32 v9, vcc_lo, v9
	v_and_b32_e32 v6, v6, v8
	v_cmp_gt_i32_e32 vcc_lo, 0, v62
	v_not_b32_e32 v8, v4
	v_ashrrev_i32_e32 v7, 31, v7
	v_xor_b32_e32 v10, s19, v10
	v_and_b32_e32 v6, v6, v9
	v_cmp_gt_i32_e64 s19, 0, v4
	v_ashrrev_i32_e32 v4, 31, v8
	v_xor_b32_e32 v7, vcc_lo, v7
	v_lshl_add_u32 v62, v3, 2, v5
	v_and_b32_e32 v6, v6, v10
	v_xor_b32_e32 v3, s19, v4
	ds_read_b32 v59, v62 offset:128
	v_and_b32_e32 v4, v6, v7
	; wave barrier
	v_and_b32_e32 v3, v4, v3
	v_mbcnt_lo_u32_b32 v60, v3, 0
	v_cmp_ne_u32_e64 s19, 0, v3
	v_cmp_eq_u32_e32 vcc_lo, 0, v60
	s_and_b32 s20, s19, vcc_lo
	s_and_saveexec_b32 s19, s20
	s_cbranch_execz .LBB875_49
; %bb.48:
	s_waitcnt lgkmcnt(0)
	v_bcnt_u32_b32 v3, v3, v59
	ds_write_b32 v62, v3 offset:128
.LBB875_49:
	s_or_b32 exec_lo, exec_lo, s19
	; wave barrier
	s_waitcnt lgkmcnt(0)
	s_barrier
	buffer_gl0_inv
	ds_read2_b32 v[9:10], v30 offset0:32 offset1:33
	ds_read2_b32 v[7:8], v30 offset0:34 offset1:35
	;; [unrolled: 1-line block ×4, first 2 shown]
	ds_read_b32 v63, v30 offset:160
	v_and_b32_e32 v66, 16, v11
	v_and_b32_e32 v67, 31, v0
	s_mov_b32 s24, exec_lo
	v_cmp_eq_u32_e64 s22, 0, v66
	s_waitcnt lgkmcnt(3)
	v_add3_u32 v64, v10, v9, v7
	s_waitcnt lgkmcnt(2)
	v_add3_u32 v64, v64, v8, v5
	;; [unrolled: 2-line block ×4, first 2 shown]
	v_and_b32_e32 v64, 15, v11
	v_mov_b32_dpp v65, v63 row_shr:1 row_mask:0xf bank_mask:0xf
	v_cmp_eq_u32_e32 vcc_lo, 0, v64
	v_cmp_lt_u32_e64 s19, 1, v64
	v_cmp_lt_u32_e64 s20, 3, v64
	;; [unrolled: 1-line block ×3, first 2 shown]
	v_cndmask_b32_e64 v65, v65, 0, vcc_lo
	v_add_nc_u32_e32 v63, v65, v63
	v_mov_b32_dpp v65, v63 row_shr:2 row_mask:0xf bank_mask:0xf
	v_cndmask_b32_e64 v65, 0, v65, s19
	v_add_nc_u32_e32 v63, v63, v65
	v_mov_b32_dpp v65, v63 row_shr:4 row_mask:0xf bank_mask:0xf
	v_cndmask_b32_e64 v65, 0, v65, s20
	;; [unrolled: 3-line block ×3, first 2 shown]
	v_bfe_i32 v65, v11, 4, 1
	v_add_nc_u32_e32 v63, v63, v64
	ds_swizzle_b32 v64, v63 offset:swizzle(BROADCAST,32,15)
	s_waitcnt lgkmcnt(0)
	v_and_b32_e32 v65, v65, v64
	v_lshrrev_b32_e32 v64, 5, v0
	v_add_nc_u32_e32 v63, v63, v65
	v_cmpx_eq_u32_e32 31, v67
; %bb.50:
	v_lshlrev_b32_e32 v65, 2, v64
	ds_write_b32 v65, v63
; %bb.51:
	s_or_b32 exec_lo, exec_lo, s24
	v_cmp_lt_u32_e64 s23, 31, v0
	s_mov_b32 s48, exec_lo
	s_waitcnt lgkmcnt(0)
	s_barrier
	buffer_gl0_inv
	v_cmpx_gt_u32_e32 32, v0
	s_cbranch_execz .LBB875_53
; %bb.52:
	v_lshlrev_b32_e32 v65, 2, v0
	ds_read_b32 v66, v65
	s_waitcnt lgkmcnt(0)
	v_mov_b32_dpp v67, v66 row_shr:1 row_mask:0xf bank_mask:0xf
	v_cndmask_b32_e64 v67, v67, 0, vcc_lo
	v_add_nc_u32_e32 v66, v67, v66
	v_mov_b32_dpp v67, v66 row_shr:2 row_mask:0xf bank_mask:0xf
	v_cndmask_b32_e64 v67, 0, v67, s19
	v_add_nc_u32_e32 v66, v66, v67
	v_mov_b32_dpp v67, v66 row_shr:4 row_mask:0xf bank_mask:0xf
	v_cndmask_b32_e64 v67, 0, v67, s20
	;; [unrolled: 3-line block ×3, first 2 shown]
	v_add_nc_u32_e32 v66, v66, v67
	ds_swizzle_b32 v67, v66 offset:swizzle(BROADCAST,32,15)
	s_waitcnt lgkmcnt(0)
	v_cndmask_b32_e64 v67, v67, 0, s22
	v_add_nc_u32_e32 v66, v66, v67
	ds_write_b32 v65, v66
.LBB875_53:
	s_or_b32 exec_lo, exec_lo, s48
	v_mov_b32_e32 v65, 0
	s_waitcnt lgkmcnt(0)
	s_barrier
	buffer_gl0_inv
	s_and_saveexec_b32 s19, s23
; %bb.54:
	v_lshl_add_u32 v64, v64, 2, -4
	ds_read_b32 v65, v64
; %bb.55:
	s_or_b32 exec_lo, exec_lo, s19
	v_sub_co_u32 v64, vcc_lo, v11, 1
	s_waitcnt lgkmcnt(0)
	v_add_nc_u32_e32 v63, v65, v63
	v_cmp_gt_i32_e64 s19, 0, v64
	v_cndmask_b32_e64 v64, v64, v11, s19
	v_cmp_lt_u32_e64 s19, 0xff, v0
	v_lshlrev_b32_e32 v64, 2, v64
	ds_bpermute_b32 v63, v64, v63
	s_waitcnt lgkmcnt(0)
	v_cndmask_b32_e32 v63, v63, v65, vcc_lo
	v_cmp_ne_u32_e32 vcc_lo, 0, v0
	v_cndmask_b32_e32 v63, 0, v63, vcc_lo
	v_cmp_gt_u32_e32 vcc_lo, 0x100, v0
	v_add_nc_u32_e32 v9, v63, v9
	v_add_nc_u32_e32 v10, v9, v10
	;; [unrolled: 1-line block ×8, first 2 shown]
	ds_write2_b32 v30, v63, v9 offset0:32 offset1:33
	ds_write2_b32 v30, v10, v7 offset0:34 offset1:35
	;; [unrolled: 1-line block ×4, first 2 shown]
	ds_write_b32 v30, v4 offset:160
	s_waitcnt lgkmcnt(0)
	s_barrier
	buffer_gl0_inv
	ds_read_b32 v31, v31 offset:128
	ds_read_b32 v34, v34 offset:128
	ds_read_b32 v37, v37 offset:128
	ds_read_b32 v40, v40 offset:128
	ds_read_b32 v43, v43 offset:128
	ds_read_b32 v46, v46 offset:128
	ds_read_b32 v49, v49 offset:128
	ds_read_b32 v52, v52 offset:128
	ds_read_b32 v55, v55 offset:128
	ds_read_b32 v58, v58 offset:128
	ds_read_b32 v61, v61 offset:128
	ds_read_b32 v62, v62 offset:128
                                        ; implicit-def: $vgpr9
                                        ; implicit-def: $vgpr10
	s_and_saveexec_b32 s21, vcc_lo
	s_cbranch_execz .LBB875_59
; %bb.56:
	v_mul_u32_u24_e32 v3, 0x84, v0
	v_add_nc_u32_e32 v4, 1, v0
	s_mov_b32 s22, exec_lo
	ds_read_b32 v9, v3 offset:128
	v_mov_b32_e32 v3, 0x3000
	v_cmpx_ne_u32_e32 0x100, v4
; %bb.57:
	v_mul_u32_u24_e32 v3, 0x84, v4
	ds_read_b32 v3, v3 offset:128
; %bb.58:
	s_or_b32 exec_lo, exec_lo, s22
	s_waitcnt lgkmcnt(0)
	v_sub_nc_u32_e32 v10, v3, v9
.LBB875_59:
	s_or_b32 exec_lo, exec_lo, s21
	v_mov_b32_e32 v4, 0
	v_lshlrev_b32_e32 v30, 2, v0
	s_waitcnt lgkmcnt(0)
	s_barrier
	buffer_gl0_inv
	s_and_saveexec_b32 s20, vcc_lo
	s_cbranch_execz .LBB875_69
; %bb.60:
	v_lshl_add_u32 v3, s6, 8, v0
	v_mov_b32_e32 v63, 0
	s_mov_b32 s21, 0
	s_mov_b32 s22, s6
                                        ; implicit-def: $sgpr23
	v_lshlrev_b64 v[5:6], 2, v[3:4]
	v_or_b32_e32 v3, 2.0, v10
	v_add_co_u32 v5, vcc_lo, s26, v5
	v_add_co_ci_u32_e64 v6, null, s27, v6, vcc_lo
	global_store_dword v[5:6], v3, off
	s_branch .LBB875_63
	.p2align	6
.LBB875_61:                             ;   in Loop: Header=BB875_63 Depth=1
	s_or_b32 exec_lo, exec_lo, s24
.LBB875_62:                             ;   in Loop: Header=BB875_63 Depth=1
	s_or_b32 exec_lo, exec_lo, s23
	v_and_b32_e32 v7, 0x3fffffff, v3
	v_cmp_gt_i32_e64 s23, -2.0, v3
	v_add_nc_u32_e32 v63, v7, v63
	s_and_b32 s24, exec_lo, s23
	s_or_b32 s21, s24, s21
	s_andn2_b32 exec_lo, exec_lo, s21
	s_cbranch_execz .LBB875_68
.LBB875_63:                             ; =>This Loop Header: Depth=1
                                        ;     Child Loop BB875_66 Depth 2
	s_or_b32 s23, s23, exec_lo
	s_cmp_eq_u32 s22, 0
	s_cbranch_scc1 .LBB875_67
; %bb.64:                               ;   in Loop: Header=BB875_63 Depth=1
	s_add_i32 s22, s22, -1
	s_mov_b32 s23, exec_lo
	v_lshl_or_b32 v3, s22, 8, v0
	v_lshlrev_b64 v[7:8], 2, v[3:4]
	v_add_co_u32 v7, vcc_lo, s26, v7
	v_add_co_ci_u32_e64 v8, null, s27, v8, vcc_lo
	global_load_dword v3, v[7:8], off glc dlc
	s_waitcnt vmcnt(0)
	v_cmpx_gt_u32_e32 2.0, v3
	s_cbranch_execz .LBB875_62
; %bb.65:                               ;   in Loop: Header=BB875_63 Depth=1
	s_mov_b32 s24, 0
.LBB875_66:                             ;   Parent Loop BB875_63 Depth=1
                                        ; =>  This Inner Loop Header: Depth=2
	global_load_dword v3, v[7:8], off glc dlc
	s_waitcnt vmcnt(0)
	v_cmp_lt_u32_e32 vcc_lo, 0x3fffffff, v3
	s_or_b32 s24, vcc_lo, s24
	s_andn2_b32 exec_lo, exec_lo, s24
	s_cbranch_execnz .LBB875_66
	s_branch .LBB875_61
.LBB875_67:                             ;   in Loop: Header=BB875_63 Depth=1
                                        ; implicit-def: $sgpr22
	s_and_b32 s24, exec_lo, s23
	s_or_b32 s21, s24, s21
	s_andn2_b32 exec_lo, exec_lo, s21
	s_cbranch_execnz .LBB875_63
.LBB875_68:
	s_or_b32 exec_lo, exec_lo, s21
	v_add_nc_u32_e32 v3, v63, v10
	v_sub_nc_u32_e32 v4, v63, v9
	v_or_b32_e32 v3, 0x80000000, v3
	global_store_dword v[5:6], v3, off
	global_load_dword v3, v30, s[28:29]
	s_waitcnt vmcnt(0)
	v_add_nc_u32_e32 v3, v4, v3
	ds_write_b32 v30, v3
.LBB875_69:
	s_or_b32 exec_lo, exec_lo, s20
	v_add_nc_u32_e32 v5, v31, v27
	v_add3_u32 v6, v29, v28, v34
	v_add3_u32 v7, v33, v32, v37
	;; [unrolled: 1-line block ×11, first 2 shown]
	v_mov_b32_e32 v4, 0
	v_mov_b32_e32 v36, v5
	;; [unrolled: 1-line block ×14, first 2 shown]
	s_mov_b32 s20, 32
	s_mov_b32 s22, 0
	s_mov_b32 s21, -1
	s_branch .LBB875_71
.LBB875_70:                             ;   in Loop: Header=BB875_71 Depth=1
	s_or_b32 exec_lo, exec_lo, s23
	v_add_nc_u32_e32 v48, 0x2000, v48
	v_add_nc_u32_e32 v47, 0xffffe000, v47
	;; [unrolled: 1-line block ×13, first 2 shown]
	s_xor_b32 s22, s21, -1
	s_mov_b32 s21, 0
	s_and_b32 vcc_lo, exec_lo, s22
	s_mov_b32 s22, s20
	s_waitcnt_vscnt null, 0x0
	s_barrier
	buffer_gl0_inv
	s_cbranch_vccnz .LBB875_87
.LBB875_71:                             ; =>This Inner Loop Header: Depth=1
	v_min_u32_e32 v3, 0x2000, v36
	v_min_u32_e32 v49, 0x2000, v37
	v_min_u32_e32 v50, 0x2000, v38
	v_min_u32_e32 v51, 0x2000, v39
	v_min_u32_e32 v52, 0x2000, v40
	v_lshlrev_b32_e32 v3, 2, v3
	v_lshlrev_b32_e32 v49, 2, v49
	v_min_u32_e32 v53, 0x2000, v41
	v_lshlrev_b32_e32 v50, 2, v50
	s_mov_b32 s23, exec_lo
	ds_write_b32 v3, v16 offset:1024
	ds_write_b32 v49, v15 offset:1024
	v_min_u32_e32 v3, 0x2000, v42
	v_lshlrev_b32_e32 v49, 2, v51
	v_lshlrev_b32_e32 v51, 2, v52
	;; [unrolled: 1-line block ×3, first 2 shown]
	ds_write_b32 v50, v18 offset:1024
	v_lshlrev_b32_e32 v3, 2, v3
	ds_write_b32 v49, v17 offset:1024
	ds_write_b32 v51, v20 offset:1024
	;; [unrolled: 1-line block ×3, first 2 shown]
	v_min_u32_e32 v49, 0x2000, v43
	v_min_u32_e32 v50, 0x2000, v45
	;; [unrolled: 1-line block ×3, first 2 shown]
	ds_write_b32 v3, v22 offset:1024
	v_min_u32_e32 v3, 0x2000, v44
	v_lshlrev_b32_e32 v49, 2, v49
	v_min_u32_e32 v52, 0x2000, v47
	v_lshlrev_b32_e32 v50, 2, v50
	v_lshlrev_b32_e32 v51, 2, v51
	;; [unrolled: 1-line block ×3, first 2 shown]
	ds_write_b32 v49, v21 offset:1024
	v_lshlrev_b32_e32 v49, 2, v52
	ds_write_b32 v3, v24 offset:1024
	ds_write_b32 v50, v23 offset:1024
	;; [unrolled: 1-line block ×4, first 2 shown]
	s_waitcnt lgkmcnt(0)
	s_waitcnt_vscnt null, 0x0
	s_barrier
	buffer_gl0_inv
	v_cmpx_gt_u32_e64 s25, v48
	s_cbranch_execz .LBB875_73
; %bb.72:                               ;   in Loop: Header=BB875_71 Depth=1
	ds_read_b32 v51, v30 offset:1024
	s_waitcnt lgkmcnt(0)
	v_lshrrev_b32_e32 v3, s44, v51
	v_and_b32_e32 v52, s35, v3
	v_lshlrev_b32_e32 v3, 2, v52
	ds_read_b32 v3, v3
	s_waitcnt lgkmcnt(0)
	v_add_nc_u32_e32 v3, v48, v3
	v_lshlrev_b64 v[49:50], 2, v[3:4]
	v_xor_b32_e32 v3, 0x80000000, v51
	v_mov_b32_e32 v51, s22
	v_add_co_u32 v49, vcc_lo, s38, v49
	v_add_co_ci_u32_e64 v50, null, s39, v50, vcc_lo
	buffer_store_dword v52, v51, s[0:3], 0 offen
	global_store_dword v[49:50], v3, off
.LBB875_73:                             ;   in Loop: Header=BB875_71 Depth=1
	s_or_b32 exec_lo, exec_lo, s23
	v_add_nc_u32_e32 v3, 0x400, v48
	s_mov_b32 s23, exec_lo
	v_cmpx_gt_u32_e64 s25, v3
	s_cbranch_execz .LBB875_75
; %bb.74:                               ;   in Loop: Header=BB875_71 Depth=1
	ds_read_b32 v51, v30 offset:5120
	s_waitcnt lgkmcnt(0)
	v_lshrrev_b32_e32 v3, s44, v51
	v_and_b32_e32 v52, s35, v3
	v_lshlrev_b32_e32 v3, 2, v52
	ds_read_b32 v3, v3
	s_waitcnt lgkmcnt(0)
	v_add3_u32 v3, v48, v3, 0x400
	v_lshlrev_b64 v[49:50], 2, v[3:4]
	v_xor_b32_e32 v3, 0x80000000, v51
	v_mov_b32_e32 v51, s22
	v_add_co_u32 v49, vcc_lo, s38, v49
	v_add_co_ci_u32_e64 v50, null, s39, v50, vcc_lo
	buffer_store_dword v52, v51, s[0:3], 0 offen offset:4
	global_store_dword v[49:50], v3, off
.LBB875_75:                             ;   in Loop: Header=BB875_71 Depth=1
	s_or_b32 exec_lo, exec_lo, s23
	v_add_nc_u32_e32 v3, 0x800, v48
	s_mov_b32 s23, exec_lo
	v_cmpx_gt_u32_e64 s25, v3
	s_cbranch_execz .LBB875_77
; %bb.76:                               ;   in Loop: Header=BB875_71 Depth=1
	ds_read_b32 v51, v30 offset:9216
	s_waitcnt lgkmcnt(0)
	v_lshrrev_b32_e32 v3, s44, v51
	v_and_b32_e32 v52, s35, v3
	v_lshlrev_b32_e32 v3, 2, v52
	ds_read_b32 v3, v3
	s_waitcnt lgkmcnt(0)
	v_add3_u32 v3, v48, v3, 0x800
	v_lshlrev_b64 v[49:50], 2, v[3:4]
	v_xor_b32_e32 v3, 0x80000000, v51
	v_mov_b32_e32 v51, s22
	v_add_co_u32 v49, vcc_lo, s38, v49
	v_add_co_ci_u32_e64 v50, null, s39, v50, vcc_lo
	buffer_store_dword v52, v51, s[0:3], 0 offen offset:8
	global_store_dword v[49:50], v3, off
.LBB875_77:                             ;   in Loop: Header=BB875_71 Depth=1
	;; [unrolled: 22-line block ×6, first 2 shown]
	s_or_b32 exec_lo, exec_lo, s23
	v_add_nc_u32_e32 v3, 0x1c00, v48
	s_mov_b32 s23, exec_lo
	v_cmpx_gt_u32_e64 s25, v3
	s_cbranch_execz .LBB875_70
; %bb.86:                               ;   in Loop: Header=BB875_71 Depth=1
	ds_read_b32 v51, v30 offset:29696
	s_waitcnt lgkmcnt(0)
	v_lshrrev_b32_e32 v3, s44, v51
	v_and_b32_e32 v52, s35, v3
	v_lshlrev_b32_e32 v3, 2, v52
	ds_read_b32 v3, v3
	s_waitcnt lgkmcnt(0)
	v_add3_u32 v3, v48, v3, 0x1c00
	v_lshlrev_b64 v[49:50], 2, v[3:4]
	v_xor_b32_e32 v3, 0x80000000, v51
	v_mov_b32_e32 v51, s22
	v_add_co_u32 v49, vcc_lo, s38, v49
	v_add_co_ci_u32_e64 v50, null, s39, v50, vcc_lo
	buffer_store_dword v52, v51, s[0:3], 0 offen offset:28
	global_store_dword v[49:50], v3, off
	s_branch .LBB875_70
.LBB875_87:
	s_add_u32 s21, s40, s46
	s_addc_u32 s22, s41, s47
	v_add_co_u32 v3, s21, s21, v13
	v_add_co_ci_u32_e64 v4, null, s22, 0, s21
                                        ; implicit-def: $vgpr13
	v_add_co_u32 v3, vcc_lo, v3, v14
	v_add_co_ci_u32_e64 v4, null, 0, v4, vcc_lo
	s_and_saveexec_b32 s21, s7
	s_cbranch_execz .LBB875_99
; %bb.88:
	global_load_dword v13, v[3:4], off
	s_or_b32 exec_lo, exec_lo, s21
                                        ; implicit-def: $vgpr14
	s_and_saveexec_b32 s7, s8
	s_cbranch_execnz .LBB875_100
.LBB875_89:
	s_or_b32 exec_lo, exec_lo, s7
                                        ; implicit-def: $vgpr15
	s_and_saveexec_b32 s7, s9
	s_cbranch_execz .LBB875_101
.LBB875_90:
	global_load_dword v15, v[3:4], off offset:256
	s_or_b32 exec_lo, exec_lo, s7
                                        ; implicit-def: $vgpr16
	s_and_saveexec_b32 s7, s10
	s_cbranch_execnz .LBB875_102
.LBB875_91:
	s_or_b32 exec_lo, exec_lo, s7
                                        ; implicit-def: $vgpr17
	s_and_saveexec_b32 s7, s11
	s_cbranch_execz .LBB875_103
.LBB875_92:
	global_load_dword v17, v[3:4], off offset:512
	s_or_b32 exec_lo, exec_lo, s7
                                        ; implicit-def: $vgpr18
	s_and_saveexec_b32 s7, s12
	s_cbranch_execnz .LBB875_104
.LBB875_93:
	s_or_b32 exec_lo, exec_lo, s7
                                        ; implicit-def: $vgpr19
	s_and_saveexec_b32 s7, s13
	s_cbranch_execz .LBB875_105
.LBB875_94:
	global_load_dword v19, v[3:4], off offset:768
	s_or_b32 exec_lo, exec_lo, s7
                                        ; implicit-def: $vgpr20
	s_and_saveexec_b32 s7, s14
	s_cbranch_execnz .LBB875_106
.LBB875_95:
	s_or_b32 exec_lo, exec_lo, s7
                                        ; implicit-def: $vgpr21
	s_and_saveexec_b32 s7, s15
	s_cbranch_execz .LBB875_107
.LBB875_96:
	global_load_dword v21, v[3:4], off offset:1024
	s_or_b32 exec_lo, exec_lo, s7
                                        ; implicit-def: $vgpr22
	s_and_saveexec_b32 s7, s16
	s_cbranch_execnz .LBB875_108
.LBB875_97:
	s_or_b32 exec_lo, exec_lo, s7
                                        ; implicit-def: $vgpr23
	s_and_saveexec_b32 s7, s17
	s_cbranch_execz .LBB875_109
.LBB875_98:
	global_load_dword v23, v[3:4], off offset:1280
	s_or_b32 exec_lo, exec_lo, s7
                                        ; implicit-def: $vgpr24
	s_and_saveexec_b32 s7, s18
	s_cbranch_execnz .LBB875_110
	s_branch .LBB875_111
.LBB875_99:
	s_or_b32 exec_lo, exec_lo, s21
                                        ; implicit-def: $vgpr14
	s_and_saveexec_b32 s7, s8
	s_cbranch_execz .LBB875_89
.LBB875_100:
	global_load_dword v14, v[3:4], off offset:128
	s_or_b32 exec_lo, exec_lo, s7
                                        ; implicit-def: $vgpr15
	s_and_saveexec_b32 s7, s9
	s_cbranch_execnz .LBB875_90
.LBB875_101:
	s_or_b32 exec_lo, exec_lo, s7
                                        ; implicit-def: $vgpr16
	s_and_saveexec_b32 s7, s10
	s_cbranch_execz .LBB875_91
.LBB875_102:
	global_load_dword v16, v[3:4], off offset:384
	s_or_b32 exec_lo, exec_lo, s7
                                        ; implicit-def: $vgpr17
	s_and_saveexec_b32 s7, s11
	s_cbranch_execnz .LBB875_92
.LBB875_103:
	s_or_b32 exec_lo, exec_lo, s7
                                        ; implicit-def: $vgpr18
	s_and_saveexec_b32 s7, s12
	s_cbranch_execz .LBB875_93
.LBB875_104:
	global_load_dword v18, v[3:4], off offset:640
	s_or_b32 exec_lo, exec_lo, s7
                                        ; implicit-def: $vgpr19
	s_and_saveexec_b32 s7, s13
	s_cbranch_execnz .LBB875_94
.LBB875_105:
	s_or_b32 exec_lo, exec_lo, s7
                                        ; implicit-def: $vgpr20
	s_and_saveexec_b32 s7, s14
	s_cbranch_execz .LBB875_95
.LBB875_106:
	global_load_dword v20, v[3:4], off offset:896
	s_or_b32 exec_lo, exec_lo, s7
                                        ; implicit-def: $vgpr21
	s_and_saveexec_b32 s7, s15
	s_cbranch_execnz .LBB875_96
.LBB875_107:
	s_or_b32 exec_lo, exec_lo, s7
                                        ; implicit-def: $vgpr22
	s_and_saveexec_b32 s7, s16
	s_cbranch_execz .LBB875_97
.LBB875_108:
	global_load_dword v22, v[3:4], off offset:1152
	s_or_b32 exec_lo, exec_lo, s7
                                        ; implicit-def: $vgpr23
	s_and_saveexec_b32 s7, s17
	s_cbranch_execnz .LBB875_98
.LBB875_109:
	s_or_b32 exec_lo, exec_lo, s7
                                        ; implicit-def: $vgpr24
	s_and_saveexec_b32 s7, s18
	s_cbranch_execz .LBB875_111
.LBB875_110:
	global_load_dword v24, v[3:4], off offset:1408
.LBB875_111:
	s_or_b32 exec_lo, exec_lo, s7
	v_mov_b32_e32 v4, 0
	v_mov_b32_e32 v25, v0
	s_mov_b32 s8, 0
	s_mov_b32 s7, -1
	s_branch .LBB875_113
.LBB875_112:                            ;   in Loop: Header=BB875_113 Depth=1
	s_or_b32 exec_lo, exec_lo, s9
	v_add_nc_u32_e32 v25, 0x2000, v25
	v_add_nc_u32_e32 v35, 0xffffe000, v35
	;; [unrolled: 1-line block ×13, first 2 shown]
	s_xor_b32 s8, s7, -1
	s_mov_b32 s7, 0
	s_and_b32 vcc_lo, exec_lo, s8
	s_mov_b32 s8, s20
	s_waitcnt_vscnt null, 0x0
	s_barrier
	buffer_gl0_inv
	s_cbranch_vccnz .LBB875_129
.LBB875_113:                            ; =>This Inner Loop Header: Depth=1
	v_min_u32_e32 v3, 0x2000, v5
	v_min_u32_e32 v26, 0x2000, v6
	;; [unrolled: 1-line block ×5, first 2 shown]
	v_lshlrev_b32_e32 v3, 2, v3
	v_lshlrev_b32_e32 v26, 2, v26
	v_min_u32_e32 v39, 0x2000, v28
	v_lshlrev_b32_e32 v36, 2, v36
	s_mov_b32 s9, exec_lo
	s_waitcnt vmcnt(0)
	ds_write_b32 v3, v13 offset:1024
	ds_write_b32 v26, v14 offset:1024
	v_min_u32_e32 v3, 0x2000, v29
	v_lshlrev_b32_e32 v26, 2, v37
	v_lshlrev_b32_e32 v37, 2, v38
	;; [unrolled: 1-line block ×3, first 2 shown]
	ds_write_b32 v36, v15 offset:1024
	v_lshlrev_b32_e32 v3, 2, v3
	ds_write_b32 v26, v16 offset:1024
	ds_write_b32 v37, v17 offset:1024
	;; [unrolled: 1-line block ×3, first 2 shown]
	v_min_u32_e32 v26, 0x2000, v31
	v_min_u32_e32 v36, 0x2000, v33
	;; [unrolled: 1-line block ×3, first 2 shown]
	ds_write_b32 v3, v19 offset:1024
	v_min_u32_e32 v3, 0x2000, v32
	v_lshlrev_b32_e32 v26, 2, v26
	v_min_u32_e32 v38, 0x2000, v35
	v_lshlrev_b32_e32 v36, 2, v36
	v_lshlrev_b32_e32 v37, 2, v37
	;; [unrolled: 1-line block ×3, first 2 shown]
	ds_write_b32 v26, v20 offset:1024
	v_lshlrev_b32_e32 v26, 2, v38
	ds_write_b32 v3, v21 offset:1024
	ds_write_b32 v36, v22 offset:1024
	;; [unrolled: 1-line block ×4, first 2 shown]
	s_waitcnt lgkmcnt(0)
	s_barrier
	buffer_gl0_inv
	v_cmpx_gt_u32_e64 s25, v25
	s_cbranch_execz .LBB875_115
; %bb.114:                              ;   in Loop: Header=BB875_113 Depth=1
	v_mov_b32_e32 v3, s8
	buffer_load_dword v3, v3, s[0:3], 0 offen
	s_waitcnt vmcnt(0)
	v_lshlrev_b32_e32 v3, 2, v3
	ds_read_b32 v3, v3
	ds_read_b32 v26, v30 offset:1024
	s_waitcnt lgkmcnt(1)
	v_add_nc_u32_e32 v3, v25, v3
	v_lshlrev_b64 v[36:37], 2, v[3:4]
	v_add_co_u32 v36, vcc_lo, s42, v36
	v_add_co_ci_u32_e64 v37, null, s43, v37, vcc_lo
	s_waitcnt lgkmcnt(0)
	global_store_dword v[36:37], v26, off
.LBB875_115:                            ;   in Loop: Header=BB875_113 Depth=1
	s_or_b32 exec_lo, exec_lo, s9
	v_add_nc_u32_e32 v3, 0x400, v25
	s_mov_b32 s9, exec_lo
	v_cmpx_gt_u32_e64 s25, v3
	s_cbranch_execz .LBB875_117
; %bb.116:                              ;   in Loop: Header=BB875_113 Depth=1
	v_mov_b32_e32 v3, s8
	buffer_load_dword v3, v3, s[0:3], 0 offen offset:4
	s_waitcnt vmcnt(0)
	v_lshlrev_b32_e32 v3, 2, v3
	ds_read_b32 v3, v3
	ds_read_b32 v26, v30 offset:5120
	s_waitcnt lgkmcnt(1)
	v_add3_u32 v3, v25, v3, 0x400
	v_lshlrev_b64 v[36:37], 2, v[3:4]
	v_add_co_u32 v36, vcc_lo, s42, v36
	v_add_co_ci_u32_e64 v37, null, s43, v37, vcc_lo
	s_waitcnt lgkmcnt(0)
	global_store_dword v[36:37], v26, off
.LBB875_117:                            ;   in Loop: Header=BB875_113 Depth=1
	s_or_b32 exec_lo, exec_lo, s9
	v_add_nc_u32_e32 v3, 0x800, v25
	s_mov_b32 s9, exec_lo
	v_cmpx_gt_u32_e64 s25, v3
	s_cbranch_execz .LBB875_119
; %bb.118:                              ;   in Loop: Header=BB875_113 Depth=1
	v_mov_b32_e32 v3, s8
	buffer_load_dword v3, v3, s[0:3], 0 offen offset:8
	s_waitcnt vmcnt(0)
	v_lshlrev_b32_e32 v3, 2, v3
	ds_read_b32 v3, v3
	ds_read_b32 v26, v30 offset:9216
	s_waitcnt lgkmcnt(1)
	v_add3_u32 v3, v25, v3, 0x800
	v_lshlrev_b64 v[36:37], 2, v[3:4]
	v_add_co_u32 v36, vcc_lo, s42, v36
	v_add_co_ci_u32_e64 v37, null, s43, v37, vcc_lo
	s_waitcnt lgkmcnt(0)
	global_store_dword v[36:37], v26, off
.LBB875_119:                            ;   in Loop: Header=BB875_113 Depth=1
	;; [unrolled: 20-line block ×6, first 2 shown]
	s_or_b32 exec_lo, exec_lo, s9
	v_add_nc_u32_e32 v3, 0x1c00, v25
	s_mov_b32 s9, exec_lo
	v_cmpx_gt_u32_e64 s25, v3
	s_cbranch_execz .LBB875_112
; %bb.128:                              ;   in Loop: Header=BB875_113 Depth=1
	v_mov_b32_e32 v3, s8
	buffer_load_dword v3, v3, s[0:3], 0 offen offset:28
	s_waitcnt vmcnt(0)
	v_lshlrev_b32_e32 v3, 2, v3
	ds_read_b32 v3, v3
	ds_read_b32 v26, v30 offset:29696
	s_waitcnt lgkmcnt(1)
	v_add3_u32 v3, v25, v3, 0x1c00
	v_lshlrev_b64 v[36:37], 2, v[3:4]
	v_add_co_u32 v36, vcc_lo, s42, v36
	v_add_co_ci_u32_e64 v37, null, s43, v37, vcc_lo
	s_waitcnt lgkmcnt(0)
	global_store_dword v[36:37], v26, off
	s_branch .LBB875_112
.LBB875_129:
	s_add_i32 s33, s33, -1
	s_cmp_eq_u32 s6, s33
	s_cselect_b32 s7, -1, 0
	s_xor_b32 s8, s19, -1
	s_and_b32 s8, s8, s7
	s_and_saveexec_b32 s7, s8
	s_cbranch_execz .LBB875_131
; %bb.130:
	ds_read_b32 v3, v30
	s_waitcnt lgkmcnt(0)
	v_add3_u32 v3, v9, v10, v3
	global_store_dword v30, v3, s[30:31]
.LBB875_131:
	s_or_b32 exec_lo, exec_lo, s7
	s_mov_b32 s7, 0
.LBB875_132:
	s_and_b32 vcc_lo, exec_lo, s7
	s_cbranch_vccz .LBB875_199
; %bb.133:
	s_mov_b32 s35, 0
	v_mul_u32_u24_e32 v3, 12, v12
	v_lshlrev_b32_e32 v9, 2, v11
	s_lshl_b64 s[12:13], s[34:35], 2
	v_mov_b32_e32 v22, 0
	s_add_u32 s7, s36, s12
	s_addc_u32 s8, s37, s13
	v_lshlrev_b32_e32 v10, 2, v3
	v_add_co_u32 v3, s7, s7, v9
	v_add_co_ci_u32_e64 v4, null, s8, 0, s7
	v_add_co_u32 v18, vcc_lo, v3, v10
	v_add_co_ci_u32_e64 v19, null, 0, v4, vcc_lo
	global_load_dword v12, v[18:19], off
	s_clause 0x1
	s_load_dword s7, s[4:5], 0x64
	s_load_dword s11, s[4:5], 0x58
	s_add_u32 s4, s4, 0x58
	s_addc_u32 s5, s5, 0
	s_waitcnt lgkmcnt(0)
	s_lshr_b32 s7, s7, 16
	s_cmp_lt_u32 s6, s11
	v_mad_u32_u24 v1, v2, s7, v1
	s_cselect_b32 s8, 12, 18
	s_add_u32 s4, s4, s8
	s_addc_u32 s5, s5, 0
	global_load_ushort v16, v22, s[4:5]
	s_clause 0xa
	global_load_dword v13, v[18:19], off offset:128
	global_load_dword v14, v[18:19], off offset:256
	;; [unrolled: 1-line block ×11, first 2 shown]
	s_lshl_b32 s4, -1, s45
	s_not_b32 s14, s4
	s_waitcnt vmcnt(12)
	v_xor_b32_e32 v12, 0x80000000, v12
	v_lshrrev_b32_e32 v18, s44, v12
	v_and_b32_e32 v18, s14, v18
	v_and_b32_e32 v19, 1, v18
	v_lshlrev_b32_e32 v21, 30, v18
	v_lshlrev_b32_e32 v23, 29, v18
	;; [unrolled: 1-line block ×4, first 2 shown]
	v_add_co_u32 v19, s4, v19, -1
	v_cndmask_b32_e64 v25, 0, 1, s4
	v_not_b32_e32 v29, v21
	v_cmp_gt_i32_e64 s4, 0, v21
	v_not_b32_e32 v21, v23
	v_lshlrev_b32_e32 v27, 26, v18
	v_cmp_ne_u32_e32 vcc_lo, 0, v25
	v_ashrrev_i32_e32 v29, 31, v29
	v_lshlrev_b32_e32 v28, 25, v18
	v_ashrrev_i32_e32 v21, 31, v21
	v_lshlrev_b32_e32 v25, 24, v18
	v_xor_b32_e32 v19, vcc_lo, v19
	v_cmp_gt_i32_e32 vcc_lo, 0, v23
	v_not_b32_e32 v23, v24
	v_xor_b32_e32 v29, s4, v29
	v_cmp_gt_i32_e64 s4, 0, v24
	v_and_b32_e32 v19, exec_lo, v19
	v_not_b32_e32 v24, v26
	v_ashrrev_i32_e32 v23, 31, v23
	v_xor_b32_e32 v21, vcc_lo, v21
	v_cmp_gt_i32_e32 vcc_lo, 0, v26
	v_and_b32_e32 v19, v19, v29
	v_not_b32_e32 v26, v27
	v_ashrrev_i32_e32 v24, 31, v24
	v_xor_b32_e32 v23, s4, v23
	v_cmp_gt_i32_e64 s4, 0, v27
	v_and_b32_e32 v19, v19, v21
	v_not_b32_e32 v21, v28
	v_ashrrev_i32_e32 v26, 31, v26
	v_xor_b32_e32 v24, vcc_lo, v24
	v_cmp_gt_i32_e32 vcc_lo, 0, v28
	v_and_b32_e32 v19, v19, v23
	v_not_b32_e32 v23, v25
	v_ashrrev_i32_e32 v21, 31, v21
	v_xor_b32_e32 v26, s4, v26
	v_cmp_gt_i32_e64 s4, 0, v25
	v_and_b32_e32 v19, v19, v24
	v_ashrrev_i32_e32 v23, 31, v23
	v_xor_b32_e32 v21, vcc_lo, v21
	s_waitcnt vmcnt(11)
	v_mad_u64_u32 v[1:2], null, v1, v16, v[0:1]
	v_and_b32_e32 v19, v19, v26
	v_xor_b32_e32 v23, s4, v23
	v_mul_lo_u32 v18, 0x84, v18
	v_and_b32_e32 v19, v19, v21
	v_mul_u32_u24_e32 v21, 36, v0
	v_lshrrev_b32_e32 v1, 5, v1
	ds_write2_b32 v21, v22, v22 offset0:32 offset1:33
	ds_write2_b32 v21, v22, v22 offset0:34 offset1:35
	;; [unrolled: 1-line block ×3, first 2 shown]
	v_and_b32_e32 v2, v19, v23
	ds_write2_b32 v21, v22, v22 offset0:38 offset1:39
	ds_write_b32 v21, v22 offset:160
	v_lshl_add_u32 v22, v1, 2, v18
	s_waitcnt vmcnt(0) lgkmcnt(0)
	s_waitcnt_vscnt null, 0x0
	s_barrier
	v_mbcnt_lo_u32_b32 v16, v2, 0
	v_cmp_ne_u32_e64 s4, 0, v2
	buffer_gl0_inv
	; wave barrier
	v_cmp_eq_u32_e32 vcc_lo, 0, v16
	s_and_b32 s5, s4, vcc_lo
	s_and_saveexec_b32 s4, s5
; %bb.134:
	v_bcnt_u32_b32 v2, v2, 0
	ds_write_b32 v22, v2 offset:128
; %bb.135:
	s_or_b32 exec_lo, exec_lo, s4
	v_xor_b32_e32 v13, 0x80000000, v13
	; wave barrier
	v_lshrrev_b32_e32 v2, s44, v13
	v_and_b32_e32 v2, s14, v2
	v_and_b32_e32 v19, 1, v2
	v_lshlrev_b32_e32 v23, 30, v2
	v_lshlrev_b32_e32 v24, 29, v2
	;; [unrolled: 1-line block ×4, first 2 shown]
	v_add_co_u32 v19, s4, v19, -1
	v_cndmask_b32_e64 v26, 0, 1, s4
	v_not_b32_e32 v30, v23
	v_cmp_gt_i32_e64 s4, 0, v23
	v_not_b32_e32 v23, v24
	v_lshlrev_b32_e32 v28, 26, v2
	v_cmp_ne_u32_e32 vcc_lo, 0, v26
	v_ashrrev_i32_e32 v26, 31, v30
	v_lshlrev_b32_e32 v29, 25, v2
	v_ashrrev_i32_e32 v23, 31, v23
	v_mul_lo_u32 v18, 0x84, v2
	v_xor_b32_e32 v19, vcc_lo, v19
	v_cmp_gt_i32_e32 vcc_lo, 0, v24
	v_not_b32_e32 v24, v25
	v_xor_b32_e32 v26, s4, v26
	v_cmp_gt_i32_e64 s4, 0, v25
	v_and_b32_e32 v19, exec_lo, v19
	v_not_b32_e32 v25, v27
	v_ashrrev_i32_e32 v24, 31, v24
	v_xor_b32_e32 v23, vcc_lo, v23
	v_cmp_gt_i32_e32 vcc_lo, 0, v27
	v_and_b32_e32 v19, v19, v26
	v_not_b32_e32 v26, v28
	v_ashrrev_i32_e32 v25, 31, v25
	v_xor_b32_e32 v24, s4, v24
	v_lshlrev_b32_e32 v2, 24, v2
	v_and_b32_e32 v19, v19, v23
	v_cmp_gt_i32_e64 s4, 0, v28
	v_not_b32_e32 v23, v29
	v_ashrrev_i32_e32 v26, 31, v26
	v_xor_b32_e32 v25, vcc_lo, v25
	v_and_b32_e32 v19, v19, v24
	v_cmp_gt_i32_e32 vcc_lo, 0, v29
	v_not_b32_e32 v24, v2
	v_ashrrev_i32_e32 v23, 31, v23
	v_xor_b32_e32 v26, s4, v26
	v_and_b32_e32 v19, v19, v25
	v_cmp_gt_i32_e64 s4, 0, v2
	v_ashrrev_i32_e32 v2, 31, v24
	v_xor_b32_e32 v23, vcc_lo, v23
	v_and_b32_e32 v19, v19, v26
	v_lshl_add_u32 v26, v1, 2, v18
	v_xor_b32_e32 v2, s4, v2
	v_and_b32_e32 v19, v19, v23
	ds_read_b32 v18, v26 offset:128
	; wave barrier
	v_and_b32_e32 v2, v19, v2
	v_mbcnt_lo_u32_b32 v19, v2, 0
	v_cmp_ne_u32_e64 s4, 0, v2
	v_cmp_eq_u32_e32 vcc_lo, 0, v19
	s_and_b32 s5, s4, vcc_lo
	s_and_saveexec_b32 s4, s5
	s_cbranch_execz .LBB875_137
; %bb.136:
	s_waitcnt lgkmcnt(0)
	v_bcnt_u32_b32 v2, v2, v18
	ds_write_b32 v26, v2 offset:128
.LBB875_137:
	s_or_b32 exec_lo, exec_lo, s4
	v_xor_b32_e32 v14, 0x80000000, v14
	; wave barrier
	v_lshrrev_b32_e32 v2, s44, v14
	v_and_b32_e32 v2, s14, v2
	v_and_b32_e32 v24, 1, v2
	v_lshlrev_b32_e32 v25, 30, v2
	v_lshlrev_b32_e32 v27, 29, v2
	;; [unrolled: 1-line block ×4, first 2 shown]
	v_add_co_u32 v24, s4, v24, -1
	v_cndmask_b32_e64 v29, 0, 1, s4
	v_not_b32_e32 v33, v25
	v_cmp_gt_i32_e64 s4, 0, v25
	v_not_b32_e32 v25, v27
	v_lshlrev_b32_e32 v31, 26, v2
	v_cmp_ne_u32_e32 vcc_lo, 0, v29
	v_ashrrev_i32_e32 v29, 31, v33
	v_lshlrev_b32_e32 v32, 25, v2
	v_ashrrev_i32_e32 v25, 31, v25
	v_mul_lo_u32 v23, 0x84, v2
	v_xor_b32_e32 v24, vcc_lo, v24
	v_cmp_gt_i32_e32 vcc_lo, 0, v27
	v_not_b32_e32 v27, v28
	v_xor_b32_e32 v29, s4, v29
	v_cmp_gt_i32_e64 s4, 0, v28
	v_and_b32_e32 v24, exec_lo, v24
	v_not_b32_e32 v28, v30
	v_ashrrev_i32_e32 v27, 31, v27
	v_xor_b32_e32 v25, vcc_lo, v25
	v_cmp_gt_i32_e32 vcc_lo, 0, v30
	v_and_b32_e32 v24, v24, v29
	v_not_b32_e32 v29, v31
	v_ashrrev_i32_e32 v28, 31, v28
	v_xor_b32_e32 v27, s4, v27
	v_lshlrev_b32_e32 v2, 24, v2
	v_and_b32_e32 v24, v24, v25
	v_cmp_gt_i32_e64 s4, 0, v31
	v_not_b32_e32 v25, v32
	v_ashrrev_i32_e32 v29, 31, v29
	v_xor_b32_e32 v28, vcc_lo, v28
	v_and_b32_e32 v24, v24, v27
	v_cmp_gt_i32_e32 vcc_lo, 0, v32
	v_not_b32_e32 v27, v2
	v_ashrrev_i32_e32 v25, 31, v25
	v_xor_b32_e32 v29, s4, v29
	v_and_b32_e32 v24, v24, v28
	v_cmp_gt_i32_e64 s4, 0, v2
	v_ashrrev_i32_e32 v2, 31, v27
	v_xor_b32_e32 v25, vcc_lo, v25
	v_lshl_add_u32 v30, v1, 2, v23
	v_and_b32_e32 v24, v24, v29
	v_xor_b32_e32 v2, s4, v2
	ds_read_b32 v23, v30 offset:128
	v_and_b32_e32 v24, v24, v25
	; wave barrier
	v_and_b32_e32 v2, v24, v2
	v_mbcnt_lo_u32_b32 v24, v2, 0
	v_cmp_ne_u32_e64 s4, 0, v2
	v_cmp_eq_u32_e32 vcc_lo, 0, v24
	s_and_b32 s5, s4, vcc_lo
	s_and_saveexec_b32 s4, s5
	s_cbranch_execz .LBB875_139
; %bb.138:
	s_waitcnt lgkmcnt(0)
	v_bcnt_u32_b32 v2, v2, v23
	ds_write_b32 v30, v2 offset:128
.LBB875_139:
	s_or_b32 exec_lo, exec_lo, s4
	v_xor_b32_e32 v15, 0x80000000, v15
	; wave barrier
	v_lshrrev_b32_e32 v2, s44, v15
	v_and_b32_e32 v2, s14, v2
	v_and_b32_e32 v27, 1, v2
	v_lshlrev_b32_e32 v28, 30, v2
	v_lshlrev_b32_e32 v29, 29, v2
	;; [unrolled: 1-line block ×4, first 2 shown]
	v_add_co_u32 v27, s4, v27, -1
	v_cndmask_b32_e64 v32, 0, 1, s4
	v_not_b32_e32 v36, v28
	v_cmp_gt_i32_e64 s4, 0, v28
	v_not_b32_e32 v28, v29
	v_lshlrev_b32_e32 v34, 26, v2
	v_cmp_ne_u32_e32 vcc_lo, 0, v32
	v_ashrrev_i32_e32 v32, 31, v36
	v_lshlrev_b32_e32 v35, 25, v2
	v_ashrrev_i32_e32 v28, 31, v28
	v_mul_lo_u32 v25, 0x84, v2
	v_xor_b32_e32 v27, vcc_lo, v27
	v_cmp_gt_i32_e32 vcc_lo, 0, v29
	v_not_b32_e32 v29, v31
	v_xor_b32_e32 v32, s4, v32
	v_cmp_gt_i32_e64 s4, 0, v31
	v_and_b32_e32 v27, exec_lo, v27
	v_not_b32_e32 v31, v33
	v_ashrrev_i32_e32 v29, 31, v29
	v_xor_b32_e32 v28, vcc_lo, v28
	v_cmp_gt_i32_e32 vcc_lo, 0, v33
	v_and_b32_e32 v27, v27, v32
	v_not_b32_e32 v32, v34
	v_ashrrev_i32_e32 v31, 31, v31
	v_xor_b32_e32 v29, s4, v29
	v_lshlrev_b32_e32 v2, 24, v2
	v_and_b32_e32 v27, v27, v28
	v_cmp_gt_i32_e64 s4, 0, v34
	v_not_b32_e32 v28, v35
	v_ashrrev_i32_e32 v32, 31, v32
	v_xor_b32_e32 v31, vcc_lo, v31
	v_and_b32_e32 v27, v27, v29
	v_cmp_gt_i32_e32 vcc_lo, 0, v35
	v_not_b32_e32 v29, v2
	v_ashrrev_i32_e32 v28, 31, v28
	v_xor_b32_e32 v32, s4, v32
	v_and_b32_e32 v27, v27, v31
	v_cmp_gt_i32_e64 s4, 0, v2
	v_ashrrev_i32_e32 v2, 31, v29
	v_xor_b32_e32 v28, vcc_lo, v28
	v_lshl_add_u32 v34, v1, 2, v25
	v_and_b32_e32 v27, v27, v32
	v_xor_b32_e32 v2, s4, v2
	v_and_b32_e32 v25, v27, v28
	ds_read_b32 v27, v34 offset:128
	; wave barrier
	v_and_b32_e32 v2, v25, v2
	v_mbcnt_lo_u32_b32 v28, v2, 0
	v_cmp_ne_u32_e64 s4, 0, v2
	v_cmp_eq_u32_e32 vcc_lo, 0, v28
	s_and_b32 s5, s4, vcc_lo
	s_and_saveexec_b32 s4, s5
	s_cbranch_execz .LBB875_141
; %bb.140:
	s_waitcnt lgkmcnt(0)
	v_bcnt_u32_b32 v2, v2, v27
	ds_write_b32 v34, v2 offset:128
.LBB875_141:
	s_or_b32 exec_lo, exec_lo, s4
	v_xor_b32_e32 v17, 0x80000000, v17
	; wave barrier
	v_lshrrev_b32_e32 v2, s44, v17
	v_and_b32_e32 v2, s14, v2
	v_and_b32_e32 v29, 1, v2
	v_lshlrev_b32_e32 v31, 30, v2
	v_lshlrev_b32_e32 v32, 29, v2
	;; [unrolled: 1-line block ×4, first 2 shown]
	v_add_co_u32 v29, s4, v29, -1
	v_cndmask_b32_e64 v35, 0, 1, s4
	v_not_b32_e32 v39, v31
	v_cmp_gt_i32_e64 s4, 0, v31
	v_not_b32_e32 v31, v32
	v_lshlrev_b32_e32 v37, 26, v2
	v_cmp_ne_u32_e32 vcc_lo, 0, v35
	v_ashrrev_i32_e32 v35, 31, v39
	v_lshlrev_b32_e32 v38, 25, v2
	v_ashrrev_i32_e32 v31, 31, v31
	v_mul_lo_u32 v25, 0x84, v2
	v_xor_b32_e32 v29, vcc_lo, v29
	v_cmp_gt_i32_e32 vcc_lo, 0, v32
	v_not_b32_e32 v32, v33
	v_xor_b32_e32 v35, s4, v35
	v_cmp_gt_i32_e64 s4, 0, v33
	v_and_b32_e32 v29, exec_lo, v29
	v_not_b32_e32 v33, v36
	v_ashrrev_i32_e32 v32, 31, v32
	v_xor_b32_e32 v31, vcc_lo, v31
	v_cmp_gt_i32_e32 vcc_lo, 0, v36
	v_and_b32_e32 v29, v29, v35
	v_not_b32_e32 v35, v37
	v_ashrrev_i32_e32 v33, 31, v33
	v_xor_b32_e32 v32, s4, v32
	v_lshlrev_b32_e32 v2, 24, v2
	v_and_b32_e32 v29, v29, v31
	v_cmp_gt_i32_e64 s4, 0, v37
	v_not_b32_e32 v31, v38
	v_ashrrev_i32_e32 v35, 31, v35
	v_xor_b32_e32 v33, vcc_lo, v33
	v_and_b32_e32 v29, v29, v32
	v_cmp_gt_i32_e32 vcc_lo, 0, v38
	v_not_b32_e32 v32, v2
	v_ashrrev_i32_e32 v31, 31, v31
	v_xor_b32_e32 v35, s4, v35
	v_and_b32_e32 v29, v29, v33
	v_cmp_gt_i32_e64 s4, 0, v2
	v_ashrrev_i32_e32 v2, 31, v32
	v_xor_b32_e32 v31, vcc_lo, v31
	v_lshl_add_u32 v38, v1, 2, v25
	v_and_b32_e32 v29, v29, v35
	v_xor_b32_e32 v2, s4, v2
	v_and_b32_e32 v25, v29, v31
	ds_read_b32 v31, v38 offset:128
	; wave barrier
	v_and_b32_e32 v2, v25, v2
	v_mbcnt_lo_u32_b32 v32, v2, 0
	v_cmp_ne_u32_e64 s4, 0, v2
	v_cmp_eq_u32_e32 vcc_lo, 0, v32
	s_and_b32 s5, s4, vcc_lo
	s_and_saveexec_b32 s4, s5
	s_cbranch_execz .LBB875_143
; %bb.142:
	s_waitcnt lgkmcnt(0)
	v_bcnt_u32_b32 v2, v2, v31
	ds_write_b32 v38, v2 offset:128
.LBB875_143:
	s_or_b32 exec_lo, exec_lo, s4
	v_xor_b32_e32 v20, 0x80000000, v20
	; wave barrier
	v_lshrrev_b32_e32 v2, s44, v20
	v_and_b32_e32 v2, s14, v2
	v_and_b32_e32 v29, 1, v2
	v_lshlrev_b32_e32 v33, 30, v2
	v_lshlrev_b32_e32 v35, 29, v2
	;; [unrolled: 1-line block ×4, first 2 shown]
	v_add_co_u32 v29, s4, v29, -1
	v_cndmask_b32_e64 v37, 0, 1, s4
	v_not_b32_e32 v42, v33
	v_cmp_gt_i32_e64 s4, 0, v33
	v_not_b32_e32 v33, v35
	v_lshlrev_b32_e32 v40, 26, v2
	v_cmp_ne_u32_e32 vcc_lo, 0, v37
	v_ashrrev_i32_e32 v37, 31, v42
	v_lshlrev_b32_e32 v41, 25, v2
	v_ashrrev_i32_e32 v33, 31, v33
	v_mul_lo_u32 v25, 0x84, v2
	v_xor_b32_e32 v29, vcc_lo, v29
	v_cmp_gt_i32_e32 vcc_lo, 0, v35
	v_not_b32_e32 v35, v36
	v_xor_b32_e32 v37, s4, v37
	v_cmp_gt_i32_e64 s4, 0, v36
	v_and_b32_e32 v29, exec_lo, v29
	v_not_b32_e32 v36, v39
	v_ashrrev_i32_e32 v35, 31, v35
	v_xor_b32_e32 v33, vcc_lo, v33
	v_cmp_gt_i32_e32 vcc_lo, 0, v39
	v_and_b32_e32 v29, v29, v37
	v_not_b32_e32 v37, v40
	v_ashrrev_i32_e32 v36, 31, v36
	v_xor_b32_e32 v35, s4, v35
	v_lshlrev_b32_e32 v2, 24, v2
	v_and_b32_e32 v29, v29, v33
	v_cmp_gt_i32_e64 s4, 0, v40
	v_not_b32_e32 v33, v41
	v_ashrrev_i32_e32 v37, 31, v37
	v_xor_b32_e32 v36, vcc_lo, v36
	v_and_b32_e32 v29, v29, v35
	v_cmp_gt_i32_e32 vcc_lo, 0, v41
	v_not_b32_e32 v35, v2
	v_ashrrev_i32_e32 v33, 31, v33
	v_xor_b32_e32 v37, s4, v37
	v_and_b32_e32 v29, v29, v36
	v_cmp_gt_i32_e64 s4, 0, v2
	v_ashrrev_i32_e32 v2, 31, v35
	v_xor_b32_e32 v33, vcc_lo, v33
	v_lshl_add_u32 v43, v1, 2, v25
	v_and_b32_e32 v29, v29, v37
	v_xor_b32_e32 v2, s4, v2
	ds_read_b32 v35, v43 offset:128
	v_and_b32_e32 v25, v29, v33
	; wave barrier
	v_and_b32_e32 v2, v25, v2
	v_mbcnt_lo_u32_b32 v36, v2, 0
	v_cmp_ne_u32_e64 s4, 0, v2
	v_cmp_eq_u32_e32 vcc_lo, 0, v36
	s_and_b32 s5, s4, vcc_lo
	s_and_saveexec_b32 s4, s5
	s_cbranch_execz .LBB875_145
; %bb.144:
	s_waitcnt lgkmcnt(0)
	v_bcnt_u32_b32 v2, v2, v35
	ds_write_b32 v43, v2 offset:128
.LBB875_145:
	s_or_b32 exec_lo, exec_lo, s4
	v_xor_b32_e32 v25, 0x80000000, v8
	; wave barrier
	v_lshrrev_b32_e32 v2, s44, v25
	v_and_b32_e32 v2, s14, v2
	v_and_b32_e32 v29, 1, v2
	v_lshlrev_b32_e32 v33, 30, v2
	v_lshlrev_b32_e32 v37, 29, v2
	;; [unrolled: 1-line block ×4, first 2 shown]
	v_add_co_u32 v29, s4, v29, -1
	v_cndmask_b32_e64 v40, 0, 1, s4
	v_not_b32_e32 v45, v33
	v_cmp_gt_i32_e64 s4, 0, v33
	v_not_b32_e32 v33, v37
	v_lshlrev_b32_e32 v42, 26, v2
	v_cmp_ne_u32_e32 vcc_lo, 0, v40
	v_ashrrev_i32_e32 v40, 31, v45
	v_lshlrev_b32_e32 v44, 25, v2
	v_ashrrev_i32_e32 v33, 31, v33
	v_mul_lo_u32 v8, 0x84, v2
	v_xor_b32_e32 v29, vcc_lo, v29
	v_cmp_gt_i32_e32 vcc_lo, 0, v37
	v_not_b32_e32 v37, v39
	v_xor_b32_e32 v40, s4, v40
	v_cmp_gt_i32_e64 s4, 0, v39
	v_and_b32_e32 v29, exec_lo, v29
	v_not_b32_e32 v39, v41
	v_ashrrev_i32_e32 v37, 31, v37
	v_xor_b32_e32 v33, vcc_lo, v33
	v_cmp_gt_i32_e32 vcc_lo, 0, v41
	v_and_b32_e32 v29, v29, v40
	v_not_b32_e32 v40, v42
	v_ashrrev_i32_e32 v39, 31, v39
	v_xor_b32_e32 v37, s4, v37
	v_lshlrev_b32_e32 v2, 24, v2
	v_and_b32_e32 v29, v29, v33
	v_cmp_gt_i32_e64 s4, 0, v42
	v_not_b32_e32 v33, v44
	v_ashrrev_i32_e32 v40, 31, v40
	v_xor_b32_e32 v39, vcc_lo, v39
	v_and_b32_e32 v29, v29, v37
	v_cmp_gt_i32_e32 vcc_lo, 0, v44
	v_not_b32_e32 v37, v2
	v_ashrrev_i32_e32 v33, 31, v33
	v_xor_b32_e32 v40, s4, v40
	v_and_b32_e32 v29, v29, v39
	v_cmp_gt_i32_e64 s4, 0, v2
	v_ashrrev_i32_e32 v2, 31, v37
	v_xor_b32_e32 v33, vcc_lo, v33
	v_lshl_add_u32 v47, v1, 2, v8
	v_and_b32_e32 v29, v29, v40
	v_xor_b32_e32 v2, s4, v2
	ds_read_b32 v39, v47 offset:128
	v_and_b32_e32 v8, v29, v33
	; wave barrier
	v_and_b32_e32 v2, v8, v2
	v_mbcnt_lo_u32_b32 v41, v2, 0
	v_cmp_ne_u32_e64 s4, 0, v2
	v_cmp_eq_u32_e32 vcc_lo, 0, v41
	s_and_b32 s5, s4, vcc_lo
	s_and_saveexec_b32 s4, s5
	s_cbranch_execz .LBB875_147
; %bb.146:
	s_waitcnt lgkmcnt(0)
	v_bcnt_u32_b32 v2, v2, v39
	ds_write_b32 v47, v2 offset:128
.LBB875_147:
	s_or_b32 exec_lo, exec_lo, s4
	v_xor_b32_e32 v29, 0x80000000, v7
	; wave barrier
	v_lshrrev_b32_e32 v2, s44, v29
	v_and_b32_e32 v2, s14, v2
	v_and_b32_e32 v8, 1, v2
	v_lshlrev_b32_e32 v33, 30, v2
	v_lshlrev_b32_e32 v37, 29, v2
	;; [unrolled: 1-line block ×4, first 2 shown]
	v_add_co_u32 v8, s4, v8, -1
	v_cndmask_b32_e64 v42, 0, 1, s4
	v_not_b32_e32 v48, v33
	v_cmp_gt_i32_e64 s4, 0, v33
	v_not_b32_e32 v33, v37
	v_lshlrev_b32_e32 v45, 26, v2
	v_cmp_ne_u32_e32 vcc_lo, 0, v42
	v_ashrrev_i32_e32 v42, 31, v48
	v_lshlrev_b32_e32 v46, 25, v2
	v_ashrrev_i32_e32 v33, 31, v33
	v_mul_lo_u32 v7, 0x84, v2
	v_xor_b32_e32 v8, vcc_lo, v8
	v_cmp_gt_i32_e32 vcc_lo, 0, v37
	v_not_b32_e32 v37, v40
	v_xor_b32_e32 v42, s4, v42
	v_cmp_gt_i32_e64 s4, 0, v40
	v_and_b32_e32 v8, exec_lo, v8
	v_not_b32_e32 v40, v44
	v_ashrrev_i32_e32 v37, 31, v37
	v_xor_b32_e32 v33, vcc_lo, v33
	v_cmp_gt_i32_e32 vcc_lo, 0, v44
	v_and_b32_e32 v8, v8, v42
	v_not_b32_e32 v42, v45
	v_ashrrev_i32_e32 v40, 31, v40
	v_xor_b32_e32 v37, s4, v37
	v_lshlrev_b32_e32 v2, 24, v2
	v_and_b32_e32 v8, v8, v33
	v_cmp_gt_i32_e64 s4, 0, v45
	v_not_b32_e32 v33, v46
	v_ashrrev_i32_e32 v42, 31, v42
	v_xor_b32_e32 v40, vcc_lo, v40
	v_and_b32_e32 v8, v8, v37
	v_cmp_gt_i32_e32 vcc_lo, 0, v46
	v_not_b32_e32 v37, v2
	v_ashrrev_i32_e32 v33, 31, v33
	v_xor_b32_e32 v42, s4, v42
	v_and_b32_e32 v8, v8, v40
	v_cmp_gt_i32_e64 s4, 0, v2
	v_ashrrev_i32_e32 v2, 31, v37
	v_xor_b32_e32 v33, vcc_lo, v33
	v_lshl_add_u32 v50, v1, 2, v7
	v_and_b32_e32 v8, v8, v42
	v_xor_b32_e32 v2, s4, v2
	ds_read_b32 v44, v50 offset:128
	v_and_b32_e32 v7, v8, v33
	; wave barrier
	v_and_b32_e32 v2, v7, v2
	v_mbcnt_lo_u32_b32 v45, v2, 0
	v_cmp_ne_u32_e64 s4, 0, v2
	v_cmp_eq_u32_e32 vcc_lo, 0, v45
	s_and_b32 s5, s4, vcc_lo
	s_and_saveexec_b32 s4, s5
	s_cbranch_execz .LBB875_149
; %bb.148:
	s_waitcnt lgkmcnt(0)
	v_bcnt_u32_b32 v2, v2, v44
	ds_write_b32 v50, v2 offset:128
.LBB875_149:
	s_or_b32 exec_lo, exec_lo, s4
	v_xor_b32_e32 v33, 0x80000000, v6
	; wave barrier
	v_lshrrev_b32_e32 v2, s44, v33
	v_and_b32_e32 v2, s14, v2
	v_and_b32_e32 v7, 1, v2
	v_lshlrev_b32_e32 v8, 30, v2
	v_lshlrev_b32_e32 v37, 29, v2
	;; [unrolled: 1-line block ×4, first 2 shown]
	v_add_co_u32 v7, s4, v7, -1
	v_cndmask_b32_e64 v42, 0, 1, s4
	v_not_b32_e32 v51, v8
	v_cmp_gt_i32_e64 s4, 0, v8
	v_not_b32_e32 v8, v37
	v_lshlrev_b32_e32 v48, 26, v2
	v_cmp_ne_u32_e32 vcc_lo, 0, v42
	v_ashrrev_i32_e32 v42, 31, v51
	v_lshlrev_b32_e32 v49, 25, v2
	v_ashrrev_i32_e32 v8, 31, v8
	v_mul_lo_u32 v6, 0x84, v2
	v_xor_b32_e32 v7, vcc_lo, v7
	v_cmp_gt_i32_e32 vcc_lo, 0, v37
	v_not_b32_e32 v37, v40
	v_xor_b32_e32 v42, s4, v42
	v_cmp_gt_i32_e64 s4, 0, v40
	v_and_b32_e32 v7, exec_lo, v7
	v_not_b32_e32 v40, v46
	v_ashrrev_i32_e32 v37, 31, v37
	v_xor_b32_e32 v8, vcc_lo, v8
	v_cmp_gt_i32_e32 vcc_lo, 0, v46
	v_and_b32_e32 v7, v7, v42
	v_not_b32_e32 v42, v48
	v_ashrrev_i32_e32 v40, 31, v40
	v_xor_b32_e32 v37, s4, v37
	v_lshlrev_b32_e32 v2, 24, v2
	v_and_b32_e32 v7, v7, v8
	v_cmp_gt_i32_e64 s4, 0, v48
	v_not_b32_e32 v8, v49
	v_ashrrev_i32_e32 v42, 31, v42
	v_xor_b32_e32 v40, vcc_lo, v40
	v_and_b32_e32 v7, v7, v37
	v_cmp_gt_i32_e32 vcc_lo, 0, v49
	v_not_b32_e32 v37, v2
	v_ashrrev_i32_e32 v8, 31, v8
	v_xor_b32_e32 v42, s4, v42
	v_and_b32_e32 v7, v7, v40
	v_cmp_gt_i32_e64 s4, 0, v2
	v_ashrrev_i32_e32 v2, 31, v37
	v_xor_b32_e32 v8, vcc_lo, v8
	v_lshl_add_u32 v53, v1, 2, v6
	v_and_b32_e32 v7, v7, v42
	v_xor_b32_e32 v2, s4, v2
	ds_read_b32 v48, v53 offset:128
	v_and_b32_e32 v6, v7, v8
	; wave barrier
	v_and_b32_e32 v2, v6, v2
	v_mbcnt_lo_u32_b32 v49, v2, 0
	v_cmp_ne_u32_e64 s4, 0, v2
	v_cmp_eq_u32_e32 vcc_lo, 0, v49
	s_and_b32 s5, s4, vcc_lo
	s_and_saveexec_b32 s4, s5
	s_cbranch_execz .LBB875_151
; %bb.150:
	s_waitcnt lgkmcnt(0)
	v_bcnt_u32_b32 v2, v2, v48
	ds_write_b32 v53, v2 offset:128
.LBB875_151:
	s_or_b32 exec_lo, exec_lo, s4
	v_xor_b32_e32 v37, 0x80000000, v5
	; wave barrier
	v_lshrrev_b32_e32 v2, s44, v37
	v_and_b32_e32 v2, s14, v2
	v_and_b32_e32 v6, 1, v2
	v_lshlrev_b32_e32 v7, 30, v2
	v_lshlrev_b32_e32 v8, 29, v2
	;; [unrolled: 1-line block ×4, first 2 shown]
	v_add_co_u32 v6, s4, v6, -1
	v_cndmask_b32_e64 v42, 0, 1, s4
	v_not_b32_e32 v54, v7
	v_cmp_gt_i32_e64 s4, 0, v7
	v_not_b32_e32 v7, v8
	v_lshlrev_b32_e32 v51, 26, v2
	v_cmp_ne_u32_e32 vcc_lo, 0, v42
	v_ashrrev_i32_e32 v42, 31, v54
	v_lshlrev_b32_e32 v52, 25, v2
	v_ashrrev_i32_e32 v7, 31, v7
	v_mul_lo_u32 v5, 0x84, v2
	v_xor_b32_e32 v6, vcc_lo, v6
	v_cmp_gt_i32_e32 vcc_lo, 0, v8
	v_not_b32_e32 v8, v40
	v_xor_b32_e32 v42, s4, v42
	v_cmp_gt_i32_e64 s4, 0, v40
	v_and_b32_e32 v6, exec_lo, v6
	v_not_b32_e32 v40, v46
	v_ashrrev_i32_e32 v8, 31, v8
	v_xor_b32_e32 v7, vcc_lo, v7
	v_cmp_gt_i32_e32 vcc_lo, 0, v46
	v_and_b32_e32 v6, v6, v42
	v_not_b32_e32 v42, v51
	v_ashrrev_i32_e32 v40, 31, v40
	v_xor_b32_e32 v8, s4, v8
	v_lshlrev_b32_e32 v2, 24, v2
	v_and_b32_e32 v6, v6, v7
	v_cmp_gt_i32_e64 s4, 0, v51
	v_not_b32_e32 v7, v52
	v_ashrrev_i32_e32 v42, 31, v42
	v_xor_b32_e32 v40, vcc_lo, v40
	v_and_b32_e32 v6, v6, v8
	v_cmp_gt_i32_e32 vcc_lo, 0, v52
	v_not_b32_e32 v8, v2
	v_ashrrev_i32_e32 v7, 31, v7
	v_xor_b32_e32 v42, s4, v42
	v_and_b32_e32 v6, v6, v40
	v_cmp_gt_i32_e64 s4, 0, v2
	v_ashrrev_i32_e32 v2, 31, v8
	v_xor_b32_e32 v7, vcc_lo, v7
	v_lshl_add_u32 v56, v1, 2, v5
	v_and_b32_e32 v6, v6, v42
	v_xor_b32_e32 v2, s4, v2
	ds_read_b32 v51, v56 offset:128
	v_and_b32_e32 v5, v6, v7
	; wave barrier
	v_and_b32_e32 v2, v5, v2
	v_mbcnt_lo_u32_b32 v52, v2, 0
	v_cmp_ne_u32_e64 s4, 0, v2
	v_cmp_eq_u32_e32 vcc_lo, 0, v52
	s_and_b32 s5, s4, vcc_lo
	s_and_saveexec_b32 s4, s5
	s_cbranch_execz .LBB875_153
; %bb.152:
	s_waitcnt lgkmcnt(0)
	v_bcnt_u32_b32 v2, v2, v51
	ds_write_b32 v56, v2 offset:128
.LBB875_153:
	s_or_b32 exec_lo, exec_lo, s4
	v_xor_b32_e32 v42, 0x80000000, v4
	; wave barrier
	v_lshrrev_b32_e32 v2, s44, v42
	v_and_b32_e32 v2, s14, v2
	v_and_b32_e32 v5, 1, v2
	v_lshlrev_b32_e32 v6, 30, v2
	v_lshlrev_b32_e32 v7, 29, v2
	;; [unrolled: 1-line block ×4, first 2 shown]
	v_add_co_u32 v5, s4, v5, -1
	v_cndmask_b32_e64 v40, 0, 1, s4
	v_not_b32_e32 v57, v6
	v_cmp_gt_i32_e64 s4, 0, v6
	v_not_b32_e32 v6, v7
	v_lshlrev_b32_e32 v54, 26, v2
	v_cmp_ne_u32_e32 vcc_lo, 0, v40
	v_ashrrev_i32_e32 v40, 31, v57
	v_lshlrev_b32_e32 v55, 25, v2
	v_ashrrev_i32_e32 v6, 31, v6
	v_mul_lo_u32 v4, 0x84, v2
	v_xor_b32_e32 v5, vcc_lo, v5
	v_cmp_gt_i32_e32 vcc_lo, 0, v7
	v_not_b32_e32 v7, v8
	v_xor_b32_e32 v40, s4, v40
	v_cmp_gt_i32_e64 s4, 0, v8
	v_and_b32_e32 v5, exec_lo, v5
	v_not_b32_e32 v8, v46
	v_ashrrev_i32_e32 v7, 31, v7
	v_xor_b32_e32 v6, vcc_lo, v6
	v_cmp_gt_i32_e32 vcc_lo, 0, v46
	v_and_b32_e32 v5, v5, v40
	v_not_b32_e32 v40, v54
	v_ashrrev_i32_e32 v8, 31, v8
	v_xor_b32_e32 v7, s4, v7
	v_lshlrev_b32_e32 v2, 24, v2
	v_and_b32_e32 v5, v5, v6
	v_cmp_gt_i32_e64 s4, 0, v54
	v_not_b32_e32 v6, v55
	v_ashrrev_i32_e32 v40, 31, v40
	v_xor_b32_e32 v8, vcc_lo, v8
	v_and_b32_e32 v5, v5, v7
	v_cmp_gt_i32_e32 vcc_lo, 0, v55
	v_not_b32_e32 v7, v2
	v_ashrrev_i32_e32 v6, 31, v6
	v_xor_b32_e32 v40, s4, v40
	v_and_b32_e32 v5, v5, v8
	v_cmp_gt_i32_e64 s4, 0, v2
	v_ashrrev_i32_e32 v2, 31, v7
	v_xor_b32_e32 v6, vcc_lo, v6
	v_lshl_add_u32 v59, v1, 2, v4
	v_and_b32_e32 v5, v5, v40
	v_xor_b32_e32 v2, s4, v2
	ds_read_b32 v54, v59 offset:128
	v_and_b32_e32 v4, v5, v6
	; wave barrier
	v_and_b32_e32 v2, v4, v2
	v_mbcnt_lo_u32_b32 v55, v2, 0
	v_cmp_ne_u32_e64 s4, 0, v2
	v_cmp_eq_u32_e32 vcc_lo, 0, v55
	s_and_b32 s5, s4, vcc_lo
	s_and_saveexec_b32 s4, s5
	s_cbranch_execz .LBB875_155
; %bb.154:
	s_waitcnt lgkmcnt(0)
	v_bcnt_u32_b32 v2, v2, v54
	ds_write_b32 v59, v2 offset:128
.LBB875_155:
	s_or_b32 exec_lo, exec_lo, s4
	v_xor_b32_e32 v46, 0x80000000, v3
	; wave barrier
	v_lshrrev_b32_e32 v2, s44, v46
	v_and_b32_e32 v2, s14, v2
	v_and_b32_e32 v4, 1, v2
	v_lshlrev_b32_e32 v5, 30, v2
	v_lshlrev_b32_e32 v6, 29, v2
	v_lshlrev_b32_e32 v7, 28, v2
	v_lshlrev_b32_e32 v40, 27, v2
	v_add_co_u32 v4, s4, v4, -1
	v_cndmask_b32_e64 v8, 0, 1, s4
	v_not_b32_e32 v60, v5
	v_cmp_gt_i32_e64 s4, 0, v5
	v_not_b32_e32 v5, v6
	v_lshlrev_b32_e32 v57, 26, v2
	v_cmp_ne_u32_e32 vcc_lo, 0, v8
	v_ashrrev_i32_e32 v8, 31, v60
	v_lshlrev_b32_e32 v58, 25, v2
	v_ashrrev_i32_e32 v5, 31, v5
	v_mul_lo_u32 v3, 0x84, v2
	v_xor_b32_e32 v4, vcc_lo, v4
	v_cmp_gt_i32_e32 vcc_lo, 0, v6
	v_not_b32_e32 v6, v7
	v_xor_b32_e32 v8, s4, v8
	v_cmp_gt_i32_e64 s4, 0, v7
	v_and_b32_e32 v4, exec_lo, v4
	v_not_b32_e32 v7, v40
	v_ashrrev_i32_e32 v6, 31, v6
	v_xor_b32_e32 v5, vcc_lo, v5
	v_cmp_gt_i32_e32 vcc_lo, 0, v40
	v_and_b32_e32 v4, v4, v8
	v_not_b32_e32 v8, v57
	v_ashrrev_i32_e32 v7, 31, v7
	v_xor_b32_e32 v6, s4, v6
	v_lshlrev_b32_e32 v2, 24, v2
	v_and_b32_e32 v4, v4, v5
	v_cmp_gt_i32_e64 s4, 0, v57
	v_not_b32_e32 v5, v58
	v_ashrrev_i32_e32 v8, 31, v8
	v_xor_b32_e32 v7, vcc_lo, v7
	v_and_b32_e32 v4, v4, v6
	v_cmp_gt_i32_e32 vcc_lo, 0, v58
	v_not_b32_e32 v6, v2
	v_ashrrev_i32_e32 v5, 31, v5
	v_xor_b32_e32 v8, s4, v8
	v_and_b32_e32 v4, v4, v7
	v_cmp_gt_i32_e64 s4, 0, v2
	v_ashrrev_i32_e32 v2, 31, v6
	v_xor_b32_e32 v5, vcc_lo, v5
	v_lshl_add_u32 v60, v1, 2, v3
	v_and_b32_e32 v4, v4, v8
	v_xor_b32_e32 v1, s4, v2
	ds_read_b32 v57, v60 offset:128
	v_and_b32_e32 v2, v4, v5
	; wave barrier
	v_and_b32_e32 v1, v2, v1
	v_mbcnt_lo_u32_b32 v58, v1, 0
	v_cmp_ne_u32_e64 s4, 0, v1
	v_cmp_eq_u32_e32 vcc_lo, 0, v58
	s_and_b32 s5, s4, vcc_lo
	s_and_saveexec_b32 s4, s5
	s_cbranch_execz .LBB875_157
; %bb.156:
	s_waitcnt lgkmcnt(0)
	v_bcnt_u32_b32 v1, v1, v57
	ds_write_b32 v60, v1 offset:128
.LBB875_157:
	s_or_b32 exec_lo, exec_lo, s4
	; wave barrier
	s_waitcnt lgkmcnt(0)
	s_barrier
	buffer_gl0_inv
	ds_read2_b32 v[7:8], v21 offset0:32 offset1:33
	ds_read2_b32 v[5:6], v21 offset0:34 offset1:35
	;; [unrolled: 1-line block ×4, first 2 shown]
	ds_read_b32 v40, v21 offset:160
	v_and_b32_e32 v63, 16, v11
	v_and_b32_e32 v64, 31, v0
	s_mov_b32 s10, exec_lo
	v_cmp_eq_u32_e64 s8, 0, v63
	s_waitcnt lgkmcnt(3)
	v_add3_u32 v61, v8, v7, v5
	s_waitcnt lgkmcnt(2)
	v_add3_u32 v61, v61, v6, v3
	s_waitcnt lgkmcnt(1)
	v_add3_u32 v61, v61, v4, v1
	s_waitcnt lgkmcnt(0)
	v_add3_u32 v40, v61, v2, v40
	v_and_b32_e32 v61, 15, v11
	v_mov_b32_dpp v62, v40 row_shr:1 row_mask:0xf bank_mask:0xf
	v_cmp_eq_u32_e32 vcc_lo, 0, v61
	v_cmp_lt_u32_e64 s4, 1, v61
	v_cmp_lt_u32_e64 s5, 3, v61
	;; [unrolled: 1-line block ×3, first 2 shown]
	v_cndmask_b32_e64 v62, v62, 0, vcc_lo
	v_add_nc_u32_e32 v40, v62, v40
	v_mov_b32_dpp v62, v40 row_shr:2 row_mask:0xf bank_mask:0xf
	v_cndmask_b32_e64 v62, 0, v62, s4
	v_add_nc_u32_e32 v40, v40, v62
	v_mov_b32_dpp v62, v40 row_shr:4 row_mask:0xf bank_mask:0xf
	v_cndmask_b32_e64 v62, 0, v62, s5
	;; [unrolled: 3-line block ×3, first 2 shown]
	v_bfe_i32 v62, v11, 4, 1
	v_add_nc_u32_e32 v40, v40, v61
	ds_swizzle_b32 v61, v40 offset:swizzle(BROADCAST,32,15)
	s_waitcnt lgkmcnt(0)
	v_and_b32_e32 v61, v62, v61
	v_lshrrev_b32_e32 v62, 5, v0
	v_add_nc_u32_e32 v61, v40, v61
	v_cmpx_eq_u32_e32 31, v64
; %bb.158:
	v_lshlrev_b32_e32 v40, 2, v62
	ds_write_b32 v40, v61
; %bb.159:
	s_or_b32 exec_lo, exec_lo, s10
	v_cmp_lt_u32_e64 s9, 31, v0
	v_lshlrev_b32_e32 v40, 2, v0
	s_mov_b32 s15, exec_lo
	s_waitcnt lgkmcnt(0)
	s_barrier
	buffer_gl0_inv
	v_cmpx_gt_u32_e32 32, v0
	s_cbranch_execz .LBB875_161
; %bb.160:
	ds_read_b32 v63, v40
	s_waitcnt lgkmcnt(0)
	v_mov_b32_dpp v64, v63 row_shr:1 row_mask:0xf bank_mask:0xf
	v_cndmask_b32_e64 v64, v64, 0, vcc_lo
	v_add_nc_u32_e32 v63, v64, v63
	v_mov_b32_dpp v64, v63 row_shr:2 row_mask:0xf bank_mask:0xf
	v_cndmask_b32_e64 v64, 0, v64, s4
	v_add_nc_u32_e32 v63, v63, v64
	v_mov_b32_dpp v64, v63 row_shr:4 row_mask:0xf bank_mask:0xf
	v_cndmask_b32_e64 v64, 0, v64, s5
	;; [unrolled: 3-line block ×3, first 2 shown]
	v_add_nc_u32_e32 v63, v63, v64
	ds_swizzle_b32 v64, v63 offset:swizzle(BROADCAST,32,15)
	s_waitcnt lgkmcnt(0)
	v_cndmask_b32_e64 v64, v64, 0, s8
	v_add_nc_u32_e32 v63, v63, v64
	ds_write_b32 v40, v63
.LBB875_161:
	s_or_b32 exec_lo, exec_lo, s15
	v_mov_b32_e32 v63, 0
	s_waitcnt lgkmcnt(0)
	s_barrier
	buffer_gl0_inv
	s_and_saveexec_b32 s4, s9
; %bb.162:
	v_lshl_add_u32 v62, v62, 2, -4
	ds_read_b32 v63, v62
; %bb.163:
	s_or_b32 exec_lo, exec_lo, s4
	v_sub_co_u32 v62, vcc_lo, v11, 1
	s_waitcnt lgkmcnt(0)
	v_add_nc_u32_e32 v61, v63, v61
	v_cmp_gt_i32_e64 s4, 0, v62
	v_cndmask_b32_e64 v11, v62, v11, s4
	v_cmp_lt_u32_e64 s4, 0xff, v0
	v_lshlrev_b32_e32 v11, 2, v11
	ds_bpermute_b32 v11, v11, v61
	s_waitcnt lgkmcnt(0)
	v_cndmask_b32_e32 v11, v11, v63, vcc_lo
	v_cmp_ne_u32_e32 vcc_lo, 0, v0
	v_cndmask_b32_e32 v11, 0, v11, vcc_lo
	v_cmp_gt_u32_e32 vcc_lo, 0x100, v0
	v_add_nc_u32_e32 v7, v11, v7
	v_add_nc_u32_e32 v8, v7, v8
	;; [unrolled: 1-line block ×8, first 2 shown]
	ds_write2_b32 v21, v11, v7 offset0:32 offset1:33
	ds_write2_b32 v21, v8, v5 offset0:34 offset1:35
	;; [unrolled: 1-line block ×4, first 2 shown]
	ds_write_b32 v21, v2 offset:160
	s_waitcnt lgkmcnt(0)
	s_barrier
	buffer_gl0_inv
	ds_read_b32 v11, v22 offset:128
	ds_read_b32 v21, v26 offset:128
	;; [unrolled: 1-line block ×12, first 2 shown]
                                        ; implicit-def: $vgpr7
                                        ; implicit-def: $vgpr8
	s_and_saveexec_b32 s7, vcc_lo
	s_cbranch_execz .LBB875_167
; %bb.164:
	v_mul_u32_u24_e32 v1, 0x84, v0
	v_add_nc_u32_e32 v2, 1, v0
	s_mov_b32 s8, exec_lo
	ds_read_b32 v7, v1 offset:128
	v_mov_b32_e32 v1, 0x3000
	v_cmpx_ne_u32_e32 0x100, v2
; %bb.165:
	v_mul_u32_u24_e32 v1, 0x84, v2
	ds_read_b32 v1, v1 offset:128
; %bb.166:
	s_or_b32 exec_lo, exec_lo, s8
	s_waitcnt lgkmcnt(0)
	v_sub_nc_u32_e32 v8, v1, v7
.LBB875_167:
	s_or_b32 exec_lo, exec_lo, s7
	v_mov_b32_e32 v2, 0
	s_waitcnt lgkmcnt(0)
	s_barrier
	buffer_gl0_inv
	s_and_saveexec_b32 s5, vcc_lo
	s_cbranch_execz .LBB875_177
; %bb.168:
	v_lshl_add_u32 v1, s6, 8, v0
	v_mov_b32_e32 v59, 0
	s_mov_b32 s7, 0
	s_mov_b32 s8, s6
                                        ; implicit-def: $sgpr9
	v_lshlrev_b64 v[3:4], 2, v[1:2]
	v_or_b32_e32 v1, 2.0, v8
	v_add_co_u32 v3, vcc_lo, s26, v3
	v_add_co_ci_u32_e64 v4, null, s27, v4, vcc_lo
	global_store_dword v[3:4], v1, off
	s_branch .LBB875_171
	.p2align	6
.LBB875_169:                            ;   in Loop: Header=BB875_171 Depth=1
	s_or_b32 exec_lo, exec_lo, s10
.LBB875_170:                            ;   in Loop: Header=BB875_171 Depth=1
	s_or_b32 exec_lo, exec_lo, s9
	v_and_b32_e32 v5, 0x3fffffff, v1
	v_cmp_gt_i32_e64 s9, -2.0, v1
	v_add_nc_u32_e32 v59, v5, v59
	s_and_b32 s10, exec_lo, s9
	s_or_b32 s7, s10, s7
	s_andn2_b32 exec_lo, exec_lo, s7
	s_cbranch_execz .LBB875_176
.LBB875_171:                            ; =>This Loop Header: Depth=1
                                        ;     Child Loop BB875_174 Depth 2
	s_or_b32 s9, s9, exec_lo
	s_cmp_eq_u32 s8, 0
	s_cbranch_scc1 .LBB875_175
; %bb.172:                              ;   in Loop: Header=BB875_171 Depth=1
	s_add_i32 s8, s8, -1
	s_mov_b32 s9, exec_lo
	v_lshl_or_b32 v1, s8, 8, v0
	v_lshlrev_b64 v[5:6], 2, v[1:2]
	v_add_co_u32 v5, vcc_lo, s26, v5
	v_add_co_ci_u32_e64 v6, null, s27, v6, vcc_lo
	global_load_dword v1, v[5:6], off glc dlc
	s_waitcnt vmcnt(0)
	v_cmpx_gt_u32_e32 2.0, v1
	s_cbranch_execz .LBB875_170
; %bb.173:                              ;   in Loop: Header=BB875_171 Depth=1
	s_mov_b32 s10, 0
.LBB875_174:                            ;   Parent Loop BB875_171 Depth=1
                                        ; =>  This Inner Loop Header: Depth=2
	global_load_dword v1, v[5:6], off glc dlc
	s_waitcnt vmcnt(0)
	v_cmp_lt_u32_e32 vcc_lo, 0x3fffffff, v1
	s_or_b32 s10, vcc_lo, s10
	s_andn2_b32 exec_lo, exec_lo, s10
	s_cbranch_execnz .LBB875_174
	s_branch .LBB875_169
.LBB875_175:                            ;   in Loop: Header=BB875_171 Depth=1
                                        ; implicit-def: $sgpr8
	s_and_b32 s10, exec_lo, s9
	s_or_b32 s7, s10, s7
	s_andn2_b32 exec_lo, exec_lo, s7
	s_cbranch_execnz .LBB875_171
.LBB875_176:
	s_or_b32 exec_lo, exec_lo, s7
	v_add_nc_u32_e32 v1, v59, v8
	v_sub_nc_u32_e32 v2, v59, v7
	v_or_b32_e32 v1, 0x80000000, v1
	global_store_dword v[3:4], v1, off
	global_load_dword v1, v40, s[28:29]
	s_waitcnt vmcnt(0)
	v_add_nc_u32_e32 v1, v2, v1
	ds_write_b32 v40, v1
.LBB875_177:
	s_or_b32 exec_lo, exec_lo, s5
	v_add_nc_u32_e32 v3, v11, v16
	v_add3_u32 v4, v19, v18, v21
	v_add3_u32 v5, v24, v23, v22
	;; [unrolled: 1-line block ×11, first 2 shown]
	v_mov_b32_e32 v2, 0
	v_mov_b32_e32 v26, v3
	;; [unrolled: 1-line block ×13, first 2 shown]
	s_mov_b32 s5, 32
	s_mov_b32 s9, 0
	;; [unrolled: 1-line block ×3, first 2 shown]
	s_mov_b32 s8, -1
	s_branch .LBB875_179
.LBB875_178:                            ;   in Loop: Header=BB875_179 Depth=1
	v_add_nc_u32_e32 v41, 0xffffe000, v41
	v_add_nc_u32_e32 v39, 0xffffe000, v39
	;; [unrolled: 1-line block ×12, first 2 shown]
	s_xor_b32 s9, s8, -1
	s_addk_i32 s7, 0x2000
	s_mov_b32 s8, 0
	s_and_b32 vcc_lo, exec_lo, s9
	s_mov_b32 s9, s5
	s_waitcnt_vscnt null, 0x0
	s_barrier
	buffer_gl0_inv
	s_cbranch_vccnz .LBB875_187
.LBB875_179:                            ; =>This Inner Loop Header: Depth=1
	v_min_u32_e32 v1, 0x2000, v26
	v_min_u32_e32 v43, 0x2000, v27
	;; [unrolled: 1-line block ×5, first 2 shown]
	v_lshlrev_b32_e32 v1, 2, v1
	v_lshlrev_b32_e32 v43, 2, v43
	v_min_u32_e32 v48, 0x2000, v32
	v_min_u32_e32 v49, 0x2000, v34
	v_mov_b32_e32 v57, s9
	ds_write_b32 v1, v12 offset:1024
	ds_write_b32 v43, v13 offset:1024
	v_lshlrev_b32_e32 v1, 2, v44
	v_lshlrev_b32_e32 v43, 2, v45
	;; [unrolled: 1-line block ×5, first 2 shown]
	ds_write_b32 v1, v14 offset:1024
	ds_write_b32 v43, v15 offset:1024
	;; [unrolled: 1-line block ×5, first 2 shown]
	v_min_u32_e32 v1, 0x2000, v35
	v_min_u32_e32 v43, 0x2000, v36
	;; [unrolled: 1-line block ×5, first 2 shown]
	v_lshlrev_b32_e32 v1, 2, v1
	v_lshlrev_b32_e32 v43, 2, v43
	;; [unrolled: 1-line block ×5, first 2 shown]
	ds_write_b32 v1, v29 offset:1024
	ds_write_b32 v43, v33 offset:1024
	;; [unrolled: 1-line block ×5, first 2 shown]
	s_waitcnt lgkmcnt(0)
	s_waitcnt_vscnt null, 0x0
	s_barrier
	buffer_gl0_inv
	ds_read2st64_b32 v[44:45], v40 offset0:4 offset1:20
	ds_read2st64_b32 v[47:48], v40 offset0:36 offset1:52
	s_add_i32 s10, s7, 0x1000
	s_cmpk_lt_u32 s10, 0x3000
	s_waitcnt lgkmcnt(1)
	v_lshrrev_b32_e32 v1, s44, v44
	v_xor_b32_e32 v58, 0x80000000, v44
	v_xor_b32_e32 v59, 0x80000000, v45
	s_waitcnt lgkmcnt(0)
	v_xor_b32_e32 v60, 0x80000000, v47
	v_xor_b32_e32 v61, 0x80000000, v48
	v_and_b32_e32 v49, s14, v1
	v_lshrrev_b32_e32 v1, s44, v45
	v_lshlrev_b32_e32 v43, 2, v49
	v_and_b32_e32 v50, s14, v1
	v_lshrrev_b32_e32 v1, s44, v47
	ds_read_b32 v51, v43
	v_and_b32_e32 v53, s14, v1
	v_lshrrev_b32_e32 v1, s44, v48
	v_and_b32_e32 v54, s14, v1
	v_lshlrev_b32_e32 v1, 2, v54
	ds_read_b32 v56, v1
	v_lshlrev_b32_e32 v43, 2, v50
	ds_read_b32 v52, v43
	;; [unrolled: 2-line block ×3, first 2 shown]
	v_add_nc_u32_e32 v43, s7, v0
	buffer_store_dword v49, v57, s[0:3], 0 offen
	buffer_store_dword v50, v57, s[0:3], 0 offen offset:4
	buffer_store_dword v53, v57, s[0:3], 0 offen offset:8
	s_waitcnt lgkmcnt(3)
	v_add_nc_u32_e32 v1, v43, v51
	v_lshlrev_b64 v[44:45], 2, v[1:2]
	s_waitcnt lgkmcnt(1)
	v_add3_u32 v1, v43, v52, 0x400
	v_add_co_u32 v44, vcc_lo, s38, v44
	v_lshlrev_b64 v[47:48], 2, v[1:2]
	s_waitcnt lgkmcnt(0)
	v_add3_u32 v1, v43, v55, 0x800
	v_add_co_ci_u32_e64 v45, null, s39, v45, vcc_lo
	v_lshlrev_b64 v[49:50], 2, v[1:2]
	v_add3_u32 v1, v43, v56, 0xc00
	v_add_co_u32 v47, vcc_lo, s38, v47
	v_add_co_ci_u32_e64 v48, null, s39, v48, vcc_lo
	v_lshlrev_b64 v[51:52], 2, v[1:2]
	v_add_co_u32 v49, vcc_lo, s38, v49
	v_add_co_ci_u32_e64 v50, null, s39, v50, vcc_lo
	v_add_co_u32 v51, vcc_lo, s38, v51
	v_add_co_ci_u32_e64 v52, null, s39, v52, vcc_lo
	global_store_dword v[44:45], v58, off
	global_store_dword v[47:48], v59, off
	;; [unrolled: 1-line block ×4, first 2 shown]
	buffer_store_dword v54, v57, s[0:3], 0 offen offset:12
	s_cbranch_scc0 .LBB875_183
; %bb.180:                              ;   in Loop: Header=BB875_179 Depth=1
	ds_read_b32 v47, v40 offset:17408
	s_waitcnt lgkmcnt(0)
	v_lshrrev_b32_e32 v1, s44, v47
	v_and_b32_e32 v48, s14, v1
	v_lshlrev_b32_e32 v1, 2, v48
	ds_read_b32 v1, v1
	s_waitcnt lgkmcnt(0)
	v_add3_u32 v1, v43, v1, 0x1000
	v_lshlrev_b64 v[44:45], 2, v[1:2]
	v_xor_b32_e32 v1, 0x80000000, v47
	v_mov_b32_e32 v47, s9
	v_add_co_u32 v44, vcc_lo, s38, v44
	v_add_co_ci_u32_e64 v45, null, s39, v45, vcc_lo
	buffer_store_dword v48, v47, s[0:3], 0 offen offset:16
	global_store_dword v[44:45], v1, off
	s_add_i32 s10, s7, 0x1400
	s_cmpk_gt_u32 s10, 0x2fff
	s_cbranch_scc0 .LBB875_184
.LBB875_181:                            ;   in Loop: Header=BB875_179 Depth=1
	s_add_i32 s10, s7, 0x1800
	s_cmpk_gt_u32 s10, 0x2fff
	s_cbranch_scc1 .LBB875_185
.LBB875_182:                            ;   in Loop: Header=BB875_179 Depth=1
	ds_read_b32 v47, v40 offset:25600
	s_waitcnt lgkmcnt(0)
	v_lshrrev_b32_e32 v1, s44, v47
	v_and_b32_e32 v48, s14, v1
	v_lshlrev_b32_e32 v1, 2, v48
	ds_read_b32 v1, v1
	s_waitcnt lgkmcnt(0)
	v_add3_u32 v1, v43, v1, 0x1800
	v_lshlrev_b64 v[44:45], 2, v[1:2]
	v_xor_b32_e32 v1, 0x80000000, v47
	v_mov_b32_e32 v47, s9
	v_add_co_u32 v44, vcc_lo, s38, v44
	v_add_co_ci_u32_e64 v45, null, s39, v45, vcc_lo
	buffer_store_dword v48, v47, s[0:3], 0 offen offset:24
	global_store_dword v[44:45], v1, off
	s_add_i32 s10, s7, 0x1c00
	s_cmpk_gt_u32 s10, 0x2fff
	s_cbranch_scc1 .LBB875_178
	s_branch .LBB875_186
.LBB875_183:                            ;   in Loop: Header=BB875_179 Depth=1
	s_add_i32 s10, s7, 0x1400
	s_cmpk_gt_u32 s10, 0x2fff
	s_cbranch_scc1 .LBB875_181
.LBB875_184:                            ;   in Loop: Header=BB875_179 Depth=1
	ds_read_b32 v47, v40 offset:21504
	s_waitcnt lgkmcnt(0)
	v_lshrrev_b32_e32 v1, s44, v47
	v_and_b32_e32 v48, s14, v1
	v_lshlrev_b32_e32 v1, 2, v48
	ds_read_b32 v1, v1
	s_waitcnt lgkmcnt(0)
	v_add3_u32 v1, v43, v1, 0x1400
	v_lshlrev_b64 v[44:45], 2, v[1:2]
	v_xor_b32_e32 v1, 0x80000000, v47
	v_mov_b32_e32 v47, s9
	v_add_co_u32 v44, vcc_lo, s38, v44
	v_add_co_ci_u32_e64 v45, null, s39, v45, vcc_lo
	buffer_store_dword v48, v47, s[0:3], 0 offen offset:20
	global_store_dword v[44:45], v1, off
	s_add_i32 s10, s7, 0x1800
	s_cmpk_gt_u32 s10, 0x2fff
	s_cbranch_scc0 .LBB875_182
.LBB875_185:                            ;   in Loop: Header=BB875_179 Depth=1
	s_add_i32 s10, s7, 0x1c00
	s_cmpk_gt_u32 s10, 0x2fff
	s_cbranch_scc1 .LBB875_178
.LBB875_186:                            ;   in Loop: Header=BB875_179 Depth=1
	ds_read_b32 v45, v40 offset:29696
	s_waitcnt lgkmcnt(0)
	v_lshrrev_b32_e32 v1, s44, v45
	v_and_b32_e32 v47, s14, v1
	v_lshlrev_b32_e32 v1, 2, v47
	ds_read_b32 v1, v1
	s_waitcnt lgkmcnt(0)
	v_add3_u32 v1, v43, v1, 0x1c00
	v_lshlrev_b64 v[43:44], 2, v[1:2]
	v_xor_b32_e32 v1, 0x80000000, v45
	v_mov_b32_e32 v45, s9
	v_add_co_u32 v43, vcc_lo, s38, v43
	v_add_co_ci_u32_e64 v44, null, s39, v44, vcc_lo
	buffer_store_dword v47, v45, s[0:3], 0 offen offset:28
	global_store_dword v[43:44], v1, off
	s_branch .LBB875_178
.LBB875_187:
	s_add_u32 s7, s40, s12
	s_addc_u32 s8, s41, s13
	v_add_co_u32 v1, s7, s7, v9
	v_add_co_ci_u32_e64 v2, null, s8, 0, s7
	s_mov_b32 s9, 0
	v_add_co_u32 v1, vcc_lo, v1, v10
	v_add_co_ci_u32_e64 v2, null, 0, v2, vcc_lo
	s_mov_b32 s8, -1
	s_mov_b32 s7, 0
	s_clause 0xb
	global_load_dword v9, v[1:2], off
	global_load_dword v10, v[1:2], off offset:128
	global_load_dword v12, v[1:2], off offset:256
	;; [unrolled: 1-line block ×11, first 2 shown]
	v_mov_b32_e32 v2, 0
	s_branch .LBB875_189
.LBB875_188:                            ;   in Loop: Header=BB875_189 Depth=1
	v_add_nc_u32_e32 v24, 0xffffe000, v24
	v_add_nc_u32_e32 v23, 0xffffe000, v23
	;; [unrolled: 1-line block ×12, first 2 shown]
	s_xor_b32 s9, s8, -1
	s_addk_i32 s7, 0x2000
	s_mov_b32 s8, 0
	s_and_b32 vcc_lo, exec_lo, s9
	s_mov_b32 s9, s5
	s_waitcnt_vscnt null, 0x0
	s_barrier
	buffer_gl0_inv
	s_cbranch_vccnz .LBB875_197
.LBB875_189:                            ; =>This Inner Loop Header: Depth=1
	v_min_u32_e32 v1, 0x2000, v3
	v_min_u32_e32 v29, 0x2000, v4
	;; [unrolled: 1-line block ×5, first 2 shown]
	v_lshlrev_b32_e32 v1, 2, v1
	v_lshlrev_b32_e32 v29, 2, v29
	v_min_u32_e32 v33, 0x2000, v16
	v_lshlrev_b32_e32 v30, 2, v30
	s_add_i32 s10, s7, 0x1000
	s_waitcnt vmcnt(11)
	ds_write_b32 v1, v9 offset:1024
	s_waitcnt vmcnt(10)
	ds_write_b32 v29, v10 offset:1024
	v_min_u32_e32 v1, 0x2000, v18
	v_lshlrev_b32_e32 v29, 2, v31
	v_lshlrev_b32_e32 v31, 2, v32
	;; [unrolled: 1-line block ×3, first 2 shown]
	s_waitcnt vmcnt(9)
	ds_write_b32 v30, v12 offset:1024
	v_lshlrev_b32_e32 v1, 2, v1
	s_waitcnt vmcnt(8)
	ds_write_b32 v29, v13 offset:1024
	s_waitcnt vmcnt(7)
	ds_write_b32 v31, v14 offset:1024
	;; [unrolled: 2-line block ×3, first 2 shown]
	v_min_u32_e32 v29, 0x2000, v19
	v_min_u32_e32 v30, 0x2000, v22
	;; [unrolled: 1-line block ×3, first 2 shown]
	s_waitcnt vmcnt(5)
	ds_write_b32 v1, v17 offset:1024
	v_min_u32_e32 v1, 0x2000, v21
	v_lshlrev_b32_e32 v29, 2, v29
	v_min_u32_e32 v32, 0x2000, v24
	v_lshlrev_b32_e32 v30, 2, v30
	v_lshlrev_b32_e32 v31, 2, v31
	;; [unrolled: 1-line block ×3, first 2 shown]
	s_waitcnt vmcnt(4)
	ds_write_b32 v29, v20 offset:1024
	v_lshlrev_b32_e32 v29, 2, v32
	s_waitcnt vmcnt(3)
	ds_write_b32 v1, v25 offset:1024
	s_waitcnt vmcnt(2)
	ds_write_b32 v30, v26 offset:1024
	;; [unrolled: 2-line block ×3, first 2 shown]
	v_mov_b32_e32 v1, s9
	s_waitcnt vmcnt(0)
	ds_write_b32 v29, v28 offset:1024
	s_waitcnt lgkmcnt(0)
	s_barrier
	buffer_gl0_inv
	s_clause 0x3
	buffer_load_dword v29, v1, s[0:3], 0 offen
	buffer_load_dword v30, v1, s[0:3], 0 offen offset:4
	buffer_load_dword v31, v1, s[0:3], 0 offen offset:8
	;; [unrolled: 1-line block ×3, first 2 shown]
	s_cmpk_lt_u32 s10, 0x3000
	s_waitcnt vmcnt(3)
	v_lshlrev_b32_e32 v29, 2, v29
	s_waitcnt vmcnt(0)
	v_lshlrev_b32_e32 v1, 2, v1
	ds_read_b32 v32, v29
	ds_read_b32 v41, v1
	v_lshlrev_b32_e32 v29, 2, v30
	ds_read_b32 v34, v29
	v_lshlrev_b32_e32 v29, 2, v31
	ds_read2st64_b32 v[30:31], v40 offset0:4 offset1:20
	ds_read_b32 v36, v29
	v_add_nc_u32_e32 v29, s7, v0
	s_waitcnt lgkmcnt(4)
	v_add_nc_u32_e32 v1, v29, v32
	v_lshlrev_b64 v[32:33], 2, v[1:2]
	s_waitcnt lgkmcnt(2)
	v_add3_u32 v1, v29, v34, 0x400
	v_add_co_u32 v32, vcc_lo, s42, v32
	v_lshlrev_b64 v[34:35], 2, v[1:2]
	s_waitcnt lgkmcnt(0)
	v_add3_u32 v1, v29, v36, 0x800
	ds_read2st64_b32 v[36:37], v40 offset0:36 offset1:52
	v_add_co_ci_u32_e64 v33, null, s43, v33, vcc_lo
	v_lshlrev_b64 v[38:39], 2, v[1:2]
	v_add3_u32 v1, v29, v41, 0xc00
	global_store_dword v[32:33], v30, off
	v_add_co_u32 v32, vcc_lo, s42, v34
	v_add_co_ci_u32_e64 v33, null, s43, v35, vcc_lo
	v_lshlrev_b64 v[34:35], 2, v[1:2]
	v_add_co_u32 v38, vcc_lo, s42, v38
	v_add_co_ci_u32_e64 v39, null, s43, v39, vcc_lo
	global_store_dword v[32:33], v31, off
	v_add_co_u32 v34, vcc_lo, s42, v34
	v_add_co_ci_u32_e64 v35, null, s43, v35, vcc_lo
	s_waitcnt lgkmcnt(0)
	global_store_dword v[38:39], v36, off
	global_store_dword v[34:35], v37, off
	s_cbranch_scc0 .LBB875_193
; %bb.190:                              ;   in Loop: Header=BB875_189 Depth=1
	v_mov_b32_e32 v1, s9
	buffer_load_dword v1, v1, s[0:3], 0 offen offset:16
	s_waitcnt vmcnt(0)
	v_lshlrev_b32_e32 v1, 2, v1
	ds_read_b32 v1, v1
	ds_read_b32 v32, v40 offset:17408
	s_waitcnt lgkmcnt(1)
	v_add3_u32 v1, v29, v1, 0x1000
	v_lshlrev_b64 v[30:31], 2, v[1:2]
	v_add_co_u32 v30, vcc_lo, s42, v30
	v_add_co_ci_u32_e64 v31, null, s43, v31, vcc_lo
	s_waitcnt lgkmcnt(0)
	global_store_dword v[30:31], v32, off
	s_add_i32 s10, s7, 0x1400
	s_cmpk_gt_u32 s10, 0x2fff
	s_cbranch_scc0 .LBB875_194
.LBB875_191:                            ;   in Loop: Header=BB875_189 Depth=1
	s_add_i32 s10, s7, 0x1800
	s_cmpk_gt_u32 s10, 0x2fff
	s_cbranch_scc1 .LBB875_195
.LBB875_192:                            ;   in Loop: Header=BB875_189 Depth=1
	v_mov_b32_e32 v1, s9
	buffer_load_dword v1, v1, s[0:3], 0 offen offset:24
	s_waitcnt vmcnt(0)
	v_lshlrev_b32_e32 v1, 2, v1
	ds_read_b32 v1, v1
	ds_read_b32 v32, v40 offset:25600
	s_waitcnt lgkmcnt(1)
	v_add3_u32 v1, v29, v1, 0x1800
	v_lshlrev_b64 v[30:31], 2, v[1:2]
	v_add_co_u32 v30, vcc_lo, s42, v30
	v_add_co_ci_u32_e64 v31, null, s43, v31, vcc_lo
	s_waitcnt lgkmcnt(0)
	global_store_dword v[30:31], v32, off
	s_add_i32 s10, s7, 0x1c00
	s_cmpk_gt_u32 s10, 0x2fff
	s_cbranch_scc1 .LBB875_188
	s_branch .LBB875_196
.LBB875_193:                            ;   in Loop: Header=BB875_189 Depth=1
	s_add_i32 s10, s7, 0x1400
	s_cmpk_gt_u32 s10, 0x2fff
	s_cbranch_scc1 .LBB875_191
.LBB875_194:                            ;   in Loop: Header=BB875_189 Depth=1
	v_mov_b32_e32 v1, s9
	buffer_load_dword v1, v1, s[0:3], 0 offen offset:20
	s_waitcnt vmcnt(0)
	v_lshlrev_b32_e32 v1, 2, v1
	ds_read_b32 v1, v1
	ds_read_b32 v32, v40 offset:21504
	s_waitcnt lgkmcnt(1)
	v_add3_u32 v1, v29, v1, 0x1400
	v_lshlrev_b64 v[30:31], 2, v[1:2]
	v_add_co_u32 v30, vcc_lo, s42, v30
	v_add_co_ci_u32_e64 v31, null, s43, v31, vcc_lo
	s_waitcnt lgkmcnt(0)
	global_store_dword v[30:31], v32, off
	s_add_i32 s10, s7, 0x1800
	s_cmpk_gt_u32 s10, 0x2fff
	s_cbranch_scc0 .LBB875_192
.LBB875_195:                            ;   in Loop: Header=BB875_189 Depth=1
	s_add_i32 s10, s7, 0x1c00
	s_cmpk_gt_u32 s10, 0x2fff
	s_cbranch_scc1 .LBB875_188
.LBB875_196:                            ;   in Loop: Header=BB875_189 Depth=1
	v_mov_b32_e32 v1, s9
	buffer_load_dword v1, v1, s[0:3], 0 offen offset:28
	s_waitcnt vmcnt(0)
	v_lshlrev_b32_e32 v1, 2, v1
	ds_read_b32 v1, v1
	ds_read_b32 v31, v40 offset:29696
	s_waitcnt lgkmcnt(1)
	v_add3_u32 v1, v29, v1, 0x1c00
	v_lshlrev_b64 v[29:30], 2, v[1:2]
	v_add_co_u32 v29, vcc_lo, s42, v29
	v_add_co_ci_u32_e64 v30, null, s43, v30, vcc_lo
	s_waitcnt lgkmcnt(0)
	global_store_dword v[29:30], v31, off
	s_branch .LBB875_188
.LBB875_197:
	s_add_i32 s11, s11, -1
	s_cmp_eq_u32 s6, s11
	s_cselect_b32 s5, -1, 0
	s_xor_b32 s4, s4, -1
	s_and_b32 s4, s4, s5
	s_and_saveexec_b32 s5, s4
	s_cbranch_execz .LBB875_199
; %bb.198:
	ds_read_b32 v0, v40
	s_waitcnt lgkmcnt(0)
	v_add3_u32 v0, v7, v8, v0
	global_store_dword v40, v0, s[30:31]
.LBB875_199:
	s_endpgm
	.section	.rodata,"a",@progbits
	.p2align	6, 0x0
	.amdhsa_kernel _ZN7rocprim17ROCPRIM_400000_NS6detail17trampoline_kernelINS0_14default_configENS1_35radix_sort_onesweep_config_selectorIiiEEZZNS1_29radix_sort_onesweep_iterationIS3_Lb0EN6thrust23THRUST_200600_302600_NS6detail15normal_iteratorINS8_10device_ptrIiEEEESD_SD_SD_jNS0_19identity_decomposerENS1_16block_id_wrapperIjLb0EEEEE10hipError_tT1_PNSt15iterator_traitsISI_E10value_typeET2_T3_PNSJ_ISO_E10value_typeET4_T5_PST_SU_PNS1_23onesweep_lookback_stateEbbT6_jjT7_P12ihipStream_tbENKUlT_T0_SI_SN_E_clIPiSD_S15_SD_EEDaS11_S12_SI_SN_EUlS11_E_NS1_11comp_targetILNS1_3genE8ELNS1_11target_archE1030ELNS1_3gpuE2ELNS1_3repE0EEENS1_47radix_sort_onesweep_sort_config_static_selectorELNS0_4arch9wavefront6targetE0EEEvSI_
		.amdhsa_group_segment_fixed_size 37000
		.amdhsa_private_segment_fixed_size 64
		.amdhsa_kernarg_size 344
		.amdhsa_user_sgpr_count 6
		.amdhsa_user_sgpr_private_segment_buffer 1
		.amdhsa_user_sgpr_dispatch_ptr 0
		.amdhsa_user_sgpr_queue_ptr 0
		.amdhsa_user_sgpr_kernarg_segment_ptr 1
		.amdhsa_user_sgpr_dispatch_id 0
		.amdhsa_user_sgpr_flat_scratch_init 0
		.amdhsa_user_sgpr_private_segment_size 0
		.amdhsa_wavefront_size32 1
		.amdhsa_uses_dynamic_stack 0
		.amdhsa_system_sgpr_private_segment_wavefront_offset 1
		.amdhsa_system_sgpr_workgroup_id_x 1
		.amdhsa_system_sgpr_workgroup_id_y 0
		.amdhsa_system_sgpr_workgroup_id_z 0
		.amdhsa_system_sgpr_workgroup_info 0
		.amdhsa_system_vgpr_workitem_id 2
		.amdhsa_next_free_vgpr 68
		.amdhsa_next_free_sgpr 49
		.amdhsa_reserve_vcc 1
		.amdhsa_reserve_flat_scratch 0
		.amdhsa_float_round_mode_32 0
		.amdhsa_float_round_mode_16_64 0
		.amdhsa_float_denorm_mode_32 3
		.amdhsa_float_denorm_mode_16_64 3
		.amdhsa_dx10_clamp 1
		.amdhsa_ieee_mode 1
		.amdhsa_fp16_overflow 0
		.amdhsa_workgroup_processor_mode 1
		.amdhsa_memory_ordered 1
		.amdhsa_forward_progress 1
		.amdhsa_shared_vgpr_count 0
		.amdhsa_exception_fp_ieee_invalid_op 0
		.amdhsa_exception_fp_denorm_src 0
		.amdhsa_exception_fp_ieee_div_zero 0
		.amdhsa_exception_fp_ieee_overflow 0
		.amdhsa_exception_fp_ieee_underflow 0
		.amdhsa_exception_fp_ieee_inexact 0
		.amdhsa_exception_int_div_zero 0
	.end_amdhsa_kernel
	.section	.text._ZN7rocprim17ROCPRIM_400000_NS6detail17trampoline_kernelINS0_14default_configENS1_35radix_sort_onesweep_config_selectorIiiEEZZNS1_29radix_sort_onesweep_iterationIS3_Lb0EN6thrust23THRUST_200600_302600_NS6detail15normal_iteratorINS8_10device_ptrIiEEEESD_SD_SD_jNS0_19identity_decomposerENS1_16block_id_wrapperIjLb0EEEEE10hipError_tT1_PNSt15iterator_traitsISI_E10value_typeET2_T3_PNSJ_ISO_E10value_typeET4_T5_PST_SU_PNS1_23onesweep_lookback_stateEbbT6_jjT7_P12ihipStream_tbENKUlT_T0_SI_SN_E_clIPiSD_S15_SD_EEDaS11_S12_SI_SN_EUlS11_E_NS1_11comp_targetILNS1_3genE8ELNS1_11target_archE1030ELNS1_3gpuE2ELNS1_3repE0EEENS1_47radix_sort_onesweep_sort_config_static_selectorELNS0_4arch9wavefront6targetE0EEEvSI_,"axG",@progbits,_ZN7rocprim17ROCPRIM_400000_NS6detail17trampoline_kernelINS0_14default_configENS1_35radix_sort_onesweep_config_selectorIiiEEZZNS1_29radix_sort_onesweep_iterationIS3_Lb0EN6thrust23THRUST_200600_302600_NS6detail15normal_iteratorINS8_10device_ptrIiEEEESD_SD_SD_jNS0_19identity_decomposerENS1_16block_id_wrapperIjLb0EEEEE10hipError_tT1_PNSt15iterator_traitsISI_E10value_typeET2_T3_PNSJ_ISO_E10value_typeET4_T5_PST_SU_PNS1_23onesweep_lookback_stateEbbT6_jjT7_P12ihipStream_tbENKUlT_T0_SI_SN_E_clIPiSD_S15_SD_EEDaS11_S12_SI_SN_EUlS11_E_NS1_11comp_targetILNS1_3genE8ELNS1_11target_archE1030ELNS1_3gpuE2ELNS1_3repE0EEENS1_47radix_sort_onesweep_sort_config_static_selectorELNS0_4arch9wavefront6targetE0EEEvSI_,comdat
.Lfunc_end875:
	.size	_ZN7rocprim17ROCPRIM_400000_NS6detail17trampoline_kernelINS0_14default_configENS1_35radix_sort_onesweep_config_selectorIiiEEZZNS1_29radix_sort_onesweep_iterationIS3_Lb0EN6thrust23THRUST_200600_302600_NS6detail15normal_iteratorINS8_10device_ptrIiEEEESD_SD_SD_jNS0_19identity_decomposerENS1_16block_id_wrapperIjLb0EEEEE10hipError_tT1_PNSt15iterator_traitsISI_E10value_typeET2_T3_PNSJ_ISO_E10value_typeET4_T5_PST_SU_PNS1_23onesweep_lookback_stateEbbT6_jjT7_P12ihipStream_tbENKUlT_T0_SI_SN_E_clIPiSD_S15_SD_EEDaS11_S12_SI_SN_EUlS11_E_NS1_11comp_targetILNS1_3genE8ELNS1_11target_archE1030ELNS1_3gpuE2ELNS1_3repE0EEENS1_47radix_sort_onesweep_sort_config_static_selectorELNS0_4arch9wavefront6targetE0EEEvSI_, .Lfunc_end875-_ZN7rocprim17ROCPRIM_400000_NS6detail17trampoline_kernelINS0_14default_configENS1_35radix_sort_onesweep_config_selectorIiiEEZZNS1_29radix_sort_onesweep_iterationIS3_Lb0EN6thrust23THRUST_200600_302600_NS6detail15normal_iteratorINS8_10device_ptrIiEEEESD_SD_SD_jNS0_19identity_decomposerENS1_16block_id_wrapperIjLb0EEEEE10hipError_tT1_PNSt15iterator_traitsISI_E10value_typeET2_T3_PNSJ_ISO_E10value_typeET4_T5_PST_SU_PNS1_23onesweep_lookback_stateEbbT6_jjT7_P12ihipStream_tbENKUlT_T0_SI_SN_E_clIPiSD_S15_SD_EEDaS11_S12_SI_SN_EUlS11_E_NS1_11comp_targetILNS1_3genE8ELNS1_11target_archE1030ELNS1_3gpuE2ELNS1_3repE0EEENS1_47radix_sort_onesweep_sort_config_static_selectorELNS0_4arch9wavefront6targetE0EEEvSI_
                                        ; -- End function
	.set _ZN7rocprim17ROCPRIM_400000_NS6detail17trampoline_kernelINS0_14default_configENS1_35radix_sort_onesweep_config_selectorIiiEEZZNS1_29radix_sort_onesweep_iterationIS3_Lb0EN6thrust23THRUST_200600_302600_NS6detail15normal_iteratorINS8_10device_ptrIiEEEESD_SD_SD_jNS0_19identity_decomposerENS1_16block_id_wrapperIjLb0EEEEE10hipError_tT1_PNSt15iterator_traitsISI_E10value_typeET2_T3_PNSJ_ISO_E10value_typeET4_T5_PST_SU_PNS1_23onesweep_lookback_stateEbbT6_jjT7_P12ihipStream_tbENKUlT_T0_SI_SN_E_clIPiSD_S15_SD_EEDaS11_S12_SI_SN_EUlS11_E_NS1_11comp_targetILNS1_3genE8ELNS1_11target_archE1030ELNS1_3gpuE2ELNS1_3repE0EEENS1_47radix_sort_onesweep_sort_config_static_selectorELNS0_4arch9wavefront6targetE0EEEvSI_.num_vgpr, 68
	.set _ZN7rocprim17ROCPRIM_400000_NS6detail17trampoline_kernelINS0_14default_configENS1_35radix_sort_onesweep_config_selectorIiiEEZZNS1_29radix_sort_onesweep_iterationIS3_Lb0EN6thrust23THRUST_200600_302600_NS6detail15normal_iteratorINS8_10device_ptrIiEEEESD_SD_SD_jNS0_19identity_decomposerENS1_16block_id_wrapperIjLb0EEEEE10hipError_tT1_PNSt15iterator_traitsISI_E10value_typeET2_T3_PNSJ_ISO_E10value_typeET4_T5_PST_SU_PNS1_23onesweep_lookback_stateEbbT6_jjT7_P12ihipStream_tbENKUlT_T0_SI_SN_E_clIPiSD_S15_SD_EEDaS11_S12_SI_SN_EUlS11_E_NS1_11comp_targetILNS1_3genE8ELNS1_11target_archE1030ELNS1_3gpuE2ELNS1_3repE0EEENS1_47radix_sort_onesweep_sort_config_static_selectorELNS0_4arch9wavefront6targetE0EEEvSI_.num_agpr, 0
	.set _ZN7rocprim17ROCPRIM_400000_NS6detail17trampoline_kernelINS0_14default_configENS1_35radix_sort_onesweep_config_selectorIiiEEZZNS1_29radix_sort_onesweep_iterationIS3_Lb0EN6thrust23THRUST_200600_302600_NS6detail15normal_iteratorINS8_10device_ptrIiEEEESD_SD_SD_jNS0_19identity_decomposerENS1_16block_id_wrapperIjLb0EEEEE10hipError_tT1_PNSt15iterator_traitsISI_E10value_typeET2_T3_PNSJ_ISO_E10value_typeET4_T5_PST_SU_PNS1_23onesweep_lookback_stateEbbT6_jjT7_P12ihipStream_tbENKUlT_T0_SI_SN_E_clIPiSD_S15_SD_EEDaS11_S12_SI_SN_EUlS11_E_NS1_11comp_targetILNS1_3genE8ELNS1_11target_archE1030ELNS1_3gpuE2ELNS1_3repE0EEENS1_47radix_sort_onesweep_sort_config_static_selectorELNS0_4arch9wavefront6targetE0EEEvSI_.numbered_sgpr, 49
	.set _ZN7rocprim17ROCPRIM_400000_NS6detail17trampoline_kernelINS0_14default_configENS1_35radix_sort_onesweep_config_selectorIiiEEZZNS1_29radix_sort_onesweep_iterationIS3_Lb0EN6thrust23THRUST_200600_302600_NS6detail15normal_iteratorINS8_10device_ptrIiEEEESD_SD_SD_jNS0_19identity_decomposerENS1_16block_id_wrapperIjLb0EEEEE10hipError_tT1_PNSt15iterator_traitsISI_E10value_typeET2_T3_PNSJ_ISO_E10value_typeET4_T5_PST_SU_PNS1_23onesweep_lookback_stateEbbT6_jjT7_P12ihipStream_tbENKUlT_T0_SI_SN_E_clIPiSD_S15_SD_EEDaS11_S12_SI_SN_EUlS11_E_NS1_11comp_targetILNS1_3genE8ELNS1_11target_archE1030ELNS1_3gpuE2ELNS1_3repE0EEENS1_47radix_sort_onesweep_sort_config_static_selectorELNS0_4arch9wavefront6targetE0EEEvSI_.num_named_barrier, 0
	.set _ZN7rocprim17ROCPRIM_400000_NS6detail17trampoline_kernelINS0_14default_configENS1_35radix_sort_onesweep_config_selectorIiiEEZZNS1_29radix_sort_onesweep_iterationIS3_Lb0EN6thrust23THRUST_200600_302600_NS6detail15normal_iteratorINS8_10device_ptrIiEEEESD_SD_SD_jNS0_19identity_decomposerENS1_16block_id_wrapperIjLb0EEEEE10hipError_tT1_PNSt15iterator_traitsISI_E10value_typeET2_T3_PNSJ_ISO_E10value_typeET4_T5_PST_SU_PNS1_23onesweep_lookback_stateEbbT6_jjT7_P12ihipStream_tbENKUlT_T0_SI_SN_E_clIPiSD_S15_SD_EEDaS11_S12_SI_SN_EUlS11_E_NS1_11comp_targetILNS1_3genE8ELNS1_11target_archE1030ELNS1_3gpuE2ELNS1_3repE0EEENS1_47radix_sort_onesweep_sort_config_static_selectorELNS0_4arch9wavefront6targetE0EEEvSI_.private_seg_size, 64
	.set _ZN7rocprim17ROCPRIM_400000_NS6detail17trampoline_kernelINS0_14default_configENS1_35radix_sort_onesweep_config_selectorIiiEEZZNS1_29radix_sort_onesweep_iterationIS3_Lb0EN6thrust23THRUST_200600_302600_NS6detail15normal_iteratorINS8_10device_ptrIiEEEESD_SD_SD_jNS0_19identity_decomposerENS1_16block_id_wrapperIjLb0EEEEE10hipError_tT1_PNSt15iterator_traitsISI_E10value_typeET2_T3_PNSJ_ISO_E10value_typeET4_T5_PST_SU_PNS1_23onesweep_lookback_stateEbbT6_jjT7_P12ihipStream_tbENKUlT_T0_SI_SN_E_clIPiSD_S15_SD_EEDaS11_S12_SI_SN_EUlS11_E_NS1_11comp_targetILNS1_3genE8ELNS1_11target_archE1030ELNS1_3gpuE2ELNS1_3repE0EEENS1_47radix_sort_onesweep_sort_config_static_selectorELNS0_4arch9wavefront6targetE0EEEvSI_.uses_vcc, 1
	.set _ZN7rocprim17ROCPRIM_400000_NS6detail17trampoline_kernelINS0_14default_configENS1_35radix_sort_onesweep_config_selectorIiiEEZZNS1_29radix_sort_onesweep_iterationIS3_Lb0EN6thrust23THRUST_200600_302600_NS6detail15normal_iteratorINS8_10device_ptrIiEEEESD_SD_SD_jNS0_19identity_decomposerENS1_16block_id_wrapperIjLb0EEEEE10hipError_tT1_PNSt15iterator_traitsISI_E10value_typeET2_T3_PNSJ_ISO_E10value_typeET4_T5_PST_SU_PNS1_23onesweep_lookback_stateEbbT6_jjT7_P12ihipStream_tbENKUlT_T0_SI_SN_E_clIPiSD_S15_SD_EEDaS11_S12_SI_SN_EUlS11_E_NS1_11comp_targetILNS1_3genE8ELNS1_11target_archE1030ELNS1_3gpuE2ELNS1_3repE0EEENS1_47radix_sort_onesweep_sort_config_static_selectorELNS0_4arch9wavefront6targetE0EEEvSI_.uses_flat_scratch, 0
	.set _ZN7rocprim17ROCPRIM_400000_NS6detail17trampoline_kernelINS0_14default_configENS1_35radix_sort_onesweep_config_selectorIiiEEZZNS1_29radix_sort_onesweep_iterationIS3_Lb0EN6thrust23THRUST_200600_302600_NS6detail15normal_iteratorINS8_10device_ptrIiEEEESD_SD_SD_jNS0_19identity_decomposerENS1_16block_id_wrapperIjLb0EEEEE10hipError_tT1_PNSt15iterator_traitsISI_E10value_typeET2_T3_PNSJ_ISO_E10value_typeET4_T5_PST_SU_PNS1_23onesweep_lookback_stateEbbT6_jjT7_P12ihipStream_tbENKUlT_T0_SI_SN_E_clIPiSD_S15_SD_EEDaS11_S12_SI_SN_EUlS11_E_NS1_11comp_targetILNS1_3genE8ELNS1_11target_archE1030ELNS1_3gpuE2ELNS1_3repE0EEENS1_47radix_sort_onesweep_sort_config_static_selectorELNS0_4arch9wavefront6targetE0EEEvSI_.has_dyn_sized_stack, 0
	.set _ZN7rocprim17ROCPRIM_400000_NS6detail17trampoline_kernelINS0_14default_configENS1_35radix_sort_onesweep_config_selectorIiiEEZZNS1_29radix_sort_onesweep_iterationIS3_Lb0EN6thrust23THRUST_200600_302600_NS6detail15normal_iteratorINS8_10device_ptrIiEEEESD_SD_SD_jNS0_19identity_decomposerENS1_16block_id_wrapperIjLb0EEEEE10hipError_tT1_PNSt15iterator_traitsISI_E10value_typeET2_T3_PNSJ_ISO_E10value_typeET4_T5_PST_SU_PNS1_23onesweep_lookback_stateEbbT6_jjT7_P12ihipStream_tbENKUlT_T0_SI_SN_E_clIPiSD_S15_SD_EEDaS11_S12_SI_SN_EUlS11_E_NS1_11comp_targetILNS1_3genE8ELNS1_11target_archE1030ELNS1_3gpuE2ELNS1_3repE0EEENS1_47radix_sort_onesweep_sort_config_static_selectorELNS0_4arch9wavefront6targetE0EEEvSI_.has_recursion, 0
	.set _ZN7rocprim17ROCPRIM_400000_NS6detail17trampoline_kernelINS0_14default_configENS1_35radix_sort_onesweep_config_selectorIiiEEZZNS1_29radix_sort_onesweep_iterationIS3_Lb0EN6thrust23THRUST_200600_302600_NS6detail15normal_iteratorINS8_10device_ptrIiEEEESD_SD_SD_jNS0_19identity_decomposerENS1_16block_id_wrapperIjLb0EEEEE10hipError_tT1_PNSt15iterator_traitsISI_E10value_typeET2_T3_PNSJ_ISO_E10value_typeET4_T5_PST_SU_PNS1_23onesweep_lookback_stateEbbT6_jjT7_P12ihipStream_tbENKUlT_T0_SI_SN_E_clIPiSD_S15_SD_EEDaS11_S12_SI_SN_EUlS11_E_NS1_11comp_targetILNS1_3genE8ELNS1_11target_archE1030ELNS1_3gpuE2ELNS1_3repE0EEENS1_47radix_sort_onesweep_sort_config_static_selectorELNS0_4arch9wavefront6targetE0EEEvSI_.has_indirect_call, 0
	.section	.AMDGPU.csdata,"",@progbits
; Kernel info:
; codeLenInByte = 17368
; TotalNumSgprs: 51
; NumVgprs: 68
; ScratchSize: 64
; MemoryBound: 0
; FloatMode: 240
; IeeeMode: 1
; LDSByteSize: 37000 bytes/workgroup (compile time only)
; SGPRBlocks: 0
; VGPRBlocks: 8
; NumSGPRsForWavesPerEU: 51
; NumVGPRsForWavesPerEU: 68
; Occupancy: 12
; WaveLimiterHint : 1
; COMPUTE_PGM_RSRC2:SCRATCH_EN: 1
; COMPUTE_PGM_RSRC2:USER_SGPR: 6
; COMPUTE_PGM_RSRC2:TRAP_HANDLER: 0
; COMPUTE_PGM_RSRC2:TGID_X_EN: 1
; COMPUTE_PGM_RSRC2:TGID_Y_EN: 0
; COMPUTE_PGM_RSRC2:TGID_Z_EN: 0
; COMPUTE_PGM_RSRC2:TIDIG_COMP_CNT: 2
	.section	.text._ZN7rocprim17ROCPRIM_400000_NS6detail17trampoline_kernelINS0_13kernel_configILj256ELj4ELj4294967295EEENS1_37radix_sort_block_sort_config_selectorIiiEEZNS1_21radix_sort_block_sortIS4_Lb1EN6thrust23THRUST_200600_302600_NS6detail15normal_iteratorINS9_10device_ptrIiEEEESE_SE_SE_NS0_19identity_decomposerEEE10hipError_tT1_T2_T3_T4_jRjT5_jjP12ihipStream_tbEUlT_E_NS1_11comp_targetILNS1_3genE0ELNS1_11target_archE4294967295ELNS1_3gpuE0ELNS1_3repE0EEENS1_44radix_sort_block_sort_config_static_selectorELNS0_4arch9wavefront6targetE0EEEvSH_,"axG",@progbits,_ZN7rocprim17ROCPRIM_400000_NS6detail17trampoline_kernelINS0_13kernel_configILj256ELj4ELj4294967295EEENS1_37radix_sort_block_sort_config_selectorIiiEEZNS1_21radix_sort_block_sortIS4_Lb1EN6thrust23THRUST_200600_302600_NS6detail15normal_iteratorINS9_10device_ptrIiEEEESE_SE_SE_NS0_19identity_decomposerEEE10hipError_tT1_T2_T3_T4_jRjT5_jjP12ihipStream_tbEUlT_E_NS1_11comp_targetILNS1_3genE0ELNS1_11target_archE4294967295ELNS1_3gpuE0ELNS1_3repE0EEENS1_44radix_sort_block_sort_config_static_selectorELNS0_4arch9wavefront6targetE0EEEvSH_,comdat
	.protected	_ZN7rocprim17ROCPRIM_400000_NS6detail17trampoline_kernelINS0_13kernel_configILj256ELj4ELj4294967295EEENS1_37radix_sort_block_sort_config_selectorIiiEEZNS1_21radix_sort_block_sortIS4_Lb1EN6thrust23THRUST_200600_302600_NS6detail15normal_iteratorINS9_10device_ptrIiEEEESE_SE_SE_NS0_19identity_decomposerEEE10hipError_tT1_T2_T3_T4_jRjT5_jjP12ihipStream_tbEUlT_E_NS1_11comp_targetILNS1_3genE0ELNS1_11target_archE4294967295ELNS1_3gpuE0ELNS1_3repE0EEENS1_44radix_sort_block_sort_config_static_selectorELNS0_4arch9wavefront6targetE0EEEvSH_ ; -- Begin function _ZN7rocprim17ROCPRIM_400000_NS6detail17trampoline_kernelINS0_13kernel_configILj256ELj4ELj4294967295EEENS1_37radix_sort_block_sort_config_selectorIiiEEZNS1_21radix_sort_block_sortIS4_Lb1EN6thrust23THRUST_200600_302600_NS6detail15normal_iteratorINS9_10device_ptrIiEEEESE_SE_SE_NS0_19identity_decomposerEEE10hipError_tT1_T2_T3_T4_jRjT5_jjP12ihipStream_tbEUlT_E_NS1_11comp_targetILNS1_3genE0ELNS1_11target_archE4294967295ELNS1_3gpuE0ELNS1_3repE0EEENS1_44radix_sort_block_sort_config_static_selectorELNS0_4arch9wavefront6targetE0EEEvSH_
	.globl	_ZN7rocprim17ROCPRIM_400000_NS6detail17trampoline_kernelINS0_13kernel_configILj256ELj4ELj4294967295EEENS1_37radix_sort_block_sort_config_selectorIiiEEZNS1_21radix_sort_block_sortIS4_Lb1EN6thrust23THRUST_200600_302600_NS6detail15normal_iteratorINS9_10device_ptrIiEEEESE_SE_SE_NS0_19identity_decomposerEEE10hipError_tT1_T2_T3_T4_jRjT5_jjP12ihipStream_tbEUlT_E_NS1_11comp_targetILNS1_3genE0ELNS1_11target_archE4294967295ELNS1_3gpuE0ELNS1_3repE0EEENS1_44radix_sort_block_sort_config_static_selectorELNS0_4arch9wavefront6targetE0EEEvSH_
	.p2align	8
	.type	_ZN7rocprim17ROCPRIM_400000_NS6detail17trampoline_kernelINS0_13kernel_configILj256ELj4ELj4294967295EEENS1_37radix_sort_block_sort_config_selectorIiiEEZNS1_21radix_sort_block_sortIS4_Lb1EN6thrust23THRUST_200600_302600_NS6detail15normal_iteratorINS9_10device_ptrIiEEEESE_SE_SE_NS0_19identity_decomposerEEE10hipError_tT1_T2_T3_T4_jRjT5_jjP12ihipStream_tbEUlT_E_NS1_11comp_targetILNS1_3genE0ELNS1_11target_archE4294967295ELNS1_3gpuE0ELNS1_3repE0EEENS1_44radix_sort_block_sort_config_static_selectorELNS0_4arch9wavefront6targetE0EEEvSH_,@function
_ZN7rocprim17ROCPRIM_400000_NS6detail17trampoline_kernelINS0_13kernel_configILj256ELj4ELj4294967295EEENS1_37radix_sort_block_sort_config_selectorIiiEEZNS1_21radix_sort_block_sortIS4_Lb1EN6thrust23THRUST_200600_302600_NS6detail15normal_iteratorINS9_10device_ptrIiEEEESE_SE_SE_NS0_19identity_decomposerEEE10hipError_tT1_T2_T3_T4_jRjT5_jjP12ihipStream_tbEUlT_E_NS1_11comp_targetILNS1_3genE0ELNS1_11target_archE4294967295ELNS1_3gpuE0ELNS1_3repE0EEENS1_44radix_sort_block_sort_config_static_selectorELNS0_4arch9wavefront6targetE0EEEvSH_: ; @_ZN7rocprim17ROCPRIM_400000_NS6detail17trampoline_kernelINS0_13kernel_configILj256ELj4ELj4294967295EEENS1_37radix_sort_block_sort_config_selectorIiiEEZNS1_21radix_sort_block_sortIS4_Lb1EN6thrust23THRUST_200600_302600_NS6detail15normal_iteratorINS9_10device_ptrIiEEEESE_SE_SE_NS0_19identity_decomposerEEE10hipError_tT1_T2_T3_T4_jRjT5_jjP12ihipStream_tbEUlT_E_NS1_11comp_targetILNS1_3genE0ELNS1_11target_archE4294967295ELNS1_3gpuE0ELNS1_3repE0EEENS1_44radix_sort_block_sort_config_static_selectorELNS0_4arch9wavefront6targetE0EEEvSH_
; %bb.0:
	.section	.rodata,"a",@progbits
	.p2align	6, 0x0
	.amdhsa_kernel _ZN7rocprim17ROCPRIM_400000_NS6detail17trampoline_kernelINS0_13kernel_configILj256ELj4ELj4294967295EEENS1_37radix_sort_block_sort_config_selectorIiiEEZNS1_21radix_sort_block_sortIS4_Lb1EN6thrust23THRUST_200600_302600_NS6detail15normal_iteratorINS9_10device_ptrIiEEEESE_SE_SE_NS0_19identity_decomposerEEE10hipError_tT1_T2_T3_T4_jRjT5_jjP12ihipStream_tbEUlT_E_NS1_11comp_targetILNS1_3genE0ELNS1_11target_archE4294967295ELNS1_3gpuE0ELNS1_3repE0EEENS1_44radix_sort_block_sort_config_static_selectorELNS0_4arch9wavefront6targetE0EEEvSH_
		.amdhsa_group_segment_fixed_size 0
		.amdhsa_private_segment_fixed_size 0
		.amdhsa_kernarg_size 48
		.amdhsa_user_sgpr_count 6
		.amdhsa_user_sgpr_private_segment_buffer 1
		.amdhsa_user_sgpr_dispatch_ptr 0
		.amdhsa_user_sgpr_queue_ptr 0
		.amdhsa_user_sgpr_kernarg_segment_ptr 1
		.amdhsa_user_sgpr_dispatch_id 0
		.amdhsa_user_sgpr_flat_scratch_init 0
		.amdhsa_user_sgpr_private_segment_size 0
		.amdhsa_wavefront_size32 1
		.amdhsa_uses_dynamic_stack 0
		.amdhsa_system_sgpr_private_segment_wavefront_offset 0
		.amdhsa_system_sgpr_workgroup_id_x 1
		.amdhsa_system_sgpr_workgroup_id_y 0
		.amdhsa_system_sgpr_workgroup_id_z 0
		.amdhsa_system_sgpr_workgroup_info 0
		.amdhsa_system_vgpr_workitem_id 0
		.amdhsa_next_free_vgpr 1
		.amdhsa_next_free_sgpr 1
		.amdhsa_reserve_vcc 0
		.amdhsa_reserve_flat_scratch 0
		.amdhsa_float_round_mode_32 0
		.amdhsa_float_round_mode_16_64 0
		.amdhsa_float_denorm_mode_32 3
		.amdhsa_float_denorm_mode_16_64 3
		.amdhsa_dx10_clamp 1
		.amdhsa_ieee_mode 1
		.amdhsa_fp16_overflow 0
		.amdhsa_workgroup_processor_mode 1
		.amdhsa_memory_ordered 1
		.amdhsa_forward_progress 1
		.amdhsa_shared_vgpr_count 0
		.amdhsa_exception_fp_ieee_invalid_op 0
		.amdhsa_exception_fp_denorm_src 0
		.amdhsa_exception_fp_ieee_div_zero 0
		.amdhsa_exception_fp_ieee_overflow 0
		.amdhsa_exception_fp_ieee_underflow 0
		.amdhsa_exception_fp_ieee_inexact 0
		.amdhsa_exception_int_div_zero 0
	.end_amdhsa_kernel
	.section	.text._ZN7rocprim17ROCPRIM_400000_NS6detail17trampoline_kernelINS0_13kernel_configILj256ELj4ELj4294967295EEENS1_37radix_sort_block_sort_config_selectorIiiEEZNS1_21radix_sort_block_sortIS4_Lb1EN6thrust23THRUST_200600_302600_NS6detail15normal_iteratorINS9_10device_ptrIiEEEESE_SE_SE_NS0_19identity_decomposerEEE10hipError_tT1_T2_T3_T4_jRjT5_jjP12ihipStream_tbEUlT_E_NS1_11comp_targetILNS1_3genE0ELNS1_11target_archE4294967295ELNS1_3gpuE0ELNS1_3repE0EEENS1_44radix_sort_block_sort_config_static_selectorELNS0_4arch9wavefront6targetE0EEEvSH_,"axG",@progbits,_ZN7rocprim17ROCPRIM_400000_NS6detail17trampoline_kernelINS0_13kernel_configILj256ELj4ELj4294967295EEENS1_37radix_sort_block_sort_config_selectorIiiEEZNS1_21radix_sort_block_sortIS4_Lb1EN6thrust23THRUST_200600_302600_NS6detail15normal_iteratorINS9_10device_ptrIiEEEESE_SE_SE_NS0_19identity_decomposerEEE10hipError_tT1_T2_T3_T4_jRjT5_jjP12ihipStream_tbEUlT_E_NS1_11comp_targetILNS1_3genE0ELNS1_11target_archE4294967295ELNS1_3gpuE0ELNS1_3repE0EEENS1_44radix_sort_block_sort_config_static_selectorELNS0_4arch9wavefront6targetE0EEEvSH_,comdat
.Lfunc_end876:
	.size	_ZN7rocprim17ROCPRIM_400000_NS6detail17trampoline_kernelINS0_13kernel_configILj256ELj4ELj4294967295EEENS1_37radix_sort_block_sort_config_selectorIiiEEZNS1_21radix_sort_block_sortIS4_Lb1EN6thrust23THRUST_200600_302600_NS6detail15normal_iteratorINS9_10device_ptrIiEEEESE_SE_SE_NS0_19identity_decomposerEEE10hipError_tT1_T2_T3_T4_jRjT5_jjP12ihipStream_tbEUlT_E_NS1_11comp_targetILNS1_3genE0ELNS1_11target_archE4294967295ELNS1_3gpuE0ELNS1_3repE0EEENS1_44radix_sort_block_sort_config_static_selectorELNS0_4arch9wavefront6targetE0EEEvSH_, .Lfunc_end876-_ZN7rocprim17ROCPRIM_400000_NS6detail17trampoline_kernelINS0_13kernel_configILj256ELj4ELj4294967295EEENS1_37radix_sort_block_sort_config_selectorIiiEEZNS1_21radix_sort_block_sortIS4_Lb1EN6thrust23THRUST_200600_302600_NS6detail15normal_iteratorINS9_10device_ptrIiEEEESE_SE_SE_NS0_19identity_decomposerEEE10hipError_tT1_T2_T3_T4_jRjT5_jjP12ihipStream_tbEUlT_E_NS1_11comp_targetILNS1_3genE0ELNS1_11target_archE4294967295ELNS1_3gpuE0ELNS1_3repE0EEENS1_44radix_sort_block_sort_config_static_selectorELNS0_4arch9wavefront6targetE0EEEvSH_
                                        ; -- End function
	.set _ZN7rocprim17ROCPRIM_400000_NS6detail17trampoline_kernelINS0_13kernel_configILj256ELj4ELj4294967295EEENS1_37radix_sort_block_sort_config_selectorIiiEEZNS1_21radix_sort_block_sortIS4_Lb1EN6thrust23THRUST_200600_302600_NS6detail15normal_iteratorINS9_10device_ptrIiEEEESE_SE_SE_NS0_19identity_decomposerEEE10hipError_tT1_T2_T3_T4_jRjT5_jjP12ihipStream_tbEUlT_E_NS1_11comp_targetILNS1_3genE0ELNS1_11target_archE4294967295ELNS1_3gpuE0ELNS1_3repE0EEENS1_44radix_sort_block_sort_config_static_selectorELNS0_4arch9wavefront6targetE0EEEvSH_.num_vgpr, 0
	.set _ZN7rocprim17ROCPRIM_400000_NS6detail17trampoline_kernelINS0_13kernel_configILj256ELj4ELj4294967295EEENS1_37radix_sort_block_sort_config_selectorIiiEEZNS1_21radix_sort_block_sortIS4_Lb1EN6thrust23THRUST_200600_302600_NS6detail15normal_iteratorINS9_10device_ptrIiEEEESE_SE_SE_NS0_19identity_decomposerEEE10hipError_tT1_T2_T3_T4_jRjT5_jjP12ihipStream_tbEUlT_E_NS1_11comp_targetILNS1_3genE0ELNS1_11target_archE4294967295ELNS1_3gpuE0ELNS1_3repE0EEENS1_44radix_sort_block_sort_config_static_selectorELNS0_4arch9wavefront6targetE0EEEvSH_.num_agpr, 0
	.set _ZN7rocprim17ROCPRIM_400000_NS6detail17trampoline_kernelINS0_13kernel_configILj256ELj4ELj4294967295EEENS1_37radix_sort_block_sort_config_selectorIiiEEZNS1_21radix_sort_block_sortIS4_Lb1EN6thrust23THRUST_200600_302600_NS6detail15normal_iteratorINS9_10device_ptrIiEEEESE_SE_SE_NS0_19identity_decomposerEEE10hipError_tT1_T2_T3_T4_jRjT5_jjP12ihipStream_tbEUlT_E_NS1_11comp_targetILNS1_3genE0ELNS1_11target_archE4294967295ELNS1_3gpuE0ELNS1_3repE0EEENS1_44radix_sort_block_sort_config_static_selectorELNS0_4arch9wavefront6targetE0EEEvSH_.numbered_sgpr, 0
	.set _ZN7rocprim17ROCPRIM_400000_NS6detail17trampoline_kernelINS0_13kernel_configILj256ELj4ELj4294967295EEENS1_37radix_sort_block_sort_config_selectorIiiEEZNS1_21radix_sort_block_sortIS4_Lb1EN6thrust23THRUST_200600_302600_NS6detail15normal_iteratorINS9_10device_ptrIiEEEESE_SE_SE_NS0_19identity_decomposerEEE10hipError_tT1_T2_T3_T4_jRjT5_jjP12ihipStream_tbEUlT_E_NS1_11comp_targetILNS1_3genE0ELNS1_11target_archE4294967295ELNS1_3gpuE0ELNS1_3repE0EEENS1_44radix_sort_block_sort_config_static_selectorELNS0_4arch9wavefront6targetE0EEEvSH_.num_named_barrier, 0
	.set _ZN7rocprim17ROCPRIM_400000_NS6detail17trampoline_kernelINS0_13kernel_configILj256ELj4ELj4294967295EEENS1_37radix_sort_block_sort_config_selectorIiiEEZNS1_21radix_sort_block_sortIS4_Lb1EN6thrust23THRUST_200600_302600_NS6detail15normal_iteratorINS9_10device_ptrIiEEEESE_SE_SE_NS0_19identity_decomposerEEE10hipError_tT1_T2_T3_T4_jRjT5_jjP12ihipStream_tbEUlT_E_NS1_11comp_targetILNS1_3genE0ELNS1_11target_archE4294967295ELNS1_3gpuE0ELNS1_3repE0EEENS1_44radix_sort_block_sort_config_static_selectorELNS0_4arch9wavefront6targetE0EEEvSH_.private_seg_size, 0
	.set _ZN7rocprim17ROCPRIM_400000_NS6detail17trampoline_kernelINS0_13kernel_configILj256ELj4ELj4294967295EEENS1_37radix_sort_block_sort_config_selectorIiiEEZNS1_21radix_sort_block_sortIS4_Lb1EN6thrust23THRUST_200600_302600_NS6detail15normal_iteratorINS9_10device_ptrIiEEEESE_SE_SE_NS0_19identity_decomposerEEE10hipError_tT1_T2_T3_T4_jRjT5_jjP12ihipStream_tbEUlT_E_NS1_11comp_targetILNS1_3genE0ELNS1_11target_archE4294967295ELNS1_3gpuE0ELNS1_3repE0EEENS1_44radix_sort_block_sort_config_static_selectorELNS0_4arch9wavefront6targetE0EEEvSH_.uses_vcc, 0
	.set _ZN7rocprim17ROCPRIM_400000_NS6detail17trampoline_kernelINS0_13kernel_configILj256ELj4ELj4294967295EEENS1_37radix_sort_block_sort_config_selectorIiiEEZNS1_21radix_sort_block_sortIS4_Lb1EN6thrust23THRUST_200600_302600_NS6detail15normal_iteratorINS9_10device_ptrIiEEEESE_SE_SE_NS0_19identity_decomposerEEE10hipError_tT1_T2_T3_T4_jRjT5_jjP12ihipStream_tbEUlT_E_NS1_11comp_targetILNS1_3genE0ELNS1_11target_archE4294967295ELNS1_3gpuE0ELNS1_3repE0EEENS1_44radix_sort_block_sort_config_static_selectorELNS0_4arch9wavefront6targetE0EEEvSH_.uses_flat_scratch, 0
	.set _ZN7rocprim17ROCPRIM_400000_NS6detail17trampoline_kernelINS0_13kernel_configILj256ELj4ELj4294967295EEENS1_37radix_sort_block_sort_config_selectorIiiEEZNS1_21radix_sort_block_sortIS4_Lb1EN6thrust23THRUST_200600_302600_NS6detail15normal_iteratorINS9_10device_ptrIiEEEESE_SE_SE_NS0_19identity_decomposerEEE10hipError_tT1_T2_T3_T4_jRjT5_jjP12ihipStream_tbEUlT_E_NS1_11comp_targetILNS1_3genE0ELNS1_11target_archE4294967295ELNS1_3gpuE0ELNS1_3repE0EEENS1_44radix_sort_block_sort_config_static_selectorELNS0_4arch9wavefront6targetE0EEEvSH_.has_dyn_sized_stack, 0
	.set _ZN7rocprim17ROCPRIM_400000_NS6detail17trampoline_kernelINS0_13kernel_configILj256ELj4ELj4294967295EEENS1_37radix_sort_block_sort_config_selectorIiiEEZNS1_21radix_sort_block_sortIS4_Lb1EN6thrust23THRUST_200600_302600_NS6detail15normal_iteratorINS9_10device_ptrIiEEEESE_SE_SE_NS0_19identity_decomposerEEE10hipError_tT1_T2_T3_T4_jRjT5_jjP12ihipStream_tbEUlT_E_NS1_11comp_targetILNS1_3genE0ELNS1_11target_archE4294967295ELNS1_3gpuE0ELNS1_3repE0EEENS1_44radix_sort_block_sort_config_static_selectorELNS0_4arch9wavefront6targetE0EEEvSH_.has_recursion, 0
	.set _ZN7rocprim17ROCPRIM_400000_NS6detail17trampoline_kernelINS0_13kernel_configILj256ELj4ELj4294967295EEENS1_37radix_sort_block_sort_config_selectorIiiEEZNS1_21radix_sort_block_sortIS4_Lb1EN6thrust23THRUST_200600_302600_NS6detail15normal_iteratorINS9_10device_ptrIiEEEESE_SE_SE_NS0_19identity_decomposerEEE10hipError_tT1_T2_T3_T4_jRjT5_jjP12ihipStream_tbEUlT_E_NS1_11comp_targetILNS1_3genE0ELNS1_11target_archE4294967295ELNS1_3gpuE0ELNS1_3repE0EEENS1_44radix_sort_block_sort_config_static_selectorELNS0_4arch9wavefront6targetE0EEEvSH_.has_indirect_call, 0
	.section	.AMDGPU.csdata,"",@progbits
; Kernel info:
; codeLenInByte = 0
; TotalNumSgprs: 0
; NumVgprs: 0
; ScratchSize: 0
; MemoryBound: 0
; FloatMode: 240
; IeeeMode: 1
; LDSByteSize: 0 bytes/workgroup (compile time only)
; SGPRBlocks: 0
; VGPRBlocks: 0
; NumSGPRsForWavesPerEU: 1
; NumVGPRsForWavesPerEU: 1
; Occupancy: 16
; WaveLimiterHint : 0
; COMPUTE_PGM_RSRC2:SCRATCH_EN: 0
; COMPUTE_PGM_RSRC2:USER_SGPR: 6
; COMPUTE_PGM_RSRC2:TRAP_HANDLER: 0
; COMPUTE_PGM_RSRC2:TGID_X_EN: 1
; COMPUTE_PGM_RSRC2:TGID_Y_EN: 0
; COMPUTE_PGM_RSRC2:TGID_Z_EN: 0
; COMPUTE_PGM_RSRC2:TIDIG_COMP_CNT: 0
	.section	.text._ZN7rocprim17ROCPRIM_400000_NS6detail17trampoline_kernelINS0_13kernel_configILj256ELj4ELj4294967295EEENS1_37radix_sort_block_sort_config_selectorIiiEEZNS1_21radix_sort_block_sortIS4_Lb1EN6thrust23THRUST_200600_302600_NS6detail15normal_iteratorINS9_10device_ptrIiEEEESE_SE_SE_NS0_19identity_decomposerEEE10hipError_tT1_T2_T3_T4_jRjT5_jjP12ihipStream_tbEUlT_E_NS1_11comp_targetILNS1_3genE5ELNS1_11target_archE942ELNS1_3gpuE9ELNS1_3repE0EEENS1_44radix_sort_block_sort_config_static_selectorELNS0_4arch9wavefront6targetE0EEEvSH_,"axG",@progbits,_ZN7rocprim17ROCPRIM_400000_NS6detail17trampoline_kernelINS0_13kernel_configILj256ELj4ELj4294967295EEENS1_37radix_sort_block_sort_config_selectorIiiEEZNS1_21radix_sort_block_sortIS4_Lb1EN6thrust23THRUST_200600_302600_NS6detail15normal_iteratorINS9_10device_ptrIiEEEESE_SE_SE_NS0_19identity_decomposerEEE10hipError_tT1_T2_T3_T4_jRjT5_jjP12ihipStream_tbEUlT_E_NS1_11comp_targetILNS1_3genE5ELNS1_11target_archE942ELNS1_3gpuE9ELNS1_3repE0EEENS1_44radix_sort_block_sort_config_static_selectorELNS0_4arch9wavefront6targetE0EEEvSH_,comdat
	.protected	_ZN7rocprim17ROCPRIM_400000_NS6detail17trampoline_kernelINS0_13kernel_configILj256ELj4ELj4294967295EEENS1_37radix_sort_block_sort_config_selectorIiiEEZNS1_21radix_sort_block_sortIS4_Lb1EN6thrust23THRUST_200600_302600_NS6detail15normal_iteratorINS9_10device_ptrIiEEEESE_SE_SE_NS0_19identity_decomposerEEE10hipError_tT1_T2_T3_T4_jRjT5_jjP12ihipStream_tbEUlT_E_NS1_11comp_targetILNS1_3genE5ELNS1_11target_archE942ELNS1_3gpuE9ELNS1_3repE0EEENS1_44radix_sort_block_sort_config_static_selectorELNS0_4arch9wavefront6targetE0EEEvSH_ ; -- Begin function _ZN7rocprim17ROCPRIM_400000_NS6detail17trampoline_kernelINS0_13kernel_configILj256ELj4ELj4294967295EEENS1_37radix_sort_block_sort_config_selectorIiiEEZNS1_21radix_sort_block_sortIS4_Lb1EN6thrust23THRUST_200600_302600_NS6detail15normal_iteratorINS9_10device_ptrIiEEEESE_SE_SE_NS0_19identity_decomposerEEE10hipError_tT1_T2_T3_T4_jRjT5_jjP12ihipStream_tbEUlT_E_NS1_11comp_targetILNS1_3genE5ELNS1_11target_archE942ELNS1_3gpuE9ELNS1_3repE0EEENS1_44radix_sort_block_sort_config_static_selectorELNS0_4arch9wavefront6targetE0EEEvSH_
	.globl	_ZN7rocprim17ROCPRIM_400000_NS6detail17trampoline_kernelINS0_13kernel_configILj256ELj4ELj4294967295EEENS1_37radix_sort_block_sort_config_selectorIiiEEZNS1_21radix_sort_block_sortIS4_Lb1EN6thrust23THRUST_200600_302600_NS6detail15normal_iteratorINS9_10device_ptrIiEEEESE_SE_SE_NS0_19identity_decomposerEEE10hipError_tT1_T2_T3_T4_jRjT5_jjP12ihipStream_tbEUlT_E_NS1_11comp_targetILNS1_3genE5ELNS1_11target_archE942ELNS1_3gpuE9ELNS1_3repE0EEENS1_44radix_sort_block_sort_config_static_selectorELNS0_4arch9wavefront6targetE0EEEvSH_
	.p2align	8
	.type	_ZN7rocprim17ROCPRIM_400000_NS6detail17trampoline_kernelINS0_13kernel_configILj256ELj4ELj4294967295EEENS1_37radix_sort_block_sort_config_selectorIiiEEZNS1_21radix_sort_block_sortIS4_Lb1EN6thrust23THRUST_200600_302600_NS6detail15normal_iteratorINS9_10device_ptrIiEEEESE_SE_SE_NS0_19identity_decomposerEEE10hipError_tT1_T2_T3_T4_jRjT5_jjP12ihipStream_tbEUlT_E_NS1_11comp_targetILNS1_3genE5ELNS1_11target_archE942ELNS1_3gpuE9ELNS1_3repE0EEENS1_44radix_sort_block_sort_config_static_selectorELNS0_4arch9wavefront6targetE0EEEvSH_,@function
_ZN7rocprim17ROCPRIM_400000_NS6detail17trampoline_kernelINS0_13kernel_configILj256ELj4ELj4294967295EEENS1_37radix_sort_block_sort_config_selectorIiiEEZNS1_21radix_sort_block_sortIS4_Lb1EN6thrust23THRUST_200600_302600_NS6detail15normal_iteratorINS9_10device_ptrIiEEEESE_SE_SE_NS0_19identity_decomposerEEE10hipError_tT1_T2_T3_T4_jRjT5_jjP12ihipStream_tbEUlT_E_NS1_11comp_targetILNS1_3genE5ELNS1_11target_archE942ELNS1_3gpuE9ELNS1_3repE0EEENS1_44radix_sort_block_sort_config_static_selectorELNS0_4arch9wavefront6targetE0EEEvSH_: ; @_ZN7rocprim17ROCPRIM_400000_NS6detail17trampoline_kernelINS0_13kernel_configILj256ELj4ELj4294967295EEENS1_37radix_sort_block_sort_config_selectorIiiEEZNS1_21radix_sort_block_sortIS4_Lb1EN6thrust23THRUST_200600_302600_NS6detail15normal_iteratorINS9_10device_ptrIiEEEESE_SE_SE_NS0_19identity_decomposerEEE10hipError_tT1_T2_T3_T4_jRjT5_jjP12ihipStream_tbEUlT_E_NS1_11comp_targetILNS1_3genE5ELNS1_11target_archE942ELNS1_3gpuE9ELNS1_3repE0EEENS1_44radix_sort_block_sort_config_static_selectorELNS0_4arch9wavefront6targetE0EEEvSH_
; %bb.0:
	.section	.rodata,"a",@progbits
	.p2align	6, 0x0
	.amdhsa_kernel _ZN7rocprim17ROCPRIM_400000_NS6detail17trampoline_kernelINS0_13kernel_configILj256ELj4ELj4294967295EEENS1_37radix_sort_block_sort_config_selectorIiiEEZNS1_21radix_sort_block_sortIS4_Lb1EN6thrust23THRUST_200600_302600_NS6detail15normal_iteratorINS9_10device_ptrIiEEEESE_SE_SE_NS0_19identity_decomposerEEE10hipError_tT1_T2_T3_T4_jRjT5_jjP12ihipStream_tbEUlT_E_NS1_11comp_targetILNS1_3genE5ELNS1_11target_archE942ELNS1_3gpuE9ELNS1_3repE0EEENS1_44radix_sort_block_sort_config_static_selectorELNS0_4arch9wavefront6targetE0EEEvSH_
		.amdhsa_group_segment_fixed_size 0
		.amdhsa_private_segment_fixed_size 0
		.amdhsa_kernarg_size 48
		.amdhsa_user_sgpr_count 6
		.amdhsa_user_sgpr_private_segment_buffer 1
		.amdhsa_user_sgpr_dispatch_ptr 0
		.amdhsa_user_sgpr_queue_ptr 0
		.amdhsa_user_sgpr_kernarg_segment_ptr 1
		.amdhsa_user_sgpr_dispatch_id 0
		.amdhsa_user_sgpr_flat_scratch_init 0
		.amdhsa_user_sgpr_private_segment_size 0
		.amdhsa_wavefront_size32 1
		.amdhsa_uses_dynamic_stack 0
		.amdhsa_system_sgpr_private_segment_wavefront_offset 0
		.amdhsa_system_sgpr_workgroup_id_x 1
		.amdhsa_system_sgpr_workgroup_id_y 0
		.amdhsa_system_sgpr_workgroup_id_z 0
		.amdhsa_system_sgpr_workgroup_info 0
		.amdhsa_system_vgpr_workitem_id 0
		.amdhsa_next_free_vgpr 1
		.amdhsa_next_free_sgpr 1
		.amdhsa_reserve_vcc 0
		.amdhsa_reserve_flat_scratch 0
		.amdhsa_float_round_mode_32 0
		.amdhsa_float_round_mode_16_64 0
		.amdhsa_float_denorm_mode_32 3
		.amdhsa_float_denorm_mode_16_64 3
		.amdhsa_dx10_clamp 1
		.amdhsa_ieee_mode 1
		.amdhsa_fp16_overflow 0
		.amdhsa_workgroup_processor_mode 1
		.amdhsa_memory_ordered 1
		.amdhsa_forward_progress 1
		.amdhsa_shared_vgpr_count 0
		.amdhsa_exception_fp_ieee_invalid_op 0
		.amdhsa_exception_fp_denorm_src 0
		.amdhsa_exception_fp_ieee_div_zero 0
		.amdhsa_exception_fp_ieee_overflow 0
		.amdhsa_exception_fp_ieee_underflow 0
		.amdhsa_exception_fp_ieee_inexact 0
		.amdhsa_exception_int_div_zero 0
	.end_amdhsa_kernel
	.section	.text._ZN7rocprim17ROCPRIM_400000_NS6detail17trampoline_kernelINS0_13kernel_configILj256ELj4ELj4294967295EEENS1_37radix_sort_block_sort_config_selectorIiiEEZNS1_21radix_sort_block_sortIS4_Lb1EN6thrust23THRUST_200600_302600_NS6detail15normal_iteratorINS9_10device_ptrIiEEEESE_SE_SE_NS0_19identity_decomposerEEE10hipError_tT1_T2_T3_T4_jRjT5_jjP12ihipStream_tbEUlT_E_NS1_11comp_targetILNS1_3genE5ELNS1_11target_archE942ELNS1_3gpuE9ELNS1_3repE0EEENS1_44radix_sort_block_sort_config_static_selectorELNS0_4arch9wavefront6targetE0EEEvSH_,"axG",@progbits,_ZN7rocprim17ROCPRIM_400000_NS6detail17trampoline_kernelINS0_13kernel_configILj256ELj4ELj4294967295EEENS1_37radix_sort_block_sort_config_selectorIiiEEZNS1_21radix_sort_block_sortIS4_Lb1EN6thrust23THRUST_200600_302600_NS6detail15normal_iteratorINS9_10device_ptrIiEEEESE_SE_SE_NS0_19identity_decomposerEEE10hipError_tT1_T2_T3_T4_jRjT5_jjP12ihipStream_tbEUlT_E_NS1_11comp_targetILNS1_3genE5ELNS1_11target_archE942ELNS1_3gpuE9ELNS1_3repE0EEENS1_44radix_sort_block_sort_config_static_selectorELNS0_4arch9wavefront6targetE0EEEvSH_,comdat
.Lfunc_end877:
	.size	_ZN7rocprim17ROCPRIM_400000_NS6detail17trampoline_kernelINS0_13kernel_configILj256ELj4ELj4294967295EEENS1_37radix_sort_block_sort_config_selectorIiiEEZNS1_21radix_sort_block_sortIS4_Lb1EN6thrust23THRUST_200600_302600_NS6detail15normal_iteratorINS9_10device_ptrIiEEEESE_SE_SE_NS0_19identity_decomposerEEE10hipError_tT1_T2_T3_T4_jRjT5_jjP12ihipStream_tbEUlT_E_NS1_11comp_targetILNS1_3genE5ELNS1_11target_archE942ELNS1_3gpuE9ELNS1_3repE0EEENS1_44radix_sort_block_sort_config_static_selectorELNS0_4arch9wavefront6targetE0EEEvSH_, .Lfunc_end877-_ZN7rocprim17ROCPRIM_400000_NS6detail17trampoline_kernelINS0_13kernel_configILj256ELj4ELj4294967295EEENS1_37radix_sort_block_sort_config_selectorIiiEEZNS1_21radix_sort_block_sortIS4_Lb1EN6thrust23THRUST_200600_302600_NS6detail15normal_iteratorINS9_10device_ptrIiEEEESE_SE_SE_NS0_19identity_decomposerEEE10hipError_tT1_T2_T3_T4_jRjT5_jjP12ihipStream_tbEUlT_E_NS1_11comp_targetILNS1_3genE5ELNS1_11target_archE942ELNS1_3gpuE9ELNS1_3repE0EEENS1_44radix_sort_block_sort_config_static_selectorELNS0_4arch9wavefront6targetE0EEEvSH_
                                        ; -- End function
	.set _ZN7rocprim17ROCPRIM_400000_NS6detail17trampoline_kernelINS0_13kernel_configILj256ELj4ELj4294967295EEENS1_37radix_sort_block_sort_config_selectorIiiEEZNS1_21radix_sort_block_sortIS4_Lb1EN6thrust23THRUST_200600_302600_NS6detail15normal_iteratorINS9_10device_ptrIiEEEESE_SE_SE_NS0_19identity_decomposerEEE10hipError_tT1_T2_T3_T4_jRjT5_jjP12ihipStream_tbEUlT_E_NS1_11comp_targetILNS1_3genE5ELNS1_11target_archE942ELNS1_3gpuE9ELNS1_3repE0EEENS1_44radix_sort_block_sort_config_static_selectorELNS0_4arch9wavefront6targetE0EEEvSH_.num_vgpr, 0
	.set _ZN7rocprim17ROCPRIM_400000_NS6detail17trampoline_kernelINS0_13kernel_configILj256ELj4ELj4294967295EEENS1_37radix_sort_block_sort_config_selectorIiiEEZNS1_21radix_sort_block_sortIS4_Lb1EN6thrust23THRUST_200600_302600_NS6detail15normal_iteratorINS9_10device_ptrIiEEEESE_SE_SE_NS0_19identity_decomposerEEE10hipError_tT1_T2_T3_T4_jRjT5_jjP12ihipStream_tbEUlT_E_NS1_11comp_targetILNS1_3genE5ELNS1_11target_archE942ELNS1_3gpuE9ELNS1_3repE0EEENS1_44radix_sort_block_sort_config_static_selectorELNS0_4arch9wavefront6targetE0EEEvSH_.num_agpr, 0
	.set _ZN7rocprim17ROCPRIM_400000_NS6detail17trampoline_kernelINS0_13kernel_configILj256ELj4ELj4294967295EEENS1_37radix_sort_block_sort_config_selectorIiiEEZNS1_21radix_sort_block_sortIS4_Lb1EN6thrust23THRUST_200600_302600_NS6detail15normal_iteratorINS9_10device_ptrIiEEEESE_SE_SE_NS0_19identity_decomposerEEE10hipError_tT1_T2_T3_T4_jRjT5_jjP12ihipStream_tbEUlT_E_NS1_11comp_targetILNS1_3genE5ELNS1_11target_archE942ELNS1_3gpuE9ELNS1_3repE0EEENS1_44radix_sort_block_sort_config_static_selectorELNS0_4arch9wavefront6targetE0EEEvSH_.numbered_sgpr, 0
	.set _ZN7rocprim17ROCPRIM_400000_NS6detail17trampoline_kernelINS0_13kernel_configILj256ELj4ELj4294967295EEENS1_37radix_sort_block_sort_config_selectorIiiEEZNS1_21radix_sort_block_sortIS4_Lb1EN6thrust23THRUST_200600_302600_NS6detail15normal_iteratorINS9_10device_ptrIiEEEESE_SE_SE_NS0_19identity_decomposerEEE10hipError_tT1_T2_T3_T4_jRjT5_jjP12ihipStream_tbEUlT_E_NS1_11comp_targetILNS1_3genE5ELNS1_11target_archE942ELNS1_3gpuE9ELNS1_3repE0EEENS1_44radix_sort_block_sort_config_static_selectorELNS0_4arch9wavefront6targetE0EEEvSH_.num_named_barrier, 0
	.set _ZN7rocprim17ROCPRIM_400000_NS6detail17trampoline_kernelINS0_13kernel_configILj256ELj4ELj4294967295EEENS1_37radix_sort_block_sort_config_selectorIiiEEZNS1_21radix_sort_block_sortIS4_Lb1EN6thrust23THRUST_200600_302600_NS6detail15normal_iteratorINS9_10device_ptrIiEEEESE_SE_SE_NS0_19identity_decomposerEEE10hipError_tT1_T2_T3_T4_jRjT5_jjP12ihipStream_tbEUlT_E_NS1_11comp_targetILNS1_3genE5ELNS1_11target_archE942ELNS1_3gpuE9ELNS1_3repE0EEENS1_44radix_sort_block_sort_config_static_selectorELNS0_4arch9wavefront6targetE0EEEvSH_.private_seg_size, 0
	.set _ZN7rocprim17ROCPRIM_400000_NS6detail17trampoline_kernelINS0_13kernel_configILj256ELj4ELj4294967295EEENS1_37radix_sort_block_sort_config_selectorIiiEEZNS1_21radix_sort_block_sortIS4_Lb1EN6thrust23THRUST_200600_302600_NS6detail15normal_iteratorINS9_10device_ptrIiEEEESE_SE_SE_NS0_19identity_decomposerEEE10hipError_tT1_T2_T3_T4_jRjT5_jjP12ihipStream_tbEUlT_E_NS1_11comp_targetILNS1_3genE5ELNS1_11target_archE942ELNS1_3gpuE9ELNS1_3repE0EEENS1_44radix_sort_block_sort_config_static_selectorELNS0_4arch9wavefront6targetE0EEEvSH_.uses_vcc, 0
	.set _ZN7rocprim17ROCPRIM_400000_NS6detail17trampoline_kernelINS0_13kernel_configILj256ELj4ELj4294967295EEENS1_37radix_sort_block_sort_config_selectorIiiEEZNS1_21radix_sort_block_sortIS4_Lb1EN6thrust23THRUST_200600_302600_NS6detail15normal_iteratorINS9_10device_ptrIiEEEESE_SE_SE_NS0_19identity_decomposerEEE10hipError_tT1_T2_T3_T4_jRjT5_jjP12ihipStream_tbEUlT_E_NS1_11comp_targetILNS1_3genE5ELNS1_11target_archE942ELNS1_3gpuE9ELNS1_3repE0EEENS1_44radix_sort_block_sort_config_static_selectorELNS0_4arch9wavefront6targetE0EEEvSH_.uses_flat_scratch, 0
	.set _ZN7rocprim17ROCPRIM_400000_NS6detail17trampoline_kernelINS0_13kernel_configILj256ELj4ELj4294967295EEENS1_37radix_sort_block_sort_config_selectorIiiEEZNS1_21radix_sort_block_sortIS4_Lb1EN6thrust23THRUST_200600_302600_NS6detail15normal_iteratorINS9_10device_ptrIiEEEESE_SE_SE_NS0_19identity_decomposerEEE10hipError_tT1_T2_T3_T4_jRjT5_jjP12ihipStream_tbEUlT_E_NS1_11comp_targetILNS1_3genE5ELNS1_11target_archE942ELNS1_3gpuE9ELNS1_3repE0EEENS1_44radix_sort_block_sort_config_static_selectorELNS0_4arch9wavefront6targetE0EEEvSH_.has_dyn_sized_stack, 0
	.set _ZN7rocprim17ROCPRIM_400000_NS6detail17trampoline_kernelINS0_13kernel_configILj256ELj4ELj4294967295EEENS1_37radix_sort_block_sort_config_selectorIiiEEZNS1_21radix_sort_block_sortIS4_Lb1EN6thrust23THRUST_200600_302600_NS6detail15normal_iteratorINS9_10device_ptrIiEEEESE_SE_SE_NS0_19identity_decomposerEEE10hipError_tT1_T2_T3_T4_jRjT5_jjP12ihipStream_tbEUlT_E_NS1_11comp_targetILNS1_3genE5ELNS1_11target_archE942ELNS1_3gpuE9ELNS1_3repE0EEENS1_44radix_sort_block_sort_config_static_selectorELNS0_4arch9wavefront6targetE0EEEvSH_.has_recursion, 0
	.set _ZN7rocprim17ROCPRIM_400000_NS6detail17trampoline_kernelINS0_13kernel_configILj256ELj4ELj4294967295EEENS1_37radix_sort_block_sort_config_selectorIiiEEZNS1_21radix_sort_block_sortIS4_Lb1EN6thrust23THRUST_200600_302600_NS6detail15normal_iteratorINS9_10device_ptrIiEEEESE_SE_SE_NS0_19identity_decomposerEEE10hipError_tT1_T2_T3_T4_jRjT5_jjP12ihipStream_tbEUlT_E_NS1_11comp_targetILNS1_3genE5ELNS1_11target_archE942ELNS1_3gpuE9ELNS1_3repE0EEENS1_44radix_sort_block_sort_config_static_selectorELNS0_4arch9wavefront6targetE0EEEvSH_.has_indirect_call, 0
	.section	.AMDGPU.csdata,"",@progbits
; Kernel info:
; codeLenInByte = 0
; TotalNumSgprs: 0
; NumVgprs: 0
; ScratchSize: 0
; MemoryBound: 0
; FloatMode: 240
; IeeeMode: 1
; LDSByteSize: 0 bytes/workgroup (compile time only)
; SGPRBlocks: 0
; VGPRBlocks: 0
; NumSGPRsForWavesPerEU: 1
; NumVGPRsForWavesPerEU: 1
; Occupancy: 16
; WaveLimiterHint : 0
; COMPUTE_PGM_RSRC2:SCRATCH_EN: 0
; COMPUTE_PGM_RSRC2:USER_SGPR: 6
; COMPUTE_PGM_RSRC2:TRAP_HANDLER: 0
; COMPUTE_PGM_RSRC2:TGID_X_EN: 1
; COMPUTE_PGM_RSRC2:TGID_Y_EN: 0
; COMPUTE_PGM_RSRC2:TGID_Z_EN: 0
; COMPUTE_PGM_RSRC2:TIDIG_COMP_CNT: 0
	.section	.text._ZN7rocprim17ROCPRIM_400000_NS6detail17trampoline_kernelINS0_13kernel_configILj256ELj4ELj4294967295EEENS1_37radix_sort_block_sort_config_selectorIiiEEZNS1_21radix_sort_block_sortIS4_Lb1EN6thrust23THRUST_200600_302600_NS6detail15normal_iteratorINS9_10device_ptrIiEEEESE_SE_SE_NS0_19identity_decomposerEEE10hipError_tT1_T2_T3_T4_jRjT5_jjP12ihipStream_tbEUlT_E_NS1_11comp_targetILNS1_3genE4ELNS1_11target_archE910ELNS1_3gpuE8ELNS1_3repE0EEENS1_44radix_sort_block_sort_config_static_selectorELNS0_4arch9wavefront6targetE0EEEvSH_,"axG",@progbits,_ZN7rocprim17ROCPRIM_400000_NS6detail17trampoline_kernelINS0_13kernel_configILj256ELj4ELj4294967295EEENS1_37radix_sort_block_sort_config_selectorIiiEEZNS1_21radix_sort_block_sortIS4_Lb1EN6thrust23THRUST_200600_302600_NS6detail15normal_iteratorINS9_10device_ptrIiEEEESE_SE_SE_NS0_19identity_decomposerEEE10hipError_tT1_T2_T3_T4_jRjT5_jjP12ihipStream_tbEUlT_E_NS1_11comp_targetILNS1_3genE4ELNS1_11target_archE910ELNS1_3gpuE8ELNS1_3repE0EEENS1_44radix_sort_block_sort_config_static_selectorELNS0_4arch9wavefront6targetE0EEEvSH_,comdat
	.protected	_ZN7rocprim17ROCPRIM_400000_NS6detail17trampoline_kernelINS0_13kernel_configILj256ELj4ELj4294967295EEENS1_37radix_sort_block_sort_config_selectorIiiEEZNS1_21radix_sort_block_sortIS4_Lb1EN6thrust23THRUST_200600_302600_NS6detail15normal_iteratorINS9_10device_ptrIiEEEESE_SE_SE_NS0_19identity_decomposerEEE10hipError_tT1_T2_T3_T4_jRjT5_jjP12ihipStream_tbEUlT_E_NS1_11comp_targetILNS1_3genE4ELNS1_11target_archE910ELNS1_3gpuE8ELNS1_3repE0EEENS1_44radix_sort_block_sort_config_static_selectorELNS0_4arch9wavefront6targetE0EEEvSH_ ; -- Begin function _ZN7rocprim17ROCPRIM_400000_NS6detail17trampoline_kernelINS0_13kernel_configILj256ELj4ELj4294967295EEENS1_37radix_sort_block_sort_config_selectorIiiEEZNS1_21radix_sort_block_sortIS4_Lb1EN6thrust23THRUST_200600_302600_NS6detail15normal_iteratorINS9_10device_ptrIiEEEESE_SE_SE_NS0_19identity_decomposerEEE10hipError_tT1_T2_T3_T4_jRjT5_jjP12ihipStream_tbEUlT_E_NS1_11comp_targetILNS1_3genE4ELNS1_11target_archE910ELNS1_3gpuE8ELNS1_3repE0EEENS1_44radix_sort_block_sort_config_static_selectorELNS0_4arch9wavefront6targetE0EEEvSH_
	.globl	_ZN7rocprim17ROCPRIM_400000_NS6detail17trampoline_kernelINS0_13kernel_configILj256ELj4ELj4294967295EEENS1_37radix_sort_block_sort_config_selectorIiiEEZNS1_21radix_sort_block_sortIS4_Lb1EN6thrust23THRUST_200600_302600_NS6detail15normal_iteratorINS9_10device_ptrIiEEEESE_SE_SE_NS0_19identity_decomposerEEE10hipError_tT1_T2_T3_T4_jRjT5_jjP12ihipStream_tbEUlT_E_NS1_11comp_targetILNS1_3genE4ELNS1_11target_archE910ELNS1_3gpuE8ELNS1_3repE0EEENS1_44radix_sort_block_sort_config_static_selectorELNS0_4arch9wavefront6targetE0EEEvSH_
	.p2align	8
	.type	_ZN7rocprim17ROCPRIM_400000_NS6detail17trampoline_kernelINS0_13kernel_configILj256ELj4ELj4294967295EEENS1_37radix_sort_block_sort_config_selectorIiiEEZNS1_21radix_sort_block_sortIS4_Lb1EN6thrust23THRUST_200600_302600_NS6detail15normal_iteratorINS9_10device_ptrIiEEEESE_SE_SE_NS0_19identity_decomposerEEE10hipError_tT1_T2_T3_T4_jRjT5_jjP12ihipStream_tbEUlT_E_NS1_11comp_targetILNS1_3genE4ELNS1_11target_archE910ELNS1_3gpuE8ELNS1_3repE0EEENS1_44radix_sort_block_sort_config_static_selectorELNS0_4arch9wavefront6targetE0EEEvSH_,@function
_ZN7rocprim17ROCPRIM_400000_NS6detail17trampoline_kernelINS0_13kernel_configILj256ELj4ELj4294967295EEENS1_37radix_sort_block_sort_config_selectorIiiEEZNS1_21radix_sort_block_sortIS4_Lb1EN6thrust23THRUST_200600_302600_NS6detail15normal_iteratorINS9_10device_ptrIiEEEESE_SE_SE_NS0_19identity_decomposerEEE10hipError_tT1_T2_T3_T4_jRjT5_jjP12ihipStream_tbEUlT_E_NS1_11comp_targetILNS1_3genE4ELNS1_11target_archE910ELNS1_3gpuE8ELNS1_3repE0EEENS1_44radix_sort_block_sort_config_static_selectorELNS0_4arch9wavefront6targetE0EEEvSH_: ; @_ZN7rocprim17ROCPRIM_400000_NS6detail17trampoline_kernelINS0_13kernel_configILj256ELj4ELj4294967295EEENS1_37radix_sort_block_sort_config_selectorIiiEEZNS1_21radix_sort_block_sortIS4_Lb1EN6thrust23THRUST_200600_302600_NS6detail15normal_iteratorINS9_10device_ptrIiEEEESE_SE_SE_NS0_19identity_decomposerEEE10hipError_tT1_T2_T3_T4_jRjT5_jjP12ihipStream_tbEUlT_E_NS1_11comp_targetILNS1_3genE4ELNS1_11target_archE910ELNS1_3gpuE8ELNS1_3repE0EEENS1_44radix_sort_block_sort_config_static_selectorELNS0_4arch9wavefront6targetE0EEEvSH_
; %bb.0:
	.section	.rodata,"a",@progbits
	.p2align	6, 0x0
	.amdhsa_kernel _ZN7rocprim17ROCPRIM_400000_NS6detail17trampoline_kernelINS0_13kernel_configILj256ELj4ELj4294967295EEENS1_37radix_sort_block_sort_config_selectorIiiEEZNS1_21radix_sort_block_sortIS4_Lb1EN6thrust23THRUST_200600_302600_NS6detail15normal_iteratorINS9_10device_ptrIiEEEESE_SE_SE_NS0_19identity_decomposerEEE10hipError_tT1_T2_T3_T4_jRjT5_jjP12ihipStream_tbEUlT_E_NS1_11comp_targetILNS1_3genE4ELNS1_11target_archE910ELNS1_3gpuE8ELNS1_3repE0EEENS1_44radix_sort_block_sort_config_static_selectorELNS0_4arch9wavefront6targetE0EEEvSH_
		.amdhsa_group_segment_fixed_size 0
		.amdhsa_private_segment_fixed_size 0
		.amdhsa_kernarg_size 48
		.amdhsa_user_sgpr_count 6
		.amdhsa_user_sgpr_private_segment_buffer 1
		.amdhsa_user_sgpr_dispatch_ptr 0
		.amdhsa_user_sgpr_queue_ptr 0
		.amdhsa_user_sgpr_kernarg_segment_ptr 1
		.amdhsa_user_sgpr_dispatch_id 0
		.amdhsa_user_sgpr_flat_scratch_init 0
		.amdhsa_user_sgpr_private_segment_size 0
		.amdhsa_wavefront_size32 1
		.amdhsa_uses_dynamic_stack 0
		.amdhsa_system_sgpr_private_segment_wavefront_offset 0
		.amdhsa_system_sgpr_workgroup_id_x 1
		.amdhsa_system_sgpr_workgroup_id_y 0
		.amdhsa_system_sgpr_workgroup_id_z 0
		.amdhsa_system_sgpr_workgroup_info 0
		.amdhsa_system_vgpr_workitem_id 0
		.amdhsa_next_free_vgpr 1
		.amdhsa_next_free_sgpr 1
		.amdhsa_reserve_vcc 0
		.amdhsa_reserve_flat_scratch 0
		.amdhsa_float_round_mode_32 0
		.amdhsa_float_round_mode_16_64 0
		.amdhsa_float_denorm_mode_32 3
		.amdhsa_float_denorm_mode_16_64 3
		.amdhsa_dx10_clamp 1
		.amdhsa_ieee_mode 1
		.amdhsa_fp16_overflow 0
		.amdhsa_workgroup_processor_mode 1
		.amdhsa_memory_ordered 1
		.amdhsa_forward_progress 1
		.amdhsa_shared_vgpr_count 0
		.amdhsa_exception_fp_ieee_invalid_op 0
		.amdhsa_exception_fp_denorm_src 0
		.amdhsa_exception_fp_ieee_div_zero 0
		.amdhsa_exception_fp_ieee_overflow 0
		.amdhsa_exception_fp_ieee_underflow 0
		.amdhsa_exception_fp_ieee_inexact 0
		.amdhsa_exception_int_div_zero 0
	.end_amdhsa_kernel
	.section	.text._ZN7rocprim17ROCPRIM_400000_NS6detail17trampoline_kernelINS0_13kernel_configILj256ELj4ELj4294967295EEENS1_37radix_sort_block_sort_config_selectorIiiEEZNS1_21radix_sort_block_sortIS4_Lb1EN6thrust23THRUST_200600_302600_NS6detail15normal_iteratorINS9_10device_ptrIiEEEESE_SE_SE_NS0_19identity_decomposerEEE10hipError_tT1_T2_T3_T4_jRjT5_jjP12ihipStream_tbEUlT_E_NS1_11comp_targetILNS1_3genE4ELNS1_11target_archE910ELNS1_3gpuE8ELNS1_3repE0EEENS1_44radix_sort_block_sort_config_static_selectorELNS0_4arch9wavefront6targetE0EEEvSH_,"axG",@progbits,_ZN7rocprim17ROCPRIM_400000_NS6detail17trampoline_kernelINS0_13kernel_configILj256ELj4ELj4294967295EEENS1_37radix_sort_block_sort_config_selectorIiiEEZNS1_21radix_sort_block_sortIS4_Lb1EN6thrust23THRUST_200600_302600_NS6detail15normal_iteratorINS9_10device_ptrIiEEEESE_SE_SE_NS0_19identity_decomposerEEE10hipError_tT1_T2_T3_T4_jRjT5_jjP12ihipStream_tbEUlT_E_NS1_11comp_targetILNS1_3genE4ELNS1_11target_archE910ELNS1_3gpuE8ELNS1_3repE0EEENS1_44radix_sort_block_sort_config_static_selectorELNS0_4arch9wavefront6targetE0EEEvSH_,comdat
.Lfunc_end878:
	.size	_ZN7rocprim17ROCPRIM_400000_NS6detail17trampoline_kernelINS0_13kernel_configILj256ELj4ELj4294967295EEENS1_37radix_sort_block_sort_config_selectorIiiEEZNS1_21radix_sort_block_sortIS4_Lb1EN6thrust23THRUST_200600_302600_NS6detail15normal_iteratorINS9_10device_ptrIiEEEESE_SE_SE_NS0_19identity_decomposerEEE10hipError_tT1_T2_T3_T4_jRjT5_jjP12ihipStream_tbEUlT_E_NS1_11comp_targetILNS1_3genE4ELNS1_11target_archE910ELNS1_3gpuE8ELNS1_3repE0EEENS1_44radix_sort_block_sort_config_static_selectorELNS0_4arch9wavefront6targetE0EEEvSH_, .Lfunc_end878-_ZN7rocprim17ROCPRIM_400000_NS6detail17trampoline_kernelINS0_13kernel_configILj256ELj4ELj4294967295EEENS1_37radix_sort_block_sort_config_selectorIiiEEZNS1_21radix_sort_block_sortIS4_Lb1EN6thrust23THRUST_200600_302600_NS6detail15normal_iteratorINS9_10device_ptrIiEEEESE_SE_SE_NS0_19identity_decomposerEEE10hipError_tT1_T2_T3_T4_jRjT5_jjP12ihipStream_tbEUlT_E_NS1_11comp_targetILNS1_3genE4ELNS1_11target_archE910ELNS1_3gpuE8ELNS1_3repE0EEENS1_44radix_sort_block_sort_config_static_selectorELNS0_4arch9wavefront6targetE0EEEvSH_
                                        ; -- End function
	.set _ZN7rocprim17ROCPRIM_400000_NS6detail17trampoline_kernelINS0_13kernel_configILj256ELj4ELj4294967295EEENS1_37radix_sort_block_sort_config_selectorIiiEEZNS1_21radix_sort_block_sortIS4_Lb1EN6thrust23THRUST_200600_302600_NS6detail15normal_iteratorINS9_10device_ptrIiEEEESE_SE_SE_NS0_19identity_decomposerEEE10hipError_tT1_T2_T3_T4_jRjT5_jjP12ihipStream_tbEUlT_E_NS1_11comp_targetILNS1_3genE4ELNS1_11target_archE910ELNS1_3gpuE8ELNS1_3repE0EEENS1_44radix_sort_block_sort_config_static_selectorELNS0_4arch9wavefront6targetE0EEEvSH_.num_vgpr, 0
	.set _ZN7rocprim17ROCPRIM_400000_NS6detail17trampoline_kernelINS0_13kernel_configILj256ELj4ELj4294967295EEENS1_37radix_sort_block_sort_config_selectorIiiEEZNS1_21radix_sort_block_sortIS4_Lb1EN6thrust23THRUST_200600_302600_NS6detail15normal_iteratorINS9_10device_ptrIiEEEESE_SE_SE_NS0_19identity_decomposerEEE10hipError_tT1_T2_T3_T4_jRjT5_jjP12ihipStream_tbEUlT_E_NS1_11comp_targetILNS1_3genE4ELNS1_11target_archE910ELNS1_3gpuE8ELNS1_3repE0EEENS1_44radix_sort_block_sort_config_static_selectorELNS0_4arch9wavefront6targetE0EEEvSH_.num_agpr, 0
	.set _ZN7rocprim17ROCPRIM_400000_NS6detail17trampoline_kernelINS0_13kernel_configILj256ELj4ELj4294967295EEENS1_37radix_sort_block_sort_config_selectorIiiEEZNS1_21radix_sort_block_sortIS4_Lb1EN6thrust23THRUST_200600_302600_NS6detail15normal_iteratorINS9_10device_ptrIiEEEESE_SE_SE_NS0_19identity_decomposerEEE10hipError_tT1_T2_T3_T4_jRjT5_jjP12ihipStream_tbEUlT_E_NS1_11comp_targetILNS1_3genE4ELNS1_11target_archE910ELNS1_3gpuE8ELNS1_3repE0EEENS1_44radix_sort_block_sort_config_static_selectorELNS0_4arch9wavefront6targetE0EEEvSH_.numbered_sgpr, 0
	.set _ZN7rocprim17ROCPRIM_400000_NS6detail17trampoline_kernelINS0_13kernel_configILj256ELj4ELj4294967295EEENS1_37radix_sort_block_sort_config_selectorIiiEEZNS1_21radix_sort_block_sortIS4_Lb1EN6thrust23THRUST_200600_302600_NS6detail15normal_iteratorINS9_10device_ptrIiEEEESE_SE_SE_NS0_19identity_decomposerEEE10hipError_tT1_T2_T3_T4_jRjT5_jjP12ihipStream_tbEUlT_E_NS1_11comp_targetILNS1_3genE4ELNS1_11target_archE910ELNS1_3gpuE8ELNS1_3repE0EEENS1_44radix_sort_block_sort_config_static_selectorELNS0_4arch9wavefront6targetE0EEEvSH_.num_named_barrier, 0
	.set _ZN7rocprim17ROCPRIM_400000_NS6detail17trampoline_kernelINS0_13kernel_configILj256ELj4ELj4294967295EEENS1_37radix_sort_block_sort_config_selectorIiiEEZNS1_21radix_sort_block_sortIS4_Lb1EN6thrust23THRUST_200600_302600_NS6detail15normal_iteratorINS9_10device_ptrIiEEEESE_SE_SE_NS0_19identity_decomposerEEE10hipError_tT1_T2_T3_T4_jRjT5_jjP12ihipStream_tbEUlT_E_NS1_11comp_targetILNS1_3genE4ELNS1_11target_archE910ELNS1_3gpuE8ELNS1_3repE0EEENS1_44radix_sort_block_sort_config_static_selectorELNS0_4arch9wavefront6targetE0EEEvSH_.private_seg_size, 0
	.set _ZN7rocprim17ROCPRIM_400000_NS6detail17trampoline_kernelINS0_13kernel_configILj256ELj4ELj4294967295EEENS1_37radix_sort_block_sort_config_selectorIiiEEZNS1_21radix_sort_block_sortIS4_Lb1EN6thrust23THRUST_200600_302600_NS6detail15normal_iteratorINS9_10device_ptrIiEEEESE_SE_SE_NS0_19identity_decomposerEEE10hipError_tT1_T2_T3_T4_jRjT5_jjP12ihipStream_tbEUlT_E_NS1_11comp_targetILNS1_3genE4ELNS1_11target_archE910ELNS1_3gpuE8ELNS1_3repE0EEENS1_44radix_sort_block_sort_config_static_selectorELNS0_4arch9wavefront6targetE0EEEvSH_.uses_vcc, 0
	.set _ZN7rocprim17ROCPRIM_400000_NS6detail17trampoline_kernelINS0_13kernel_configILj256ELj4ELj4294967295EEENS1_37radix_sort_block_sort_config_selectorIiiEEZNS1_21radix_sort_block_sortIS4_Lb1EN6thrust23THRUST_200600_302600_NS6detail15normal_iteratorINS9_10device_ptrIiEEEESE_SE_SE_NS0_19identity_decomposerEEE10hipError_tT1_T2_T3_T4_jRjT5_jjP12ihipStream_tbEUlT_E_NS1_11comp_targetILNS1_3genE4ELNS1_11target_archE910ELNS1_3gpuE8ELNS1_3repE0EEENS1_44radix_sort_block_sort_config_static_selectorELNS0_4arch9wavefront6targetE0EEEvSH_.uses_flat_scratch, 0
	.set _ZN7rocprim17ROCPRIM_400000_NS6detail17trampoline_kernelINS0_13kernel_configILj256ELj4ELj4294967295EEENS1_37radix_sort_block_sort_config_selectorIiiEEZNS1_21radix_sort_block_sortIS4_Lb1EN6thrust23THRUST_200600_302600_NS6detail15normal_iteratorINS9_10device_ptrIiEEEESE_SE_SE_NS0_19identity_decomposerEEE10hipError_tT1_T2_T3_T4_jRjT5_jjP12ihipStream_tbEUlT_E_NS1_11comp_targetILNS1_3genE4ELNS1_11target_archE910ELNS1_3gpuE8ELNS1_3repE0EEENS1_44radix_sort_block_sort_config_static_selectorELNS0_4arch9wavefront6targetE0EEEvSH_.has_dyn_sized_stack, 0
	.set _ZN7rocprim17ROCPRIM_400000_NS6detail17trampoline_kernelINS0_13kernel_configILj256ELj4ELj4294967295EEENS1_37radix_sort_block_sort_config_selectorIiiEEZNS1_21radix_sort_block_sortIS4_Lb1EN6thrust23THRUST_200600_302600_NS6detail15normal_iteratorINS9_10device_ptrIiEEEESE_SE_SE_NS0_19identity_decomposerEEE10hipError_tT1_T2_T3_T4_jRjT5_jjP12ihipStream_tbEUlT_E_NS1_11comp_targetILNS1_3genE4ELNS1_11target_archE910ELNS1_3gpuE8ELNS1_3repE0EEENS1_44radix_sort_block_sort_config_static_selectorELNS0_4arch9wavefront6targetE0EEEvSH_.has_recursion, 0
	.set _ZN7rocprim17ROCPRIM_400000_NS6detail17trampoline_kernelINS0_13kernel_configILj256ELj4ELj4294967295EEENS1_37radix_sort_block_sort_config_selectorIiiEEZNS1_21radix_sort_block_sortIS4_Lb1EN6thrust23THRUST_200600_302600_NS6detail15normal_iteratorINS9_10device_ptrIiEEEESE_SE_SE_NS0_19identity_decomposerEEE10hipError_tT1_T2_T3_T4_jRjT5_jjP12ihipStream_tbEUlT_E_NS1_11comp_targetILNS1_3genE4ELNS1_11target_archE910ELNS1_3gpuE8ELNS1_3repE0EEENS1_44radix_sort_block_sort_config_static_selectorELNS0_4arch9wavefront6targetE0EEEvSH_.has_indirect_call, 0
	.section	.AMDGPU.csdata,"",@progbits
; Kernel info:
; codeLenInByte = 0
; TotalNumSgprs: 0
; NumVgprs: 0
; ScratchSize: 0
; MemoryBound: 0
; FloatMode: 240
; IeeeMode: 1
; LDSByteSize: 0 bytes/workgroup (compile time only)
; SGPRBlocks: 0
; VGPRBlocks: 0
; NumSGPRsForWavesPerEU: 1
; NumVGPRsForWavesPerEU: 1
; Occupancy: 16
; WaveLimiterHint : 0
; COMPUTE_PGM_RSRC2:SCRATCH_EN: 0
; COMPUTE_PGM_RSRC2:USER_SGPR: 6
; COMPUTE_PGM_RSRC2:TRAP_HANDLER: 0
; COMPUTE_PGM_RSRC2:TGID_X_EN: 1
; COMPUTE_PGM_RSRC2:TGID_Y_EN: 0
; COMPUTE_PGM_RSRC2:TGID_Z_EN: 0
; COMPUTE_PGM_RSRC2:TIDIG_COMP_CNT: 0
	.section	.text._ZN7rocprim17ROCPRIM_400000_NS6detail17trampoline_kernelINS0_13kernel_configILj256ELj4ELj4294967295EEENS1_37radix_sort_block_sort_config_selectorIiiEEZNS1_21radix_sort_block_sortIS4_Lb1EN6thrust23THRUST_200600_302600_NS6detail15normal_iteratorINS9_10device_ptrIiEEEESE_SE_SE_NS0_19identity_decomposerEEE10hipError_tT1_T2_T3_T4_jRjT5_jjP12ihipStream_tbEUlT_E_NS1_11comp_targetILNS1_3genE3ELNS1_11target_archE908ELNS1_3gpuE7ELNS1_3repE0EEENS1_44radix_sort_block_sort_config_static_selectorELNS0_4arch9wavefront6targetE0EEEvSH_,"axG",@progbits,_ZN7rocprim17ROCPRIM_400000_NS6detail17trampoline_kernelINS0_13kernel_configILj256ELj4ELj4294967295EEENS1_37radix_sort_block_sort_config_selectorIiiEEZNS1_21radix_sort_block_sortIS4_Lb1EN6thrust23THRUST_200600_302600_NS6detail15normal_iteratorINS9_10device_ptrIiEEEESE_SE_SE_NS0_19identity_decomposerEEE10hipError_tT1_T2_T3_T4_jRjT5_jjP12ihipStream_tbEUlT_E_NS1_11comp_targetILNS1_3genE3ELNS1_11target_archE908ELNS1_3gpuE7ELNS1_3repE0EEENS1_44radix_sort_block_sort_config_static_selectorELNS0_4arch9wavefront6targetE0EEEvSH_,comdat
	.protected	_ZN7rocprim17ROCPRIM_400000_NS6detail17trampoline_kernelINS0_13kernel_configILj256ELj4ELj4294967295EEENS1_37radix_sort_block_sort_config_selectorIiiEEZNS1_21radix_sort_block_sortIS4_Lb1EN6thrust23THRUST_200600_302600_NS6detail15normal_iteratorINS9_10device_ptrIiEEEESE_SE_SE_NS0_19identity_decomposerEEE10hipError_tT1_T2_T3_T4_jRjT5_jjP12ihipStream_tbEUlT_E_NS1_11comp_targetILNS1_3genE3ELNS1_11target_archE908ELNS1_3gpuE7ELNS1_3repE0EEENS1_44radix_sort_block_sort_config_static_selectorELNS0_4arch9wavefront6targetE0EEEvSH_ ; -- Begin function _ZN7rocprim17ROCPRIM_400000_NS6detail17trampoline_kernelINS0_13kernel_configILj256ELj4ELj4294967295EEENS1_37radix_sort_block_sort_config_selectorIiiEEZNS1_21radix_sort_block_sortIS4_Lb1EN6thrust23THRUST_200600_302600_NS6detail15normal_iteratorINS9_10device_ptrIiEEEESE_SE_SE_NS0_19identity_decomposerEEE10hipError_tT1_T2_T3_T4_jRjT5_jjP12ihipStream_tbEUlT_E_NS1_11comp_targetILNS1_3genE3ELNS1_11target_archE908ELNS1_3gpuE7ELNS1_3repE0EEENS1_44radix_sort_block_sort_config_static_selectorELNS0_4arch9wavefront6targetE0EEEvSH_
	.globl	_ZN7rocprim17ROCPRIM_400000_NS6detail17trampoline_kernelINS0_13kernel_configILj256ELj4ELj4294967295EEENS1_37radix_sort_block_sort_config_selectorIiiEEZNS1_21radix_sort_block_sortIS4_Lb1EN6thrust23THRUST_200600_302600_NS6detail15normal_iteratorINS9_10device_ptrIiEEEESE_SE_SE_NS0_19identity_decomposerEEE10hipError_tT1_T2_T3_T4_jRjT5_jjP12ihipStream_tbEUlT_E_NS1_11comp_targetILNS1_3genE3ELNS1_11target_archE908ELNS1_3gpuE7ELNS1_3repE0EEENS1_44radix_sort_block_sort_config_static_selectorELNS0_4arch9wavefront6targetE0EEEvSH_
	.p2align	8
	.type	_ZN7rocprim17ROCPRIM_400000_NS6detail17trampoline_kernelINS0_13kernel_configILj256ELj4ELj4294967295EEENS1_37radix_sort_block_sort_config_selectorIiiEEZNS1_21radix_sort_block_sortIS4_Lb1EN6thrust23THRUST_200600_302600_NS6detail15normal_iteratorINS9_10device_ptrIiEEEESE_SE_SE_NS0_19identity_decomposerEEE10hipError_tT1_T2_T3_T4_jRjT5_jjP12ihipStream_tbEUlT_E_NS1_11comp_targetILNS1_3genE3ELNS1_11target_archE908ELNS1_3gpuE7ELNS1_3repE0EEENS1_44radix_sort_block_sort_config_static_selectorELNS0_4arch9wavefront6targetE0EEEvSH_,@function
_ZN7rocprim17ROCPRIM_400000_NS6detail17trampoline_kernelINS0_13kernel_configILj256ELj4ELj4294967295EEENS1_37radix_sort_block_sort_config_selectorIiiEEZNS1_21radix_sort_block_sortIS4_Lb1EN6thrust23THRUST_200600_302600_NS6detail15normal_iteratorINS9_10device_ptrIiEEEESE_SE_SE_NS0_19identity_decomposerEEE10hipError_tT1_T2_T3_T4_jRjT5_jjP12ihipStream_tbEUlT_E_NS1_11comp_targetILNS1_3genE3ELNS1_11target_archE908ELNS1_3gpuE7ELNS1_3repE0EEENS1_44radix_sort_block_sort_config_static_selectorELNS0_4arch9wavefront6targetE0EEEvSH_: ; @_ZN7rocprim17ROCPRIM_400000_NS6detail17trampoline_kernelINS0_13kernel_configILj256ELj4ELj4294967295EEENS1_37radix_sort_block_sort_config_selectorIiiEEZNS1_21radix_sort_block_sortIS4_Lb1EN6thrust23THRUST_200600_302600_NS6detail15normal_iteratorINS9_10device_ptrIiEEEESE_SE_SE_NS0_19identity_decomposerEEE10hipError_tT1_T2_T3_T4_jRjT5_jjP12ihipStream_tbEUlT_E_NS1_11comp_targetILNS1_3genE3ELNS1_11target_archE908ELNS1_3gpuE7ELNS1_3repE0EEENS1_44radix_sort_block_sort_config_static_selectorELNS0_4arch9wavefront6targetE0EEEvSH_
; %bb.0:
	.section	.rodata,"a",@progbits
	.p2align	6, 0x0
	.amdhsa_kernel _ZN7rocprim17ROCPRIM_400000_NS6detail17trampoline_kernelINS0_13kernel_configILj256ELj4ELj4294967295EEENS1_37radix_sort_block_sort_config_selectorIiiEEZNS1_21radix_sort_block_sortIS4_Lb1EN6thrust23THRUST_200600_302600_NS6detail15normal_iteratorINS9_10device_ptrIiEEEESE_SE_SE_NS0_19identity_decomposerEEE10hipError_tT1_T2_T3_T4_jRjT5_jjP12ihipStream_tbEUlT_E_NS1_11comp_targetILNS1_3genE3ELNS1_11target_archE908ELNS1_3gpuE7ELNS1_3repE0EEENS1_44radix_sort_block_sort_config_static_selectorELNS0_4arch9wavefront6targetE0EEEvSH_
		.amdhsa_group_segment_fixed_size 0
		.amdhsa_private_segment_fixed_size 0
		.amdhsa_kernarg_size 48
		.amdhsa_user_sgpr_count 6
		.amdhsa_user_sgpr_private_segment_buffer 1
		.amdhsa_user_sgpr_dispatch_ptr 0
		.amdhsa_user_sgpr_queue_ptr 0
		.amdhsa_user_sgpr_kernarg_segment_ptr 1
		.amdhsa_user_sgpr_dispatch_id 0
		.amdhsa_user_sgpr_flat_scratch_init 0
		.amdhsa_user_sgpr_private_segment_size 0
		.amdhsa_wavefront_size32 1
		.amdhsa_uses_dynamic_stack 0
		.amdhsa_system_sgpr_private_segment_wavefront_offset 0
		.amdhsa_system_sgpr_workgroup_id_x 1
		.amdhsa_system_sgpr_workgroup_id_y 0
		.amdhsa_system_sgpr_workgroup_id_z 0
		.amdhsa_system_sgpr_workgroup_info 0
		.amdhsa_system_vgpr_workitem_id 0
		.amdhsa_next_free_vgpr 1
		.amdhsa_next_free_sgpr 1
		.amdhsa_reserve_vcc 0
		.amdhsa_reserve_flat_scratch 0
		.amdhsa_float_round_mode_32 0
		.amdhsa_float_round_mode_16_64 0
		.amdhsa_float_denorm_mode_32 3
		.amdhsa_float_denorm_mode_16_64 3
		.amdhsa_dx10_clamp 1
		.amdhsa_ieee_mode 1
		.amdhsa_fp16_overflow 0
		.amdhsa_workgroup_processor_mode 1
		.amdhsa_memory_ordered 1
		.amdhsa_forward_progress 1
		.amdhsa_shared_vgpr_count 0
		.amdhsa_exception_fp_ieee_invalid_op 0
		.amdhsa_exception_fp_denorm_src 0
		.amdhsa_exception_fp_ieee_div_zero 0
		.amdhsa_exception_fp_ieee_overflow 0
		.amdhsa_exception_fp_ieee_underflow 0
		.amdhsa_exception_fp_ieee_inexact 0
		.amdhsa_exception_int_div_zero 0
	.end_amdhsa_kernel
	.section	.text._ZN7rocprim17ROCPRIM_400000_NS6detail17trampoline_kernelINS0_13kernel_configILj256ELj4ELj4294967295EEENS1_37radix_sort_block_sort_config_selectorIiiEEZNS1_21radix_sort_block_sortIS4_Lb1EN6thrust23THRUST_200600_302600_NS6detail15normal_iteratorINS9_10device_ptrIiEEEESE_SE_SE_NS0_19identity_decomposerEEE10hipError_tT1_T2_T3_T4_jRjT5_jjP12ihipStream_tbEUlT_E_NS1_11comp_targetILNS1_3genE3ELNS1_11target_archE908ELNS1_3gpuE7ELNS1_3repE0EEENS1_44radix_sort_block_sort_config_static_selectorELNS0_4arch9wavefront6targetE0EEEvSH_,"axG",@progbits,_ZN7rocprim17ROCPRIM_400000_NS6detail17trampoline_kernelINS0_13kernel_configILj256ELj4ELj4294967295EEENS1_37radix_sort_block_sort_config_selectorIiiEEZNS1_21radix_sort_block_sortIS4_Lb1EN6thrust23THRUST_200600_302600_NS6detail15normal_iteratorINS9_10device_ptrIiEEEESE_SE_SE_NS0_19identity_decomposerEEE10hipError_tT1_T2_T3_T4_jRjT5_jjP12ihipStream_tbEUlT_E_NS1_11comp_targetILNS1_3genE3ELNS1_11target_archE908ELNS1_3gpuE7ELNS1_3repE0EEENS1_44radix_sort_block_sort_config_static_selectorELNS0_4arch9wavefront6targetE0EEEvSH_,comdat
.Lfunc_end879:
	.size	_ZN7rocprim17ROCPRIM_400000_NS6detail17trampoline_kernelINS0_13kernel_configILj256ELj4ELj4294967295EEENS1_37radix_sort_block_sort_config_selectorIiiEEZNS1_21radix_sort_block_sortIS4_Lb1EN6thrust23THRUST_200600_302600_NS6detail15normal_iteratorINS9_10device_ptrIiEEEESE_SE_SE_NS0_19identity_decomposerEEE10hipError_tT1_T2_T3_T4_jRjT5_jjP12ihipStream_tbEUlT_E_NS1_11comp_targetILNS1_3genE3ELNS1_11target_archE908ELNS1_3gpuE7ELNS1_3repE0EEENS1_44radix_sort_block_sort_config_static_selectorELNS0_4arch9wavefront6targetE0EEEvSH_, .Lfunc_end879-_ZN7rocprim17ROCPRIM_400000_NS6detail17trampoline_kernelINS0_13kernel_configILj256ELj4ELj4294967295EEENS1_37radix_sort_block_sort_config_selectorIiiEEZNS1_21radix_sort_block_sortIS4_Lb1EN6thrust23THRUST_200600_302600_NS6detail15normal_iteratorINS9_10device_ptrIiEEEESE_SE_SE_NS0_19identity_decomposerEEE10hipError_tT1_T2_T3_T4_jRjT5_jjP12ihipStream_tbEUlT_E_NS1_11comp_targetILNS1_3genE3ELNS1_11target_archE908ELNS1_3gpuE7ELNS1_3repE0EEENS1_44radix_sort_block_sort_config_static_selectorELNS0_4arch9wavefront6targetE0EEEvSH_
                                        ; -- End function
	.set _ZN7rocprim17ROCPRIM_400000_NS6detail17trampoline_kernelINS0_13kernel_configILj256ELj4ELj4294967295EEENS1_37radix_sort_block_sort_config_selectorIiiEEZNS1_21radix_sort_block_sortIS4_Lb1EN6thrust23THRUST_200600_302600_NS6detail15normal_iteratorINS9_10device_ptrIiEEEESE_SE_SE_NS0_19identity_decomposerEEE10hipError_tT1_T2_T3_T4_jRjT5_jjP12ihipStream_tbEUlT_E_NS1_11comp_targetILNS1_3genE3ELNS1_11target_archE908ELNS1_3gpuE7ELNS1_3repE0EEENS1_44radix_sort_block_sort_config_static_selectorELNS0_4arch9wavefront6targetE0EEEvSH_.num_vgpr, 0
	.set _ZN7rocprim17ROCPRIM_400000_NS6detail17trampoline_kernelINS0_13kernel_configILj256ELj4ELj4294967295EEENS1_37radix_sort_block_sort_config_selectorIiiEEZNS1_21radix_sort_block_sortIS4_Lb1EN6thrust23THRUST_200600_302600_NS6detail15normal_iteratorINS9_10device_ptrIiEEEESE_SE_SE_NS0_19identity_decomposerEEE10hipError_tT1_T2_T3_T4_jRjT5_jjP12ihipStream_tbEUlT_E_NS1_11comp_targetILNS1_3genE3ELNS1_11target_archE908ELNS1_3gpuE7ELNS1_3repE0EEENS1_44radix_sort_block_sort_config_static_selectorELNS0_4arch9wavefront6targetE0EEEvSH_.num_agpr, 0
	.set _ZN7rocprim17ROCPRIM_400000_NS6detail17trampoline_kernelINS0_13kernel_configILj256ELj4ELj4294967295EEENS1_37radix_sort_block_sort_config_selectorIiiEEZNS1_21radix_sort_block_sortIS4_Lb1EN6thrust23THRUST_200600_302600_NS6detail15normal_iteratorINS9_10device_ptrIiEEEESE_SE_SE_NS0_19identity_decomposerEEE10hipError_tT1_T2_T3_T4_jRjT5_jjP12ihipStream_tbEUlT_E_NS1_11comp_targetILNS1_3genE3ELNS1_11target_archE908ELNS1_3gpuE7ELNS1_3repE0EEENS1_44radix_sort_block_sort_config_static_selectorELNS0_4arch9wavefront6targetE0EEEvSH_.numbered_sgpr, 0
	.set _ZN7rocprim17ROCPRIM_400000_NS6detail17trampoline_kernelINS0_13kernel_configILj256ELj4ELj4294967295EEENS1_37radix_sort_block_sort_config_selectorIiiEEZNS1_21radix_sort_block_sortIS4_Lb1EN6thrust23THRUST_200600_302600_NS6detail15normal_iteratorINS9_10device_ptrIiEEEESE_SE_SE_NS0_19identity_decomposerEEE10hipError_tT1_T2_T3_T4_jRjT5_jjP12ihipStream_tbEUlT_E_NS1_11comp_targetILNS1_3genE3ELNS1_11target_archE908ELNS1_3gpuE7ELNS1_3repE0EEENS1_44radix_sort_block_sort_config_static_selectorELNS0_4arch9wavefront6targetE0EEEvSH_.num_named_barrier, 0
	.set _ZN7rocprim17ROCPRIM_400000_NS6detail17trampoline_kernelINS0_13kernel_configILj256ELj4ELj4294967295EEENS1_37radix_sort_block_sort_config_selectorIiiEEZNS1_21radix_sort_block_sortIS4_Lb1EN6thrust23THRUST_200600_302600_NS6detail15normal_iteratorINS9_10device_ptrIiEEEESE_SE_SE_NS0_19identity_decomposerEEE10hipError_tT1_T2_T3_T4_jRjT5_jjP12ihipStream_tbEUlT_E_NS1_11comp_targetILNS1_3genE3ELNS1_11target_archE908ELNS1_3gpuE7ELNS1_3repE0EEENS1_44radix_sort_block_sort_config_static_selectorELNS0_4arch9wavefront6targetE0EEEvSH_.private_seg_size, 0
	.set _ZN7rocprim17ROCPRIM_400000_NS6detail17trampoline_kernelINS0_13kernel_configILj256ELj4ELj4294967295EEENS1_37radix_sort_block_sort_config_selectorIiiEEZNS1_21radix_sort_block_sortIS4_Lb1EN6thrust23THRUST_200600_302600_NS6detail15normal_iteratorINS9_10device_ptrIiEEEESE_SE_SE_NS0_19identity_decomposerEEE10hipError_tT1_T2_T3_T4_jRjT5_jjP12ihipStream_tbEUlT_E_NS1_11comp_targetILNS1_3genE3ELNS1_11target_archE908ELNS1_3gpuE7ELNS1_3repE0EEENS1_44radix_sort_block_sort_config_static_selectorELNS0_4arch9wavefront6targetE0EEEvSH_.uses_vcc, 0
	.set _ZN7rocprim17ROCPRIM_400000_NS6detail17trampoline_kernelINS0_13kernel_configILj256ELj4ELj4294967295EEENS1_37radix_sort_block_sort_config_selectorIiiEEZNS1_21radix_sort_block_sortIS4_Lb1EN6thrust23THRUST_200600_302600_NS6detail15normal_iteratorINS9_10device_ptrIiEEEESE_SE_SE_NS0_19identity_decomposerEEE10hipError_tT1_T2_T3_T4_jRjT5_jjP12ihipStream_tbEUlT_E_NS1_11comp_targetILNS1_3genE3ELNS1_11target_archE908ELNS1_3gpuE7ELNS1_3repE0EEENS1_44radix_sort_block_sort_config_static_selectorELNS0_4arch9wavefront6targetE0EEEvSH_.uses_flat_scratch, 0
	.set _ZN7rocprim17ROCPRIM_400000_NS6detail17trampoline_kernelINS0_13kernel_configILj256ELj4ELj4294967295EEENS1_37radix_sort_block_sort_config_selectorIiiEEZNS1_21radix_sort_block_sortIS4_Lb1EN6thrust23THRUST_200600_302600_NS6detail15normal_iteratorINS9_10device_ptrIiEEEESE_SE_SE_NS0_19identity_decomposerEEE10hipError_tT1_T2_T3_T4_jRjT5_jjP12ihipStream_tbEUlT_E_NS1_11comp_targetILNS1_3genE3ELNS1_11target_archE908ELNS1_3gpuE7ELNS1_3repE0EEENS1_44radix_sort_block_sort_config_static_selectorELNS0_4arch9wavefront6targetE0EEEvSH_.has_dyn_sized_stack, 0
	.set _ZN7rocprim17ROCPRIM_400000_NS6detail17trampoline_kernelINS0_13kernel_configILj256ELj4ELj4294967295EEENS1_37radix_sort_block_sort_config_selectorIiiEEZNS1_21radix_sort_block_sortIS4_Lb1EN6thrust23THRUST_200600_302600_NS6detail15normal_iteratorINS9_10device_ptrIiEEEESE_SE_SE_NS0_19identity_decomposerEEE10hipError_tT1_T2_T3_T4_jRjT5_jjP12ihipStream_tbEUlT_E_NS1_11comp_targetILNS1_3genE3ELNS1_11target_archE908ELNS1_3gpuE7ELNS1_3repE0EEENS1_44radix_sort_block_sort_config_static_selectorELNS0_4arch9wavefront6targetE0EEEvSH_.has_recursion, 0
	.set _ZN7rocprim17ROCPRIM_400000_NS6detail17trampoline_kernelINS0_13kernel_configILj256ELj4ELj4294967295EEENS1_37radix_sort_block_sort_config_selectorIiiEEZNS1_21radix_sort_block_sortIS4_Lb1EN6thrust23THRUST_200600_302600_NS6detail15normal_iteratorINS9_10device_ptrIiEEEESE_SE_SE_NS0_19identity_decomposerEEE10hipError_tT1_T2_T3_T4_jRjT5_jjP12ihipStream_tbEUlT_E_NS1_11comp_targetILNS1_3genE3ELNS1_11target_archE908ELNS1_3gpuE7ELNS1_3repE0EEENS1_44radix_sort_block_sort_config_static_selectorELNS0_4arch9wavefront6targetE0EEEvSH_.has_indirect_call, 0
	.section	.AMDGPU.csdata,"",@progbits
; Kernel info:
; codeLenInByte = 0
; TotalNumSgprs: 0
; NumVgprs: 0
; ScratchSize: 0
; MemoryBound: 0
; FloatMode: 240
; IeeeMode: 1
; LDSByteSize: 0 bytes/workgroup (compile time only)
; SGPRBlocks: 0
; VGPRBlocks: 0
; NumSGPRsForWavesPerEU: 1
; NumVGPRsForWavesPerEU: 1
; Occupancy: 16
; WaveLimiterHint : 0
; COMPUTE_PGM_RSRC2:SCRATCH_EN: 0
; COMPUTE_PGM_RSRC2:USER_SGPR: 6
; COMPUTE_PGM_RSRC2:TRAP_HANDLER: 0
; COMPUTE_PGM_RSRC2:TGID_X_EN: 1
; COMPUTE_PGM_RSRC2:TGID_Y_EN: 0
; COMPUTE_PGM_RSRC2:TGID_Z_EN: 0
; COMPUTE_PGM_RSRC2:TIDIG_COMP_CNT: 0
	.section	.text._ZN7rocprim17ROCPRIM_400000_NS6detail17trampoline_kernelINS0_13kernel_configILj256ELj4ELj4294967295EEENS1_37radix_sort_block_sort_config_selectorIiiEEZNS1_21radix_sort_block_sortIS4_Lb1EN6thrust23THRUST_200600_302600_NS6detail15normal_iteratorINS9_10device_ptrIiEEEESE_SE_SE_NS0_19identity_decomposerEEE10hipError_tT1_T2_T3_T4_jRjT5_jjP12ihipStream_tbEUlT_E_NS1_11comp_targetILNS1_3genE2ELNS1_11target_archE906ELNS1_3gpuE6ELNS1_3repE0EEENS1_44radix_sort_block_sort_config_static_selectorELNS0_4arch9wavefront6targetE0EEEvSH_,"axG",@progbits,_ZN7rocprim17ROCPRIM_400000_NS6detail17trampoline_kernelINS0_13kernel_configILj256ELj4ELj4294967295EEENS1_37radix_sort_block_sort_config_selectorIiiEEZNS1_21radix_sort_block_sortIS4_Lb1EN6thrust23THRUST_200600_302600_NS6detail15normal_iteratorINS9_10device_ptrIiEEEESE_SE_SE_NS0_19identity_decomposerEEE10hipError_tT1_T2_T3_T4_jRjT5_jjP12ihipStream_tbEUlT_E_NS1_11comp_targetILNS1_3genE2ELNS1_11target_archE906ELNS1_3gpuE6ELNS1_3repE0EEENS1_44radix_sort_block_sort_config_static_selectorELNS0_4arch9wavefront6targetE0EEEvSH_,comdat
	.protected	_ZN7rocprim17ROCPRIM_400000_NS6detail17trampoline_kernelINS0_13kernel_configILj256ELj4ELj4294967295EEENS1_37radix_sort_block_sort_config_selectorIiiEEZNS1_21radix_sort_block_sortIS4_Lb1EN6thrust23THRUST_200600_302600_NS6detail15normal_iteratorINS9_10device_ptrIiEEEESE_SE_SE_NS0_19identity_decomposerEEE10hipError_tT1_T2_T3_T4_jRjT5_jjP12ihipStream_tbEUlT_E_NS1_11comp_targetILNS1_3genE2ELNS1_11target_archE906ELNS1_3gpuE6ELNS1_3repE0EEENS1_44radix_sort_block_sort_config_static_selectorELNS0_4arch9wavefront6targetE0EEEvSH_ ; -- Begin function _ZN7rocprim17ROCPRIM_400000_NS6detail17trampoline_kernelINS0_13kernel_configILj256ELj4ELj4294967295EEENS1_37radix_sort_block_sort_config_selectorIiiEEZNS1_21radix_sort_block_sortIS4_Lb1EN6thrust23THRUST_200600_302600_NS6detail15normal_iteratorINS9_10device_ptrIiEEEESE_SE_SE_NS0_19identity_decomposerEEE10hipError_tT1_T2_T3_T4_jRjT5_jjP12ihipStream_tbEUlT_E_NS1_11comp_targetILNS1_3genE2ELNS1_11target_archE906ELNS1_3gpuE6ELNS1_3repE0EEENS1_44radix_sort_block_sort_config_static_selectorELNS0_4arch9wavefront6targetE0EEEvSH_
	.globl	_ZN7rocprim17ROCPRIM_400000_NS6detail17trampoline_kernelINS0_13kernel_configILj256ELj4ELj4294967295EEENS1_37radix_sort_block_sort_config_selectorIiiEEZNS1_21radix_sort_block_sortIS4_Lb1EN6thrust23THRUST_200600_302600_NS6detail15normal_iteratorINS9_10device_ptrIiEEEESE_SE_SE_NS0_19identity_decomposerEEE10hipError_tT1_T2_T3_T4_jRjT5_jjP12ihipStream_tbEUlT_E_NS1_11comp_targetILNS1_3genE2ELNS1_11target_archE906ELNS1_3gpuE6ELNS1_3repE0EEENS1_44radix_sort_block_sort_config_static_selectorELNS0_4arch9wavefront6targetE0EEEvSH_
	.p2align	8
	.type	_ZN7rocprim17ROCPRIM_400000_NS6detail17trampoline_kernelINS0_13kernel_configILj256ELj4ELj4294967295EEENS1_37radix_sort_block_sort_config_selectorIiiEEZNS1_21radix_sort_block_sortIS4_Lb1EN6thrust23THRUST_200600_302600_NS6detail15normal_iteratorINS9_10device_ptrIiEEEESE_SE_SE_NS0_19identity_decomposerEEE10hipError_tT1_T2_T3_T4_jRjT5_jjP12ihipStream_tbEUlT_E_NS1_11comp_targetILNS1_3genE2ELNS1_11target_archE906ELNS1_3gpuE6ELNS1_3repE0EEENS1_44radix_sort_block_sort_config_static_selectorELNS0_4arch9wavefront6targetE0EEEvSH_,@function
_ZN7rocprim17ROCPRIM_400000_NS6detail17trampoline_kernelINS0_13kernel_configILj256ELj4ELj4294967295EEENS1_37radix_sort_block_sort_config_selectorIiiEEZNS1_21radix_sort_block_sortIS4_Lb1EN6thrust23THRUST_200600_302600_NS6detail15normal_iteratorINS9_10device_ptrIiEEEESE_SE_SE_NS0_19identity_decomposerEEE10hipError_tT1_T2_T3_T4_jRjT5_jjP12ihipStream_tbEUlT_E_NS1_11comp_targetILNS1_3genE2ELNS1_11target_archE906ELNS1_3gpuE6ELNS1_3repE0EEENS1_44radix_sort_block_sort_config_static_selectorELNS0_4arch9wavefront6targetE0EEEvSH_: ; @_ZN7rocprim17ROCPRIM_400000_NS6detail17trampoline_kernelINS0_13kernel_configILj256ELj4ELj4294967295EEENS1_37radix_sort_block_sort_config_selectorIiiEEZNS1_21radix_sort_block_sortIS4_Lb1EN6thrust23THRUST_200600_302600_NS6detail15normal_iteratorINS9_10device_ptrIiEEEESE_SE_SE_NS0_19identity_decomposerEEE10hipError_tT1_T2_T3_T4_jRjT5_jjP12ihipStream_tbEUlT_E_NS1_11comp_targetILNS1_3genE2ELNS1_11target_archE906ELNS1_3gpuE6ELNS1_3repE0EEENS1_44radix_sort_block_sort_config_static_selectorELNS0_4arch9wavefront6targetE0EEEvSH_
; %bb.0:
	.section	.rodata,"a",@progbits
	.p2align	6, 0x0
	.amdhsa_kernel _ZN7rocprim17ROCPRIM_400000_NS6detail17trampoline_kernelINS0_13kernel_configILj256ELj4ELj4294967295EEENS1_37radix_sort_block_sort_config_selectorIiiEEZNS1_21radix_sort_block_sortIS4_Lb1EN6thrust23THRUST_200600_302600_NS6detail15normal_iteratorINS9_10device_ptrIiEEEESE_SE_SE_NS0_19identity_decomposerEEE10hipError_tT1_T2_T3_T4_jRjT5_jjP12ihipStream_tbEUlT_E_NS1_11comp_targetILNS1_3genE2ELNS1_11target_archE906ELNS1_3gpuE6ELNS1_3repE0EEENS1_44radix_sort_block_sort_config_static_selectorELNS0_4arch9wavefront6targetE0EEEvSH_
		.amdhsa_group_segment_fixed_size 0
		.amdhsa_private_segment_fixed_size 0
		.amdhsa_kernarg_size 48
		.amdhsa_user_sgpr_count 6
		.amdhsa_user_sgpr_private_segment_buffer 1
		.amdhsa_user_sgpr_dispatch_ptr 0
		.amdhsa_user_sgpr_queue_ptr 0
		.amdhsa_user_sgpr_kernarg_segment_ptr 1
		.amdhsa_user_sgpr_dispatch_id 0
		.amdhsa_user_sgpr_flat_scratch_init 0
		.amdhsa_user_sgpr_private_segment_size 0
		.amdhsa_wavefront_size32 1
		.amdhsa_uses_dynamic_stack 0
		.amdhsa_system_sgpr_private_segment_wavefront_offset 0
		.amdhsa_system_sgpr_workgroup_id_x 1
		.amdhsa_system_sgpr_workgroup_id_y 0
		.amdhsa_system_sgpr_workgroup_id_z 0
		.amdhsa_system_sgpr_workgroup_info 0
		.amdhsa_system_vgpr_workitem_id 0
		.amdhsa_next_free_vgpr 1
		.amdhsa_next_free_sgpr 1
		.amdhsa_reserve_vcc 0
		.amdhsa_reserve_flat_scratch 0
		.amdhsa_float_round_mode_32 0
		.amdhsa_float_round_mode_16_64 0
		.amdhsa_float_denorm_mode_32 3
		.amdhsa_float_denorm_mode_16_64 3
		.amdhsa_dx10_clamp 1
		.amdhsa_ieee_mode 1
		.amdhsa_fp16_overflow 0
		.amdhsa_workgroup_processor_mode 1
		.amdhsa_memory_ordered 1
		.amdhsa_forward_progress 1
		.amdhsa_shared_vgpr_count 0
		.amdhsa_exception_fp_ieee_invalid_op 0
		.amdhsa_exception_fp_denorm_src 0
		.amdhsa_exception_fp_ieee_div_zero 0
		.amdhsa_exception_fp_ieee_overflow 0
		.amdhsa_exception_fp_ieee_underflow 0
		.amdhsa_exception_fp_ieee_inexact 0
		.amdhsa_exception_int_div_zero 0
	.end_amdhsa_kernel
	.section	.text._ZN7rocprim17ROCPRIM_400000_NS6detail17trampoline_kernelINS0_13kernel_configILj256ELj4ELj4294967295EEENS1_37radix_sort_block_sort_config_selectorIiiEEZNS1_21radix_sort_block_sortIS4_Lb1EN6thrust23THRUST_200600_302600_NS6detail15normal_iteratorINS9_10device_ptrIiEEEESE_SE_SE_NS0_19identity_decomposerEEE10hipError_tT1_T2_T3_T4_jRjT5_jjP12ihipStream_tbEUlT_E_NS1_11comp_targetILNS1_3genE2ELNS1_11target_archE906ELNS1_3gpuE6ELNS1_3repE0EEENS1_44radix_sort_block_sort_config_static_selectorELNS0_4arch9wavefront6targetE0EEEvSH_,"axG",@progbits,_ZN7rocprim17ROCPRIM_400000_NS6detail17trampoline_kernelINS0_13kernel_configILj256ELj4ELj4294967295EEENS1_37radix_sort_block_sort_config_selectorIiiEEZNS1_21radix_sort_block_sortIS4_Lb1EN6thrust23THRUST_200600_302600_NS6detail15normal_iteratorINS9_10device_ptrIiEEEESE_SE_SE_NS0_19identity_decomposerEEE10hipError_tT1_T2_T3_T4_jRjT5_jjP12ihipStream_tbEUlT_E_NS1_11comp_targetILNS1_3genE2ELNS1_11target_archE906ELNS1_3gpuE6ELNS1_3repE0EEENS1_44radix_sort_block_sort_config_static_selectorELNS0_4arch9wavefront6targetE0EEEvSH_,comdat
.Lfunc_end880:
	.size	_ZN7rocprim17ROCPRIM_400000_NS6detail17trampoline_kernelINS0_13kernel_configILj256ELj4ELj4294967295EEENS1_37radix_sort_block_sort_config_selectorIiiEEZNS1_21radix_sort_block_sortIS4_Lb1EN6thrust23THRUST_200600_302600_NS6detail15normal_iteratorINS9_10device_ptrIiEEEESE_SE_SE_NS0_19identity_decomposerEEE10hipError_tT1_T2_T3_T4_jRjT5_jjP12ihipStream_tbEUlT_E_NS1_11comp_targetILNS1_3genE2ELNS1_11target_archE906ELNS1_3gpuE6ELNS1_3repE0EEENS1_44radix_sort_block_sort_config_static_selectorELNS0_4arch9wavefront6targetE0EEEvSH_, .Lfunc_end880-_ZN7rocprim17ROCPRIM_400000_NS6detail17trampoline_kernelINS0_13kernel_configILj256ELj4ELj4294967295EEENS1_37radix_sort_block_sort_config_selectorIiiEEZNS1_21radix_sort_block_sortIS4_Lb1EN6thrust23THRUST_200600_302600_NS6detail15normal_iteratorINS9_10device_ptrIiEEEESE_SE_SE_NS0_19identity_decomposerEEE10hipError_tT1_T2_T3_T4_jRjT5_jjP12ihipStream_tbEUlT_E_NS1_11comp_targetILNS1_3genE2ELNS1_11target_archE906ELNS1_3gpuE6ELNS1_3repE0EEENS1_44radix_sort_block_sort_config_static_selectorELNS0_4arch9wavefront6targetE0EEEvSH_
                                        ; -- End function
	.set _ZN7rocprim17ROCPRIM_400000_NS6detail17trampoline_kernelINS0_13kernel_configILj256ELj4ELj4294967295EEENS1_37radix_sort_block_sort_config_selectorIiiEEZNS1_21radix_sort_block_sortIS4_Lb1EN6thrust23THRUST_200600_302600_NS6detail15normal_iteratorINS9_10device_ptrIiEEEESE_SE_SE_NS0_19identity_decomposerEEE10hipError_tT1_T2_T3_T4_jRjT5_jjP12ihipStream_tbEUlT_E_NS1_11comp_targetILNS1_3genE2ELNS1_11target_archE906ELNS1_3gpuE6ELNS1_3repE0EEENS1_44radix_sort_block_sort_config_static_selectorELNS0_4arch9wavefront6targetE0EEEvSH_.num_vgpr, 0
	.set _ZN7rocprim17ROCPRIM_400000_NS6detail17trampoline_kernelINS0_13kernel_configILj256ELj4ELj4294967295EEENS1_37radix_sort_block_sort_config_selectorIiiEEZNS1_21radix_sort_block_sortIS4_Lb1EN6thrust23THRUST_200600_302600_NS6detail15normal_iteratorINS9_10device_ptrIiEEEESE_SE_SE_NS0_19identity_decomposerEEE10hipError_tT1_T2_T3_T4_jRjT5_jjP12ihipStream_tbEUlT_E_NS1_11comp_targetILNS1_3genE2ELNS1_11target_archE906ELNS1_3gpuE6ELNS1_3repE0EEENS1_44radix_sort_block_sort_config_static_selectorELNS0_4arch9wavefront6targetE0EEEvSH_.num_agpr, 0
	.set _ZN7rocprim17ROCPRIM_400000_NS6detail17trampoline_kernelINS0_13kernel_configILj256ELj4ELj4294967295EEENS1_37radix_sort_block_sort_config_selectorIiiEEZNS1_21radix_sort_block_sortIS4_Lb1EN6thrust23THRUST_200600_302600_NS6detail15normal_iteratorINS9_10device_ptrIiEEEESE_SE_SE_NS0_19identity_decomposerEEE10hipError_tT1_T2_T3_T4_jRjT5_jjP12ihipStream_tbEUlT_E_NS1_11comp_targetILNS1_3genE2ELNS1_11target_archE906ELNS1_3gpuE6ELNS1_3repE0EEENS1_44radix_sort_block_sort_config_static_selectorELNS0_4arch9wavefront6targetE0EEEvSH_.numbered_sgpr, 0
	.set _ZN7rocprim17ROCPRIM_400000_NS6detail17trampoline_kernelINS0_13kernel_configILj256ELj4ELj4294967295EEENS1_37radix_sort_block_sort_config_selectorIiiEEZNS1_21radix_sort_block_sortIS4_Lb1EN6thrust23THRUST_200600_302600_NS6detail15normal_iteratorINS9_10device_ptrIiEEEESE_SE_SE_NS0_19identity_decomposerEEE10hipError_tT1_T2_T3_T4_jRjT5_jjP12ihipStream_tbEUlT_E_NS1_11comp_targetILNS1_3genE2ELNS1_11target_archE906ELNS1_3gpuE6ELNS1_3repE0EEENS1_44radix_sort_block_sort_config_static_selectorELNS0_4arch9wavefront6targetE0EEEvSH_.num_named_barrier, 0
	.set _ZN7rocprim17ROCPRIM_400000_NS6detail17trampoline_kernelINS0_13kernel_configILj256ELj4ELj4294967295EEENS1_37radix_sort_block_sort_config_selectorIiiEEZNS1_21radix_sort_block_sortIS4_Lb1EN6thrust23THRUST_200600_302600_NS6detail15normal_iteratorINS9_10device_ptrIiEEEESE_SE_SE_NS0_19identity_decomposerEEE10hipError_tT1_T2_T3_T4_jRjT5_jjP12ihipStream_tbEUlT_E_NS1_11comp_targetILNS1_3genE2ELNS1_11target_archE906ELNS1_3gpuE6ELNS1_3repE0EEENS1_44radix_sort_block_sort_config_static_selectorELNS0_4arch9wavefront6targetE0EEEvSH_.private_seg_size, 0
	.set _ZN7rocprim17ROCPRIM_400000_NS6detail17trampoline_kernelINS0_13kernel_configILj256ELj4ELj4294967295EEENS1_37radix_sort_block_sort_config_selectorIiiEEZNS1_21radix_sort_block_sortIS4_Lb1EN6thrust23THRUST_200600_302600_NS6detail15normal_iteratorINS9_10device_ptrIiEEEESE_SE_SE_NS0_19identity_decomposerEEE10hipError_tT1_T2_T3_T4_jRjT5_jjP12ihipStream_tbEUlT_E_NS1_11comp_targetILNS1_3genE2ELNS1_11target_archE906ELNS1_3gpuE6ELNS1_3repE0EEENS1_44radix_sort_block_sort_config_static_selectorELNS0_4arch9wavefront6targetE0EEEvSH_.uses_vcc, 0
	.set _ZN7rocprim17ROCPRIM_400000_NS6detail17trampoline_kernelINS0_13kernel_configILj256ELj4ELj4294967295EEENS1_37radix_sort_block_sort_config_selectorIiiEEZNS1_21radix_sort_block_sortIS4_Lb1EN6thrust23THRUST_200600_302600_NS6detail15normal_iteratorINS9_10device_ptrIiEEEESE_SE_SE_NS0_19identity_decomposerEEE10hipError_tT1_T2_T3_T4_jRjT5_jjP12ihipStream_tbEUlT_E_NS1_11comp_targetILNS1_3genE2ELNS1_11target_archE906ELNS1_3gpuE6ELNS1_3repE0EEENS1_44radix_sort_block_sort_config_static_selectorELNS0_4arch9wavefront6targetE0EEEvSH_.uses_flat_scratch, 0
	.set _ZN7rocprim17ROCPRIM_400000_NS6detail17trampoline_kernelINS0_13kernel_configILj256ELj4ELj4294967295EEENS1_37radix_sort_block_sort_config_selectorIiiEEZNS1_21radix_sort_block_sortIS4_Lb1EN6thrust23THRUST_200600_302600_NS6detail15normal_iteratorINS9_10device_ptrIiEEEESE_SE_SE_NS0_19identity_decomposerEEE10hipError_tT1_T2_T3_T4_jRjT5_jjP12ihipStream_tbEUlT_E_NS1_11comp_targetILNS1_3genE2ELNS1_11target_archE906ELNS1_3gpuE6ELNS1_3repE0EEENS1_44radix_sort_block_sort_config_static_selectorELNS0_4arch9wavefront6targetE0EEEvSH_.has_dyn_sized_stack, 0
	.set _ZN7rocprim17ROCPRIM_400000_NS6detail17trampoline_kernelINS0_13kernel_configILj256ELj4ELj4294967295EEENS1_37radix_sort_block_sort_config_selectorIiiEEZNS1_21radix_sort_block_sortIS4_Lb1EN6thrust23THRUST_200600_302600_NS6detail15normal_iteratorINS9_10device_ptrIiEEEESE_SE_SE_NS0_19identity_decomposerEEE10hipError_tT1_T2_T3_T4_jRjT5_jjP12ihipStream_tbEUlT_E_NS1_11comp_targetILNS1_3genE2ELNS1_11target_archE906ELNS1_3gpuE6ELNS1_3repE0EEENS1_44radix_sort_block_sort_config_static_selectorELNS0_4arch9wavefront6targetE0EEEvSH_.has_recursion, 0
	.set _ZN7rocprim17ROCPRIM_400000_NS6detail17trampoline_kernelINS0_13kernel_configILj256ELj4ELj4294967295EEENS1_37radix_sort_block_sort_config_selectorIiiEEZNS1_21radix_sort_block_sortIS4_Lb1EN6thrust23THRUST_200600_302600_NS6detail15normal_iteratorINS9_10device_ptrIiEEEESE_SE_SE_NS0_19identity_decomposerEEE10hipError_tT1_T2_T3_T4_jRjT5_jjP12ihipStream_tbEUlT_E_NS1_11comp_targetILNS1_3genE2ELNS1_11target_archE906ELNS1_3gpuE6ELNS1_3repE0EEENS1_44radix_sort_block_sort_config_static_selectorELNS0_4arch9wavefront6targetE0EEEvSH_.has_indirect_call, 0
	.section	.AMDGPU.csdata,"",@progbits
; Kernel info:
; codeLenInByte = 0
; TotalNumSgprs: 0
; NumVgprs: 0
; ScratchSize: 0
; MemoryBound: 0
; FloatMode: 240
; IeeeMode: 1
; LDSByteSize: 0 bytes/workgroup (compile time only)
; SGPRBlocks: 0
; VGPRBlocks: 0
; NumSGPRsForWavesPerEU: 1
; NumVGPRsForWavesPerEU: 1
; Occupancy: 16
; WaveLimiterHint : 0
; COMPUTE_PGM_RSRC2:SCRATCH_EN: 0
; COMPUTE_PGM_RSRC2:USER_SGPR: 6
; COMPUTE_PGM_RSRC2:TRAP_HANDLER: 0
; COMPUTE_PGM_RSRC2:TGID_X_EN: 1
; COMPUTE_PGM_RSRC2:TGID_Y_EN: 0
; COMPUTE_PGM_RSRC2:TGID_Z_EN: 0
; COMPUTE_PGM_RSRC2:TIDIG_COMP_CNT: 0
	.section	.text._ZN7rocprim17ROCPRIM_400000_NS6detail17trampoline_kernelINS0_13kernel_configILj256ELj4ELj4294967295EEENS1_37radix_sort_block_sort_config_selectorIiiEEZNS1_21radix_sort_block_sortIS4_Lb1EN6thrust23THRUST_200600_302600_NS6detail15normal_iteratorINS9_10device_ptrIiEEEESE_SE_SE_NS0_19identity_decomposerEEE10hipError_tT1_T2_T3_T4_jRjT5_jjP12ihipStream_tbEUlT_E_NS1_11comp_targetILNS1_3genE10ELNS1_11target_archE1201ELNS1_3gpuE5ELNS1_3repE0EEENS1_44radix_sort_block_sort_config_static_selectorELNS0_4arch9wavefront6targetE0EEEvSH_,"axG",@progbits,_ZN7rocprim17ROCPRIM_400000_NS6detail17trampoline_kernelINS0_13kernel_configILj256ELj4ELj4294967295EEENS1_37radix_sort_block_sort_config_selectorIiiEEZNS1_21radix_sort_block_sortIS4_Lb1EN6thrust23THRUST_200600_302600_NS6detail15normal_iteratorINS9_10device_ptrIiEEEESE_SE_SE_NS0_19identity_decomposerEEE10hipError_tT1_T2_T3_T4_jRjT5_jjP12ihipStream_tbEUlT_E_NS1_11comp_targetILNS1_3genE10ELNS1_11target_archE1201ELNS1_3gpuE5ELNS1_3repE0EEENS1_44radix_sort_block_sort_config_static_selectorELNS0_4arch9wavefront6targetE0EEEvSH_,comdat
	.protected	_ZN7rocprim17ROCPRIM_400000_NS6detail17trampoline_kernelINS0_13kernel_configILj256ELj4ELj4294967295EEENS1_37radix_sort_block_sort_config_selectorIiiEEZNS1_21radix_sort_block_sortIS4_Lb1EN6thrust23THRUST_200600_302600_NS6detail15normal_iteratorINS9_10device_ptrIiEEEESE_SE_SE_NS0_19identity_decomposerEEE10hipError_tT1_T2_T3_T4_jRjT5_jjP12ihipStream_tbEUlT_E_NS1_11comp_targetILNS1_3genE10ELNS1_11target_archE1201ELNS1_3gpuE5ELNS1_3repE0EEENS1_44radix_sort_block_sort_config_static_selectorELNS0_4arch9wavefront6targetE0EEEvSH_ ; -- Begin function _ZN7rocprim17ROCPRIM_400000_NS6detail17trampoline_kernelINS0_13kernel_configILj256ELj4ELj4294967295EEENS1_37radix_sort_block_sort_config_selectorIiiEEZNS1_21radix_sort_block_sortIS4_Lb1EN6thrust23THRUST_200600_302600_NS6detail15normal_iteratorINS9_10device_ptrIiEEEESE_SE_SE_NS0_19identity_decomposerEEE10hipError_tT1_T2_T3_T4_jRjT5_jjP12ihipStream_tbEUlT_E_NS1_11comp_targetILNS1_3genE10ELNS1_11target_archE1201ELNS1_3gpuE5ELNS1_3repE0EEENS1_44radix_sort_block_sort_config_static_selectorELNS0_4arch9wavefront6targetE0EEEvSH_
	.globl	_ZN7rocprim17ROCPRIM_400000_NS6detail17trampoline_kernelINS0_13kernel_configILj256ELj4ELj4294967295EEENS1_37radix_sort_block_sort_config_selectorIiiEEZNS1_21radix_sort_block_sortIS4_Lb1EN6thrust23THRUST_200600_302600_NS6detail15normal_iteratorINS9_10device_ptrIiEEEESE_SE_SE_NS0_19identity_decomposerEEE10hipError_tT1_T2_T3_T4_jRjT5_jjP12ihipStream_tbEUlT_E_NS1_11comp_targetILNS1_3genE10ELNS1_11target_archE1201ELNS1_3gpuE5ELNS1_3repE0EEENS1_44radix_sort_block_sort_config_static_selectorELNS0_4arch9wavefront6targetE0EEEvSH_
	.p2align	8
	.type	_ZN7rocprim17ROCPRIM_400000_NS6detail17trampoline_kernelINS0_13kernel_configILj256ELj4ELj4294967295EEENS1_37radix_sort_block_sort_config_selectorIiiEEZNS1_21radix_sort_block_sortIS4_Lb1EN6thrust23THRUST_200600_302600_NS6detail15normal_iteratorINS9_10device_ptrIiEEEESE_SE_SE_NS0_19identity_decomposerEEE10hipError_tT1_T2_T3_T4_jRjT5_jjP12ihipStream_tbEUlT_E_NS1_11comp_targetILNS1_3genE10ELNS1_11target_archE1201ELNS1_3gpuE5ELNS1_3repE0EEENS1_44radix_sort_block_sort_config_static_selectorELNS0_4arch9wavefront6targetE0EEEvSH_,@function
_ZN7rocprim17ROCPRIM_400000_NS6detail17trampoline_kernelINS0_13kernel_configILj256ELj4ELj4294967295EEENS1_37radix_sort_block_sort_config_selectorIiiEEZNS1_21radix_sort_block_sortIS4_Lb1EN6thrust23THRUST_200600_302600_NS6detail15normal_iteratorINS9_10device_ptrIiEEEESE_SE_SE_NS0_19identity_decomposerEEE10hipError_tT1_T2_T3_T4_jRjT5_jjP12ihipStream_tbEUlT_E_NS1_11comp_targetILNS1_3genE10ELNS1_11target_archE1201ELNS1_3gpuE5ELNS1_3repE0EEENS1_44radix_sort_block_sort_config_static_selectorELNS0_4arch9wavefront6targetE0EEEvSH_: ; @_ZN7rocprim17ROCPRIM_400000_NS6detail17trampoline_kernelINS0_13kernel_configILj256ELj4ELj4294967295EEENS1_37radix_sort_block_sort_config_selectorIiiEEZNS1_21radix_sort_block_sortIS4_Lb1EN6thrust23THRUST_200600_302600_NS6detail15normal_iteratorINS9_10device_ptrIiEEEESE_SE_SE_NS0_19identity_decomposerEEE10hipError_tT1_T2_T3_T4_jRjT5_jjP12ihipStream_tbEUlT_E_NS1_11comp_targetILNS1_3genE10ELNS1_11target_archE1201ELNS1_3gpuE5ELNS1_3repE0EEENS1_44radix_sort_block_sort_config_static_selectorELNS0_4arch9wavefront6targetE0EEEvSH_
; %bb.0:
	.section	.rodata,"a",@progbits
	.p2align	6, 0x0
	.amdhsa_kernel _ZN7rocprim17ROCPRIM_400000_NS6detail17trampoline_kernelINS0_13kernel_configILj256ELj4ELj4294967295EEENS1_37radix_sort_block_sort_config_selectorIiiEEZNS1_21radix_sort_block_sortIS4_Lb1EN6thrust23THRUST_200600_302600_NS6detail15normal_iteratorINS9_10device_ptrIiEEEESE_SE_SE_NS0_19identity_decomposerEEE10hipError_tT1_T2_T3_T4_jRjT5_jjP12ihipStream_tbEUlT_E_NS1_11comp_targetILNS1_3genE10ELNS1_11target_archE1201ELNS1_3gpuE5ELNS1_3repE0EEENS1_44radix_sort_block_sort_config_static_selectorELNS0_4arch9wavefront6targetE0EEEvSH_
		.amdhsa_group_segment_fixed_size 0
		.amdhsa_private_segment_fixed_size 0
		.amdhsa_kernarg_size 48
		.amdhsa_user_sgpr_count 6
		.amdhsa_user_sgpr_private_segment_buffer 1
		.amdhsa_user_sgpr_dispatch_ptr 0
		.amdhsa_user_sgpr_queue_ptr 0
		.amdhsa_user_sgpr_kernarg_segment_ptr 1
		.amdhsa_user_sgpr_dispatch_id 0
		.amdhsa_user_sgpr_flat_scratch_init 0
		.amdhsa_user_sgpr_private_segment_size 0
		.amdhsa_wavefront_size32 1
		.amdhsa_uses_dynamic_stack 0
		.amdhsa_system_sgpr_private_segment_wavefront_offset 0
		.amdhsa_system_sgpr_workgroup_id_x 1
		.amdhsa_system_sgpr_workgroup_id_y 0
		.amdhsa_system_sgpr_workgroup_id_z 0
		.amdhsa_system_sgpr_workgroup_info 0
		.amdhsa_system_vgpr_workitem_id 0
		.amdhsa_next_free_vgpr 1
		.amdhsa_next_free_sgpr 1
		.amdhsa_reserve_vcc 0
		.amdhsa_reserve_flat_scratch 0
		.amdhsa_float_round_mode_32 0
		.amdhsa_float_round_mode_16_64 0
		.amdhsa_float_denorm_mode_32 3
		.amdhsa_float_denorm_mode_16_64 3
		.amdhsa_dx10_clamp 1
		.amdhsa_ieee_mode 1
		.amdhsa_fp16_overflow 0
		.amdhsa_workgroup_processor_mode 1
		.amdhsa_memory_ordered 1
		.amdhsa_forward_progress 1
		.amdhsa_shared_vgpr_count 0
		.amdhsa_exception_fp_ieee_invalid_op 0
		.amdhsa_exception_fp_denorm_src 0
		.amdhsa_exception_fp_ieee_div_zero 0
		.amdhsa_exception_fp_ieee_overflow 0
		.amdhsa_exception_fp_ieee_underflow 0
		.amdhsa_exception_fp_ieee_inexact 0
		.amdhsa_exception_int_div_zero 0
	.end_amdhsa_kernel
	.section	.text._ZN7rocprim17ROCPRIM_400000_NS6detail17trampoline_kernelINS0_13kernel_configILj256ELj4ELj4294967295EEENS1_37radix_sort_block_sort_config_selectorIiiEEZNS1_21radix_sort_block_sortIS4_Lb1EN6thrust23THRUST_200600_302600_NS6detail15normal_iteratorINS9_10device_ptrIiEEEESE_SE_SE_NS0_19identity_decomposerEEE10hipError_tT1_T2_T3_T4_jRjT5_jjP12ihipStream_tbEUlT_E_NS1_11comp_targetILNS1_3genE10ELNS1_11target_archE1201ELNS1_3gpuE5ELNS1_3repE0EEENS1_44radix_sort_block_sort_config_static_selectorELNS0_4arch9wavefront6targetE0EEEvSH_,"axG",@progbits,_ZN7rocprim17ROCPRIM_400000_NS6detail17trampoline_kernelINS0_13kernel_configILj256ELj4ELj4294967295EEENS1_37radix_sort_block_sort_config_selectorIiiEEZNS1_21radix_sort_block_sortIS4_Lb1EN6thrust23THRUST_200600_302600_NS6detail15normal_iteratorINS9_10device_ptrIiEEEESE_SE_SE_NS0_19identity_decomposerEEE10hipError_tT1_T2_T3_T4_jRjT5_jjP12ihipStream_tbEUlT_E_NS1_11comp_targetILNS1_3genE10ELNS1_11target_archE1201ELNS1_3gpuE5ELNS1_3repE0EEENS1_44radix_sort_block_sort_config_static_selectorELNS0_4arch9wavefront6targetE0EEEvSH_,comdat
.Lfunc_end881:
	.size	_ZN7rocprim17ROCPRIM_400000_NS6detail17trampoline_kernelINS0_13kernel_configILj256ELj4ELj4294967295EEENS1_37radix_sort_block_sort_config_selectorIiiEEZNS1_21radix_sort_block_sortIS4_Lb1EN6thrust23THRUST_200600_302600_NS6detail15normal_iteratorINS9_10device_ptrIiEEEESE_SE_SE_NS0_19identity_decomposerEEE10hipError_tT1_T2_T3_T4_jRjT5_jjP12ihipStream_tbEUlT_E_NS1_11comp_targetILNS1_3genE10ELNS1_11target_archE1201ELNS1_3gpuE5ELNS1_3repE0EEENS1_44radix_sort_block_sort_config_static_selectorELNS0_4arch9wavefront6targetE0EEEvSH_, .Lfunc_end881-_ZN7rocprim17ROCPRIM_400000_NS6detail17trampoline_kernelINS0_13kernel_configILj256ELj4ELj4294967295EEENS1_37radix_sort_block_sort_config_selectorIiiEEZNS1_21radix_sort_block_sortIS4_Lb1EN6thrust23THRUST_200600_302600_NS6detail15normal_iteratorINS9_10device_ptrIiEEEESE_SE_SE_NS0_19identity_decomposerEEE10hipError_tT1_T2_T3_T4_jRjT5_jjP12ihipStream_tbEUlT_E_NS1_11comp_targetILNS1_3genE10ELNS1_11target_archE1201ELNS1_3gpuE5ELNS1_3repE0EEENS1_44radix_sort_block_sort_config_static_selectorELNS0_4arch9wavefront6targetE0EEEvSH_
                                        ; -- End function
	.set _ZN7rocprim17ROCPRIM_400000_NS6detail17trampoline_kernelINS0_13kernel_configILj256ELj4ELj4294967295EEENS1_37radix_sort_block_sort_config_selectorIiiEEZNS1_21radix_sort_block_sortIS4_Lb1EN6thrust23THRUST_200600_302600_NS6detail15normal_iteratorINS9_10device_ptrIiEEEESE_SE_SE_NS0_19identity_decomposerEEE10hipError_tT1_T2_T3_T4_jRjT5_jjP12ihipStream_tbEUlT_E_NS1_11comp_targetILNS1_3genE10ELNS1_11target_archE1201ELNS1_3gpuE5ELNS1_3repE0EEENS1_44radix_sort_block_sort_config_static_selectorELNS0_4arch9wavefront6targetE0EEEvSH_.num_vgpr, 0
	.set _ZN7rocprim17ROCPRIM_400000_NS6detail17trampoline_kernelINS0_13kernel_configILj256ELj4ELj4294967295EEENS1_37radix_sort_block_sort_config_selectorIiiEEZNS1_21radix_sort_block_sortIS4_Lb1EN6thrust23THRUST_200600_302600_NS6detail15normal_iteratorINS9_10device_ptrIiEEEESE_SE_SE_NS0_19identity_decomposerEEE10hipError_tT1_T2_T3_T4_jRjT5_jjP12ihipStream_tbEUlT_E_NS1_11comp_targetILNS1_3genE10ELNS1_11target_archE1201ELNS1_3gpuE5ELNS1_3repE0EEENS1_44radix_sort_block_sort_config_static_selectorELNS0_4arch9wavefront6targetE0EEEvSH_.num_agpr, 0
	.set _ZN7rocprim17ROCPRIM_400000_NS6detail17trampoline_kernelINS0_13kernel_configILj256ELj4ELj4294967295EEENS1_37radix_sort_block_sort_config_selectorIiiEEZNS1_21radix_sort_block_sortIS4_Lb1EN6thrust23THRUST_200600_302600_NS6detail15normal_iteratorINS9_10device_ptrIiEEEESE_SE_SE_NS0_19identity_decomposerEEE10hipError_tT1_T2_T3_T4_jRjT5_jjP12ihipStream_tbEUlT_E_NS1_11comp_targetILNS1_3genE10ELNS1_11target_archE1201ELNS1_3gpuE5ELNS1_3repE0EEENS1_44radix_sort_block_sort_config_static_selectorELNS0_4arch9wavefront6targetE0EEEvSH_.numbered_sgpr, 0
	.set _ZN7rocprim17ROCPRIM_400000_NS6detail17trampoline_kernelINS0_13kernel_configILj256ELj4ELj4294967295EEENS1_37radix_sort_block_sort_config_selectorIiiEEZNS1_21radix_sort_block_sortIS4_Lb1EN6thrust23THRUST_200600_302600_NS6detail15normal_iteratorINS9_10device_ptrIiEEEESE_SE_SE_NS0_19identity_decomposerEEE10hipError_tT1_T2_T3_T4_jRjT5_jjP12ihipStream_tbEUlT_E_NS1_11comp_targetILNS1_3genE10ELNS1_11target_archE1201ELNS1_3gpuE5ELNS1_3repE0EEENS1_44radix_sort_block_sort_config_static_selectorELNS0_4arch9wavefront6targetE0EEEvSH_.num_named_barrier, 0
	.set _ZN7rocprim17ROCPRIM_400000_NS6detail17trampoline_kernelINS0_13kernel_configILj256ELj4ELj4294967295EEENS1_37radix_sort_block_sort_config_selectorIiiEEZNS1_21radix_sort_block_sortIS4_Lb1EN6thrust23THRUST_200600_302600_NS6detail15normal_iteratorINS9_10device_ptrIiEEEESE_SE_SE_NS0_19identity_decomposerEEE10hipError_tT1_T2_T3_T4_jRjT5_jjP12ihipStream_tbEUlT_E_NS1_11comp_targetILNS1_3genE10ELNS1_11target_archE1201ELNS1_3gpuE5ELNS1_3repE0EEENS1_44radix_sort_block_sort_config_static_selectorELNS0_4arch9wavefront6targetE0EEEvSH_.private_seg_size, 0
	.set _ZN7rocprim17ROCPRIM_400000_NS6detail17trampoline_kernelINS0_13kernel_configILj256ELj4ELj4294967295EEENS1_37radix_sort_block_sort_config_selectorIiiEEZNS1_21radix_sort_block_sortIS4_Lb1EN6thrust23THRUST_200600_302600_NS6detail15normal_iteratorINS9_10device_ptrIiEEEESE_SE_SE_NS0_19identity_decomposerEEE10hipError_tT1_T2_T3_T4_jRjT5_jjP12ihipStream_tbEUlT_E_NS1_11comp_targetILNS1_3genE10ELNS1_11target_archE1201ELNS1_3gpuE5ELNS1_3repE0EEENS1_44radix_sort_block_sort_config_static_selectorELNS0_4arch9wavefront6targetE0EEEvSH_.uses_vcc, 0
	.set _ZN7rocprim17ROCPRIM_400000_NS6detail17trampoline_kernelINS0_13kernel_configILj256ELj4ELj4294967295EEENS1_37radix_sort_block_sort_config_selectorIiiEEZNS1_21radix_sort_block_sortIS4_Lb1EN6thrust23THRUST_200600_302600_NS6detail15normal_iteratorINS9_10device_ptrIiEEEESE_SE_SE_NS0_19identity_decomposerEEE10hipError_tT1_T2_T3_T4_jRjT5_jjP12ihipStream_tbEUlT_E_NS1_11comp_targetILNS1_3genE10ELNS1_11target_archE1201ELNS1_3gpuE5ELNS1_3repE0EEENS1_44radix_sort_block_sort_config_static_selectorELNS0_4arch9wavefront6targetE0EEEvSH_.uses_flat_scratch, 0
	.set _ZN7rocprim17ROCPRIM_400000_NS6detail17trampoline_kernelINS0_13kernel_configILj256ELj4ELj4294967295EEENS1_37radix_sort_block_sort_config_selectorIiiEEZNS1_21radix_sort_block_sortIS4_Lb1EN6thrust23THRUST_200600_302600_NS6detail15normal_iteratorINS9_10device_ptrIiEEEESE_SE_SE_NS0_19identity_decomposerEEE10hipError_tT1_T2_T3_T4_jRjT5_jjP12ihipStream_tbEUlT_E_NS1_11comp_targetILNS1_3genE10ELNS1_11target_archE1201ELNS1_3gpuE5ELNS1_3repE0EEENS1_44radix_sort_block_sort_config_static_selectorELNS0_4arch9wavefront6targetE0EEEvSH_.has_dyn_sized_stack, 0
	.set _ZN7rocprim17ROCPRIM_400000_NS6detail17trampoline_kernelINS0_13kernel_configILj256ELj4ELj4294967295EEENS1_37radix_sort_block_sort_config_selectorIiiEEZNS1_21radix_sort_block_sortIS4_Lb1EN6thrust23THRUST_200600_302600_NS6detail15normal_iteratorINS9_10device_ptrIiEEEESE_SE_SE_NS0_19identity_decomposerEEE10hipError_tT1_T2_T3_T4_jRjT5_jjP12ihipStream_tbEUlT_E_NS1_11comp_targetILNS1_3genE10ELNS1_11target_archE1201ELNS1_3gpuE5ELNS1_3repE0EEENS1_44radix_sort_block_sort_config_static_selectorELNS0_4arch9wavefront6targetE0EEEvSH_.has_recursion, 0
	.set _ZN7rocprim17ROCPRIM_400000_NS6detail17trampoline_kernelINS0_13kernel_configILj256ELj4ELj4294967295EEENS1_37radix_sort_block_sort_config_selectorIiiEEZNS1_21radix_sort_block_sortIS4_Lb1EN6thrust23THRUST_200600_302600_NS6detail15normal_iteratorINS9_10device_ptrIiEEEESE_SE_SE_NS0_19identity_decomposerEEE10hipError_tT1_T2_T3_T4_jRjT5_jjP12ihipStream_tbEUlT_E_NS1_11comp_targetILNS1_3genE10ELNS1_11target_archE1201ELNS1_3gpuE5ELNS1_3repE0EEENS1_44radix_sort_block_sort_config_static_selectorELNS0_4arch9wavefront6targetE0EEEvSH_.has_indirect_call, 0
	.section	.AMDGPU.csdata,"",@progbits
; Kernel info:
; codeLenInByte = 0
; TotalNumSgprs: 0
; NumVgprs: 0
; ScratchSize: 0
; MemoryBound: 0
; FloatMode: 240
; IeeeMode: 1
; LDSByteSize: 0 bytes/workgroup (compile time only)
; SGPRBlocks: 0
; VGPRBlocks: 0
; NumSGPRsForWavesPerEU: 1
; NumVGPRsForWavesPerEU: 1
; Occupancy: 16
; WaveLimiterHint : 0
; COMPUTE_PGM_RSRC2:SCRATCH_EN: 0
; COMPUTE_PGM_RSRC2:USER_SGPR: 6
; COMPUTE_PGM_RSRC2:TRAP_HANDLER: 0
; COMPUTE_PGM_RSRC2:TGID_X_EN: 1
; COMPUTE_PGM_RSRC2:TGID_Y_EN: 0
; COMPUTE_PGM_RSRC2:TGID_Z_EN: 0
; COMPUTE_PGM_RSRC2:TIDIG_COMP_CNT: 0
	.section	.text._ZN7rocprim17ROCPRIM_400000_NS6detail17trampoline_kernelINS0_13kernel_configILj256ELj4ELj4294967295EEENS1_37radix_sort_block_sort_config_selectorIiiEEZNS1_21radix_sort_block_sortIS4_Lb1EN6thrust23THRUST_200600_302600_NS6detail15normal_iteratorINS9_10device_ptrIiEEEESE_SE_SE_NS0_19identity_decomposerEEE10hipError_tT1_T2_T3_T4_jRjT5_jjP12ihipStream_tbEUlT_E_NS1_11comp_targetILNS1_3genE10ELNS1_11target_archE1200ELNS1_3gpuE4ELNS1_3repE0EEENS1_44radix_sort_block_sort_config_static_selectorELNS0_4arch9wavefront6targetE0EEEvSH_,"axG",@progbits,_ZN7rocprim17ROCPRIM_400000_NS6detail17trampoline_kernelINS0_13kernel_configILj256ELj4ELj4294967295EEENS1_37radix_sort_block_sort_config_selectorIiiEEZNS1_21radix_sort_block_sortIS4_Lb1EN6thrust23THRUST_200600_302600_NS6detail15normal_iteratorINS9_10device_ptrIiEEEESE_SE_SE_NS0_19identity_decomposerEEE10hipError_tT1_T2_T3_T4_jRjT5_jjP12ihipStream_tbEUlT_E_NS1_11comp_targetILNS1_3genE10ELNS1_11target_archE1200ELNS1_3gpuE4ELNS1_3repE0EEENS1_44radix_sort_block_sort_config_static_selectorELNS0_4arch9wavefront6targetE0EEEvSH_,comdat
	.protected	_ZN7rocprim17ROCPRIM_400000_NS6detail17trampoline_kernelINS0_13kernel_configILj256ELj4ELj4294967295EEENS1_37radix_sort_block_sort_config_selectorIiiEEZNS1_21radix_sort_block_sortIS4_Lb1EN6thrust23THRUST_200600_302600_NS6detail15normal_iteratorINS9_10device_ptrIiEEEESE_SE_SE_NS0_19identity_decomposerEEE10hipError_tT1_T2_T3_T4_jRjT5_jjP12ihipStream_tbEUlT_E_NS1_11comp_targetILNS1_3genE10ELNS1_11target_archE1200ELNS1_3gpuE4ELNS1_3repE0EEENS1_44radix_sort_block_sort_config_static_selectorELNS0_4arch9wavefront6targetE0EEEvSH_ ; -- Begin function _ZN7rocprim17ROCPRIM_400000_NS6detail17trampoline_kernelINS0_13kernel_configILj256ELj4ELj4294967295EEENS1_37radix_sort_block_sort_config_selectorIiiEEZNS1_21radix_sort_block_sortIS4_Lb1EN6thrust23THRUST_200600_302600_NS6detail15normal_iteratorINS9_10device_ptrIiEEEESE_SE_SE_NS0_19identity_decomposerEEE10hipError_tT1_T2_T3_T4_jRjT5_jjP12ihipStream_tbEUlT_E_NS1_11comp_targetILNS1_3genE10ELNS1_11target_archE1200ELNS1_3gpuE4ELNS1_3repE0EEENS1_44radix_sort_block_sort_config_static_selectorELNS0_4arch9wavefront6targetE0EEEvSH_
	.globl	_ZN7rocprim17ROCPRIM_400000_NS6detail17trampoline_kernelINS0_13kernel_configILj256ELj4ELj4294967295EEENS1_37radix_sort_block_sort_config_selectorIiiEEZNS1_21radix_sort_block_sortIS4_Lb1EN6thrust23THRUST_200600_302600_NS6detail15normal_iteratorINS9_10device_ptrIiEEEESE_SE_SE_NS0_19identity_decomposerEEE10hipError_tT1_T2_T3_T4_jRjT5_jjP12ihipStream_tbEUlT_E_NS1_11comp_targetILNS1_3genE10ELNS1_11target_archE1200ELNS1_3gpuE4ELNS1_3repE0EEENS1_44radix_sort_block_sort_config_static_selectorELNS0_4arch9wavefront6targetE0EEEvSH_
	.p2align	8
	.type	_ZN7rocprim17ROCPRIM_400000_NS6detail17trampoline_kernelINS0_13kernel_configILj256ELj4ELj4294967295EEENS1_37radix_sort_block_sort_config_selectorIiiEEZNS1_21radix_sort_block_sortIS4_Lb1EN6thrust23THRUST_200600_302600_NS6detail15normal_iteratorINS9_10device_ptrIiEEEESE_SE_SE_NS0_19identity_decomposerEEE10hipError_tT1_T2_T3_T4_jRjT5_jjP12ihipStream_tbEUlT_E_NS1_11comp_targetILNS1_3genE10ELNS1_11target_archE1200ELNS1_3gpuE4ELNS1_3repE0EEENS1_44radix_sort_block_sort_config_static_selectorELNS0_4arch9wavefront6targetE0EEEvSH_,@function
_ZN7rocprim17ROCPRIM_400000_NS6detail17trampoline_kernelINS0_13kernel_configILj256ELj4ELj4294967295EEENS1_37radix_sort_block_sort_config_selectorIiiEEZNS1_21radix_sort_block_sortIS4_Lb1EN6thrust23THRUST_200600_302600_NS6detail15normal_iteratorINS9_10device_ptrIiEEEESE_SE_SE_NS0_19identity_decomposerEEE10hipError_tT1_T2_T3_T4_jRjT5_jjP12ihipStream_tbEUlT_E_NS1_11comp_targetILNS1_3genE10ELNS1_11target_archE1200ELNS1_3gpuE4ELNS1_3repE0EEENS1_44radix_sort_block_sort_config_static_selectorELNS0_4arch9wavefront6targetE0EEEvSH_: ; @_ZN7rocprim17ROCPRIM_400000_NS6detail17trampoline_kernelINS0_13kernel_configILj256ELj4ELj4294967295EEENS1_37radix_sort_block_sort_config_selectorIiiEEZNS1_21radix_sort_block_sortIS4_Lb1EN6thrust23THRUST_200600_302600_NS6detail15normal_iteratorINS9_10device_ptrIiEEEESE_SE_SE_NS0_19identity_decomposerEEE10hipError_tT1_T2_T3_T4_jRjT5_jjP12ihipStream_tbEUlT_E_NS1_11comp_targetILNS1_3genE10ELNS1_11target_archE1200ELNS1_3gpuE4ELNS1_3repE0EEENS1_44radix_sort_block_sort_config_static_selectorELNS0_4arch9wavefront6targetE0EEEvSH_
; %bb.0:
	.section	.rodata,"a",@progbits
	.p2align	6, 0x0
	.amdhsa_kernel _ZN7rocprim17ROCPRIM_400000_NS6detail17trampoline_kernelINS0_13kernel_configILj256ELj4ELj4294967295EEENS1_37radix_sort_block_sort_config_selectorIiiEEZNS1_21radix_sort_block_sortIS4_Lb1EN6thrust23THRUST_200600_302600_NS6detail15normal_iteratorINS9_10device_ptrIiEEEESE_SE_SE_NS0_19identity_decomposerEEE10hipError_tT1_T2_T3_T4_jRjT5_jjP12ihipStream_tbEUlT_E_NS1_11comp_targetILNS1_3genE10ELNS1_11target_archE1200ELNS1_3gpuE4ELNS1_3repE0EEENS1_44radix_sort_block_sort_config_static_selectorELNS0_4arch9wavefront6targetE0EEEvSH_
		.amdhsa_group_segment_fixed_size 0
		.amdhsa_private_segment_fixed_size 0
		.amdhsa_kernarg_size 48
		.amdhsa_user_sgpr_count 6
		.amdhsa_user_sgpr_private_segment_buffer 1
		.amdhsa_user_sgpr_dispatch_ptr 0
		.amdhsa_user_sgpr_queue_ptr 0
		.amdhsa_user_sgpr_kernarg_segment_ptr 1
		.amdhsa_user_sgpr_dispatch_id 0
		.amdhsa_user_sgpr_flat_scratch_init 0
		.amdhsa_user_sgpr_private_segment_size 0
		.amdhsa_wavefront_size32 1
		.amdhsa_uses_dynamic_stack 0
		.amdhsa_system_sgpr_private_segment_wavefront_offset 0
		.amdhsa_system_sgpr_workgroup_id_x 1
		.amdhsa_system_sgpr_workgroup_id_y 0
		.amdhsa_system_sgpr_workgroup_id_z 0
		.amdhsa_system_sgpr_workgroup_info 0
		.amdhsa_system_vgpr_workitem_id 0
		.amdhsa_next_free_vgpr 1
		.amdhsa_next_free_sgpr 1
		.amdhsa_reserve_vcc 0
		.amdhsa_reserve_flat_scratch 0
		.amdhsa_float_round_mode_32 0
		.amdhsa_float_round_mode_16_64 0
		.amdhsa_float_denorm_mode_32 3
		.amdhsa_float_denorm_mode_16_64 3
		.amdhsa_dx10_clamp 1
		.amdhsa_ieee_mode 1
		.amdhsa_fp16_overflow 0
		.amdhsa_workgroup_processor_mode 1
		.amdhsa_memory_ordered 1
		.amdhsa_forward_progress 1
		.amdhsa_shared_vgpr_count 0
		.amdhsa_exception_fp_ieee_invalid_op 0
		.amdhsa_exception_fp_denorm_src 0
		.amdhsa_exception_fp_ieee_div_zero 0
		.amdhsa_exception_fp_ieee_overflow 0
		.amdhsa_exception_fp_ieee_underflow 0
		.amdhsa_exception_fp_ieee_inexact 0
		.amdhsa_exception_int_div_zero 0
	.end_amdhsa_kernel
	.section	.text._ZN7rocprim17ROCPRIM_400000_NS6detail17trampoline_kernelINS0_13kernel_configILj256ELj4ELj4294967295EEENS1_37radix_sort_block_sort_config_selectorIiiEEZNS1_21radix_sort_block_sortIS4_Lb1EN6thrust23THRUST_200600_302600_NS6detail15normal_iteratorINS9_10device_ptrIiEEEESE_SE_SE_NS0_19identity_decomposerEEE10hipError_tT1_T2_T3_T4_jRjT5_jjP12ihipStream_tbEUlT_E_NS1_11comp_targetILNS1_3genE10ELNS1_11target_archE1200ELNS1_3gpuE4ELNS1_3repE0EEENS1_44radix_sort_block_sort_config_static_selectorELNS0_4arch9wavefront6targetE0EEEvSH_,"axG",@progbits,_ZN7rocprim17ROCPRIM_400000_NS6detail17trampoline_kernelINS0_13kernel_configILj256ELj4ELj4294967295EEENS1_37radix_sort_block_sort_config_selectorIiiEEZNS1_21radix_sort_block_sortIS4_Lb1EN6thrust23THRUST_200600_302600_NS6detail15normal_iteratorINS9_10device_ptrIiEEEESE_SE_SE_NS0_19identity_decomposerEEE10hipError_tT1_T2_T3_T4_jRjT5_jjP12ihipStream_tbEUlT_E_NS1_11comp_targetILNS1_3genE10ELNS1_11target_archE1200ELNS1_3gpuE4ELNS1_3repE0EEENS1_44radix_sort_block_sort_config_static_selectorELNS0_4arch9wavefront6targetE0EEEvSH_,comdat
.Lfunc_end882:
	.size	_ZN7rocprim17ROCPRIM_400000_NS6detail17trampoline_kernelINS0_13kernel_configILj256ELj4ELj4294967295EEENS1_37radix_sort_block_sort_config_selectorIiiEEZNS1_21radix_sort_block_sortIS4_Lb1EN6thrust23THRUST_200600_302600_NS6detail15normal_iteratorINS9_10device_ptrIiEEEESE_SE_SE_NS0_19identity_decomposerEEE10hipError_tT1_T2_T3_T4_jRjT5_jjP12ihipStream_tbEUlT_E_NS1_11comp_targetILNS1_3genE10ELNS1_11target_archE1200ELNS1_3gpuE4ELNS1_3repE0EEENS1_44radix_sort_block_sort_config_static_selectorELNS0_4arch9wavefront6targetE0EEEvSH_, .Lfunc_end882-_ZN7rocprim17ROCPRIM_400000_NS6detail17trampoline_kernelINS0_13kernel_configILj256ELj4ELj4294967295EEENS1_37radix_sort_block_sort_config_selectorIiiEEZNS1_21radix_sort_block_sortIS4_Lb1EN6thrust23THRUST_200600_302600_NS6detail15normal_iteratorINS9_10device_ptrIiEEEESE_SE_SE_NS0_19identity_decomposerEEE10hipError_tT1_T2_T3_T4_jRjT5_jjP12ihipStream_tbEUlT_E_NS1_11comp_targetILNS1_3genE10ELNS1_11target_archE1200ELNS1_3gpuE4ELNS1_3repE0EEENS1_44radix_sort_block_sort_config_static_selectorELNS0_4arch9wavefront6targetE0EEEvSH_
                                        ; -- End function
	.set _ZN7rocprim17ROCPRIM_400000_NS6detail17trampoline_kernelINS0_13kernel_configILj256ELj4ELj4294967295EEENS1_37radix_sort_block_sort_config_selectorIiiEEZNS1_21radix_sort_block_sortIS4_Lb1EN6thrust23THRUST_200600_302600_NS6detail15normal_iteratorINS9_10device_ptrIiEEEESE_SE_SE_NS0_19identity_decomposerEEE10hipError_tT1_T2_T3_T4_jRjT5_jjP12ihipStream_tbEUlT_E_NS1_11comp_targetILNS1_3genE10ELNS1_11target_archE1200ELNS1_3gpuE4ELNS1_3repE0EEENS1_44radix_sort_block_sort_config_static_selectorELNS0_4arch9wavefront6targetE0EEEvSH_.num_vgpr, 0
	.set _ZN7rocprim17ROCPRIM_400000_NS6detail17trampoline_kernelINS0_13kernel_configILj256ELj4ELj4294967295EEENS1_37radix_sort_block_sort_config_selectorIiiEEZNS1_21radix_sort_block_sortIS4_Lb1EN6thrust23THRUST_200600_302600_NS6detail15normal_iteratorINS9_10device_ptrIiEEEESE_SE_SE_NS0_19identity_decomposerEEE10hipError_tT1_T2_T3_T4_jRjT5_jjP12ihipStream_tbEUlT_E_NS1_11comp_targetILNS1_3genE10ELNS1_11target_archE1200ELNS1_3gpuE4ELNS1_3repE0EEENS1_44radix_sort_block_sort_config_static_selectorELNS0_4arch9wavefront6targetE0EEEvSH_.num_agpr, 0
	.set _ZN7rocprim17ROCPRIM_400000_NS6detail17trampoline_kernelINS0_13kernel_configILj256ELj4ELj4294967295EEENS1_37radix_sort_block_sort_config_selectorIiiEEZNS1_21radix_sort_block_sortIS4_Lb1EN6thrust23THRUST_200600_302600_NS6detail15normal_iteratorINS9_10device_ptrIiEEEESE_SE_SE_NS0_19identity_decomposerEEE10hipError_tT1_T2_T3_T4_jRjT5_jjP12ihipStream_tbEUlT_E_NS1_11comp_targetILNS1_3genE10ELNS1_11target_archE1200ELNS1_3gpuE4ELNS1_3repE0EEENS1_44radix_sort_block_sort_config_static_selectorELNS0_4arch9wavefront6targetE0EEEvSH_.numbered_sgpr, 0
	.set _ZN7rocprim17ROCPRIM_400000_NS6detail17trampoline_kernelINS0_13kernel_configILj256ELj4ELj4294967295EEENS1_37radix_sort_block_sort_config_selectorIiiEEZNS1_21radix_sort_block_sortIS4_Lb1EN6thrust23THRUST_200600_302600_NS6detail15normal_iteratorINS9_10device_ptrIiEEEESE_SE_SE_NS0_19identity_decomposerEEE10hipError_tT1_T2_T3_T4_jRjT5_jjP12ihipStream_tbEUlT_E_NS1_11comp_targetILNS1_3genE10ELNS1_11target_archE1200ELNS1_3gpuE4ELNS1_3repE0EEENS1_44radix_sort_block_sort_config_static_selectorELNS0_4arch9wavefront6targetE0EEEvSH_.num_named_barrier, 0
	.set _ZN7rocprim17ROCPRIM_400000_NS6detail17trampoline_kernelINS0_13kernel_configILj256ELj4ELj4294967295EEENS1_37radix_sort_block_sort_config_selectorIiiEEZNS1_21radix_sort_block_sortIS4_Lb1EN6thrust23THRUST_200600_302600_NS6detail15normal_iteratorINS9_10device_ptrIiEEEESE_SE_SE_NS0_19identity_decomposerEEE10hipError_tT1_T2_T3_T4_jRjT5_jjP12ihipStream_tbEUlT_E_NS1_11comp_targetILNS1_3genE10ELNS1_11target_archE1200ELNS1_3gpuE4ELNS1_3repE0EEENS1_44radix_sort_block_sort_config_static_selectorELNS0_4arch9wavefront6targetE0EEEvSH_.private_seg_size, 0
	.set _ZN7rocprim17ROCPRIM_400000_NS6detail17trampoline_kernelINS0_13kernel_configILj256ELj4ELj4294967295EEENS1_37radix_sort_block_sort_config_selectorIiiEEZNS1_21radix_sort_block_sortIS4_Lb1EN6thrust23THRUST_200600_302600_NS6detail15normal_iteratorINS9_10device_ptrIiEEEESE_SE_SE_NS0_19identity_decomposerEEE10hipError_tT1_T2_T3_T4_jRjT5_jjP12ihipStream_tbEUlT_E_NS1_11comp_targetILNS1_3genE10ELNS1_11target_archE1200ELNS1_3gpuE4ELNS1_3repE0EEENS1_44radix_sort_block_sort_config_static_selectorELNS0_4arch9wavefront6targetE0EEEvSH_.uses_vcc, 0
	.set _ZN7rocprim17ROCPRIM_400000_NS6detail17trampoline_kernelINS0_13kernel_configILj256ELj4ELj4294967295EEENS1_37radix_sort_block_sort_config_selectorIiiEEZNS1_21radix_sort_block_sortIS4_Lb1EN6thrust23THRUST_200600_302600_NS6detail15normal_iteratorINS9_10device_ptrIiEEEESE_SE_SE_NS0_19identity_decomposerEEE10hipError_tT1_T2_T3_T4_jRjT5_jjP12ihipStream_tbEUlT_E_NS1_11comp_targetILNS1_3genE10ELNS1_11target_archE1200ELNS1_3gpuE4ELNS1_3repE0EEENS1_44radix_sort_block_sort_config_static_selectorELNS0_4arch9wavefront6targetE0EEEvSH_.uses_flat_scratch, 0
	.set _ZN7rocprim17ROCPRIM_400000_NS6detail17trampoline_kernelINS0_13kernel_configILj256ELj4ELj4294967295EEENS1_37radix_sort_block_sort_config_selectorIiiEEZNS1_21radix_sort_block_sortIS4_Lb1EN6thrust23THRUST_200600_302600_NS6detail15normal_iteratorINS9_10device_ptrIiEEEESE_SE_SE_NS0_19identity_decomposerEEE10hipError_tT1_T2_T3_T4_jRjT5_jjP12ihipStream_tbEUlT_E_NS1_11comp_targetILNS1_3genE10ELNS1_11target_archE1200ELNS1_3gpuE4ELNS1_3repE0EEENS1_44radix_sort_block_sort_config_static_selectorELNS0_4arch9wavefront6targetE0EEEvSH_.has_dyn_sized_stack, 0
	.set _ZN7rocprim17ROCPRIM_400000_NS6detail17trampoline_kernelINS0_13kernel_configILj256ELj4ELj4294967295EEENS1_37radix_sort_block_sort_config_selectorIiiEEZNS1_21radix_sort_block_sortIS4_Lb1EN6thrust23THRUST_200600_302600_NS6detail15normal_iteratorINS9_10device_ptrIiEEEESE_SE_SE_NS0_19identity_decomposerEEE10hipError_tT1_T2_T3_T4_jRjT5_jjP12ihipStream_tbEUlT_E_NS1_11comp_targetILNS1_3genE10ELNS1_11target_archE1200ELNS1_3gpuE4ELNS1_3repE0EEENS1_44radix_sort_block_sort_config_static_selectorELNS0_4arch9wavefront6targetE0EEEvSH_.has_recursion, 0
	.set _ZN7rocprim17ROCPRIM_400000_NS6detail17trampoline_kernelINS0_13kernel_configILj256ELj4ELj4294967295EEENS1_37radix_sort_block_sort_config_selectorIiiEEZNS1_21radix_sort_block_sortIS4_Lb1EN6thrust23THRUST_200600_302600_NS6detail15normal_iteratorINS9_10device_ptrIiEEEESE_SE_SE_NS0_19identity_decomposerEEE10hipError_tT1_T2_T3_T4_jRjT5_jjP12ihipStream_tbEUlT_E_NS1_11comp_targetILNS1_3genE10ELNS1_11target_archE1200ELNS1_3gpuE4ELNS1_3repE0EEENS1_44radix_sort_block_sort_config_static_selectorELNS0_4arch9wavefront6targetE0EEEvSH_.has_indirect_call, 0
	.section	.AMDGPU.csdata,"",@progbits
; Kernel info:
; codeLenInByte = 0
; TotalNumSgprs: 0
; NumVgprs: 0
; ScratchSize: 0
; MemoryBound: 0
; FloatMode: 240
; IeeeMode: 1
; LDSByteSize: 0 bytes/workgroup (compile time only)
; SGPRBlocks: 0
; VGPRBlocks: 0
; NumSGPRsForWavesPerEU: 1
; NumVGPRsForWavesPerEU: 1
; Occupancy: 16
; WaveLimiterHint : 0
; COMPUTE_PGM_RSRC2:SCRATCH_EN: 0
; COMPUTE_PGM_RSRC2:USER_SGPR: 6
; COMPUTE_PGM_RSRC2:TRAP_HANDLER: 0
; COMPUTE_PGM_RSRC2:TGID_X_EN: 1
; COMPUTE_PGM_RSRC2:TGID_Y_EN: 0
; COMPUTE_PGM_RSRC2:TGID_Z_EN: 0
; COMPUTE_PGM_RSRC2:TIDIG_COMP_CNT: 0
	.section	.text._ZN7rocprim17ROCPRIM_400000_NS6detail17trampoline_kernelINS0_13kernel_configILj256ELj4ELj4294967295EEENS1_37radix_sort_block_sort_config_selectorIiiEEZNS1_21radix_sort_block_sortIS4_Lb1EN6thrust23THRUST_200600_302600_NS6detail15normal_iteratorINS9_10device_ptrIiEEEESE_SE_SE_NS0_19identity_decomposerEEE10hipError_tT1_T2_T3_T4_jRjT5_jjP12ihipStream_tbEUlT_E_NS1_11comp_targetILNS1_3genE9ELNS1_11target_archE1100ELNS1_3gpuE3ELNS1_3repE0EEENS1_44radix_sort_block_sort_config_static_selectorELNS0_4arch9wavefront6targetE0EEEvSH_,"axG",@progbits,_ZN7rocprim17ROCPRIM_400000_NS6detail17trampoline_kernelINS0_13kernel_configILj256ELj4ELj4294967295EEENS1_37radix_sort_block_sort_config_selectorIiiEEZNS1_21radix_sort_block_sortIS4_Lb1EN6thrust23THRUST_200600_302600_NS6detail15normal_iteratorINS9_10device_ptrIiEEEESE_SE_SE_NS0_19identity_decomposerEEE10hipError_tT1_T2_T3_T4_jRjT5_jjP12ihipStream_tbEUlT_E_NS1_11comp_targetILNS1_3genE9ELNS1_11target_archE1100ELNS1_3gpuE3ELNS1_3repE0EEENS1_44radix_sort_block_sort_config_static_selectorELNS0_4arch9wavefront6targetE0EEEvSH_,comdat
	.protected	_ZN7rocprim17ROCPRIM_400000_NS6detail17trampoline_kernelINS0_13kernel_configILj256ELj4ELj4294967295EEENS1_37radix_sort_block_sort_config_selectorIiiEEZNS1_21radix_sort_block_sortIS4_Lb1EN6thrust23THRUST_200600_302600_NS6detail15normal_iteratorINS9_10device_ptrIiEEEESE_SE_SE_NS0_19identity_decomposerEEE10hipError_tT1_T2_T3_T4_jRjT5_jjP12ihipStream_tbEUlT_E_NS1_11comp_targetILNS1_3genE9ELNS1_11target_archE1100ELNS1_3gpuE3ELNS1_3repE0EEENS1_44radix_sort_block_sort_config_static_selectorELNS0_4arch9wavefront6targetE0EEEvSH_ ; -- Begin function _ZN7rocprim17ROCPRIM_400000_NS6detail17trampoline_kernelINS0_13kernel_configILj256ELj4ELj4294967295EEENS1_37radix_sort_block_sort_config_selectorIiiEEZNS1_21radix_sort_block_sortIS4_Lb1EN6thrust23THRUST_200600_302600_NS6detail15normal_iteratorINS9_10device_ptrIiEEEESE_SE_SE_NS0_19identity_decomposerEEE10hipError_tT1_T2_T3_T4_jRjT5_jjP12ihipStream_tbEUlT_E_NS1_11comp_targetILNS1_3genE9ELNS1_11target_archE1100ELNS1_3gpuE3ELNS1_3repE0EEENS1_44radix_sort_block_sort_config_static_selectorELNS0_4arch9wavefront6targetE0EEEvSH_
	.globl	_ZN7rocprim17ROCPRIM_400000_NS6detail17trampoline_kernelINS0_13kernel_configILj256ELj4ELj4294967295EEENS1_37radix_sort_block_sort_config_selectorIiiEEZNS1_21radix_sort_block_sortIS4_Lb1EN6thrust23THRUST_200600_302600_NS6detail15normal_iteratorINS9_10device_ptrIiEEEESE_SE_SE_NS0_19identity_decomposerEEE10hipError_tT1_T2_T3_T4_jRjT5_jjP12ihipStream_tbEUlT_E_NS1_11comp_targetILNS1_3genE9ELNS1_11target_archE1100ELNS1_3gpuE3ELNS1_3repE0EEENS1_44radix_sort_block_sort_config_static_selectorELNS0_4arch9wavefront6targetE0EEEvSH_
	.p2align	8
	.type	_ZN7rocprim17ROCPRIM_400000_NS6detail17trampoline_kernelINS0_13kernel_configILj256ELj4ELj4294967295EEENS1_37radix_sort_block_sort_config_selectorIiiEEZNS1_21radix_sort_block_sortIS4_Lb1EN6thrust23THRUST_200600_302600_NS6detail15normal_iteratorINS9_10device_ptrIiEEEESE_SE_SE_NS0_19identity_decomposerEEE10hipError_tT1_T2_T3_T4_jRjT5_jjP12ihipStream_tbEUlT_E_NS1_11comp_targetILNS1_3genE9ELNS1_11target_archE1100ELNS1_3gpuE3ELNS1_3repE0EEENS1_44radix_sort_block_sort_config_static_selectorELNS0_4arch9wavefront6targetE0EEEvSH_,@function
_ZN7rocprim17ROCPRIM_400000_NS6detail17trampoline_kernelINS0_13kernel_configILj256ELj4ELj4294967295EEENS1_37radix_sort_block_sort_config_selectorIiiEEZNS1_21radix_sort_block_sortIS4_Lb1EN6thrust23THRUST_200600_302600_NS6detail15normal_iteratorINS9_10device_ptrIiEEEESE_SE_SE_NS0_19identity_decomposerEEE10hipError_tT1_T2_T3_T4_jRjT5_jjP12ihipStream_tbEUlT_E_NS1_11comp_targetILNS1_3genE9ELNS1_11target_archE1100ELNS1_3gpuE3ELNS1_3repE0EEENS1_44radix_sort_block_sort_config_static_selectorELNS0_4arch9wavefront6targetE0EEEvSH_: ; @_ZN7rocprim17ROCPRIM_400000_NS6detail17trampoline_kernelINS0_13kernel_configILj256ELj4ELj4294967295EEENS1_37radix_sort_block_sort_config_selectorIiiEEZNS1_21radix_sort_block_sortIS4_Lb1EN6thrust23THRUST_200600_302600_NS6detail15normal_iteratorINS9_10device_ptrIiEEEESE_SE_SE_NS0_19identity_decomposerEEE10hipError_tT1_T2_T3_T4_jRjT5_jjP12ihipStream_tbEUlT_E_NS1_11comp_targetILNS1_3genE9ELNS1_11target_archE1100ELNS1_3gpuE3ELNS1_3repE0EEENS1_44radix_sort_block_sort_config_static_selectorELNS0_4arch9wavefront6targetE0EEEvSH_
; %bb.0:
	.section	.rodata,"a",@progbits
	.p2align	6, 0x0
	.amdhsa_kernel _ZN7rocprim17ROCPRIM_400000_NS6detail17trampoline_kernelINS0_13kernel_configILj256ELj4ELj4294967295EEENS1_37radix_sort_block_sort_config_selectorIiiEEZNS1_21radix_sort_block_sortIS4_Lb1EN6thrust23THRUST_200600_302600_NS6detail15normal_iteratorINS9_10device_ptrIiEEEESE_SE_SE_NS0_19identity_decomposerEEE10hipError_tT1_T2_T3_T4_jRjT5_jjP12ihipStream_tbEUlT_E_NS1_11comp_targetILNS1_3genE9ELNS1_11target_archE1100ELNS1_3gpuE3ELNS1_3repE0EEENS1_44radix_sort_block_sort_config_static_selectorELNS0_4arch9wavefront6targetE0EEEvSH_
		.amdhsa_group_segment_fixed_size 0
		.amdhsa_private_segment_fixed_size 0
		.amdhsa_kernarg_size 48
		.amdhsa_user_sgpr_count 6
		.amdhsa_user_sgpr_private_segment_buffer 1
		.amdhsa_user_sgpr_dispatch_ptr 0
		.amdhsa_user_sgpr_queue_ptr 0
		.amdhsa_user_sgpr_kernarg_segment_ptr 1
		.amdhsa_user_sgpr_dispatch_id 0
		.amdhsa_user_sgpr_flat_scratch_init 0
		.amdhsa_user_sgpr_private_segment_size 0
		.amdhsa_wavefront_size32 1
		.amdhsa_uses_dynamic_stack 0
		.amdhsa_system_sgpr_private_segment_wavefront_offset 0
		.amdhsa_system_sgpr_workgroup_id_x 1
		.amdhsa_system_sgpr_workgroup_id_y 0
		.amdhsa_system_sgpr_workgroup_id_z 0
		.amdhsa_system_sgpr_workgroup_info 0
		.amdhsa_system_vgpr_workitem_id 0
		.amdhsa_next_free_vgpr 1
		.amdhsa_next_free_sgpr 1
		.amdhsa_reserve_vcc 0
		.amdhsa_reserve_flat_scratch 0
		.amdhsa_float_round_mode_32 0
		.amdhsa_float_round_mode_16_64 0
		.amdhsa_float_denorm_mode_32 3
		.amdhsa_float_denorm_mode_16_64 3
		.amdhsa_dx10_clamp 1
		.amdhsa_ieee_mode 1
		.amdhsa_fp16_overflow 0
		.amdhsa_workgroup_processor_mode 1
		.amdhsa_memory_ordered 1
		.amdhsa_forward_progress 1
		.amdhsa_shared_vgpr_count 0
		.amdhsa_exception_fp_ieee_invalid_op 0
		.amdhsa_exception_fp_denorm_src 0
		.amdhsa_exception_fp_ieee_div_zero 0
		.amdhsa_exception_fp_ieee_overflow 0
		.amdhsa_exception_fp_ieee_underflow 0
		.amdhsa_exception_fp_ieee_inexact 0
		.amdhsa_exception_int_div_zero 0
	.end_amdhsa_kernel
	.section	.text._ZN7rocprim17ROCPRIM_400000_NS6detail17trampoline_kernelINS0_13kernel_configILj256ELj4ELj4294967295EEENS1_37radix_sort_block_sort_config_selectorIiiEEZNS1_21radix_sort_block_sortIS4_Lb1EN6thrust23THRUST_200600_302600_NS6detail15normal_iteratorINS9_10device_ptrIiEEEESE_SE_SE_NS0_19identity_decomposerEEE10hipError_tT1_T2_T3_T4_jRjT5_jjP12ihipStream_tbEUlT_E_NS1_11comp_targetILNS1_3genE9ELNS1_11target_archE1100ELNS1_3gpuE3ELNS1_3repE0EEENS1_44radix_sort_block_sort_config_static_selectorELNS0_4arch9wavefront6targetE0EEEvSH_,"axG",@progbits,_ZN7rocprim17ROCPRIM_400000_NS6detail17trampoline_kernelINS0_13kernel_configILj256ELj4ELj4294967295EEENS1_37radix_sort_block_sort_config_selectorIiiEEZNS1_21radix_sort_block_sortIS4_Lb1EN6thrust23THRUST_200600_302600_NS6detail15normal_iteratorINS9_10device_ptrIiEEEESE_SE_SE_NS0_19identity_decomposerEEE10hipError_tT1_T2_T3_T4_jRjT5_jjP12ihipStream_tbEUlT_E_NS1_11comp_targetILNS1_3genE9ELNS1_11target_archE1100ELNS1_3gpuE3ELNS1_3repE0EEENS1_44radix_sort_block_sort_config_static_selectorELNS0_4arch9wavefront6targetE0EEEvSH_,comdat
.Lfunc_end883:
	.size	_ZN7rocprim17ROCPRIM_400000_NS6detail17trampoline_kernelINS0_13kernel_configILj256ELj4ELj4294967295EEENS1_37radix_sort_block_sort_config_selectorIiiEEZNS1_21radix_sort_block_sortIS4_Lb1EN6thrust23THRUST_200600_302600_NS6detail15normal_iteratorINS9_10device_ptrIiEEEESE_SE_SE_NS0_19identity_decomposerEEE10hipError_tT1_T2_T3_T4_jRjT5_jjP12ihipStream_tbEUlT_E_NS1_11comp_targetILNS1_3genE9ELNS1_11target_archE1100ELNS1_3gpuE3ELNS1_3repE0EEENS1_44radix_sort_block_sort_config_static_selectorELNS0_4arch9wavefront6targetE0EEEvSH_, .Lfunc_end883-_ZN7rocprim17ROCPRIM_400000_NS6detail17trampoline_kernelINS0_13kernel_configILj256ELj4ELj4294967295EEENS1_37radix_sort_block_sort_config_selectorIiiEEZNS1_21radix_sort_block_sortIS4_Lb1EN6thrust23THRUST_200600_302600_NS6detail15normal_iteratorINS9_10device_ptrIiEEEESE_SE_SE_NS0_19identity_decomposerEEE10hipError_tT1_T2_T3_T4_jRjT5_jjP12ihipStream_tbEUlT_E_NS1_11comp_targetILNS1_3genE9ELNS1_11target_archE1100ELNS1_3gpuE3ELNS1_3repE0EEENS1_44radix_sort_block_sort_config_static_selectorELNS0_4arch9wavefront6targetE0EEEvSH_
                                        ; -- End function
	.set _ZN7rocprim17ROCPRIM_400000_NS6detail17trampoline_kernelINS0_13kernel_configILj256ELj4ELj4294967295EEENS1_37radix_sort_block_sort_config_selectorIiiEEZNS1_21radix_sort_block_sortIS4_Lb1EN6thrust23THRUST_200600_302600_NS6detail15normal_iteratorINS9_10device_ptrIiEEEESE_SE_SE_NS0_19identity_decomposerEEE10hipError_tT1_T2_T3_T4_jRjT5_jjP12ihipStream_tbEUlT_E_NS1_11comp_targetILNS1_3genE9ELNS1_11target_archE1100ELNS1_3gpuE3ELNS1_3repE0EEENS1_44radix_sort_block_sort_config_static_selectorELNS0_4arch9wavefront6targetE0EEEvSH_.num_vgpr, 0
	.set _ZN7rocprim17ROCPRIM_400000_NS6detail17trampoline_kernelINS0_13kernel_configILj256ELj4ELj4294967295EEENS1_37radix_sort_block_sort_config_selectorIiiEEZNS1_21radix_sort_block_sortIS4_Lb1EN6thrust23THRUST_200600_302600_NS6detail15normal_iteratorINS9_10device_ptrIiEEEESE_SE_SE_NS0_19identity_decomposerEEE10hipError_tT1_T2_T3_T4_jRjT5_jjP12ihipStream_tbEUlT_E_NS1_11comp_targetILNS1_3genE9ELNS1_11target_archE1100ELNS1_3gpuE3ELNS1_3repE0EEENS1_44radix_sort_block_sort_config_static_selectorELNS0_4arch9wavefront6targetE0EEEvSH_.num_agpr, 0
	.set _ZN7rocprim17ROCPRIM_400000_NS6detail17trampoline_kernelINS0_13kernel_configILj256ELj4ELj4294967295EEENS1_37radix_sort_block_sort_config_selectorIiiEEZNS1_21radix_sort_block_sortIS4_Lb1EN6thrust23THRUST_200600_302600_NS6detail15normal_iteratorINS9_10device_ptrIiEEEESE_SE_SE_NS0_19identity_decomposerEEE10hipError_tT1_T2_T3_T4_jRjT5_jjP12ihipStream_tbEUlT_E_NS1_11comp_targetILNS1_3genE9ELNS1_11target_archE1100ELNS1_3gpuE3ELNS1_3repE0EEENS1_44radix_sort_block_sort_config_static_selectorELNS0_4arch9wavefront6targetE0EEEvSH_.numbered_sgpr, 0
	.set _ZN7rocprim17ROCPRIM_400000_NS6detail17trampoline_kernelINS0_13kernel_configILj256ELj4ELj4294967295EEENS1_37radix_sort_block_sort_config_selectorIiiEEZNS1_21radix_sort_block_sortIS4_Lb1EN6thrust23THRUST_200600_302600_NS6detail15normal_iteratorINS9_10device_ptrIiEEEESE_SE_SE_NS0_19identity_decomposerEEE10hipError_tT1_T2_T3_T4_jRjT5_jjP12ihipStream_tbEUlT_E_NS1_11comp_targetILNS1_3genE9ELNS1_11target_archE1100ELNS1_3gpuE3ELNS1_3repE0EEENS1_44radix_sort_block_sort_config_static_selectorELNS0_4arch9wavefront6targetE0EEEvSH_.num_named_barrier, 0
	.set _ZN7rocprim17ROCPRIM_400000_NS6detail17trampoline_kernelINS0_13kernel_configILj256ELj4ELj4294967295EEENS1_37radix_sort_block_sort_config_selectorIiiEEZNS1_21radix_sort_block_sortIS4_Lb1EN6thrust23THRUST_200600_302600_NS6detail15normal_iteratorINS9_10device_ptrIiEEEESE_SE_SE_NS0_19identity_decomposerEEE10hipError_tT1_T2_T3_T4_jRjT5_jjP12ihipStream_tbEUlT_E_NS1_11comp_targetILNS1_3genE9ELNS1_11target_archE1100ELNS1_3gpuE3ELNS1_3repE0EEENS1_44radix_sort_block_sort_config_static_selectorELNS0_4arch9wavefront6targetE0EEEvSH_.private_seg_size, 0
	.set _ZN7rocprim17ROCPRIM_400000_NS6detail17trampoline_kernelINS0_13kernel_configILj256ELj4ELj4294967295EEENS1_37radix_sort_block_sort_config_selectorIiiEEZNS1_21radix_sort_block_sortIS4_Lb1EN6thrust23THRUST_200600_302600_NS6detail15normal_iteratorINS9_10device_ptrIiEEEESE_SE_SE_NS0_19identity_decomposerEEE10hipError_tT1_T2_T3_T4_jRjT5_jjP12ihipStream_tbEUlT_E_NS1_11comp_targetILNS1_3genE9ELNS1_11target_archE1100ELNS1_3gpuE3ELNS1_3repE0EEENS1_44radix_sort_block_sort_config_static_selectorELNS0_4arch9wavefront6targetE0EEEvSH_.uses_vcc, 0
	.set _ZN7rocprim17ROCPRIM_400000_NS6detail17trampoline_kernelINS0_13kernel_configILj256ELj4ELj4294967295EEENS1_37radix_sort_block_sort_config_selectorIiiEEZNS1_21radix_sort_block_sortIS4_Lb1EN6thrust23THRUST_200600_302600_NS6detail15normal_iteratorINS9_10device_ptrIiEEEESE_SE_SE_NS0_19identity_decomposerEEE10hipError_tT1_T2_T3_T4_jRjT5_jjP12ihipStream_tbEUlT_E_NS1_11comp_targetILNS1_3genE9ELNS1_11target_archE1100ELNS1_3gpuE3ELNS1_3repE0EEENS1_44radix_sort_block_sort_config_static_selectorELNS0_4arch9wavefront6targetE0EEEvSH_.uses_flat_scratch, 0
	.set _ZN7rocprim17ROCPRIM_400000_NS6detail17trampoline_kernelINS0_13kernel_configILj256ELj4ELj4294967295EEENS1_37radix_sort_block_sort_config_selectorIiiEEZNS1_21radix_sort_block_sortIS4_Lb1EN6thrust23THRUST_200600_302600_NS6detail15normal_iteratorINS9_10device_ptrIiEEEESE_SE_SE_NS0_19identity_decomposerEEE10hipError_tT1_T2_T3_T4_jRjT5_jjP12ihipStream_tbEUlT_E_NS1_11comp_targetILNS1_3genE9ELNS1_11target_archE1100ELNS1_3gpuE3ELNS1_3repE0EEENS1_44radix_sort_block_sort_config_static_selectorELNS0_4arch9wavefront6targetE0EEEvSH_.has_dyn_sized_stack, 0
	.set _ZN7rocprim17ROCPRIM_400000_NS6detail17trampoline_kernelINS0_13kernel_configILj256ELj4ELj4294967295EEENS1_37radix_sort_block_sort_config_selectorIiiEEZNS1_21radix_sort_block_sortIS4_Lb1EN6thrust23THRUST_200600_302600_NS6detail15normal_iteratorINS9_10device_ptrIiEEEESE_SE_SE_NS0_19identity_decomposerEEE10hipError_tT1_T2_T3_T4_jRjT5_jjP12ihipStream_tbEUlT_E_NS1_11comp_targetILNS1_3genE9ELNS1_11target_archE1100ELNS1_3gpuE3ELNS1_3repE0EEENS1_44radix_sort_block_sort_config_static_selectorELNS0_4arch9wavefront6targetE0EEEvSH_.has_recursion, 0
	.set _ZN7rocprim17ROCPRIM_400000_NS6detail17trampoline_kernelINS0_13kernel_configILj256ELj4ELj4294967295EEENS1_37radix_sort_block_sort_config_selectorIiiEEZNS1_21radix_sort_block_sortIS4_Lb1EN6thrust23THRUST_200600_302600_NS6detail15normal_iteratorINS9_10device_ptrIiEEEESE_SE_SE_NS0_19identity_decomposerEEE10hipError_tT1_T2_T3_T4_jRjT5_jjP12ihipStream_tbEUlT_E_NS1_11comp_targetILNS1_3genE9ELNS1_11target_archE1100ELNS1_3gpuE3ELNS1_3repE0EEENS1_44radix_sort_block_sort_config_static_selectorELNS0_4arch9wavefront6targetE0EEEvSH_.has_indirect_call, 0
	.section	.AMDGPU.csdata,"",@progbits
; Kernel info:
; codeLenInByte = 0
; TotalNumSgprs: 0
; NumVgprs: 0
; ScratchSize: 0
; MemoryBound: 0
; FloatMode: 240
; IeeeMode: 1
; LDSByteSize: 0 bytes/workgroup (compile time only)
; SGPRBlocks: 0
; VGPRBlocks: 0
; NumSGPRsForWavesPerEU: 1
; NumVGPRsForWavesPerEU: 1
; Occupancy: 16
; WaveLimiterHint : 0
; COMPUTE_PGM_RSRC2:SCRATCH_EN: 0
; COMPUTE_PGM_RSRC2:USER_SGPR: 6
; COMPUTE_PGM_RSRC2:TRAP_HANDLER: 0
; COMPUTE_PGM_RSRC2:TGID_X_EN: 1
; COMPUTE_PGM_RSRC2:TGID_Y_EN: 0
; COMPUTE_PGM_RSRC2:TGID_Z_EN: 0
; COMPUTE_PGM_RSRC2:TIDIG_COMP_CNT: 0
	.section	.text._ZN7rocprim17ROCPRIM_400000_NS6detail17trampoline_kernelINS0_13kernel_configILj256ELj4ELj4294967295EEENS1_37radix_sort_block_sort_config_selectorIiiEEZNS1_21radix_sort_block_sortIS4_Lb1EN6thrust23THRUST_200600_302600_NS6detail15normal_iteratorINS9_10device_ptrIiEEEESE_SE_SE_NS0_19identity_decomposerEEE10hipError_tT1_T2_T3_T4_jRjT5_jjP12ihipStream_tbEUlT_E_NS1_11comp_targetILNS1_3genE8ELNS1_11target_archE1030ELNS1_3gpuE2ELNS1_3repE0EEENS1_44radix_sort_block_sort_config_static_selectorELNS0_4arch9wavefront6targetE0EEEvSH_,"axG",@progbits,_ZN7rocprim17ROCPRIM_400000_NS6detail17trampoline_kernelINS0_13kernel_configILj256ELj4ELj4294967295EEENS1_37radix_sort_block_sort_config_selectorIiiEEZNS1_21radix_sort_block_sortIS4_Lb1EN6thrust23THRUST_200600_302600_NS6detail15normal_iteratorINS9_10device_ptrIiEEEESE_SE_SE_NS0_19identity_decomposerEEE10hipError_tT1_T2_T3_T4_jRjT5_jjP12ihipStream_tbEUlT_E_NS1_11comp_targetILNS1_3genE8ELNS1_11target_archE1030ELNS1_3gpuE2ELNS1_3repE0EEENS1_44radix_sort_block_sort_config_static_selectorELNS0_4arch9wavefront6targetE0EEEvSH_,comdat
	.protected	_ZN7rocprim17ROCPRIM_400000_NS6detail17trampoline_kernelINS0_13kernel_configILj256ELj4ELj4294967295EEENS1_37radix_sort_block_sort_config_selectorIiiEEZNS1_21radix_sort_block_sortIS4_Lb1EN6thrust23THRUST_200600_302600_NS6detail15normal_iteratorINS9_10device_ptrIiEEEESE_SE_SE_NS0_19identity_decomposerEEE10hipError_tT1_T2_T3_T4_jRjT5_jjP12ihipStream_tbEUlT_E_NS1_11comp_targetILNS1_3genE8ELNS1_11target_archE1030ELNS1_3gpuE2ELNS1_3repE0EEENS1_44radix_sort_block_sort_config_static_selectorELNS0_4arch9wavefront6targetE0EEEvSH_ ; -- Begin function _ZN7rocprim17ROCPRIM_400000_NS6detail17trampoline_kernelINS0_13kernel_configILj256ELj4ELj4294967295EEENS1_37radix_sort_block_sort_config_selectorIiiEEZNS1_21radix_sort_block_sortIS4_Lb1EN6thrust23THRUST_200600_302600_NS6detail15normal_iteratorINS9_10device_ptrIiEEEESE_SE_SE_NS0_19identity_decomposerEEE10hipError_tT1_T2_T3_T4_jRjT5_jjP12ihipStream_tbEUlT_E_NS1_11comp_targetILNS1_3genE8ELNS1_11target_archE1030ELNS1_3gpuE2ELNS1_3repE0EEENS1_44radix_sort_block_sort_config_static_selectorELNS0_4arch9wavefront6targetE0EEEvSH_
	.globl	_ZN7rocprim17ROCPRIM_400000_NS6detail17trampoline_kernelINS0_13kernel_configILj256ELj4ELj4294967295EEENS1_37radix_sort_block_sort_config_selectorIiiEEZNS1_21radix_sort_block_sortIS4_Lb1EN6thrust23THRUST_200600_302600_NS6detail15normal_iteratorINS9_10device_ptrIiEEEESE_SE_SE_NS0_19identity_decomposerEEE10hipError_tT1_T2_T3_T4_jRjT5_jjP12ihipStream_tbEUlT_E_NS1_11comp_targetILNS1_3genE8ELNS1_11target_archE1030ELNS1_3gpuE2ELNS1_3repE0EEENS1_44radix_sort_block_sort_config_static_selectorELNS0_4arch9wavefront6targetE0EEEvSH_
	.p2align	8
	.type	_ZN7rocprim17ROCPRIM_400000_NS6detail17trampoline_kernelINS0_13kernel_configILj256ELj4ELj4294967295EEENS1_37radix_sort_block_sort_config_selectorIiiEEZNS1_21radix_sort_block_sortIS4_Lb1EN6thrust23THRUST_200600_302600_NS6detail15normal_iteratorINS9_10device_ptrIiEEEESE_SE_SE_NS0_19identity_decomposerEEE10hipError_tT1_T2_T3_T4_jRjT5_jjP12ihipStream_tbEUlT_E_NS1_11comp_targetILNS1_3genE8ELNS1_11target_archE1030ELNS1_3gpuE2ELNS1_3repE0EEENS1_44radix_sort_block_sort_config_static_selectorELNS0_4arch9wavefront6targetE0EEEvSH_,@function
_ZN7rocprim17ROCPRIM_400000_NS6detail17trampoline_kernelINS0_13kernel_configILj256ELj4ELj4294967295EEENS1_37radix_sort_block_sort_config_selectorIiiEEZNS1_21radix_sort_block_sortIS4_Lb1EN6thrust23THRUST_200600_302600_NS6detail15normal_iteratorINS9_10device_ptrIiEEEESE_SE_SE_NS0_19identity_decomposerEEE10hipError_tT1_T2_T3_T4_jRjT5_jjP12ihipStream_tbEUlT_E_NS1_11comp_targetILNS1_3genE8ELNS1_11target_archE1030ELNS1_3gpuE2ELNS1_3repE0EEENS1_44radix_sort_block_sort_config_static_selectorELNS0_4arch9wavefront6targetE0EEEvSH_: ; @_ZN7rocprim17ROCPRIM_400000_NS6detail17trampoline_kernelINS0_13kernel_configILj256ELj4ELj4294967295EEENS1_37radix_sort_block_sort_config_selectorIiiEEZNS1_21radix_sort_block_sortIS4_Lb1EN6thrust23THRUST_200600_302600_NS6detail15normal_iteratorINS9_10device_ptrIiEEEESE_SE_SE_NS0_19identity_decomposerEEE10hipError_tT1_T2_T3_T4_jRjT5_jjP12ihipStream_tbEUlT_E_NS1_11comp_targetILNS1_3genE8ELNS1_11target_archE1030ELNS1_3gpuE2ELNS1_3repE0EEENS1_44radix_sort_block_sort_config_static_selectorELNS0_4arch9wavefront6targetE0EEEvSH_
; %bb.0:
	s_clause 0x1
	s_load_dword s0, s[4:5], 0x20
	s_load_dwordx8 s[12:19], s[4:5], 0x0
	v_lshlrev_b32_e32 v17, 2, v0
	v_mbcnt_lo_u32_b32 v13, -1, 0
	s_lshl_b32 s2, s6, 10
	s_mov_b32 s3, 0
                                        ; implicit-def: $vgpr9_vgpr10_vgpr11_vgpr12
                                        ; implicit-def: $vgpr5_vgpr6_vgpr7_vgpr8
	v_and_b32_e32 v16, 0x380, v17
	v_lshlrev_b32_e32 v15, 2, v13
	v_lshlrev_b32_e32 v14, 2, v16
	s_waitcnt lgkmcnt(0)
	s_lshr_b32 s1, s0, 10
	s_cmp_lg_u32 s6, s1
	s_cselect_b32 s25, -1, 0
	s_lshl_b64 s[20:21], s[2:3], 2
	s_add_u32 s7, s12, s20
	s_addc_u32 s8, s13, s21
	v_add_co_u32 v3, s7, s7, v15
	v_add_co_ci_u32_e64 v4, null, s8, 0, s7
	s_cmp_eq_u32 s6, s1
	v_add_co_u32 v3, vcc_lo, v3, v14
	v_add_co_ci_u32_e64 v4, null, 0, v4, vcc_lo
	s_mov_b32 s1, -1
	s_cbranch_scc0 .LBB884_24
; %bb.1:
	s_load_dwordx2 s[22:23], s[4:5], 0x28
	s_andn2_b32 vcc_lo, exec_lo, s1
	s_sub_i32 s24, s0, s2
	s_cbranch_vccz .LBB884_25
.LBB884_2:
	s_and_saveexec_b32 s0, s3
	s_cbranch_execz .LBB884_4
.LBB884_3:
	s_add_u32 s1, s16, s20
	s_addc_u32 s2, s17, s21
	v_add_co_u32 v3, s1, s1, v15
	v_add_co_ci_u32_e64 v4, null, s2, 0, s1
	v_add_co_u32 v3, vcc_lo, v3, v14
	v_add_co_ci_u32_e64 v4, null, 0, v4, vcc_lo
	global_load_dword v8, v[3:4], off offset:384
.LBB884_4:
	s_or_b32 exec_lo, exec_lo, s0
	s_load_dword s7, s[4:5], 0x3c
	s_getpc_b64 s[4:5]
	s_add_u32 s4, s4, _ZN7rocprim17ROCPRIM_400000_NS16block_radix_sortIiLj256ELj4EiLj1ELj1ELj0ELNS0_26block_radix_rank_algorithmE1ELNS0_18block_padding_hintE2ELNS0_4arch9wavefront6targetE0EE19radix_bits_per_passE@rel32@lo+4
	s_addc_u32 s5, s5, _ZN7rocprim17ROCPRIM_400000_NS16block_radix_sortIiLj256ELj4EiLj1ELj1ELj0ELNS0_26block_radix_rank_algorithmE1ELNS0_18block_padding_hintE2ELNS0_4arch9wavefront6targetE0EE19radix_bits_per_passE@rel32@hi+12
	v_sub_co_u32 v16, s2, v13, 1
	s_load_dword s16, s[4:5], 0x0
	v_lshrrev_b32_e32 v19, 3, v0
	v_or_b32_e32 v15, 31, v0
	v_cmp_gt_i32_e32 vcc_lo, 0, v16
	v_lshlrev_b32_e32 v18, 5, v0
	v_and_b32_e32 v3, 15, v13
	s_mov_b32 s26, 0
	v_and_b32_e32 v4, 16, v13
	v_mul_i32_i24_e32 v25, 0xffffffe4, v0
	v_and_b32_e32 v21, 7, v13
	v_and_b32_e32 v20, 28, v19
	s_mov_b32 s28, s26
	s_mov_b32 s27, s26
	;; [unrolled: 1-line block ×3, first 2 shown]
	v_cmp_eq_u32_e64 s9, v0, v15
	v_lshl_add_u32 v24, v13, 2, v14
	s_waitcnt lgkmcnt(0)
	s_lshr_b32 s5, s7, 16
	s_and_b32 s7, s7, 0xffff
	v_mad_u32_u24 v1, v2, s5, v1
	s_waitcnt vmcnt(6)
	v_xor_b32_e32 v9, 0x7fffffff, v9
	s_waitcnt vmcnt(5)
	v_xor_b32_e32 v10, 0x7fffffff, v10
	;; [unrolled: 2-line block ×4, first 2 shown]
	v_mad_u64_u32 v[1:2], null, v1, s7, v[0:1]
	v_cndmask_b32_e32 v2, v16, v13, vcc_lo
	v_mov_b32_e32 v13, s26
	v_mov_b32_e32 v15, s28
	v_cmp_gt_u32_e64 s0, 8, v0
	v_cmp_lt_u32_e64 s1, 31, v0
	v_cmp_eq_u32_e64 s3, 0, v0
	v_lshrrev_b32_e32 v1, 3, v1
	v_cmp_eq_u32_e64 s4, 0, v3
	v_cmp_lt_u32_e64 s5, 1, v3
	v_cmp_lt_u32_e64 s6, 3, v3
	;; [unrolled: 1-line block ×3, first 2 shown]
	v_cmp_eq_u32_e64 s8, 0, v4
	v_cmp_eq_u32_e64 s10, 0, v21
	v_cmp_lt_u32_e64 s11, 1, v21
	v_cmp_lt_u32_e64 s12, 3, v21
	v_lshlrev_b32_e32 v21, 2, v2
	v_add_nc_u32_e32 v22, -4, v20
	v_and_b32_e32 v23, 0x1ffffffc, v1
	v_mov_b32_e32 v14, s27
	v_mov_b32_e32 v16, s29
	v_add_nc_u32_e32 v19, v18, v25
	s_add_i32 s17, s23, s22
	s_branch .LBB884_6
.LBB884_5:                              ;   in Loop: Header=BB884_6 Depth=1
	s_andn2_b32 vcc_lo, exec_lo, s26
	s_mov_b32 s23, s13
	s_cbranch_vccz .LBB884_22
.LBB884_6:                              ; =>This Inner Loop Header: Depth=1
	v_mov_b32_e32 v25, v9
	s_min_u32 s13, s16, s23
	ds_write2_b64 v18, v[13:14], v[15:16] offset0:4 offset1:5
	ds_write2_b64 v18, v[13:14], v[15:16] offset0:6 offset1:7
	s_lshl_b32 s13, -1, s13
	s_waitcnt vmcnt(0) lgkmcnt(0)
	v_lshrrev_b32_e32 v1, s22, v25
	s_not_b32 s26, s13
	s_barrier
	buffer_gl0_inv
	v_and_b32_e32 v30, s26, v1
	; wave barrier
	v_and_b32_e32 v1, 1, v30
	v_lshlrev_b32_e32 v2, 30, v30
	v_lshlrev_b32_e32 v3, 29, v30
	;; [unrolled: 1-line block ×4, first 2 shown]
	v_add_co_u32 v1, s13, v1, -1
	v_cndmask_b32_e64 v9, 0, 1, s13
	v_not_b32_e32 v29, v2
	v_cmp_gt_i32_e64 s13, 0, v2
	v_not_b32_e32 v2, v3
	v_lshlrev_b32_e32 v27, 26, v30
	v_cmp_ne_u32_e32 vcc_lo, 0, v9
	v_ashrrev_i32_e32 v29, 31, v29
	v_lshlrev_b32_e32 v28, 25, v30
	v_ashrrev_i32_e32 v2, 31, v2
	v_lshlrev_b32_e32 v9, 24, v30
	v_xor_b32_e32 v1, vcc_lo, v1
	v_cmp_gt_i32_e32 vcc_lo, 0, v3
	v_not_b32_e32 v3, v4
	v_xor_b32_e32 v29, s13, v29
	v_cmp_gt_i32_e64 s13, 0, v4
	v_and_b32_e32 v1, exec_lo, v1
	v_not_b32_e32 v4, v26
	v_ashrrev_i32_e32 v3, 31, v3
	v_xor_b32_e32 v2, vcc_lo, v2
	v_cmp_gt_i32_e32 vcc_lo, 0, v26
	v_and_b32_e32 v1, v1, v29
	v_not_b32_e32 v26, v27
	v_ashrrev_i32_e32 v4, 31, v4
	v_xor_b32_e32 v3, s13, v3
	v_cmp_gt_i32_e64 s13, 0, v27
	v_and_b32_e32 v1, v1, v2
	v_not_b32_e32 v2, v28
	v_ashrrev_i32_e32 v26, 31, v26
	v_xor_b32_e32 v4, vcc_lo, v4
	v_cmp_gt_i32_e32 vcc_lo, 0, v28
	v_and_b32_e32 v1, v1, v3
	v_not_b32_e32 v3, v9
	v_ashrrev_i32_e32 v2, 31, v2
	v_xor_b32_e32 v26, s13, v26
	v_cmp_gt_i32_e64 s13, 0, v9
	v_and_b32_e32 v1, v1, v4
	v_ashrrev_i32_e32 v3, 31, v3
	v_xor_b32_e32 v2, vcc_lo, v2
	v_mov_b32_e32 v27, v11
	v_mov_b32_e32 v28, v10
	v_and_b32_e32 v1, v1, v26
	v_xor_b32_e32 v3, s13, v3
	v_mov_b32_e32 v26, v12
	v_and_b32_e32 v1, v1, v2
	v_and_b32_e32 v9, v1, v3
	v_mov_b32_e32 v1, v5
	v_mov_b32_e32 v2, v6
	;; [unrolled: 1-line block ×4, first 2 shown]
	v_mbcnt_lo_u32_b32 v29, v9, 0
	v_lshlrev_b32_e32 v5, 5, v30
	v_cmp_ne_u32_e64 s13, 0, v9
	v_cmp_eq_u32_e32 vcc_lo, 0, v29
	v_add_nc_u32_e32 v30, v23, v5
	s_and_b32 s27, s13, vcc_lo
	s_and_saveexec_b32 s13, s27
; %bb.7:                                ;   in Loop: Header=BB884_6 Depth=1
	v_bcnt_u32_b32 v5, v9, 0
	ds_write_b32 v30, v5 offset:32
; %bb.8:                                ;   in Loop: Header=BB884_6 Depth=1
	s_or_b32 exec_lo, exec_lo, s13
	v_lshrrev_b32_e32 v5, s22, v28
	; wave barrier
	v_and_b32_e32 v5, s26, v5
	v_and_b32_e32 v6, 1, v5
	v_lshlrev_b32_e32 v7, 30, v5
	v_lshlrev_b32_e32 v8, 29, v5
	;; [unrolled: 1-line block ×4, first 2 shown]
	v_add_co_u32 v6, s13, v6, -1
	v_cndmask_b32_e64 v10, 0, 1, s13
	v_not_b32_e32 v32, v7
	v_cmp_gt_i32_e64 s13, 0, v7
	v_not_b32_e32 v7, v8
	v_lshlrev_b32_e32 v12, 26, v5
	v_cmp_ne_u32_e32 vcc_lo, 0, v10
	v_ashrrev_i32_e32 v32, 31, v32
	v_lshlrev_b32_e32 v31, 25, v5
	v_ashrrev_i32_e32 v7, 31, v7
	v_lshlrev_b32_e32 v10, 24, v5
	v_xor_b32_e32 v6, vcc_lo, v6
	v_cmp_gt_i32_e32 vcc_lo, 0, v8
	v_not_b32_e32 v8, v9
	v_xor_b32_e32 v32, s13, v32
	v_cmp_gt_i32_e64 s13, 0, v9
	v_and_b32_e32 v6, exec_lo, v6
	v_not_b32_e32 v9, v11
	v_ashrrev_i32_e32 v8, 31, v8
	v_xor_b32_e32 v7, vcc_lo, v7
	v_cmp_gt_i32_e32 vcc_lo, 0, v11
	v_and_b32_e32 v6, v6, v32
	v_not_b32_e32 v11, v12
	v_ashrrev_i32_e32 v9, 31, v9
	v_xor_b32_e32 v8, s13, v8
	v_cmp_gt_i32_e64 s13, 0, v12
	v_and_b32_e32 v6, v6, v7
	v_not_b32_e32 v7, v31
	v_ashrrev_i32_e32 v11, 31, v11
	v_xor_b32_e32 v9, vcc_lo, v9
	v_cmp_gt_i32_e32 vcc_lo, 0, v31
	v_and_b32_e32 v6, v6, v8
	v_not_b32_e32 v8, v10
	v_ashrrev_i32_e32 v7, 31, v7
	v_xor_b32_e32 v11, s13, v11
	v_lshlrev_b32_e32 v5, 5, v5
	v_and_b32_e32 v6, v6, v9
	v_cmp_gt_i32_e64 s13, 0, v10
	v_ashrrev_i32_e32 v8, 31, v8
	v_xor_b32_e32 v7, vcc_lo, v7
	v_add_nc_u32_e32 v32, v23, v5
	v_and_b32_e32 v6, v6, v11
	v_xor_b32_e32 v5, s13, v8
	ds_read_b32 v31, v32 offset:32
	v_and_b32_e32 v6, v6, v7
	; wave barrier
	v_and_b32_e32 v5, v6, v5
	v_mbcnt_lo_u32_b32 v33, v5, 0
	v_cmp_ne_u32_e64 s13, 0, v5
	v_cmp_eq_u32_e32 vcc_lo, 0, v33
	s_and_b32 s27, s13, vcc_lo
	s_and_saveexec_b32 s13, s27
	s_cbranch_execz .LBB884_10
; %bb.9:                                ;   in Loop: Header=BB884_6 Depth=1
	s_waitcnt lgkmcnt(0)
	v_bcnt_u32_b32 v5, v5, v31
	ds_write_b32 v32, v5 offset:32
.LBB884_10:                             ;   in Loop: Header=BB884_6 Depth=1
	s_or_b32 exec_lo, exec_lo, s13
	v_lshrrev_b32_e32 v5, s22, v27
	; wave barrier
	v_and_b32_e32 v5, s26, v5
	v_and_b32_e32 v6, 1, v5
	v_lshlrev_b32_e32 v7, 30, v5
	v_lshlrev_b32_e32 v8, 29, v5
	;; [unrolled: 1-line block ×4, first 2 shown]
	v_add_co_u32 v6, s13, v6, -1
	v_cndmask_b32_e64 v10, 0, 1, s13
	v_not_b32_e32 v35, v7
	v_cmp_gt_i32_e64 s13, 0, v7
	v_not_b32_e32 v7, v8
	v_lshlrev_b32_e32 v12, 26, v5
	v_cmp_ne_u32_e32 vcc_lo, 0, v10
	v_ashrrev_i32_e32 v35, 31, v35
	v_lshlrev_b32_e32 v34, 25, v5
	v_ashrrev_i32_e32 v7, 31, v7
	v_lshlrev_b32_e32 v10, 24, v5
	v_xor_b32_e32 v6, vcc_lo, v6
	v_cmp_gt_i32_e32 vcc_lo, 0, v8
	v_not_b32_e32 v8, v9
	v_xor_b32_e32 v35, s13, v35
	v_cmp_gt_i32_e64 s13, 0, v9
	v_and_b32_e32 v6, exec_lo, v6
	v_not_b32_e32 v9, v11
	v_ashrrev_i32_e32 v8, 31, v8
	v_xor_b32_e32 v7, vcc_lo, v7
	v_cmp_gt_i32_e32 vcc_lo, 0, v11
	v_and_b32_e32 v6, v6, v35
	v_not_b32_e32 v11, v12
	v_ashrrev_i32_e32 v9, 31, v9
	v_xor_b32_e32 v8, s13, v8
	v_cmp_gt_i32_e64 s13, 0, v12
	v_and_b32_e32 v6, v6, v7
	v_not_b32_e32 v7, v34
	v_ashrrev_i32_e32 v11, 31, v11
	v_xor_b32_e32 v9, vcc_lo, v9
	v_cmp_gt_i32_e32 vcc_lo, 0, v34
	v_and_b32_e32 v6, v6, v8
	v_not_b32_e32 v8, v10
	v_ashrrev_i32_e32 v7, 31, v7
	v_xor_b32_e32 v11, s13, v11
	v_lshlrev_b32_e32 v5, 5, v5
	v_and_b32_e32 v6, v6, v9
	v_cmp_gt_i32_e64 s13, 0, v10
	v_ashrrev_i32_e32 v8, 31, v8
	v_xor_b32_e32 v7, vcc_lo, v7
	v_add_nc_u32_e32 v36, v23, v5
	v_and_b32_e32 v6, v6, v11
	v_xor_b32_e32 v5, s13, v8
	ds_read_b32 v34, v36 offset:32
	v_and_b32_e32 v6, v6, v7
	; wave barrier
	v_and_b32_e32 v5, v6, v5
	v_mbcnt_lo_u32_b32 v35, v5, 0
	v_cmp_ne_u32_e64 s13, 0, v5
	v_cmp_eq_u32_e32 vcc_lo, 0, v35
	s_and_b32 s27, s13, vcc_lo
	s_and_saveexec_b32 s13, s27
	s_cbranch_execz .LBB884_12
; %bb.11:                               ;   in Loop: Header=BB884_6 Depth=1
	s_waitcnt lgkmcnt(0)
	v_bcnt_u32_b32 v5, v5, v34
	ds_write_b32 v36, v5 offset:32
.LBB884_12:                             ;   in Loop: Header=BB884_6 Depth=1
	s_or_b32 exec_lo, exec_lo, s13
	v_lshrrev_b32_e32 v5, s22, v26
	; wave barrier
	v_and_b32_e32 v5, s26, v5
	v_and_b32_e32 v6, 1, v5
	v_lshlrev_b32_e32 v7, 30, v5
	v_lshlrev_b32_e32 v8, 29, v5
	v_lshlrev_b32_e32 v9, 28, v5
	v_lshlrev_b32_e32 v11, 27, v5
	v_add_co_u32 v6, s13, v6, -1
	v_cndmask_b32_e64 v10, 0, 1, s13
	v_not_b32_e32 v38, v7
	v_cmp_gt_i32_e64 s13, 0, v7
	v_not_b32_e32 v7, v8
	v_lshlrev_b32_e32 v12, 26, v5
	v_cmp_ne_u32_e32 vcc_lo, 0, v10
	v_ashrrev_i32_e32 v38, 31, v38
	v_lshlrev_b32_e32 v37, 25, v5
	v_ashrrev_i32_e32 v7, 31, v7
	v_lshlrev_b32_e32 v10, 24, v5
	v_xor_b32_e32 v6, vcc_lo, v6
	v_cmp_gt_i32_e32 vcc_lo, 0, v8
	v_not_b32_e32 v8, v9
	v_xor_b32_e32 v38, s13, v38
	v_cmp_gt_i32_e64 s13, 0, v9
	v_and_b32_e32 v6, exec_lo, v6
	v_not_b32_e32 v9, v11
	v_ashrrev_i32_e32 v8, 31, v8
	v_xor_b32_e32 v7, vcc_lo, v7
	v_cmp_gt_i32_e32 vcc_lo, 0, v11
	v_and_b32_e32 v6, v6, v38
	v_not_b32_e32 v11, v12
	v_ashrrev_i32_e32 v9, 31, v9
	v_xor_b32_e32 v8, s13, v8
	v_cmp_gt_i32_e64 s13, 0, v12
	v_and_b32_e32 v6, v6, v7
	v_not_b32_e32 v7, v37
	v_ashrrev_i32_e32 v11, 31, v11
	v_xor_b32_e32 v9, vcc_lo, v9
	v_cmp_gt_i32_e32 vcc_lo, 0, v37
	v_and_b32_e32 v6, v6, v8
	v_not_b32_e32 v8, v10
	v_ashrrev_i32_e32 v7, 31, v7
	v_xor_b32_e32 v11, s13, v11
	v_lshlrev_b32_e32 v5, 5, v5
	v_and_b32_e32 v6, v6, v9
	v_cmp_gt_i32_e64 s13, 0, v10
	v_ashrrev_i32_e32 v8, 31, v8
	v_xor_b32_e32 v7, vcc_lo, v7
	v_add_nc_u32_e32 v39, v23, v5
	v_and_b32_e32 v6, v6, v11
	v_xor_b32_e32 v5, s13, v8
	ds_read_b32 v37, v39 offset:32
	v_and_b32_e32 v6, v6, v7
	; wave barrier
	v_and_b32_e32 v5, v6, v5
	v_mbcnt_lo_u32_b32 v38, v5, 0
	v_cmp_ne_u32_e64 s13, 0, v5
	v_cmp_eq_u32_e32 vcc_lo, 0, v38
	s_and_b32 s26, s13, vcc_lo
	s_and_saveexec_b32 s13, s26
	s_cbranch_execz .LBB884_14
; %bb.13:                               ;   in Loop: Header=BB884_6 Depth=1
	s_waitcnt lgkmcnt(0)
	v_bcnt_u32_b32 v5, v5, v37
	ds_write_b32 v39, v5 offset:32
.LBB884_14:                             ;   in Loop: Header=BB884_6 Depth=1
	s_or_b32 exec_lo, exec_lo, s13
	; wave barrier
	s_waitcnt lgkmcnt(0)
	s_barrier
	buffer_gl0_inv
	ds_read2_b64 v[9:12], v18 offset0:4 offset1:5
	ds_read2_b64 v[5:8], v18 offset0:6 offset1:7
	s_waitcnt lgkmcnt(1)
	v_add_nc_u32_e32 v40, v10, v9
	v_add3_u32 v40, v40, v11, v12
	s_waitcnt lgkmcnt(0)
	v_add3_u32 v40, v40, v5, v6
	v_add3_u32 v8, v40, v7, v8
	v_mov_b32_dpp v40, v8 row_shr:1 row_mask:0xf bank_mask:0xf
	v_cndmask_b32_e64 v40, v40, 0, s4
	v_add_nc_u32_e32 v8, v40, v8
	v_mov_b32_dpp v40, v8 row_shr:2 row_mask:0xf bank_mask:0xf
	v_cndmask_b32_e64 v40, 0, v40, s5
	v_add_nc_u32_e32 v8, v8, v40
	;; [unrolled: 3-line block ×4, first 2 shown]
	ds_swizzle_b32 v40, v8 offset:swizzle(BROADCAST,32,15)
	s_waitcnt lgkmcnt(0)
	v_cndmask_b32_e64 v40, v40, 0, s8
	v_add_nc_u32_e32 v8, v8, v40
	s_and_saveexec_b32 s13, s9
; %bb.15:                               ;   in Loop: Header=BB884_6 Depth=1
	ds_write_b32 v20, v8
; %bb.16:                               ;   in Loop: Header=BB884_6 Depth=1
	s_or_b32 exec_lo, exec_lo, s13
	s_waitcnt lgkmcnt(0)
	s_barrier
	buffer_gl0_inv
	s_and_saveexec_b32 s13, s0
	s_cbranch_execz .LBB884_18
; %bb.17:                               ;   in Loop: Header=BB884_6 Depth=1
	ds_read_b32 v40, v19
	s_waitcnt lgkmcnt(0)
	v_mov_b32_dpp v41, v40 row_shr:1 row_mask:0xf bank_mask:0xf
	v_cndmask_b32_e64 v41, v41, 0, s10
	v_add_nc_u32_e32 v40, v41, v40
	v_mov_b32_dpp v41, v40 row_shr:2 row_mask:0xf bank_mask:0xf
	v_cndmask_b32_e64 v41, 0, v41, s11
	v_add_nc_u32_e32 v40, v40, v41
	v_mov_b32_dpp v41, v40 row_shr:4 row_mask:0xf bank_mask:0xf
	v_cndmask_b32_e64 v41, 0, v41, s12
	v_add_nc_u32_e32 v40, v40, v41
	ds_write_b32 v19, v40
.LBB884_18:                             ;   in Loop: Header=BB884_6 Depth=1
	s_or_b32 exec_lo, exec_lo, s13
	v_mov_b32_e32 v40, 0
	s_waitcnt lgkmcnt(0)
	s_barrier
	buffer_gl0_inv
	s_and_saveexec_b32 s13, s1
; %bb.19:                               ;   in Loop: Header=BB884_6 Depth=1
	ds_read_b32 v40, v22
; %bb.20:                               ;   in Loop: Header=BB884_6 Depth=1
	s_or_b32 exec_lo, exec_lo, s13
	s_waitcnt lgkmcnt(0)
	v_add_nc_u32_e32 v8, v40, v8
	v_readfirstlane_b32 s13, v0
	s_add_i32 s22, s22, 8
	s_mov_b32 s26, -1
	s_cmp_ge_u32 s22, s17
	ds_bpermute_b32 v8, v21, v8
	s_waitcnt lgkmcnt(0)
	v_cndmask_b32_e64 v8, v8, v40, s2
	v_cndmask_b32_e64 v8, v8, 0, s3
	v_add_nc_u32_e32 v9, v8, v9
	v_add_nc_u32_e32 v10, v9, v10
	;; [unrolled: 1-line block ×4, first 2 shown]
	v_lshlrev_b32_e32 v12, 2, v35
	v_add_nc_u32_e32 v41, v40, v5
	v_add_nc_u32_e32 v5, v41, v6
	;; [unrolled: 1-line block ×3, first 2 shown]
	ds_write2_b64 v18, v[8:9], v[10:11] offset0:4 offset1:5
	ds_write2_b64 v18, v[40:41], v[5:6] offset0:6 offset1:7
	s_waitcnt lgkmcnt(0)
	s_barrier
	buffer_gl0_inv
	ds_read_b32 v5, v32 offset:32
	ds_read_b32 v6, v36 offset:32
	;; [unrolled: 1-line block ×4, first 2 shown]
	v_lshlrev_b32_e32 v9, 2, v29
	v_lshlrev_b32_e32 v10, 2, v33
	;; [unrolled: 1-line block ×6, first 2 shown]
	s_waitcnt lgkmcnt(0)
	v_lshlrev_b32_e32 v5, 2, v5
	v_lshlrev_b32_e32 v6, 2, v6
	;; [unrolled: 1-line block ×3, first 2 shown]
	v_lshl_add_u32 v29, v8, 2, v9
	v_add3_u32 v30, v10, v11, v5
	v_add3_u32 v31, v12, v31, v6
	v_add3_u32 v32, v32, v33, v7
                                        ; implicit-def: $vgpr12
                                        ; implicit-def: $vgpr10
                                        ; implicit-def: $vgpr5_vgpr6_vgpr7_vgpr8
	s_cbranch_scc1 .LBB884_5
; %bb.21:                               ;   in Loop: Header=BB884_6 Depth=1
	s_barrier
	buffer_gl0_inv
	ds_write_b32 v29, v25
	ds_write_b32 v30, v28
	;; [unrolled: 1-line block ×4, first 2 shown]
	s_waitcnt lgkmcnt(0)
	s_barrier
	buffer_gl0_inv
	ds_read2_b32 v[9:10], v24 offset1:32
	ds_read2_b32 v[11:12], v24 offset0:64 offset1:96
	s_waitcnt lgkmcnt(0)
	s_barrier
	buffer_gl0_inv
	ds_write_b32 v29, v1
	ds_write_b32 v30, v2
	;; [unrolled: 1-line block ×4, first 2 shown]
	s_waitcnt lgkmcnt(0)
	s_barrier
	buffer_gl0_inv
	ds_read2_b32 v[5:6], v24 offset1:32
	ds_read2_b32 v[7:8], v24 offset0:64 offset1:96
	s_add_i32 s13, s23, -8
	s_mov_b32 s26, 0
	s_waitcnt lgkmcnt(0)
	s_barrier
	buffer_gl0_inv
	s_branch .LBB884_5
.LBB884_22:
	s_barrier
	buffer_gl0_inv
	ds_write_b32 v29, v25
	ds_write_b32 v30, v28
	;; [unrolled: 1-line block ×4, first 2 shown]
	s_waitcnt lgkmcnt(0)
	s_barrier
	buffer_gl0_inv
	ds_read2st64_b32 v[5:6], v19 offset1:4
	ds_read2st64_b32 v[11:12], v19 offset0:8 offset1:12
	s_waitcnt lgkmcnt(0)
	s_barrier
	buffer_gl0_inv
	ds_write_b32 v29, v1
	ds_write_b32 v30, v2
	;; [unrolled: 1-line block ×4, first 2 shown]
	s_waitcnt lgkmcnt(0)
	s_barrier
	buffer_gl0_inv
	ds_read2st64_b32 v[3:4], v19 offset1:4
	ds_read2st64_b32 v[1:2], v19 offset0:8 offset1:12
	s_add_u32 s0, s14, s20
	s_addc_u32 s1, s15, s21
	s_andn2_b32 vcc_lo, exec_lo, s25
	v_xor_b32_e32 v10, 0x7fffffff, v5
	v_add_co_u32 v5, s0, s0, v17
	v_xor_b32_e32 v9, 0x7fffffff, v6
	v_xor_b32_e32 v8, 0x7fffffff, v11
	v_xor_b32_e32 v7, 0x7fffffff, v12
	v_add_co_ci_u32_e64 v6, null, s1, 0, s0
	s_cbranch_vccnz .LBB884_38
; %bb.23:
	s_add_u32 s2, s18, s20
	s_addc_u32 s3, s19, s21
	v_add_co_u32 v13, s1, s2, v17
	v_add_co_ci_u32_e64 v14, null, s3, 0, s1
	v_add_co_u32 v11, vcc_lo, 0x800, v5
	v_add_co_ci_u32_e64 v12, null, 0, v6, vcc_lo
	v_add_co_u32 v13, vcc_lo, 0x800, v13
	v_add_co_ci_u32_e64 v14, null, 0, v14, vcc_lo
	global_store_dword v[5:6], v10, off
	global_store_dword v[5:6], v9, off offset:1024
	global_store_dword v[11:12], v8, off
	global_store_dword v[11:12], v7, off offset:1024
	s_waitcnt lgkmcnt(1)
	global_store_dword v17, v3, s[2:3]
	global_store_dword v17, v4, s[2:3] offset:1024
	s_mov_b32 s3, -1
	s_waitcnt lgkmcnt(0)
	global_store_dword v[13:14], v1, off
	s_cbranch_execz .LBB884_39
	s_branch .LBB884_52
.LBB884_24:
	s_add_u32 s1, s16, s20
	s_addc_u32 s3, s17, s21
	v_add_co_u32 v5, s1, s1, v15
	v_add_co_ci_u32_e64 v6, null, s3, 0, s1
	v_add_co_u32 v7, vcc_lo, v5, v14
	v_add_co_ci_u32_e64 v8, null, 0, v6, vcc_lo
	s_clause 0x3
	global_load_dword v9, v[3:4], off
	global_load_dword v10, v[3:4], off offset:128
	global_load_dword v11, v[3:4], off offset:256
	;; [unrolled: 1-line block ×3, first 2 shown]
	s_clause 0x2
	global_load_dword v5, v[7:8], off
	global_load_dword v6, v[7:8], off offset:128
	global_load_dword v7, v[7:8], off offset:256
	s_mov_b32 s3, -1
	s_load_dwordx2 s[22:23], s[4:5], 0x28
	s_sub_i32 s24, s0, s2
	s_cbranch_execnz .LBB884_2
.LBB884_25:
	s_waitcnt vmcnt(2)
	v_or_b32_e32 v5, v13, v16
	v_bfrev_b32_e32 v9, 1
	v_cmp_gt_u32_e32 vcc_lo, s24, v5
	v_mov_b32_e32 v10, v9
	v_mov_b32_e32 v11, v9
	;; [unrolled: 1-line block ×3, first 2 shown]
	s_and_saveexec_b32 s0, vcc_lo
	s_cbranch_execz .LBB884_27
; %bb.26:
	global_load_dword v6, v[3:4], off
	s_waitcnt vmcnt(1)
	v_mov_b32_e32 v7, v9
	v_mov_b32_e32 v8, v9
	s_waitcnt vmcnt(0)
	v_mov_b32_e32 v12, v9
	v_mov_b32_e32 v10, v7
	;; [unrolled: 1-line block ×4, first 2 shown]
.LBB884_27:
	s_or_b32 exec_lo, exec_lo, s0
	s_waitcnt vmcnt(1)
	v_or_b32_e32 v6, 32, v5
	v_cmp_gt_u32_e64 s0, s24, v6
	s_and_saveexec_b32 s1, s0
	s_cbranch_execz .LBB884_29
; %bb.28:
	global_load_dword v10, v[3:4], off offset:128
.LBB884_29:
	s_or_b32 exec_lo, exec_lo, s1
	v_or_b32_e32 v6, 64, v5
	v_cmp_gt_u32_e64 s1, s24, v6
	s_and_saveexec_b32 s2, s1
	s_cbranch_execz .LBB884_31
; %bb.30:
	global_load_dword v11, v[3:4], off offset:256
.LBB884_31:
	s_or_b32 exec_lo, exec_lo, s2
	;; [unrolled: 8-line block ×3, first 2 shown]
	s_add_u32 s2, s16, s20
	s_addc_u32 s6, s17, s21
	v_add_co_u32 v3, s2, s2, v15
	v_add_co_ci_u32_e64 v4, null, s6, 0, s2
	v_mov_b32_e32 v5, 0
	v_add_co_u32 v3, s2, v3, v14
	v_add_co_ci_u32_e64 v4, null, 0, v4, s2
	v_mov_b32_e32 v6, v5
	s_waitcnt vmcnt(0)
	v_mov_b32_e32 v7, v5
	v_mov_b32_e32 v8, v5
	s_and_saveexec_b32 s2, vcc_lo
	s_cbranch_execnz .LBB884_55
; %bb.34:
	s_or_b32 exec_lo, exec_lo, s2
	s_and_saveexec_b32 s2, s0
	s_cbranch_execnz .LBB884_56
.LBB884_35:
	s_or_b32 exec_lo, exec_lo, s2
	s_and_saveexec_b32 s0, s1
	s_cbranch_execz .LBB884_37
.LBB884_36:
	global_load_dword v7, v[3:4], off offset:256
.LBB884_37:
	s_or_b32 exec_lo, exec_lo, s0
	s_and_saveexec_b32 s0, s3
	s_cbranch_execnz .LBB884_3
	s_branch .LBB884_4
.LBB884_38:
	s_mov_b32 s3, 0
.LBB884_39:
	v_cmp_gt_u32_e32 vcc_lo, s24, v0
	s_and_saveexec_b32 s0, vcc_lo
	s_cbranch_execz .LBB884_41
; %bb.40:
	global_store_dword v[5:6], v10, off
.LBB884_41:
	s_or_b32 exec_lo, exec_lo, s0
	v_or_b32_e32 v10, 0x100, v0
	v_cmp_gt_u32_e64 s0, s24, v10
	s_and_saveexec_b32 s1, s0
	s_cbranch_execz .LBB884_43
; %bb.42:
	global_store_dword v[5:6], v9, off offset:1024
.LBB884_43:
	s_or_b32 exec_lo, exec_lo, s1
	v_or_b32_e32 v9, 0x200, v0
	v_cmp_gt_u32_e64 s1, s24, v9
	s_and_saveexec_b32 s3, s1
	s_cbranch_execz .LBB884_45
; %bb.44:
	v_add_co_u32 v9, s2, 0x800, v5
	v_add_co_ci_u32_e64 v10, null, 0, v6, s2
	global_store_dword v[9:10], v8, off
.LBB884_45:
	s_or_b32 exec_lo, exec_lo, s3
	v_or_b32_e32 v0, 0x300, v0
	v_cmp_gt_u32_e64 s3, s24, v0
	s_and_saveexec_b32 s4, s3
	s_cbranch_execz .LBB884_47
; %bb.46:
	v_add_co_u32 v5, s2, 0x800, v5
	v_add_co_ci_u32_e64 v6, null, 0, v6, s2
	global_store_dword v[5:6], v7, off offset:1024
.LBB884_47:
	s_or_b32 exec_lo, exec_lo, s4
	s_add_u32 s2, s18, s20
	s_addc_u32 s4, s19, s21
	v_add_co_u32 v5, s2, s2, v17
	v_add_co_ci_u32_e64 v6, null, s4, 0, s2
	s_and_saveexec_b32 s2, vcc_lo
	s_cbranch_execnz .LBB884_57
; %bb.48:
	s_or_b32 exec_lo, exec_lo, s2
	s_and_saveexec_b32 s2, s0
	s_cbranch_execnz .LBB884_58
.LBB884_49:
	s_or_b32 exec_lo, exec_lo, s2
	s_and_saveexec_b32 s0, s1
	s_cbranch_execz .LBB884_51
.LBB884_50:
	s_waitcnt lgkmcnt(1)
	v_add_co_u32 v3, vcc_lo, 0x800, v5
	v_add_co_ci_u32_e64 v4, null, 0, v6, vcc_lo
	s_waitcnt lgkmcnt(0)
	global_store_dword v[3:4], v1, off
.LBB884_51:
	s_or_b32 exec_lo, exec_lo, s0
.LBB884_52:
	s_and_saveexec_b32 s0, s3
	s_cbranch_execnz .LBB884_54
; %bb.53:
	s_endpgm
.LBB884_54:
	s_add_u32 s0, s18, s20
	s_addc_u32 s1, s19, s21
	v_add_co_u32 v0, s0, s0, v17
	s_waitcnt lgkmcnt(0)
	v_add_co_ci_u32_e64 v1, null, s1, 0, s0
	v_add_co_u32 v0, vcc_lo, 0x800, v0
	v_add_co_ci_u32_e64 v1, null, 0, v1, vcc_lo
	global_store_dword v[0:1], v2, off offset:1024
	s_endpgm
.LBB884_55:
	global_load_dword v18, v[3:4], off
	v_mov_b32_e32 v19, v5
	v_mov_b32_e32 v20, v5
	;; [unrolled: 1-line block ×3, first 2 shown]
	s_waitcnt vmcnt(0)
	v_mov_b32_e32 v5, v18
	v_mov_b32_e32 v6, v19
	;; [unrolled: 1-line block ×4, first 2 shown]
	s_or_b32 exec_lo, exec_lo, s2
	s_and_saveexec_b32 s2, s0
	s_cbranch_execz .LBB884_35
.LBB884_56:
	global_load_dword v6, v[3:4], off offset:128
	s_or_b32 exec_lo, exec_lo, s2
	s_and_saveexec_b32 s0, s1
	s_cbranch_execnz .LBB884_36
	s_branch .LBB884_37
.LBB884_57:
	s_waitcnt lgkmcnt(1)
	global_store_dword v[5:6], v3, off
	s_or_b32 exec_lo, exec_lo, s2
	s_and_saveexec_b32 s2, s0
	s_cbranch_execz .LBB884_49
.LBB884_58:
	s_waitcnt lgkmcnt(1)
	global_store_dword v[5:6], v4, off offset:1024
	s_or_b32 exec_lo, exec_lo, s2
	s_and_saveexec_b32 s0, s1
	s_cbranch_execnz .LBB884_50
	s_branch .LBB884_51
	.section	.rodata,"a",@progbits
	.p2align	6, 0x0
	.amdhsa_kernel _ZN7rocprim17ROCPRIM_400000_NS6detail17trampoline_kernelINS0_13kernel_configILj256ELj4ELj4294967295EEENS1_37radix_sort_block_sort_config_selectorIiiEEZNS1_21radix_sort_block_sortIS4_Lb1EN6thrust23THRUST_200600_302600_NS6detail15normal_iteratorINS9_10device_ptrIiEEEESE_SE_SE_NS0_19identity_decomposerEEE10hipError_tT1_T2_T3_T4_jRjT5_jjP12ihipStream_tbEUlT_E_NS1_11comp_targetILNS1_3genE8ELNS1_11target_archE1030ELNS1_3gpuE2ELNS1_3repE0EEENS1_44radix_sort_block_sort_config_static_selectorELNS0_4arch9wavefront6targetE0EEEvSH_
		.amdhsa_group_segment_fixed_size 8224
		.amdhsa_private_segment_fixed_size 0
		.amdhsa_kernarg_size 304
		.amdhsa_user_sgpr_count 6
		.amdhsa_user_sgpr_private_segment_buffer 1
		.amdhsa_user_sgpr_dispatch_ptr 0
		.amdhsa_user_sgpr_queue_ptr 0
		.amdhsa_user_sgpr_kernarg_segment_ptr 1
		.amdhsa_user_sgpr_dispatch_id 0
		.amdhsa_user_sgpr_flat_scratch_init 0
		.amdhsa_user_sgpr_private_segment_size 0
		.amdhsa_wavefront_size32 1
		.amdhsa_uses_dynamic_stack 0
		.amdhsa_system_sgpr_private_segment_wavefront_offset 0
		.amdhsa_system_sgpr_workgroup_id_x 1
		.amdhsa_system_sgpr_workgroup_id_y 0
		.amdhsa_system_sgpr_workgroup_id_z 0
		.amdhsa_system_sgpr_workgroup_info 0
		.amdhsa_system_vgpr_workitem_id 2
		.amdhsa_next_free_vgpr 42
		.amdhsa_next_free_sgpr 30
		.amdhsa_reserve_vcc 1
		.amdhsa_reserve_flat_scratch 0
		.amdhsa_float_round_mode_32 0
		.amdhsa_float_round_mode_16_64 0
		.amdhsa_float_denorm_mode_32 3
		.amdhsa_float_denorm_mode_16_64 3
		.amdhsa_dx10_clamp 1
		.amdhsa_ieee_mode 1
		.amdhsa_fp16_overflow 0
		.amdhsa_workgroup_processor_mode 1
		.amdhsa_memory_ordered 1
		.amdhsa_forward_progress 1
		.amdhsa_shared_vgpr_count 0
		.amdhsa_exception_fp_ieee_invalid_op 0
		.amdhsa_exception_fp_denorm_src 0
		.amdhsa_exception_fp_ieee_div_zero 0
		.amdhsa_exception_fp_ieee_overflow 0
		.amdhsa_exception_fp_ieee_underflow 0
		.amdhsa_exception_fp_ieee_inexact 0
		.amdhsa_exception_int_div_zero 0
	.end_amdhsa_kernel
	.section	.text._ZN7rocprim17ROCPRIM_400000_NS6detail17trampoline_kernelINS0_13kernel_configILj256ELj4ELj4294967295EEENS1_37radix_sort_block_sort_config_selectorIiiEEZNS1_21radix_sort_block_sortIS4_Lb1EN6thrust23THRUST_200600_302600_NS6detail15normal_iteratorINS9_10device_ptrIiEEEESE_SE_SE_NS0_19identity_decomposerEEE10hipError_tT1_T2_T3_T4_jRjT5_jjP12ihipStream_tbEUlT_E_NS1_11comp_targetILNS1_3genE8ELNS1_11target_archE1030ELNS1_3gpuE2ELNS1_3repE0EEENS1_44radix_sort_block_sort_config_static_selectorELNS0_4arch9wavefront6targetE0EEEvSH_,"axG",@progbits,_ZN7rocprim17ROCPRIM_400000_NS6detail17trampoline_kernelINS0_13kernel_configILj256ELj4ELj4294967295EEENS1_37radix_sort_block_sort_config_selectorIiiEEZNS1_21radix_sort_block_sortIS4_Lb1EN6thrust23THRUST_200600_302600_NS6detail15normal_iteratorINS9_10device_ptrIiEEEESE_SE_SE_NS0_19identity_decomposerEEE10hipError_tT1_T2_T3_T4_jRjT5_jjP12ihipStream_tbEUlT_E_NS1_11comp_targetILNS1_3genE8ELNS1_11target_archE1030ELNS1_3gpuE2ELNS1_3repE0EEENS1_44radix_sort_block_sort_config_static_selectorELNS0_4arch9wavefront6targetE0EEEvSH_,comdat
.Lfunc_end884:
	.size	_ZN7rocprim17ROCPRIM_400000_NS6detail17trampoline_kernelINS0_13kernel_configILj256ELj4ELj4294967295EEENS1_37radix_sort_block_sort_config_selectorIiiEEZNS1_21radix_sort_block_sortIS4_Lb1EN6thrust23THRUST_200600_302600_NS6detail15normal_iteratorINS9_10device_ptrIiEEEESE_SE_SE_NS0_19identity_decomposerEEE10hipError_tT1_T2_T3_T4_jRjT5_jjP12ihipStream_tbEUlT_E_NS1_11comp_targetILNS1_3genE8ELNS1_11target_archE1030ELNS1_3gpuE2ELNS1_3repE0EEENS1_44radix_sort_block_sort_config_static_selectorELNS0_4arch9wavefront6targetE0EEEvSH_, .Lfunc_end884-_ZN7rocprim17ROCPRIM_400000_NS6detail17trampoline_kernelINS0_13kernel_configILj256ELj4ELj4294967295EEENS1_37radix_sort_block_sort_config_selectorIiiEEZNS1_21radix_sort_block_sortIS4_Lb1EN6thrust23THRUST_200600_302600_NS6detail15normal_iteratorINS9_10device_ptrIiEEEESE_SE_SE_NS0_19identity_decomposerEEE10hipError_tT1_T2_T3_T4_jRjT5_jjP12ihipStream_tbEUlT_E_NS1_11comp_targetILNS1_3genE8ELNS1_11target_archE1030ELNS1_3gpuE2ELNS1_3repE0EEENS1_44radix_sort_block_sort_config_static_selectorELNS0_4arch9wavefront6targetE0EEEvSH_
                                        ; -- End function
	.set _ZN7rocprim17ROCPRIM_400000_NS6detail17trampoline_kernelINS0_13kernel_configILj256ELj4ELj4294967295EEENS1_37radix_sort_block_sort_config_selectorIiiEEZNS1_21radix_sort_block_sortIS4_Lb1EN6thrust23THRUST_200600_302600_NS6detail15normal_iteratorINS9_10device_ptrIiEEEESE_SE_SE_NS0_19identity_decomposerEEE10hipError_tT1_T2_T3_T4_jRjT5_jjP12ihipStream_tbEUlT_E_NS1_11comp_targetILNS1_3genE8ELNS1_11target_archE1030ELNS1_3gpuE2ELNS1_3repE0EEENS1_44radix_sort_block_sort_config_static_selectorELNS0_4arch9wavefront6targetE0EEEvSH_.num_vgpr, 42
	.set _ZN7rocprim17ROCPRIM_400000_NS6detail17trampoline_kernelINS0_13kernel_configILj256ELj4ELj4294967295EEENS1_37radix_sort_block_sort_config_selectorIiiEEZNS1_21radix_sort_block_sortIS4_Lb1EN6thrust23THRUST_200600_302600_NS6detail15normal_iteratorINS9_10device_ptrIiEEEESE_SE_SE_NS0_19identity_decomposerEEE10hipError_tT1_T2_T3_T4_jRjT5_jjP12ihipStream_tbEUlT_E_NS1_11comp_targetILNS1_3genE8ELNS1_11target_archE1030ELNS1_3gpuE2ELNS1_3repE0EEENS1_44radix_sort_block_sort_config_static_selectorELNS0_4arch9wavefront6targetE0EEEvSH_.num_agpr, 0
	.set _ZN7rocprim17ROCPRIM_400000_NS6detail17trampoline_kernelINS0_13kernel_configILj256ELj4ELj4294967295EEENS1_37radix_sort_block_sort_config_selectorIiiEEZNS1_21radix_sort_block_sortIS4_Lb1EN6thrust23THRUST_200600_302600_NS6detail15normal_iteratorINS9_10device_ptrIiEEEESE_SE_SE_NS0_19identity_decomposerEEE10hipError_tT1_T2_T3_T4_jRjT5_jjP12ihipStream_tbEUlT_E_NS1_11comp_targetILNS1_3genE8ELNS1_11target_archE1030ELNS1_3gpuE2ELNS1_3repE0EEENS1_44radix_sort_block_sort_config_static_selectorELNS0_4arch9wavefront6targetE0EEEvSH_.numbered_sgpr, 30
	.set _ZN7rocprim17ROCPRIM_400000_NS6detail17trampoline_kernelINS0_13kernel_configILj256ELj4ELj4294967295EEENS1_37radix_sort_block_sort_config_selectorIiiEEZNS1_21radix_sort_block_sortIS4_Lb1EN6thrust23THRUST_200600_302600_NS6detail15normal_iteratorINS9_10device_ptrIiEEEESE_SE_SE_NS0_19identity_decomposerEEE10hipError_tT1_T2_T3_T4_jRjT5_jjP12ihipStream_tbEUlT_E_NS1_11comp_targetILNS1_3genE8ELNS1_11target_archE1030ELNS1_3gpuE2ELNS1_3repE0EEENS1_44radix_sort_block_sort_config_static_selectorELNS0_4arch9wavefront6targetE0EEEvSH_.num_named_barrier, 0
	.set _ZN7rocprim17ROCPRIM_400000_NS6detail17trampoline_kernelINS0_13kernel_configILj256ELj4ELj4294967295EEENS1_37radix_sort_block_sort_config_selectorIiiEEZNS1_21radix_sort_block_sortIS4_Lb1EN6thrust23THRUST_200600_302600_NS6detail15normal_iteratorINS9_10device_ptrIiEEEESE_SE_SE_NS0_19identity_decomposerEEE10hipError_tT1_T2_T3_T4_jRjT5_jjP12ihipStream_tbEUlT_E_NS1_11comp_targetILNS1_3genE8ELNS1_11target_archE1030ELNS1_3gpuE2ELNS1_3repE0EEENS1_44radix_sort_block_sort_config_static_selectorELNS0_4arch9wavefront6targetE0EEEvSH_.private_seg_size, 0
	.set _ZN7rocprim17ROCPRIM_400000_NS6detail17trampoline_kernelINS0_13kernel_configILj256ELj4ELj4294967295EEENS1_37radix_sort_block_sort_config_selectorIiiEEZNS1_21radix_sort_block_sortIS4_Lb1EN6thrust23THRUST_200600_302600_NS6detail15normal_iteratorINS9_10device_ptrIiEEEESE_SE_SE_NS0_19identity_decomposerEEE10hipError_tT1_T2_T3_T4_jRjT5_jjP12ihipStream_tbEUlT_E_NS1_11comp_targetILNS1_3genE8ELNS1_11target_archE1030ELNS1_3gpuE2ELNS1_3repE0EEENS1_44radix_sort_block_sort_config_static_selectorELNS0_4arch9wavefront6targetE0EEEvSH_.uses_vcc, 1
	.set _ZN7rocprim17ROCPRIM_400000_NS6detail17trampoline_kernelINS0_13kernel_configILj256ELj4ELj4294967295EEENS1_37radix_sort_block_sort_config_selectorIiiEEZNS1_21radix_sort_block_sortIS4_Lb1EN6thrust23THRUST_200600_302600_NS6detail15normal_iteratorINS9_10device_ptrIiEEEESE_SE_SE_NS0_19identity_decomposerEEE10hipError_tT1_T2_T3_T4_jRjT5_jjP12ihipStream_tbEUlT_E_NS1_11comp_targetILNS1_3genE8ELNS1_11target_archE1030ELNS1_3gpuE2ELNS1_3repE0EEENS1_44radix_sort_block_sort_config_static_selectorELNS0_4arch9wavefront6targetE0EEEvSH_.uses_flat_scratch, 0
	.set _ZN7rocprim17ROCPRIM_400000_NS6detail17trampoline_kernelINS0_13kernel_configILj256ELj4ELj4294967295EEENS1_37radix_sort_block_sort_config_selectorIiiEEZNS1_21radix_sort_block_sortIS4_Lb1EN6thrust23THRUST_200600_302600_NS6detail15normal_iteratorINS9_10device_ptrIiEEEESE_SE_SE_NS0_19identity_decomposerEEE10hipError_tT1_T2_T3_T4_jRjT5_jjP12ihipStream_tbEUlT_E_NS1_11comp_targetILNS1_3genE8ELNS1_11target_archE1030ELNS1_3gpuE2ELNS1_3repE0EEENS1_44radix_sort_block_sort_config_static_selectorELNS0_4arch9wavefront6targetE0EEEvSH_.has_dyn_sized_stack, 0
	.set _ZN7rocprim17ROCPRIM_400000_NS6detail17trampoline_kernelINS0_13kernel_configILj256ELj4ELj4294967295EEENS1_37radix_sort_block_sort_config_selectorIiiEEZNS1_21radix_sort_block_sortIS4_Lb1EN6thrust23THRUST_200600_302600_NS6detail15normal_iteratorINS9_10device_ptrIiEEEESE_SE_SE_NS0_19identity_decomposerEEE10hipError_tT1_T2_T3_T4_jRjT5_jjP12ihipStream_tbEUlT_E_NS1_11comp_targetILNS1_3genE8ELNS1_11target_archE1030ELNS1_3gpuE2ELNS1_3repE0EEENS1_44radix_sort_block_sort_config_static_selectorELNS0_4arch9wavefront6targetE0EEEvSH_.has_recursion, 0
	.set _ZN7rocprim17ROCPRIM_400000_NS6detail17trampoline_kernelINS0_13kernel_configILj256ELj4ELj4294967295EEENS1_37radix_sort_block_sort_config_selectorIiiEEZNS1_21radix_sort_block_sortIS4_Lb1EN6thrust23THRUST_200600_302600_NS6detail15normal_iteratorINS9_10device_ptrIiEEEESE_SE_SE_NS0_19identity_decomposerEEE10hipError_tT1_T2_T3_T4_jRjT5_jjP12ihipStream_tbEUlT_E_NS1_11comp_targetILNS1_3genE8ELNS1_11target_archE1030ELNS1_3gpuE2ELNS1_3repE0EEENS1_44radix_sort_block_sort_config_static_selectorELNS0_4arch9wavefront6targetE0EEEvSH_.has_indirect_call, 0
	.section	.AMDGPU.csdata,"",@progbits
; Kernel info:
; codeLenInByte = 3796
; TotalNumSgprs: 32
; NumVgprs: 42
; ScratchSize: 0
; MemoryBound: 0
; FloatMode: 240
; IeeeMode: 1
; LDSByteSize: 8224 bytes/workgroup (compile time only)
; SGPRBlocks: 0
; VGPRBlocks: 5
; NumSGPRsForWavesPerEU: 32
; NumVGPRsForWavesPerEU: 42
; Occupancy: 16
; WaveLimiterHint : 1
; COMPUTE_PGM_RSRC2:SCRATCH_EN: 0
; COMPUTE_PGM_RSRC2:USER_SGPR: 6
; COMPUTE_PGM_RSRC2:TRAP_HANDLER: 0
; COMPUTE_PGM_RSRC2:TGID_X_EN: 1
; COMPUTE_PGM_RSRC2:TGID_Y_EN: 0
; COMPUTE_PGM_RSRC2:TGID_Z_EN: 0
; COMPUTE_PGM_RSRC2:TIDIG_COMP_CNT: 2
	.section	.text._ZN7rocprim17ROCPRIM_400000_NS6detail17trampoline_kernelINS0_14default_configENS1_38merge_sort_block_merge_config_selectorIiiEEZZNS1_27merge_sort_block_merge_implIS3_N6thrust23THRUST_200600_302600_NS6detail15normal_iteratorINS8_10device_ptrIiEEEESD_jNS1_19radix_merge_compareILb1ELb0EiNS0_19identity_decomposerEEEEE10hipError_tT0_T1_T2_jT3_P12ihipStream_tbPNSt15iterator_traitsISI_E10value_typeEPNSO_ISJ_E10value_typeEPSK_NS1_7vsmem_tEENKUlT_SI_SJ_SK_E_clIPiSD_S10_SD_EESH_SX_SI_SJ_SK_EUlSX_E_NS1_11comp_targetILNS1_3genE0ELNS1_11target_archE4294967295ELNS1_3gpuE0ELNS1_3repE0EEENS1_48merge_mergepath_partition_config_static_selectorELNS0_4arch9wavefront6targetE0EEEvSJ_,"axG",@progbits,_ZN7rocprim17ROCPRIM_400000_NS6detail17trampoline_kernelINS0_14default_configENS1_38merge_sort_block_merge_config_selectorIiiEEZZNS1_27merge_sort_block_merge_implIS3_N6thrust23THRUST_200600_302600_NS6detail15normal_iteratorINS8_10device_ptrIiEEEESD_jNS1_19radix_merge_compareILb1ELb0EiNS0_19identity_decomposerEEEEE10hipError_tT0_T1_T2_jT3_P12ihipStream_tbPNSt15iterator_traitsISI_E10value_typeEPNSO_ISJ_E10value_typeEPSK_NS1_7vsmem_tEENKUlT_SI_SJ_SK_E_clIPiSD_S10_SD_EESH_SX_SI_SJ_SK_EUlSX_E_NS1_11comp_targetILNS1_3genE0ELNS1_11target_archE4294967295ELNS1_3gpuE0ELNS1_3repE0EEENS1_48merge_mergepath_partition_config_static_selectorELNS0_4arch9wavefront6targetE0EEEvSJ_,comdat
	.protected	_ZN7rocprim17ROCPRIM_400000_NS6detail17trampoline_kernelINS0_14default_configENS1_38merge_sort_block_merge_config_selectorIiiEEZZNS1_27merge_sort_block_merge_implIS3_N6thrust23THRUST_200600_302600_NS6detail15normal_iteratorINS8_10device_ptrIiEEEESD_jNS1_19radix_merge_compareILb1ELb0EiNS0_19identity_decomposerEEEEE10hipError_tT0_T1_T2_jT3_P12ihipStream_tbPNSt15iterator_traitsISI_E10value_typeEPNSO_ISJ_E10value_typeEPSK_NS1_7vsmem_tEENKUlT_SI_SJ_SK_E_clIPiSD_S10_SD_EESH_SX_SI_SJ_SK_EUlSX_E_NS1_11comp_targetILNS1_3genE0ELNS1_11target_archE4294967295ELNS1_3gpuE0ELNS1_3repE0EEENS1_48merge_mergepath_partition_config_static_selectorELNS0_4arch9wavefront6targetE0EEEvSJ_ ; -- Begin function _ZN7rocprim17ROCPRIM_400000_NS6detail17trampoline_kernelINS0_14default_configENS1_38merge_sort_block_merge_config_selectorIiiEEZZNS1_27merge_sort_block_merge_implIS3_N6thrust23THRUST_200600_302600_NS6detail15normal_iteratorINS8_10device_ptrIiEEEESD_jNS1_19radix_merge_compareILb1ELb0EiNS0_19identity_decomposerEEEEE10hipError_tT0_T1_T2_jT3_P12ihipStream_tbPNSt15iterator_traitsISI_E10value_typeEPNSO_ISJ_E10value_typeEPSK_NS1_7vsmem_tEENKUlT_SI_SJ_SK_E_clIPiSD_S10_SD_EESH_SX_SI_SJ_SK_EUlSX_E_NS1_11comp_targetILNS1_3genE0ELNS1_11target_archE4294967295ELNS1_3gpuE0ELNS1_3repE0EEENS1_48merge_mergepath_partition_config_static_selectorELNS0_4arch9wavefront6targetE0EEEvSJ_
	.globl	_ZN7rocprim17ROCPRIM_400000_NS6detail17trampoline_kernelINS0_14default_configENS1_38merge_sort_block_merge_config_selectorIiiEEZZNS1_27merge_sort_block_merge_implIS3_N6thrust23THRUST_200600_302600_NS6detail15normal_iteratorINS8_10device_ptrIiEEEESD_jNS1_19radix_merge_compareILb1ELb0EiNS0_19identity_decomposerEEEEE10hipError_tT0_T1_T2_jT3_P12ihipStream_tbPNSt15iterator_traitsISI_E10value_typeEPNSO_ISJ_E10value_typeEPSK_NS1_7vsmem_tEENKUlT_SI_SJ_SK_E_clIPiSD_S10_SD_EESH_SX_SI_SJ_SK_EUlSX_E_NS1_11comp_targetILNS1_3genE0ELNS1_11target_archE4294967295ELNS1_3gpuE0ELNS1_3repE0EEENS1_48merge_mergepath_partition_config_static_selectorELNS0_4arch9wavefront6targetE0EEEvSJ_
	.p2align	8
	.type	_ZN7rocprim17ROCPRIM_400000_NS6detail17trampoline_kernelINS0_14default_configENS1_38merge_sort_block_merge_config_selectorIiiEEZZNS1_27merge_sort_block_merge_implIS3_N6thrust23THRUST_200600_302600_NS6detail15normal_iteratorINS8_10device_ptrIiEEEESD_jNS1_19radix_merge_compareILb1ELb0EiNS0_19identity_decomposerEEEEE10hipError_tT0_T1_T2_jT3_P12ihipStream_tbPNSt15iterator_traitsISI_E10value_typeEPNSO_ISJ_E10value_typeEPSK_NS1_7vsmem_tEENKUlT_SI_SJ_SK_E_clIPiSD_S10_SD_EESH_SX_SI_SJ_SK_EUlSX_E_NS1_11comp_targetILNS1_3genE0ELNS1_11target_archE4294967295ELNS1_3gpuE0ELNS1_3repE0EEENS1_48merge_mergepath_partition_config_static_selectorELNS0_4arch9wavefront6targetE0EEEvSJ_,@function
_ZN7rocprim17ROCPRIM_400000_NS6detail17trampoline_kernelINS0_14default_configENS1_38merge_sort_block_merge_config_selectorIiiEEZZNS1_27merge_sort_block_merge_implIS3_N6thrust23THRUST_200600_302600_NS6detail15normal_iteratorINS8_10device_ptrIiEEEESD_jNS1_19radix_merge_compareILb1ELb0EiNS0_19identity_decomposerEEEEE10hipError_tT0_T1_T2_jT3_P12ihipStream_tbPNSt15iterator_traitsISI_E10value_typeEPNSO_ISJ_E10value_typeEPSK_NS1_7vsmem_tEENKUlT_SI_SJ_SK_E_clIPiSD_S10_SD_EESH_SX_SI_SJ_SK_EUlSX_E_NS1_11comp_targetILNS1_3genE0ELNS1_11target_archE4294967295ELNS1_3gpuE0ELNS1_3repE0EEENS1_48merge_mergepath_partition_config_static_selectorELNS0_4arch9wavefront6targetE0EEEvSJ_: ; @_ZN7rocprim17ROCPRIM_400000_NS6detail17trampoline_kernelINS0_14default_configENS1_38merge_sort_block_merge_config_selectorIiiEEZZNS1_27merge_sort_block_merge_implIS3_N6thrust23THRUST_200600_302600_NS6detail15normal_iteratorINS8_10device_ptrIiEEEESD_jNS1_19radix_merge_compareILb1ELb0EiNS0_19identity_decomposerEEEEE10hipError_tT0_T1_T2_jT3_P12ihipStream_tbPNSt15iterator_traitsISI_E10value_typeEPNSO_ISJ_E10value_typeEPSK_NS1_7vsmem_tEENKUlT_SI_SJ_SK_E_clIPiSD_S10_SD_EESH_SX_SI_SJ_SK_EUlSX_E_NS1_11comp_targetILNS1_3genE0ELNS1_11target_archE4294967295ELNS1_3gpuE0ELNS1_3repE0EEENS1_48merge_mergepath_partition_config_static_selectorELNS0_4arch9wavefront6targetE0EEEvSJ_
; %bb.0:
	.section	.rodata,"a",@progbits
	.p2align	6, 0x0
	.amdhsa_kernel _ZN7rocprim17ROCPRIM_400000_NS6detail17trampoline_kernelINS0_14default_configENS1_38merge_sort_block_merge_config_selectorIiiEEZZNS1_27merge_sort_block_merge_implIS3_N6thrust23THRUST_200600_302600_NS6detail15normal_iteratorINS8_10device_ptrIiEEEESD_jNS1_19radix_merge_compareILb1ELb0EiNS0_19identity_decomposerEEEEE10hipError_tT0_T1_T2_jT3_P12ihipStream_tbPNSt15iterator_traitsISI_E10value_typeEPNSO_ISJ_E10value_typeEPSK_NS1_7vsmem_tEENKUlT_SI_SJ_SK_E_clIPiSD_S10_SD_EESH_SX_SI_SJ_SK_EUlSX_E_NS1_11comp_targetILNS1_3genE0ELNS1_11target_archE4294967295ELNS1_3gpuE0ELNS1_3repE0EEENS1_48merge_mergepath_partition_config_static_selectorELNS0_4arch9wavefront6targetE0EEEvSJ_
		.amdhsa_group_segment_fixed_size 0
		.amdhsa_private_segment_fixed_size 0
		.amdhsa_kernarg_size 40
		.amdhsa_user_sgpr_count 6
		.amdhsa_user_sgpr_private_segment_buffer 1
		.amdhsa_user_sgpr_dispatch_ptr 0
		.amdhsa_user_sgpr_queue_ptr 0
		.amdhsa_user_sgpr_kernarg_segment_ptr 1
		.amdhsa_user_sgpr_dispatch_id 0
		.amdhsa_user_sgpr_flat_scratch_init 0
		.amdhsa_user_sgpr_private_segment_size 0
		.amdhsa_wavefront_size32 1
		.amdhsa_uses_dynamic_stack 0
		.amdhsa_system_sgpr_private_segment_wavefront_offset 0
		.amdhsa_system_sgpr_workgroup_id_x 1
		.amdhsa_system_sgpr_workgroup_id_y 0
		.amdhsa_system_sgpr_workgroup_id_z 0
		.amdhsa_system_sgpr_workgroup_info 0
		.amdhsa_system_vgpr_workitem_id 0
		.amdhsa_next_free_vgpr 1
		.amdhsa_next_free_sgpr 1
		.amdhsa_reserve_vcc 0
		.amdhsa_reserve_flat_scratch 0
		.amdhsa_float_round_mode_32 0
		.amdhsa_float_round_mode_16_64 0
		.amdhsa_float_denorm_mode_32 3
		.amdhsa_float_denorm_mode_16_64 3
		.amdhsa_dx10_clamp 1
		.amdhsa_ieee_mode 1
		.amdhsa_fp16_overflow 0
		.amdhsa_workgroup_processor_mode 1
		.amdhsa_memory_ordered 1
		.amdhsa_forward_progress 1
		.amdhsa_shared_vgpr_count 0
		.amdhsa_exception_fp_ieee_invalid_op 0
		.amdhsa_exception_fp_denorm_src 0
		.amdhsa_exception_fp_ieee_div_zero 0
		.amdhsa_exception_fp_ieee_overflow 0
		.amdhsa_exception_fp_ieee_underflow 0
		.amdhsa_exception_fp_ieee_inexact 0
		.amdhsa_exception_int_div_zero 0
	.end_amdhsa_kernel
	.section	.text._ZN7rocprim17ROCPRIM_400000_NS6detail17trampoline_kernelINS0_14default_configENS1_38merge_sort_block_merge_config_selectorIiiEEZZNS1_27merge_sort_block_merge_implIS3_N6thrust23THRUST_200600_302600_NS6detail15normal_iteratorINS8_10device_ptrIiEEEESD_jNS1_19radix_merge_compareILb1ELb0EiNS0_19identity_decomposerEEEEE10hipError_tT0_T1_T2_jT3_P12ihipStream_tbPNSt15iterator_traitsISI_E10value_typeEPNSO_ISJ_E10value_typeEPSK_NS1_7vsmem_tEENKUlT_SI_SJ_SK_E_clIPiSD_S10_SD_EESH_SX_SI_SJ_SK_EUlSX_E_NS1_11comp_targetILNS1_3genE0ELNS1_11target_archE4294967295ELNS1_3gpuE0ELNS1_3repE0EEENS1_48merge_mergepath_partition_config_static_selectorELNS0_4arch9wavefront6targetE0EEEvSJ_,"axG",@progbits,_ZN7rocprim17ROCPRIM_400000_NS6detail17trampoline_kernelINS0_14default_configENS1_38merge_sort_block_merge_config_selectorIiiEEZZNS1_27merge_sort_block_merge_implIS3_N6thrust23THRUST_200600_302600_NS6detail15normal_iteratorINS8_10device_ptrIiEEEESD_jNS1_19radix_merge_compareILb1ELb0EiNS0_19identity_decomposerEEEEE10hipError_tT0_T1_T2_jT3_P12ihipStream_tbPNSt15iterator_traitsISI_E10value_typeEPNSO_ISJ_E10value_typeEPSK_NS1_7vsmem_tEENKUlT_SI_SJ_SK_E_clIPiSD_S10_SD_EESH_SX_SI_SJ_SK_EUlSX_E_NS1_11comp_targetILNS1_3genE0ELNS1_11target_archE4294967295ELNS1_3gpuE0ELNS1_3repE0EEENS1_48merge_mergepath_partition_config_static_selectorELNS0_4arch9wavefront6targetE0EEEvSJ_,comdat
.Lfunc_end885:
	.size	_ZN7rocprim17ROCPRIM_400000_NS6detail17trampoline_kernelINS0_14default_configENS1_38merge_sort_block_merge_config_selectorIiiEEZZNS1_27merge_sort_block_merge_implIS3_N6thrust23THRUST_200600_302600_NS6detail15normal_iteratorINS8_10device_ptrIiEEEESD_jNS1_19radix_merge_compareILb1ELb0EiNS0_19identity_decomposerEEEEE10hipError_tT0_T1_T2_jT3_P12ihipStream_tbPNSt15iterator_traitsISI_E10value_typeEPNSO_ISJ_E10value_typeEPSK_NS1_7vsmem_tEENKUlT_SI_SJ_SK_E_clIPiSD_S10_SD_EESH_SX_SI_SJ_SK_EUlSX_E_NS1_11comp_targetILNS1_3genE0ELNS1_11target_archE4294967295ELNS1_3gpuE0ELNS1_3repE0EEENS1_48merge_mergepath_partition_config_static_selectorELNS0_4arch9wavefront6targetE0EEEvSJ_, .Lfunc_end885-_ZN7rocprim17ROCPRIM_400000_NS6detail17trampoline_kernelINS0_14default_configENS1_38merge_sort_block_merge_config_selectorIiiEEZZNS1_27merge_sort_block_merge_implIS3_N6thrust23THRUST_200600_302600_NS6detail15normal_iteratorINS8_10device_ptrIiEEEESD_jNS1_19radix_merge_compareILb1ELb0EiNS0_19identity_decomposerEEEEE10hipError_tT0_T1_T2_jT3_P12ihipStream_tbPNSt15iterator_traitsISI_E10value_typeEPNSO_ISJ_E10value_typeEPSK_NS1_7vsmem_tEENKUlT_SI_SJ_SK_E_clIPiSD_S10_SD_EESH_SX_SI_SJ_SK_EUlSX_E_NS1_11comp_targetILNS1_3genE0ELNS1_11target_archE4294967295ELNS1_3gpuE0ELNS1_3repE0EEENS1_48merge_mergepath_partition_config_static_selectorELNS0_4arch9wavefront6targetE0EEEvSJ_
                                        ; -- End function
	.set _ZN7rocprim17ROCPRIM_400000_NS6detail17trampoline_kernelINS0_14default_configENS1_38merge_sort_block_merge_config_selectorIiiEEZZNS1_27merge_sort_block_merge_implIS3_N6thrust23THRUST_200600_302600_NS6detail15normal_iteratorINS8_10device_ptrIiEEEESD_jNS1_19radix_merge_compareILb1ELb0EiNS0_19identity_decomposerEEEEE10hipError_tT0_T1_T2_jT3_P12ihipStream_tbPNSt15iterator_traitsISI_E10value_typeEPNSO_ISJ_E10value_typeEPSK_NS1_7vsmem_tEENKUlT_SI_SJ_SK_E_clIPiSD_S10_SD_EESH_SX_SI_SJ_SK_EUlSX_E_NS1_11comp_targetILNS1_3genE0ELNS1_11target_archE4294967295ELNS1_3gpuE0ELNS1_3repE0EEENS1_48merge_mergepath_partition_config_static_selectorELNS0_4arch9wavefront6targetE0EEEvSJ_.num_vgpr, 0
	.set _ZN7rocprim17ROCPRIM_400000_NS6detail17trampoline_kernelINS0_14default_configENS1_38merge_sort_block_merge_config_selectorIiiEEZZNS1_27merge_sort_block_merge_implIS3_N6thrust23THRUST_200600_302600_NS6detail15normal_iteratorINS8_10device_ptrIiEEEESD_jNS1_19radix_merge_compareILb1ELb0EiNS0_19identity_decomposerEEEEE10hipError_tT0_T1_T2_jT3_P12ihipStream_tbPNSt15iterator_traitsISI_E10value_typeEPNSO_ISJ_E10value_typeEPSK_NS1_7vsmem_tEENKUlT_SI_SJ_SK_E_clIPiSD_S10_SD_EESH_SX_SI_SJ_SK_EUlSX_E_NS1_11comp_targetILNS1_3genE0ELNS1_11target_archE4294967295ELNS1_3gpuE0ELNS1_3repE0EEENS1_48merge_mergepath_partition_config_static_selectorELNS0_4arch9wavefront6targetE0EEEvSJ_.num_agpr, 0
	.set _ZN7rocprim17ROCPRIM_400000_NS6detail17trampoline_kernelINS0_14default_configENS1_38merge_sort_block_merge_config_selectorIiiEEZZNS1_27merge_sort_block_merge_implIS3_N6thrust23THRUST_200600_302600_NS6detail15normal_iteratorINS8_10device_ptrIiEEEESD_jNS1_19radix_merge_compareILb1ELb0EiNS0_19identity_decomposerEEEEE10hipError_tT0_T1_T2_jT3_P12ihipStream_tbPNSt15iterator_traitsISI_E10value_typeEPNSO_ISJ_E10value_typeEPSK_NS1_7vsmem_tEENKUlT_SI_SJ_SK_E_clIPiSD_S10_SD_EESH_SX_SI_SJ_SK_EUlSX_E_NS1_11comp_targetILNS1_3genE0ELNS1_11target_archE4294967295ELNS1_3gpuE0ELNS1_3repE0EEENS1_48merge_mergepath_partition_config_static_selectorELNS0_4arch9wavefront6targetE0EEEvSJ_.numbered_sgpr, 0
	.set _ZN7rocprim17ROCPRIM_400000_NS6detail17trampoline_kernelINS0_14default_configENS1_38merge_sort_block_merge_config_selectorIiiEEZZNS1_27merge_sort_block_merge_implIS3_N6thrust23THRUST_200600_302600_NS6detail15normal_iteratorINS8_10device_ptrIiEEEESD_jNS1_19radix_merge_compareILb1ELb0EiNS0_19identity_decomposerEEEEE10hipError_tT0_T1_T2_jT3_P12ihipStream_tbPNSt15iterator_traitsISI_E10value_typeEPNSO_ISJ_E10value_typeEPSK_NS1_7vsmem_tEENKUlT_SI_SJ_SK_E_clIPiSD_S10_SD_EESH_SX_SI_SJ_SK_EUlSX_E_NS1_11comp_targetILNS1_3genE0ELNS1_11target_archE4294967295ELNS1_3gpuE0ELNS1_3repE0EEENS1_48merge_mergepath_partition_config_static_selectorELNS0_4arch9wavefront6targetE0EEEvSJ_.num_named_barrier, 0
	.set _ZN7rocprim17ROCPRIM_400000_NS6detail17trampoline_kernelINS0_14default_configENS1_38merge_sort_block_merge_config_selectorIiiEEZZNS1_27merge_sort_block_merge_implIS3_N6thrust23THRUST_200600_302600_NS6detail15normal_iteratorINS8_10device_ptrIiEEEESD_jNS1_19radix_merge_compareILb1ELb0EiNS0_19identity_decomposerEEEEE10hipError_tT0_T1_T2_jT3_P12ihipStream_tbPNSt15iterator_traitsISI_E10value_typeEPNSO_ISJ_E10value_typeEPSK_NS1_7vsmem_tEENKUlT_SI_SJ_SK_E_clIPiSD_S10_SD_EESH_SX_SI_SJ_SK_EUlSX_E_NS1_11comp_targetILNS1_3genE0ELNS1_11target_archE4294967295ELNS1_3gpuE0ELNS1_3repE0EEENS1_48merge_mergepath_partition_config_static_selectorELNS0_4arch9wavefront6targetE0EEEvSJ_.private_seg_size, 0
	.set _ZN7rocprim17ROCPRIM_400000_NS6detail17trampoline_kernelINS0_14default_configENS1_38merge_sort_block_merge_config_selectorIiiEEZZNS1_27merge_sort_block_merge_implIS3_N6thrust23THRUST_200600_302600_NS6detail15normal_iteratorINS8_10device_ptrIiEEEESD_jNS1_19radix_merge_compareILb1ELb0EiNS0_19identity_decomposerEEEEE10hipError_tT0_T1_T2_jT3_P12ihipStream_tbPNSt15iterator_traitsISI_E10value_typeEPNSO_ISJ_E10value_typeEPSK_NS1_7vsmem_tEENKUlT_SI_SJ_SK_E_clIPiSD_S10_SD_EESH_SX_SI_SJ_SK_EUlSX_E_NS1_11comp_targetILNS1_3genE0ELNS1_11target_archE4294967295ELNS1_3gpuE0ELNS1_3repE0EEENS1_48merge_mergepath_partition_config_static_selectorELNS0_4arch9wavefront6targetE0EEEvSJ_.uses_vcc, 0
	.set _ZN7rocprim17ROCPRIM_400000_NS6detail17trampoline_kernelINS0_14default_configENS1_38merge_sort_block_merge_config_selectorIiiEEZZNS1_27merge_sort_block_merge_implIS3_N6thrust23THRUST_200600_302600_NS6detail15normal_iteratorINS8_10device_ptrIiEEEESD_jNS1_19radix_merge_compareILb1ELb0EiNS0_19identity_decomposerEEEEE10hipError_tT0_T1_T2_jT3_P12ihipStream_tbPNSt15iterator_traitsISI_E10value_typeEPNSO_ISJ_E10value_typeEPSK_NS1_7vsmem_tEENKUlT_SI_SJ_SK_E_clIPiSD_S10_SD_EESH_SX_SI_SJ_SK_EUlSX_E_NS1_11comp_targetILNS1_3genE0ELNS1_11target_archE4294967295ELNS1_3gpuE0ELNS1_3repE0EEENS1_48merge_mergepath_partition_config_static_selectorELNS0_4arch9wavefront6targetE0EEEvSJ_.uses_flat_scratch, 0
	.set _ZN7rocprim17ROCPRIM_400000_NS6detail17trampoline_kernelINS0_14default_configENS1_38merge_sort_block_merge_config_selectorIiiEEZZNS1_27merge_sort_block_merge_implIS3_N6thrust23THRUST_200600_302600_NS6detail15normal_iteratorINS8_10device_ptrIiEEEESD_jNS1_19radix_merge_compareILb1ELb0EiNS0_19identity_decomposerEEEEE10hipError_tT0_T1_T2_jT3_P12ihipStream_tbPNSt15iterator_traitsISI_E10value_typeEPNSO_ISJ_E10value_typeEPSK_NS1_7vsmem_tEENKUlT_SI_SJ_SK_E_clIPiSD_S10_SD_EESH_SX_SI_SJ_SK_EUlSX_E_NS1_11comp_targetILNS1_3genE0ELNS1_11target_archE4294967295ELNS1_3gpuE0ELNS1_3repE0EEENS1_48merge_mergepath_partition_config_static_selectorELNS0_4arch9wavefront6targetE0EEEvSJ_.has_dyn_sized_stack, 0
	.set _ZN7rocprim17ROCPRIM_400000_NS6detail17trampoline_kernelINS0_14default_configENS1_38merge_sort_block_merge_config_selectorIiiEEZZNS1_27merge_sort_block_merge_implIS3_N6thrust23THRUST_200600_302600_NS6detail15normal_iteratorINS8_10device_ptrIiEEEESD_jNS1_19radix_merge_compareILb1ELb0EiNS0_19identity_decomposerEEEEE10hipError_tT0_T1_T2_jT3_P12ihipStream_tbPNSt15iterator_traitsISI_E10value_typeEPNSO_ISJ_E10value_typeEPSK_NS1_7vsmem_tEENKUlT_SI_SJ_SK_E_clIPiSD_S10_SD_EESH_SX_SI_SJ_SK_EUlSX_E_NS1_11comp_targetILNS1_3genE0ELNS1_11target_archE4294967295ELNS1_3gpuE0ELNS1_3repE0EEENS1_48merge_mergepath_partition_config_static_selectorELNS0_4arch9wavefront6targetE0EEEvSJ_.has_recursion, 0
	.set _ZN7rocprim17ROCPRIM_400000_NS6detail17trampoline_kernelINS0_14default_configENS1_38merge_sort_block_merge_config_selectorIiiEEZZNS1_27merge_sort_block_merge_implIS3_N6thrust23THRUST_200600_302600_NS6detail15normal_iteratorINS8_10device_ptrIiEEEESD_jNS1_19radix_merge_compareILb1ELb0EiNS0_19identity_decomposerEEEEE10hipError_tT0_T1_T2_jT3_P12ihipStream_tbPNSt15iterator_traitsISI_E10value_typeEPNSO_ISJ_E10value_typeEPSK_NS1_7vsmem_tEENKUlT_SI_SJ_SK_E_clIPiSD_S10_SD_EESH_SX_SI_SJ_SK_EUlSX_E_NS1_11comp_targetILNS1_3genE0ELNS1_11target_archE4294967295ELNS1_3gpuE0ELNS1_3repE0EEENS1_48merge_mergepath_partition_config_static_selectorELNS0_4arch9wavefront6targetE0EEEvSJ_.has_indirect_call, 0
	.section	.AMDGPU.csdata,"",@progbits
; Kernel info:
; codeLenInByte = 0
; TotalNumSgprs: 0
; NumVgprs: 0
; ScratchSize: 0
; MemoryBound: 0
; FloatMode: 240
; IeeeMode: 1
; LDSByteSize: 0 bytes/workgroup (compile time only)
; SGPRBlocks: 0
; VGPRBlocks: 0
; NumSGPRsForWavesPerEU: 1
; NumVGPRsForWavesPerEU: 1
; Occupancy: 16
; WaveLimiterHint : 0
; COMPUTE_PGM_RSRC2:SCRATCH_EN: 0
; COMPUTE_PGM_RSRC2:USER_SGPR: 6
; COMPUTE_PGM_RSRC2:TRAP_HANDLER: 0
; COMPUTE_PGM_RSRC2:TGID_X_EN: 1
; COMPUTE_PGM_RSRC2:TGID_Y_EN: 0
; COMPUTE_PGM_RSRC2:TGID_Z_EN: 0
; COMPUTE_PGM_RSRC2:TIDIG_COMP_CNT: 0
	.section	.text._ZN7rocprim17ROCPRIM_400000_NS6detail17trampoline_kernelINS0_14default_configENS1_38merge_sort_block_merge_config_selectorIiiEEZZNS1_27merge_sort_block_merge_implIS3_N6thrust23THRUST_200600_302600_NS6detail15normal_iteratorINS8_10device_ptrIiEEEESD_jNS1_19radix_merge_compareILb1ELb0EiNS0_19identity_decomposerEEEEE10hipError_tT0_T1_T2_jT3_P12ihipStream_tbPNSt15iterator_traitsISI_E10value_typeEPNSO_ISJ_E10value_typeEPSK_NS1_7vsmem_tEENKUlT_SI_SJ_SK_E_clIPiSD_S10_SD_EESH_SX_SI_SJ_SK_EUlSX_E_NS1_11comp_targetILNS1_3genE10ELNS1_11target_archE1201ELNS1_3gpuE5ELNS1_3repE0EEENS1_48merge_mergepath_partition_config_static_selectorELNS0_4arch9wavefront6targetE0EEEvSJ_,"axG",@progbits,_ZN7rocprim17ROCPRIM_400000_NS6detail17trampoline_kernelINS0_14default_configENS1_38merge_sort_block_merge_config_selectorIiiEEZZNS1_27merge_sort_block_merge_implIS3_N6thrust23THRUST_200600_302600_NS6detail15normal_iteratorINS8_10device_ptrIiEEEESD_jNS1_19radix_merge_compareILb1ELb0EiNS0_19identity_decomposerEEEEE10hipError_tT0_T1_T2_jT3_P12ihipStream_tbPNSt15iterator_traitsISI_E10value_typeEPNSO_ISJ_E10value_typeEPSK_NS1_7vsmem_tEENKUlT_SI_SJ_SK_E_clIPiSD_S10_SD_EESH_SX_SI_SJ_SK_EUlSX_E_NS1_11comp_targetILNS1_3genE10ELNS1_11target_archE1201ELNS1_3gpuE5ELNS1_3repE0EEENS1_48merge_mergepath_partition_config_static_selectorELNS0_4arch9wavefront6targetE0EEEvSJ_,comdat
	.protected	_ZN7rocprim17ROCPRIM_400000_NS6detail17trampoline_kernelINS0_14default_configENS1_38merge_sort_block_merge_config_selectorIiiEEZZNS1_27merge_sort_block_merge_implIS3_N6thrust23THRUST_200600_302600_NS6detail15normal_iteratorINS8_10device_ptrIiEEEESD_jNS1_19radix_merge_compareILb1ELb0EiNS0_19identity_decomposerEEEEE10hipError_tT0_T1_T2_jT3_P12ihipStream_tbPNSt15iterator_traitsISI_E10value_typeEPNSO_ISJ_E10value_typeEPSK_NS1_7vsmem_tEENKUlT_SI_SJ_SK_E_clIPiSD_S10_SD_EESH_SX_SI_SJ_SK_EUlSX_E_NS1_11comp_targetILNS1_3genE10ELNS1_11target_archE1201ELNS1_3gpuE5ELNS1_3repE0EEENS1_48merge_mergepath_partition_config_static_selectorELNS0_4arch9wavefront6targetE0EEEvSJ_ ; -- Begin function _ZN7rocprim17ROCPRIM_400000_NS6detail17trampoline_kernelINS0_14default_configENS1_38merge_sort_block_merge_config_selectorIiiEEZZNS1_27merge_sort_block_merge_implIS3_N6thrust23THRUST_200600_302600_NS6detail15normal_iteratorINS8_10device_ptrIiEEEESD_jNS1_19radix_merge_compareILb1ELb0EiNS0_19identity_decomposerEEEEE10hipError_tT0_T1_T2_jT3_P12ihipStream_tbPNSt15iterator_traitsISI_E10value_typeEPNSO_ISJ_E10value_typeEPSK_NS1_7vsmem_tEENKUlT_SI_SJ_SK_E_clIPiSD_S10_SD_EESH_SX_SI_SJ_SK_EUlSX_E_NS1_11comp_targetILNS1_3genE10ELNS1_11target_archE1201ELNS1_3gpuE5ELNS1_3repE0EEENS1_48merge_mergepath_partition_config_static_selectorELNS0_4arch9wavefront6targetE0EEEvSJ_
	.globl	_ZN7rocprim17ROCPRIM_400000_NS6detail17trampoline_kernelINS0_14default_configENS1_38merge_sort_block_merge_config_selectorIiiEEZZNS1_27merge_sort_block_merge_implIS3_N6thrust23THRUST_200600_302600_NS6detail15normal_iteratorINS8_10device_ptrIiEEEESD_jNS1_19radix_merge_compareILb1ELb0EiNS0_19identity_decomposerEEEEE10hipError_tT0_T1_T2_jT3_P12ihipStream_tbPNSt15iterator_traitsISI_E10value_typeEPNSO_ISJ_E10value_typeEPSK_NS1_7vsmem_tEENKUlT_SI_SJ_SK_E_clIPiSD_S10_SD_EESH_SX_SI_SJ_SK_EUlSX_E_NS1_11comp_targetILNS1_3genE10ELNS1_11target_archE1201ELNS1_3gpuE5ELNS1_3repE0EEENS1_48merge_mergepath_partition_config_static_selectorELNS0_4arch9wavefront6targetE0EEEvSJ_
	.p2align	8
	.type	_ZN7rocprim17ROCPRIM_400000_NS6detail17trampoline_kernelINS0_14default_configENS1_38merge_sort_block_merge_config_selectorIiiEEZZNS1_27merge_sort_block_merge_implIS3_N6thrust23THRUST_200600_302600_NS6detail15normal_iteratorINS8_10device_ptrIiEEEESD_jNS1_19radix_merge_compareILb1ELb0EiNS0_19identity_decomposerEEEEE10hipError_tT0_T1_T2_jT3_P12ihipStream_tbPNSt15iterator_traitsISI_E10value_typeEPNSO_ISJ_E10value_typeEPSK_NS1_7vsmem_tEENKUlT_SI_SJ_SK_E_clIPiSD_S10_SD_EESH_SX_SI_SJ_SK_EUlSX_E_NS1_11comp_targetILNS1_3genE10ELNS1_11target_archE1201ELNS1_3gpuE5ELNS1_3repE0EEENS1_48merge_mergepath_partition_config_static_selectorELNS0_4arch9wavefront6targetE0EEEvSJ_,@function
_ZN7rocprim17ROCPRIM_400000_NS6detail17trampoline_kernelINS0_14default_configENS1_38merge_sort_block_merge_config_selectorIiiEEZZNS1_27merge_sort_block_merge_implIS3_N6thrust23THRUST_200600_302600_NS6detail15normal_iteratorINS8_10device_ptrIiEEEESD_jNS1_19radix_merge_compareILb1ELb0EiNS0_19identity_decomposerEEEEE10hipError_tT0_T1_T2_jT3_P12ihipStream_tbPNSt15iterator_traitsISI_E10value_typeEPNSO_ISJ_E10value_typeEPSK_NS1_7vsmem_tEENKUlT_SI_SJ_SK_E_clIPiSD_S10_SD_EESH_SX_SI_SJ_SK_EUlSX_E_NS1_11comp_targetILNS1_3genE10ELNS1_11target_archE1201ELNS1_3gpuE5ELNS1_3repE0EEENS1_48merge_mergepath_partition_config_static_selectorELNS0_4arch9wavefront6targetE0EEEvSJ_: ; @_ZN7rocprim17ROCPRIM_400000_NS6detail17trampoline_kernelINS0_14default_configENS1_38merge_sort_block_merge_config_selectorIiiEEZZNS1_27merge_sort_block_merge_implIS3_N6thrust23THRUST_200600_302600_NS6detail15normal_iteratorINS8_10device_ptrIiEEEESD_jNS1_19radix_merge_compareILb1ELb0EiNS0_19identity_decomposerEEEEE10hipError_tT0_T1_T2_jT3_P12ihipStream_tbPNSt15iterator_traitsISI_E10value_typeEPNSO_ISJ_E10value_typeEPSK_NS1_7vsmem_tEENKUlT_SI_SJ_SK_E_clIPiSD_S10_SD_EESH_SX_SI_SJ_SK_EUlSX_E_NS1_11comp_targetILNS1_3genE10ELNS1_11target_archE1201ELNS1_3gpuE5ELNS1_3repE0EEENS1_48merge_mergepath_partition_config_static_selectorELNS0_4arch9wavefront6targetE0EEEvSJ_
; %bb.0:
	.section	.rodata,"a",@progbits
	.p2align	6, 0x0
	.amdhsa_kernel _ZN7rocprim17ROCPRIM_400000_NS6detail17trampoline_kernelINS0_14default_configENS1_38merge_sort_block_merge_config_selectorIiiEEZZNS1_27merge_sort_block_merge_implIS3_N6thrust23THRUST_200600_302600_NS6detail15normal_iteratorINS8_10device_ptrIiEEEESD_jNS1_19radix_merge_compareILb1ELb0EiNS0_19identity_decomposerEEEEE10hipError_tT0_T1_T2_jT3_P12ihipStream_tbPNSt15iterator_traitsISI_E10value_typeEPNSO_ISJ_E10value_typeEPSK_NS1_7vsmem_tEENKUlT_SI_SJ_SK_E_clIPiSD_S10_SD_EESH_SX_SI_SJ_SK_EUlSX_E_NS1_11comp_targetILNS1_3genE10ELNS1_11target_archE1201ELNS1_3gpuE5ELNS1_3repE0EEENS1_48merge_mergepath_partition_config_static_selectorELNS0_4arch9wavefront6targetE0EEEvSJ_
		.amdhsa_group_segment_fixed_size 0
		.amdhsa_private_segment_fixed_size 0
		.amdhsa_kernarg_size 40
		.amdhsa_user_sgpr_count 6
		.amdhsa_user_sgpr_private_segment_buffer 1
		.amdhsa_user_sgpr_dispatch_ptr 0
		.amdhsa_user_sgpr_queue_ptr 0
		.amdhsa_user_sgpr_kernarg_segment_ptr 1
		.amdhsa_user_sgpr_dispatch_id 0
		.amdhsa_user_sgpr_flat_scratch_init 0
		.amdhsa_user_sgpr_private_segment_size 0
		.amdhsa_wavefront_size32 1
		.amdhsa_uses_dynamic_stack 0
		.amdhsa_system_sgpr_private_segment_wavefront_offset 0
		.amdhsa_system_sgpr_workgroup_id_x 1
		.amdhsa_system_sgpr_workgroup_id_y 0
		.amdhsa_system_sgpr_workgroup_id_z 0
		.amdhsa_system_sgpr_workgroup_info 0
		.amdhsa_system_vgpr_workitem_id 0
		.amdhsa_next_free_vgpr 1
		.amdhsa_next_free_sgpr 1
		.amdhsa_reserve_vcc 0
		.amdhsa_reserve_flat_scratch 0
		.amdhsa_float_round_mode_32 0
		.amdhsa_float_round_mode_16_64 0
		.amdhsa_float_denorm_mode_32 3
		.amdhsa_float_denorm_mode_16_64 3
		.amdhsa_dx10_clamp 1
		.amdhsa_ieee_mode 1
		.amdhsa_fp16_overflow 0
		.amdhsa_workgroup_processor_mode 1
		.amdhsa_memory_ordered 1
		.amdhsa_forward_progress 1
		.amdhsa_shared_vgpr_count 0
		.amdhsa_exception_fp_ieee_invalid_op 0
		.amdhsa_exception_fp_denorm_src 0
		.amdhsa_exception_fp_ieee_div_zero 0
		.amdhsa_exception_fp_ieee_overflow 0
		.amdhsa_exception_fp_ieee_underflow 0
		.amdhsa_exception_fp_ieee_inexact 0
		.amdhsa_exception_int_div_zero 0
	.end_amdhsa_kernel
	.section	.text._ZN7rocprim17ROCPRIM_400000_NS6detail17trampoline_kernelINS0_14default_configENS1_38merge_sort_block_merge_config_selectorIiiEEZZNS1_27merge_sort_block_merge_implIS3_N6thrust23THRUST_200600_302600_NS6detail15normal_iteratorINS8_10device_ptrIiEEEESD_jNS1_19radix_merge_compareILb1ELb0EiNS0_19identity_decomposerEEEEE10hipError_tT0_T1_T2_jT3_P12ihipStream_tbPNSt15iterator_traitsISI_E10value_typeEPNSO_ISJ_E10value_typeEPSK_NS1_7vsmem_tEENKUlT_SI_SJ_SK_E_clIPiSD_S10_SD_EESH_SX_SI_SJ_SK_EUlSX_E_NS1_11comp_targetILNS1_3genE10ELNS1_11target_archE1201ELNS1_3gpuE5ELNS1_3repE0EEENS1_48merge_mergepath_partition_config_static_selectorELNS0_4arch9wavefront6targetE0EEEvSJ_,"axG",@progbits,_ZN7rocprim17ROCPRIM_400000_NS6detail17trampoline_kernelINS0_14default_configENS1_38merge_sort_block_merge_config_selectorIiiEEZZNS1_27merge_sort_block_merge_implIS3_N6thrust23THRUST_200600_302600_NS6detail15normal_iteratorINS8_10device_ptrIiEEEESD_jNS1_19radix_merge_compareILb1ELb0EiNS0_19identity_decomposerEEEEE10hipError_tT0_T1_T2_jT3_P12ihipStream_tbPNSt15iterator_traitsISI_E10value_typeEPNSO_ISJ_E10value_typeEPSK_NS1_7vsmem_tEENKUlT_SI_SJ_SK_E_clIPiSD_S10_SD_EESH_SX_SI_SJ_SK_EUlSX_E_NS1_11comp_targetILNS1_3genE10ELNS1_11target_archE1201ELNS1_3gpuE5ELNS1_3repE0EEENS1_48merge_mergepath_partition_config_static_selectorELNS0_4arch9wavefront6targetE0EEEvSJ_,comdat
.Lfunc_end886:
	.size	_ZN7rocprim17ROCPRIM_400000_NS6detail17trampoline_kernelINS0_14default_configENS1_38merge_sort_block_merge_config_selectorIiiEEZZNS1_27merge_sort_block_merge_implIS3_N6thrust23THRUST_200600_302600_NS6detail15normal_iteratorINS8_10device_ptrIiEEEESD_jNS1_19radix_merge_compareILb1ELb0EiNS0_19identity_decomposerEEEEE10hipError_tT0_T1_T2_jT3_P12ihipStream_tbPNSt15iterator_traitsISI_E10value_typeEPNSO_ISJ_E10value_typeEPSK_NS1_7vsmem_tEENKUlT_SI_SJ_SK_E_clIPiSD_S10_SD_EESH_SX_SI_SJ_SK_EUlSX_E_NS1_11comp_targetILNS1_3genE10ELNS1_11target_archE1201ELNS1_3gpuE5ELNS1_3repE0EEENS1_48merge_mergepath_partition_config_static_selectorELNS0_4arch9wavefront6targetE0EEEvSJ_, .Lfunc_end886-_ZN7rocprim17ROCPRIM_400000_NS6detail17trampoline_kernelINS0_14default_configENS1_38merge_sort_block_merge_config_selectorIiiEEZZNS1_27merge_sort_block_merge_implIS3_N6thrust23THRUST_200600_302600_NS6detail15normal_iteratorINS8_10device_ptrIiEEEESD_jNS1_19radix_merge_compareILb1ELb0EiNS0_19identity_decomposerEEEEE10hipError_tT0_T1_T2_jT3_P12ihipStream_tbPNSt15iterator_traitsISI_E10value_typeEPNSO_ISJ_E10value_typeEPSK_NS1_7vsmem_tEENKUlT_SI_SJ_SK_E_clIPiSD_S10_SD_EESH_SX_SI_SJ_SK_EUlSX_E_NS1_11comp_targetILNS1_3genE10ELNS1_11target_archE1201ELNS1_3gpuE5ELNS1_3repE0EEENS1_48merge_mergepath_partition_config_static_selectorELNS0_4arch9wavefront6targetE0EEEvSJ_
                                        ; -- End function
	.set _ZN7rocprim17ROCPRIM_400000_NS6detail17trampoline_kernelINS0_14default_configENS1_38merge_sort_block_merge_config_selectorIiiEEZZNS1_27merge_sort_block_merge_implIS3_N6thrust23THRUST_200600_302600_NS6detail15normal_iteratorINS8_10device_ptrIiEEEESD_jNS1_19radix_merge_compareILb1ELb0EiNS0_19identity_decomposerEEEEE10hipError_tT0_T1_T2_jT3_P12ihipStream_tbPNSt15iterator_traitsISI_E10value_typeEPNSO_ISJ_E10value_typeEPSK_NS1_7vsmem_tEENKUlT_SI_SJ_SK_E_clIPiSD_S10_SD_EESH_SX_SI_SJ_SK_EUlSX_E_NS1_11comp_targetILNS1_3genE10ELNS1_11target_archE1201ELNS1_3gpuE5ELNS1_3repE0EEENS1_48merge_mergepath_partition_config_static_selectorELNS0_4arch9wavefront6targetE0EEEvSJ_.num_vgpr, 0
	.set _ZN7rocprim17ROCPRIM_400000_NS6detail17trampoline_kernelINS0_14default_configENS1_38merge_sort_block_merge_config_selectorIiiEEZZNS1_27merge_sort_block_merge_implIS3_N6thrust23THRUST_200600_302600_NS6detail15normal_iteratorINS8_10device_ptrIiEEEESD_jNS1_19radix_merge_compareILb1ELb0EiNS0_19identity_decomposerEEEEE10hipError_tT0_T1_T2_jT3_P12ihipStream_tbPNSt15iterator_traitsISI_E10value_typeEPNSO_ISJ_E10value_typeEPSK_NS1_7vsmem_tEENKUlT_SI_SJ_SK_E_clIPiSD_S10_SD_EESH_SX_SI_SJ_SK_EUlSX_E_NS1_11comp_targetILNS1_3genE10ELNS1_11target_archE1201ELNS1_3gpuE5ELNS1_3repE0EEENS1_48merge_mergepath_partition_config_static_selectorELNS0_4arch9wavefront6targetE0EEEvSJ_.num_agpr, 0
	.set _ZN7rocprim17ROCPRIM_400000_NS6detail17trampoline_kernelINS0_14default_configENS1_38merge_sort_block_merge_config_selectorIiiEEZZNS1_27merge_sort_block_merge_implIS3_N6thrust23THRUST_200600_302600_NS6detail15normal_iteratorINS8_10device_ptrIiEEEESD_jNS1_19radix_merge_compareILb1ELb0EiNS0_19identity_decomposerEEEEE10hipError_tT0_T1_T2_jT3_P12ihipStream_tbPNSt15iterator_traitsISI_E10value_typeEPNSO_ISJ_E10value_typeEPSK_NS1_7vsmem_tEENKUlT_SI_SJ_SK_E_clIPiSD_S10_SD_EESH_SX_SI_SJ_SK_EUlSX_E_NS1_11comp_targetILNS1_3genE10ELNS1_11target_archE1201ELNS1_3gpuE5ELNS1_3repE0EEENS1_48merge_mergepath_partition_config_static_selectorELNS0_4arch9wavefront6targetE0EEEvSJ_.numbered_sgpr, 0
	.set _ZN7rocprim17ROCPRIM_400000_NS6detail17trampoline_kernelINS0_14default_configENS1_38merge_sort_block_merge_config_selectorIiiEEZZNS1_27merge_sort_block_merge_implIS3_N6thrust23THRUST_200600_302600_NS6detail15normal_iteratorINS8_10device_ptrIiEEEESD_jNS1_19radix_merge_compareILb1ELb0EiNS0_19identity_decomposerEEEEE10hipError_tT0_T1_T2_jT3_P12ihipStream_tbPNSt15iterator_traitsISI_E10value_typeEPNSO_ISJ_E10value_typeEPSK_NS1_7vsmem_tEENKUlT_SI_SJ_SK_E_clIPiSD_S10_SD_EESH_SX_SI_SJ_SK_EUlSX_E_NS1_11comp_targetILNS1_3genE10ELNS1_11target_archE1201ELNS1_3gpuE5ELNS1_3repE0EEENS1_48merge_mergepath_partition_config_static_selectorELNS0_4arch9wavefront6targetE0EEEvSJ_.num_named_barrier, 0
	.set _ZN7rocprim17ROCPRIM_400000_NS6detail17trampoline_kernelINS0_14default_configENS1_38merge_sort_block_merge_config_selectorIiiEEZZNS1_27merge_sort_block_merge_implIS3_N6thrust23THRUST_200600_302600_NS6detail15normal_iteratorINS8_10device_ptrIiEEEESD_jNS1_19radix_merge_compareILb1ELb0EiNS0_19identity_decomposerEEEEE10hipError_tT0_T1_T2_jT3_P12ihipStream_tbPNSt15iterator_traitsISI_E10value_typeEPNSO_ISJ_E10value_typeEPSK_NS1_7vsmem_tEENKUlT_SI_SJ_SK_E_clIPiSD_S10_SD_EESH_SX_SI_SJ_SK_EUlSX_E_NS1_11comp_targetILNS1_3genE10ELNS1_11target_archE1201ELNS1_3gpuE5ELNS1_3repE0EEENS1_48merge_mergepath_partition_config_static_selectorELNS0_4arch9wavefront6targetE0EEEvSJ_.private_seg_size, 0
	.set _ZN7rocprim17ROCPRIM_400000_NS6detail17trampoline_kernelINS0_14default_configENS1_38merge_sort_block_merge_config_selectorIiiEEZZNS1_27merge_sort_block_merge_implIS3_N6thrust23THRUST_200600_302600_NS6detail15normal_iteratorINS8_10device_ptrIiEEEESD_jNS1_19radix_merge_compareILb1ELb0EiNS0_19identity_decomposerEEEEE10hipError_tT0_T1_T2_jT3_P12ihipStream_tbPNSt15iterator_traitsISI_E10value_typeEPNSO_ISJ_E10value_typeEPSK_NS1_7vsmem_tEENKUlT_SI_SJ_SK_E_clIPiSD_S10_SD_EESH_SX_SI_SJ_SK_EUlSX_E_NS1_11comp_targetILNS1_3genE10ELNS1_11target_archE1201ELNS1_3gpuE5ELNS1_3repE0EEENS1_48merge_mergepath_partition_config_static_selectorELNS0_4arch9wavefront6targetE0EEEvSJ_.uses_vcc, 0
	.set _ZN7rocprim17ROCPRIM_400000_NS6detail17trampoline_kernelINS0_14default_configENS1_38merge_sort_block_merge_config_selectorIiiEEZZNS1_27merge_sort_block_merge_implIS3_N6thrust23THRUST_200600_302600_NS6detail15normal_iteratorINS8_10device_ptrIiEEEESD_jNS1_19radix_merge_compareILb1ELb0EiNS0_19identity_decomposerEEEEE10hipError_tT0_T1_T2_jT3_P12ihipStream_tbPNSt15iterator_traitsISI_E10value_typeEPNSO_ISJ_E10value_typeEPSK_NS1_7vsmem_tEENKUlT_SI_SJ_SK_E_clIPiSD_S10_SD_EESH_SX_SI_SJ_SK_EUlSX_E_NS1_11comp_targetILNS1_3genE10ELNS1_11target_archE1201ELNS1_3gpuE5ELNS1_3repE0EEENS1_48merge_mergepath_partition_config_static_selectorELNS0_4arch9wavefront6targetE0EEEvSJ_.uses_flat_scratch, 0
	.set _ZN7rocprim17ROCPRIM_400000_NS6detail17trampoline_kernelINS0_14default_configENS1_38merge_sort_block_merge_config_selectorIiiEEZZNS1_27merge_sort_block_merge_implIS3_N6thrust23THRUST_200600_302600_NS6detail15normal_iteratorINS8_10device_ptrIiEEEESD_jNS1_19radix_merge_compareILb1ELb0EiNS0_19identity_decomposerEEEEE10hipError_tT0_T1_T2_jT3_P12ihipStream_tbPNSt15iterator_traitsISI_E10value_typeEPNSO_ISJ_E10value_typeEPSK_NS1_7vsmem_tEENKUlT_SI_SJ_SK_E_clIPiSD_S10_SD_EESH_SX_SI_SJ_SK_EUlSX_E_NS1_11comp_targetILNS1_3genE10ELNS1_11target_archE1201ELNS1_3gpuE5ELNS1_3repE0EEENS1_48merge_mergepath_partition_config_static_selectorELNS0_4arch9wavefront6targetE0EEEvSJ_.has_dyn_sized_stack, 0
	.set _ZN7rocprim17ROCPRIM_400000_NS6detail17trampoline_kernelINS0_14default_configENS1_38merge_sort_block_merge_config_selectorIiiEEZZNS1_27merge_sort_block_merge_implIS3_N6thrust23THRUST_200600_302600_NS6detail15normal_iteratorINS8_10device_ptrIiEEEESD_jNS1_19radix_merge_compareILb1ELb0EiNS0_19identity_decomposerEEEEE10hipError_tT0_T1_T2_jT3_P12ihipStream_tbPNSt15iterator_traitsISI_E10value_typeEPNSO_ISJ_E10value_typeEPSK_NS1_7vsmem_tEENKUlT_SI_SJ_SK_E_clIPiSD_S10_SD_EESH_SX_SI_SJ_SK_EUlSX_E_NS1_11comp_targetILNS1_3genE10ELNS1_11target_archE1201ELNS1_3gpuE5ELNS1_3repE0EEENS1_48merge_mergepath_partition_config_static_selectorELNS0_4arch9wavefront6targetE0EEEvSJ_.has_recursion, 0
	.set _ZN7rocprim17ROCPRIM_400000_NS6detail17trampoline_kernelINS0_14default_configENS1_38merge_sort_block_merge_config_selectorIiiEEZZNS1_27merge_sort_block_merge_implIS3_N6thrust23THRUST_200600_302600_NS6detail15normal_iteratorINS8_10device_ptrIiEEEESD_jNS1_19radix_merge_compareILb1ELb0EiNS0_19identity_decomposerEEEEE10hipError_tT0_T1_T2_jT3_P12ihipStream_tbPNSt15iterator_traitsISI_E10value_typeEPNSO_ISJ_E10value_typeEPSK_NS1_7vsmem_tEENKUlT_SI_SJ_SK_E_clIPiSD_S10_SD_EESH_SX_SI_SJ_SK_EUlSX_E_NS1_11comp_targetILNS1_3genE10ELNS1_11target_archE1201ELNS1_3gpuE5ELNS1_3repE0EEENS1_48merge_mergepath_partition_config_static_selectorELNS0_4arch9wavefront6targetE0EEEvSJ_.has_indirect_call, 0
	.section	.AMDGPU.csdata,"",@progbits
; Kernel info:
; codeLenInByte = 0
; TotalNumSgprs: 0
; NumVgprs: 0
; ScratchSize: 0
; MemoryBound: 0
; FloatMode: 240
; IeeeMode: 1
; LDSByteSize: 0 bytes/workgroup (compile time only)
; SGPRBlocks: 0
; VGPRBlocks: 0
; NumSGPRsForWavesPerEU: 1
; NumVGPRsForWavesPerEU: 1
; Occupancy: 16
; WaveLimiterHint : 0
; COMPUTE_PGM_RSRC2:SCRATCH_EN: 0
; COMPUTE_PGM_RSRC2:USER_SGPR: 6
; COMPUTE_PGM_RSRC2:TRAP_HANDLER: 0
; COMPUTE_PGM_RSRC2:TGID_X_EN: 1
; COMPUTE_PGM_RSRC2:TGID_Y_EN: 0
; COMPUTE_PGM_RSRC2:TGID_Z_EN: 0
; COMPUTE_PGM_RSRC2:TIDIG_COMP_CNT: 0
	.section	.text._ZN7rocprim17ROCPRIM_400000_NS6detail17trampoline_kernelINS0_14default_configENS1_38merge_sort_block_merge_config_selectorIiiEEZZNS1_27merge_sort_block_merge_implIS3_N6thrust23THRUST_200600_302600_NS6detail15normal_iteratorINS8_10device_ptrIiEEEESD_jNS1_19radix_merge_compareILb1ELb0EiNS0_19identity_decomposerEEEEE10hipError_tT0_T1_T2_jT3_P12ihipStream_tbPNSt15iterator_traitsISI_E10value_typeEPNSO_ISJ_E10value_typeEPSK_NS1_7vsmem_tEENKUlT_SI_SJ_SK_E_clIPiSD_S10_SD_EESH_SX_SI_SJ_SK_EUlSX_E_NS1_11comp_targetILNS1_3genE5ELNS1_11target_archE942ELNS1_3gpuE9ELNS1_3repE0EEENS1_48merge_mergepath_partition_config_static_selectorELNS0_4arch9wavefront6targetE0EEEvSJ_,"axG",@progbits,_ZN7rocprim17ROCPRIM_400000_NS6detail17trampoline_kernelINS0_14default_configENS1_38merge_sort_block_merge_config_selectorIiiEEZZNS1_27merge_sort_block_merge_implIS3_N6thrust23THRUST_200600_302600_NS6detail15normal_iteratorINS8_10device_ptrIiEEEESD_jNS1_19radix_merge_compareILb1ELb0EiNS0_19identity_decomposerEEEEE10hipError_tT0_T1_T2_jT3_P12ihipStream_tbPNSt15iterator_traitsISI_E10value_typeEPNSO_ISJ_E10value_typeEPSK_NS1_7vsmem_tEENKUlT_SI_SJ_SK_E_clIPiSD_S10_SD_EESH_SX_SI_SJ_SK_EUlSX_E_NS1_11comp_targetILNS1_3genE5ELNS1_11target_archE942ELNS1_3gpuE9ELNS1_3repE0EEENS1_48merge_mergepath_partition_config_static_selectorELNS0_4arch9wavefront6targetE0EEEvSJ_,comdat
	.protected	_ZN7rocprim17ROCPRIM_400000_NS6detail17trampoline_kernelINS0_14default_configENS1_38merge_sort_block_merge_config_selectorIiiEEZZNS1_27merge_sort_block_merge_implIS3_N6thrust23THRUST_200600_302600_NS6detail15normal_iteratorINS8_10device_ptrIiEEEESD_jNS1_19radix_merge_compareILb1ELb0EiNS0_19identity_decomposerEEEEE10hipError_tT0_T1_T2_jT3_P12ihipStream_tbPNSt15iterator_traitsISI_E10value_typeEPNSO_ISJ_E10value_typeEPSK_NS1_7vsmem_tEENKUlT_SI_SJ_SK_E_clIPiSD_S10_SD_EESH_SX_SI_SJ_SK_EUlSX_E_NS1_11comp_targetILNS1_3genE5ELNS1_11target_archE942ELNS1_3gpuE9ELNS1_3repE0EEENS1_48merge_mergepath_partition_config_static_selectorELNS0_4arch9wavefront6targetE0EEEvSJ_ ; -- Begin function _ZN7rocprim17ROCPRIM_400000_NS6detail17trampoline_kernelINS0_14default_configENS1_38merge_sort_block_merge_config_selectorIiiEEZZNS1_27merge_sort_block_merge_implIS3_N6thrust23THRUST_200600_302600_NS6detail15normal_iteratorINS8_10device_ptrIiEEEESD_jNS1_19radix_merge_compareILb1ELb0EiNS0_19identity_decomposerEEEEE10hipError_tT0_T1_T2_jT3_P12ihipStream_tbPNSt15iterator_traitsISI_E10value_typeEPNSO_ISJ_E10value_typeEPSK_NS1_7vsmem_tEENKUlT_SI_SJ_SK_E_clIPiSD_S10_SD_EESH_SX_SI_SJ_SK_EUlSX_E_NS1_11comp_targetILNS1_3genE5ELNS1_11target_archE942ELNS1_3gpuE9ELNS1_3repE0EEENS1_48merge_mergepath_partition_config_static_selectorELNS0_4arch9wavefront6targetE0EEEvSJ_
	.globl	_ZN7rocprim17ROCPRIM_400000_NS6detail17trampoline_kernelINS0_14default_configENS1_38merge_sort_block_merge_config_selectorIiiEEZZNS1_27merge_sort_block_merge_implIS3_N6thrust23THRUST_200600_302600_NS6detail15normal_iteratorINS8_10device_ptrIiEEEESD_jNS1_19radix_merge_compareILb1ELb0EiNS0_19identity_decomposerEEEEE10hipError_tT0_T1_T2_jT3_P12ihipStream_tbPNSt15iterator_traitsISI_E10value_typeEPNSO_ISJ_E10value_typeEPSK_NS1_7vsmem_tEENKUlT_SI_SJ_SK_E_clIPiSD_S10_SD_EESH_SX_SI_SJ_SK_EUlSX_E_NS1_11comp_targetILNS1_3genE5ELNS1_11target_archE942ELNS1_3gpuE9ELNS1_3repE0EEENS1_48merge_mergepath_partition_config_static_selectorELNS0_4arch9wavefront6targetE0EEEvSJ_
	.p2align	8
	.type	_ZN7rocprim17ROCPRIM_400000_NS6detail17trampoline_kernelINS0_14default_configENS1_38merge_sort_block_merge_config_selectorIiiEEZZNS1_27merge_sort_block_merge_implIS3_N6thrust23THRUST_200600_302600_NS6detail15normal_iteratorINS8_10device_ptrIiEEEESD_jNS1_19radix_merge_compareILb1ELb0EiNS0_19identity_decomposerEEEEE10hipError_tT0_T1_T2_jT3_P12ihipStream_tbPNSt15iterator_traitsISI_E10value_typeEPNSO_ISJ_E10value_typeEPSK_NS1_7vsmem_tEENKUlT_SI_SJ_SK_E_clIPiSD_S10_SD_EESH_SX_SI_SJ_SK_EUlSX_E_NS1_11comp_targetILNS1_3genE5ELNS1_11target_archE942ELNS1_3gpuE9ELNS1_3repE0EEENS1_48merge_mergepath_partition_config_static_selectorELNS0_4arch9wavefront6targetE0EEEvSJ_,@function
_ZN7rocprim17ROCPRIM_400000_NS6detail17trampoline_kernelINS0_14default_configENS1_38merge_sort_block_merge_config_selectorIiiEEZZNS1_27merge_sort_block_merge_implIS3_N6thrust23THRUST_200600_302600_NS6detail15normal_iteratorINS8_10device_ptrIiEEEESD_jNS1_19radix_merge_compareILb1ELb0EiNS0_19identity_decomposerEEEEE10hipError_tT0_T1_T2_jT3_P12ihipStream_tbPNSt15iterator_traitsISI_E10value_typeEPNSO_ISJ_E10value_typeEPSK_NS1_7vsmem_tEENKUlT_SI_SJ_SK_E_clIPiSD_S10_SD_EESH_SX_SI_SJ_SK_EUlSX_E_NS1_11comp_targetILNS1_3genE5ELNS1_11target_archE942ELNS1_3gpuE9ELNS1_3repE0EEENS1_48merge_mergepath_partition_config_static_selectorELNS0_4arch9wavefront6targetE0EEEvSJ_: ; @_ZN7rocprim17ROCPRIM_400000_NS6detail17trampoline_kernelINS0_14default_configENS1_38merge_sort_block_merge_config_selectorIiiEEZZNS1_27merge_sort_block_merge_implIS3_N6thrust23THRUST_200600_302600_NS6detail15normal_iteratorINS8_10device_ptrIiEEEESD_jNS1_19radix_merge_compareILb1ELb0EiNS0_19identity_decomposerEEEEE10hipError_tT0_T1_T2_jT3_P12ihipStream_tbPNSt15iterator_traitsISI_E10value_typeEPNSO_ISJ_E10value_typeEPSK_NS1_7vsmem_tEENKUlT_SI_SJ_SK_E_clIPiSD_S10_SD_EESH_SX_SI_SJ_SK_EUlSX_E_NS1_11comp_targetILNS1_3genE5ELNS1_11target_archE942ELNS1_3gpuE9ELNS1_3repE0EEENS1_48merge_mergepath_partition_config_static_selectorELNS0_4arch9wavefront6targetE0EEEvSJ_
; %bb.0:
	.section	.rodata,"a",@progbits
	.p2align	6, 0x0
	.amdhsa_kernel _ZN7rocprim17ROCPRIM_400000_NS6detail17trampoline_kernelINS0_14default_configENS1_38merge_sort_block_merge_config_selectorIiiEEZZNS1_27merge_sort_block_merge_implIS3_N6thrust23THRUST_200600_302600_NS6detail15normal_iteratorINS8_10device_ptrIiEEEESD_jNS1_19radix_merge_compareILb1ELb0EiNS0_19identity_decomposerEEEEE10hipError_tT0_T1_T2_jT3_P12ihipStream_tbPNSt15iterator_traitsISI_E10value_typeEPNSO_ISJ_E10value_typeEPSK_NS1_7vsmem_tEENKUlT_SI_SJ_SK_E_clIPiSD_S10_SD_EESH_SX_SI_SJ_SK_EUlSX_E_NS1_11comp_targetILNS1_3genE5ELNS1_11target_archE942ELNS1_3gpuE9ELNS1_3repE0EEENS1_48merge_mergepath_partition_config_static_selectorELNS0_4arch9wavefront6targetE0EEEvSJ_
		.amdhsa_group_segment_fixed_size 0
		.amdhsa_private_segment_fixed_size 0
		.amdhsa_kernarg_size 40
		.amdhsa_user_sgpr_count 6
		.amdhsa_user_sgpr_private_segment_buffer 1
		.amdhsa_user_sgpr_dispatch_ptr 0
		.amdhsa_user_sgpr_queue_ptr 0
		.amdhsa_user_sgpr_kernarg_segment_ptr 1
		.amdhsa_user_sgpr_dispatch_id 0
		.amdhsa_user_sgpr_flat_scratch_init 0
		.amdhsa_user_sgpr_private_segment_size 0
		.amdhsa_wavefront_size32 1
		.amdhsa_uses_dynamic_stack 0
		.amdhsa_system_sgpr_private_segment_wavefront_offset 0
		.amdhsa_system_sgpr_workgroup_id_x 1
		.amdhsa_system_sgpr_workgroup_id_y 0
		.amdhsa_system_sgpr_workgroup_id_z 0
		.amdhsa_system_sgpr_workgroup_info 0
		.amdhsa_system_vgpr_workitem_id 0
		.amdhsa_next_free_vgpr 1
		.amdhsa_next_free_sgpr 1
		.amdhsa_reserve_vcc 0
		.amdhsa_reserve_flat_scratch 0
		.amdhsa_float_round_mode_32 0
		.amdhsa_float_round_mode_16_64 0
		.amdhsa_float_denorm_mode_32 3
		.amdhsa_float_denorm_mode_16_64 3
		.amdhsa_dx10_clamp 1
		.amdhsa_ieee_mode 1
		.amdhsa_fp16_overflow 0
		.amdhsa_workgroup_processor_mode 1
		.amdhsa_memory_ordered 1
		.amdhsa_forward_progress 1
		.amdhsa_shared_vgpr_count 0
		.amdhsa_exception_fp_ieee_invalid_op 0
		.amdhsa_exception_fp_denorm_src 0
		.amdhsa_exception_fp_ieee_div_zero 0
		.amdhsa_exception_fp_ieee_overflow 0
		.amdhsa_exception_fp_ieee_underflow 0
		.amdhsa_exception_fp_ieee_inexact 0
		.amdhsa_exception_int_div_zero 0
	.end_amdhsa_kernel
	.section	.text._ZN7rocprim17ROCPRIM_400000_NS6detail17trampoline_kernelINS0_14default_configENS1_38merge_sort_block_merge_config_selectorIiiEEZZNS1_27merge_sort_block_merge_implIS3_N6thrust23THRUST_200600_302600_NS6detail15normal_iteratorINS8_10device_ptrIiEEEESD_jNS1_19radix_merge_compareILb1ELb0EiNS0_19identity_decomposerEEEEE10hipError_tT0_T1_T2_jT3_P12ihipStream_tbPNSt15iterator_traitsISI_E10value_typeEPNSO_ISJ_E10value_typeEPSK_NS1_7vsmem_tEENKUlT_SI_SJ_SK_E_clIPiSD_S10_SD_EESH_SX_SI_SJ_SK_EUlSX_E_NS1_11comp_targetILNS1_3genE5ELNS1_11target_archE942ELNS1_3gpuE9ELNS1_3repE0EEENS1_48merge_mergepath_partition_config_static_selectorELNS0_4arch9wavefront6targetE0EEEvSJ_,"axG",@progbits,_ZN7rocprim17ROCPRIM_400000_NS6detail17trampoline_kernelINS0_14default_configENS1_38merge_sort_block_merge_config_selectorIiiEEZZNS1_27merge_sort_block_merge_implIS3_N6thrust23THRUST_200600_302600_NS6detail15normal_iteratorINS8_10device_ptrIiEEEESD_jNS1_19radix_merge_compareILb1ELb0EiNS0_19identity_decomposerEEEEE10hipError_tT0_T1_T2_jT3_P12ihipStream_tbPNSt15iterator_traitsISI_E10value_typeEPNSO_ISJ_E10value_typeEPSK_NS1_7vsmem_tEENKUlT_SI_SJ_SK_E_clIPiSD_S10_SD_EESH_SX_SI_SJ_SK_EUlSX_E_NS1_11comp_targetILNS1_3genE5ELNS1_11target_archE942ELNS1_3gpuE9ELNS1_3repE0EEENS1_48merge_mergepath_partition_config_static_selectorELNS0_4arch9wavefront6targetE0EEEvSJ_,comdat
.Lfunc_end887:
	.size	_ZN7rocprim17ROCPRIM_400000_NS6detail17trampoline_kernelINS0_14default_configENS1_38merge_sort_block_merge_config_selectorIiiEEZZNS1_27merge_sort_block_merge_implIS3_N6thrust23THRUST_200600_302600_NS6detail15normal_iteratorINS8_10device_ptrIiEEEESD_jNS1_19radix_merge_compareILb1ELb0EiNS0_19identity_decomposerEEEEE10hipError_tT0_T1_T2_jT3_P12ihipStream_tbPNSt15iterator_traitsISI_E10value_typeEPNSO_ISJ_E10value_typeEPSK_NS1_7vsmem_tEENKUlT_SI_SJ_SK_E_clIPiSD_S10_SD_EESH_SX_SI_SJ_SK_EUlSX_E_NS1_11comp_targetILNS1_3genE5ELNS1_11target_archE942ELNS1_3gpuE9ELNS1_3repE0EEENS1_48merge_mergepath_partition_config_static_selectorELNS0_4arch9wavefront6targetE0EEEvSJ_, .Lfunc_end887-_ZN7rocprim17ROCPRIM_400000_NS6detail17trampoline_kernelINS0_14default_configENS1_38merge_sort_block_merge_config_selectorIiiEEZZNS1_27merge_sort_block_merge_implIS3_N6thrust23THRUST_200600_302600_NS6detail15normal_iteratorINS8_10device_ptrIiEEEESD_jNS1_19radix_merge_compareILb1ELb0EiNS0_19identity_decomposerEEEEE10hipError_tT0_T1_T2_jT3_P12ihipStream_tbPNSt15iterator_traitsISI_E10value_typeEPNSO_ISJ_E10value_typeEPSK_NS1_7vsmem_tEENKUlT_SI_SJ_SK_E_clIPiSD_S10_SD_EESH_SX_SI_SJ_SK_EUlSX_E_NS1_11comp_targetILNS1_3genE5ELNS1_11target_archE942ELNS1_3gpuE9ELNS1_3repE0EEENS1_48merge_mergepath_partition_config_static_selectorELNS0_4arch9wavefront6targetE0EEEvSJ_
                                        ; -- End function
	.set _ZN7rocprim17ROCPRIM_400000_NS6detail17trampoline_kernelINS0_14default_configENS1_38merge_sort_block_merge_config_selectorIiiEEZZNS1_27merge_sort_block_merge_implIS3_N6thrust23THRUST_200600_302600_NS6detail15normal_iteratorINS8_10device_ptrIiEEEESD_jNS1_19radix_merge_compareILb1ELb0EiNS0_19identity_decomposerEEEEE10hipError_tT0_T1_T2_jT3_P12ihipStream_tbPNSt15iterator_traitsISI_E10value_typeEPNSO_ISJ_E10value_typeEPSK_NS1_7vsmem_tEENKUlT_SI_SJ_SK_E_clIPiSD_S10_SD_EESH_SX_SI_SJ_SK_EUlSX_E_NS1_11comp_targetILNS1_3genE5ELNS1_11target_archE942ELNS1_3gpuE9ELNS1_3repE0EEENS1_48merge_mergepath_partition_config_static_selectorELNS0_4arch9wavefront6targetE0EEEvSJ_.num_vgpr, 0
	.set _ZN7rocprim17ROCPRIM_400000_NS6detail17trampoline_kernelINS0_14default_configENS1_38merge_sort_block_merge_config_selectorIiiEEZZNS1_27merge_sort_block_merge_implIS3_N6thrust23THRUST_200600_302600_NS6detail15normal_iteratorINS8_10device_ptrIiEEEESD_jNS1_19radix_merge_compareILb1ELb0EiNS0_19identity_decomposerEEEEE10hipError_tT0_T1_T2_jT3_P12ihipStream_tbPNSt15iterator_traitsISI_E10value_typeEPNSO_ISJ_E10value_typeEPSK_NS1_7vsmem_tEENKUlT_SI_SJ_SK_E_clIPiSD_S10_SD_EESH_SX_SI_SJ_SK_EUlSX_E_NS1_11comp_targetILNS1_3genE5ELNS1_11target_archE942ELNS1_3gpuE9ELNS1_3repE0EEENS1_48merge_mergepath_partition_config_static_selectorELNS0_4arch9wavefront6targetE0EEEvSJ_.num_agpr, 0
	.set _ZN7rocprim17ROCPRIM_400000_NS6detail17trampoline_kernelINS0_14default_configENS1_38merge_sort_block_merge_config_selectorIiiEEZZNS1_27merge_sort_block_merge_implIS3_N6thrust23THRUST_200600_302600_NS6detail15normal_iteratorINS8_10device_ptrIiEEEESD_jNS1_19radix_merge_compareILb1ELb0EiNS0_19identity_decomposerEEEEE10hipError_tT0_T1_T2_jT3_P12ihipStream_tbPNSt15iterator_traitsISI_E10value_typeEPNSO_ISJ_E10value_typeEPSK_NS1_7vsmem_tEENKUlT_SI_SJ_SK_E_clIPiSD_S10_SD_EESH_SX_SI_SJ_SK_EUlSX_E_NS1_11comp_targetILNS1_3genE5ELNS1_11target_archE942ELNS1_3gpuE9ELNS1_3repE0EEENS1_48merge_mergepath_partition_config_static_selectorELNS0_4arch9wavefront6targetE0EEEvSJ_.numbered_sgpr, 0
	.set _ZN7rocprim17ROCPRIM_400000_NS6detail17trampoline_kernelINS0_14default_configENS1_38merge_sort_block_merge_config_selectorIiiEEZZNS1_27merge_sort_block_merge_implIS3_N6thrust23THRUST_200600_302600_NS6detail15normal_iteratorINS8_10device_ptrIiEEEESD_jNS1_19radix_merge_compareILb1ELb0EiNS0_19identity_decomposerEEEEE10hipError_tT0_T1_T2_jT3_P12ihipStream_tbPNSt15iterator_traitsISI_E10value_typeEPNSO_ISJ_E10value_typeEPSK_NS1_7vsmem_tEENKUlT_SI_SJ_SK_E_clIPiSD_S10_SD_EESH_SX_SI_SJ_SK_EUlSX_E_NS1_11comp_targetILNS1_3genE5ELNS1_11target_archE942ELNS1_3gpuE9ELNS1_3repE0EEENS1_48merge_mergepath_partition_config_static_selectorELNS0_4arch9wavefront6targetE0EEEvSJ_.num_named_barrier, 0
	.set _ZN7rocprim17ROCPRIM_400000_NS6detail17trampoline_kernelINS0_14default_configENS1_38merge_sort_block_merge_config_selectorIiiEEZZNS1_27merge_sort_block_merge_implIS3_N6thrust23THRUST_200600_302600_NS6detail15normal_iteratorINS8_10device_ptrIiEEEESD_jNS1_19radix_merge_compareILb1ELb0EiNS0_19identity_decomposerEEEEE10hipError_tT0_T1_T2_jT3_P12ihipStream_tbPNSt15iterator_traitsISI_E10value_typeEPNSO_ISJ_E10value_typeEPSK_NS1_7vsmem_tEENKUlT_SI_SJ_SK_E_clIPiSD_S10_SD_EESH_SX_SI_SJ_SK_EUlSX_E_NS1_11comp_targetILNS1_3genE5ELNS1_11target_archE942ELNS1_3gpuE9ELNS1_3repE0EEENS1_48merge_mergepath_partition_config_static_selectorELNS0_4arch9wavefront6targetE0EEEvSJ_.private_seg_size, 0
	.set _ZN7rocprim17ROCPRIM_400000_NS6detail17trampoline_kernelINS0_14default_configENS1_38merge_sort_block_merge_config_selectorIiiEEZZNS1_27merge_sort_block_merge_implIS3_N6thrust23THRUST_200600_302600_NS6detail15normal_iteratorINS8_10device_ptrIiEEEESD_jNS1_19radix_merge_compareILb1ELb0EiNS0_19identity_decomposerEEEEE10hipError_tT0_T1_T2_jT3_P12ihipStream_tbPNSt15iterator_traitsISI_E10value_typeEPNSO_ISJ_E10value_typeEPSK_NS1_7vsmem_tEENKUlT_SI_SJ_SK_E_clIPiSD_S10_SD_EESH_SX_SI_SJ_SK_EUlSX_E_NS1_11comp_targetILNS1_3genE5ELNS1_11target_archE942ELNS1_3gpuE9ELNS1_3repE0EEENS1_48merge_mergepath_partition_config_static_selectorELNS0_4arch9wavefront6targetE0EEEvSJ_.uses_vcc, 0
	.set _ZN7rocprim17ROCPRIM_400000_NS6detail17trampoline_kernelINS0_14default_configENS1_38merge_sort_block_merge_config_selectorIiiEEZZNS1_27merge_sort_block_merge_implIS3_N6thrust23THRUST_200600_302600_NS6detail15normal_iteratorINS8_10device_ptrIiEEEESD_jNS1_19radix_merge_compareILb1ELb0EiNS0_19identity_decomposerEEEEE10hipError_tT0_T1_T2_jT3_P12ihipStream_tbPNSt15iterator_traitsISI_E10value_typeEPNSO_ISJ_E10value_typeEPSK_NS1_7vsmem_tEENKUlT_SI_SJ_SK_E_clIPiSD_S10_SD_EESH_SX_SI_SJ_SK_EUlSX_E_NS1_11comp_targetILNS1_3genE5ELNS1_11target_archE942ELNS1_3gpuE9ELNS1_3repE0EEENS1_48merge_mergepath_partition_config_static_selectorELNS0_4arch9wavefront6targetE0EEEvSJ_.uses_flat_scratch, 0
	.set _ZN7rocprim17ROCPRIM_400000_NS6detail17trampoline_kernelINS0_14default_configENS1_38merge_sort_block_merge_config_selectorIiiEEZZNS1_27merge_sort_block_merge_implIS3_N6thrust23THRUST_200600_302600_NS6detail15normal_iteratorINS8_10device_ptrIiEEEESD_jNS1_19radix_merge_compareILb1ELb0EiNS0_19identity_decomposerEEEEE10hipError_tT0_T1_T2_jT3_P12ihipStream_tbPNSt15iterator_traitsISI_E10value_typeEPNSO_ISJ_E10value_typeEPSK_NS1_7vsmem_tEENKUlT_SI_SJ_SK_E_clIPiSD_S10_SD_EESH_SX_SI_SJ_SK_EUlSX_E_NS1_11comp_targetILNS1_3genE5ELNS1_11target_archE942ELNS1_3gpuE9ELNS1_3repE0EEENS1_48merge_mergepath_partition_config_static_selectorELNS0_4arch9wavefront6targetE0EEEvSJ_.has_dyn_sized_stack, 0
	.set _ZN7rocprim17ROCPRIM_400000_NS6detail17trampoline_kernelINS0_14default_configENS1_38merge_sort_block_merge_config_selectorIiiEEZZNS1_27merge_sort_block_merge_implIS3_N6thrust23THRUST_200600_302600_NS6detail15normal_iteratorINS8_10device_ptrIiEEEESD_jNS1_19radix_merge_compareILb1ELb0EiNS0_19identity_decomposerEEEEE10hipError_tT0_T1_T2_jT3_P12ihipStream_tbPNSt15iterator_traitsISI_E10value_typeEPNSO_ISJ_E10value_typeEPSK_NS1_7vsmem_tEENKUlT_SI_SJ_SK_E_clIPiSD_S10_SD_EESH_SX_SI_SJ_SK_EUlSX_E_NS1_11comp_targetILNS1_3genE5ELNS1_11target_archE942ELNS1_3gpuE9ELNS1_3repE0EEENS1_48merge_mergepath_partition_config_static_selectorELNS0_4arch9wavefront6targetE0EEEvSJ_.has_recursion, 0
	.set _ZN7rocprim17ROCPRIM_400000_NS6detail17trampoline_kernelINS0_14default_configENS1_38merge_sort_block_merge_config_selectorIiiEEZZNS1_27merge_sort_block_merge_implIS3_N6thrust23THRUST_200600_302600_NS6detail15normal_iteratorINS8_10device_ptrIiEEEESD_jNS1_19radix_merge_compareILb1ELb0EiNS0_19identity_decomposerEEEEE10hipError_tT0_T1_T2_jT3_P12ihipStream_tbPNSt15iterator_traitsISI_E10value_typeEPNSO_ISJ_E10value_typeEPSK_NS1_7vsmem_tEENKUlT_SI_SJ_SK_E_clIPiSD_S10_SD_EESH_SX_SI_SJ_SK_EUlSX_E_NS1_11comp_targetILNS1_3genE5ELNS1_11target_archE942ELNS1_3gpuE9ELNS1_3repE0EEENS1_48merge_mergepath_partition_config_static_selectorELNS0_4arch9wavefront6targetE0EEEvSJ_.has_indirect_call, 0
	.section	.AMDGPU.csdata,"",@progbits
; Kernel info:
; codeLenInByte = 0
; TotalNumSgprs: 0
; NumVgprs: 0
; ScratchSize: 0
; MemoryBound: 0
; FloatMode: 240
; IeeeMode: 1
; LDSByteSize: 0 bytes/workgroup (compile time only)
; SGPRBlocks: 0
; VGPRBlocks: 0
; NumSGPRsForWavesPerEU: 1
; NumVGPRsForWavesPerEU: 1
; Occupancy: 16
; WaveLimiterHint : 0
; COMPUTE_PGM_RSRC2:SCRATCH_EN: 0
; COMPUTE_PGM_RSRC2:USER_SGPR: 6
; COMPUTE_PGM_RSRC2:TRAP_HANDLER: 0
; COMPUTE_PGM_RSRC2:TGID_X_EN: 1
; COMPUTE_PGM_RSRC2:TGID_Y_EN: 0
; COMPUTE_PGM_RSRC2:TGID_Z_EN: 0
; COMPUTE_PGM_RSRC2:TIDIG_COMP_CNT: 0
	.section	.text._ZN7rocprim17ROCPRIM_400000_NS6detail17trampoline_kernelINS0_14default_configENS1_38merge_sort_block_merge_config_selectorIiiEEZZNS1_27merge_sort_block_merge_implIS3_N6thrust23THRUST_200600_302600_NS6detail15normal_iteratorINS8_10device_ptrIiEEEESD_jNS1_19radix_merge_compareILb1ELb0EiNS0_19identity_decomposerEEEEE10hipError_tT0_T1_T2_jT3_P12ihipStream_tbPNSt15iterator_traitsISI_E10value_typeEPNSO_ISJ_E10value_typeEPSK_NS1_7vsmem_tEENKUlT_SI_SJ_SK_E_clIPiSD_S10_SD_EESH_SX_SI_SJ_SK_EUlSX_E_NS1_11comp_targetILNS1_3genE4ELNS1_11target_archE910ELNS1_3gpuE8ELNS1_3repE0EEENS1_48merge_mergepath_partition_config_static_selectorELNS0_4arch9wavefront6targetE0EEEvSJ_,"axG",@progbits,_ZN7rocprim17ROCPRIM_400000_NS6detail17trampoline_kernelINS0_14default_configENS1_38merge_sort_block_merge_config_selectorIiiEEZZNS1_27merge_sort_block_merge_implIS3_N6thrust23THRUST_200600_302600_NS6detail15normal_iteratorINS8_10device_ptrIiEEEESD_jNS1_19radix_merge_compareILb1ELb0EiNS0_19identity_decomposerEEEEE10hipError_tT0_T1_T2_jT3_P12ihipStream_tbPNSt15iterator_traitsISI_E10value_typeEPNSO_ISJ_E10value_typeEPSK_NS1_7vsmem_tEENKUlT_SI_SJ_SK_E_clIPiSD_S10_SD_EESH_SX_SI_SJ_SK_EUlSX_E_NS1_11comp_targetILNS1_3genE4ELNS1_11target_archE910ELNS1_3gpuE8ELNS1_3repE0EEENS1_48merge_mergepath_partition_config_static_selectorELNS0_4arch9wavefront6targetE0EEEvSJ_,comdat
	.protected	_ZN7rocprim17ROCPRIM_400000_NS6detail17trampoline_kernelINS0_14default_configENS1_38merge_sort_block_merge_config_selectorIiiEEZZNS1_27merge_sort_block_merge_implIS3_N6thrust23THRUST_200600_302600_NS6detail15normal_iteratorINS8_10device_ptrIiEEEESD_jNS1_19radix_merge_compareILb1ELb0EiNS0_19identity_decomposerEEEEE10hipError_tT0_T1_T2_jT3_P12ihipStream_tbPNSt15iterator_traitsISI_E10value_typeEPNSO_ISJ_E10value_typeEPSK_NS1_7vsmem_tEENKUlT_SI_SJ_SK_E_clIPiSD_S10_SD_EESH_SX_SI_SJ_SK_EUlSX_E_NS1_11comp_targetILNS1_3genE4ELNS1_11target_archE910ELNS1_3gpuE8ELNS1_3repE0EEENS1_48merge_mergepath_partition_config_static_selectorELNS0_4arch9wavefront6targetE0EEEvSJ_ ; -- Begin function _ZN7rocprim17ROCPRIM_400000_NS6detail17trampoline_kernelINS0_14default_configENS1_38merge_sort_block_merge_config_selectorIiiEEZZNS1_27merge_sort_block_merge_implIS3_N6thrust23THRUST_200600_302600_NS6detail15normal_iteratorINS8_10device_ptrIiEEEESD_jNS1_19radix_merge_compareILb1ELb0EiNS0_19identity_decomposerEEEEE10hipError_tT0_T1_T2_jT3_P12ihipStream_tbPNSt15iterator_traitsISI_E10value_typeEPNSO_ISJ_E10value_typeEPSK_NS1_7vsmem_tEENKUlT_SI_SJ_SK_E_clIPiSD_S10_SD_EESH_SX_SI_SJ_SK_EUlSX_E_NS1_11comp_targetILNS1_3genE4ELNS1_11target_archE910ELNS1_3gpuE8ELNS1_3repE0EEENS1_48merge_mergepath_partition_config_static_selectorELNS0_4arch9wavefront6targetE0EEEvSJ_
	.globl	_ZN7rocprim17ROCPRIM_400000_NS6detail17trampoline_kernelINS0_14default_configENS1_38merge_sort_block_merge_config_selectorIiiEEZZNS1_27merge_sort_block_merge_implIS3_N6thrust23THRUST_200600_302600_NS6detail15normal_iteratorINS8_10device_ptrIiEEEESD_jNS1_19radix_merge_compareILb1ELb0EiNS0_19identity_decomposerEEEEE10hipError_tT0_T1_T2_jT3_P12ihipStream_tbPNSt15iterator_traitsISI_E10value_typeEPNSO_ISJ_E10value_typeEPSK_NS1_7vsmem_tEENKUlT_SI_SJ_SK_E_clIPiSD_S10_SD_EESH_SX_SI_SJ_SK_EUlSX_E_NS1_11comp_targetILNS1_3genE4ELNS1_11target_archE910ELNS1_3gpuE8ELNS1_3repE0EEENS1_48merge_mergepath_partition_config_static_selectorELNS0_4arch9wavefront6targetE0EEEvSJ_
	.p2align	8
	.type	_ZN7rocprim17ROCPRIM_400000_NS6detail17trampoline_kernelINS0_14default_configENS1_38merge_sort_block_merge_config_selectorIiiEEZZNS1_27merge_sort_block_merge_implIS3_N6thrust23THRUST_200600_302600_NS6detail15normal_iteratorINS8_10device_ptrIiEEEESD_jNS1_19radix_merge_compareILb1ELb0EiNS0_19identity_decomposerEEEEE10hipError_tT0_T1_T2_jT3_P12ihipStream_tbPNSt15iterator_traitsISI_E10value_typeEPNSO_ISJ_E10value_typeEPSK_NS1_7vsmem_tEENKUlT_SI_SJ_SK_E_clIPiSD_S10_SD_EESH_SX_SI_SJ_SK_EUlSX_E_NS1_11comp_targetILNS1_3genE4ELNS1_11target_archE910ELNS1_3gpuE8ELNS1_3repE0EEENS1_48merge_mergepath_partition_config_static_selectorELNS0_4arch9wavefront6targetE0EEEvSJ_,@function
_ZN7rocprim17ROCPRIM_400000_NS6detail17trampoline_kernelINS0_14default_configENS1_38merge_sort_block_merge_config_selectorIiiEEZZNS1_27merge_sort_block_merge_implIS3_N6thrust23THRUST_200600_302600_NS6detail15normal_iteratorINS8_10device_ptrIiEEEESD_jNS1_19radix_merge_compareILb1ELb0EiNS0_19identity_decomposerEEEEE10hipError_tT0_T1_T2_jT3_P12ihipStream_tbPNSt15iterator_traitsISI_E10value_typeEPNSO_ISJ_E10value_typeEPSK_NS1_7vsmem_tEENKUlT_SI_SJ_SK_E_clIPiSD_S10_SD_EESH_SX_SI_SJ_SK_EUlSX_E_NS1_11comp_targetILNS1_3genE4ELNS1_11target_archE910ELNS1_3gpuE8ELNS1_3repE0EEENS1_48merge_mergepath_partition_config_static_selectorELNS0_4arch9wavefront6targetE0EEEvSJ_: ; @_ZN7rocprim17ROCPRIM_400000_NS6detail17trampoline_kernelINS0_14default_configENS1_38merge_sort_block_merge_config_selectorIiiEEZZNS1_27merge_sort_block_merge_implIS3_N6thrust23THRUST_200600_302600_NS6detail15normal_iteratorINS8_10device_ptrIiEEEESD_jNS1_19radix_merge_compareILb1ELb0EiNS0_19identity_decomposerEEEEE10hipError_tT0_T1_T2_jT3_P12ihipStream_tbPNSt15iterator_traitsISI_E10value_typeEPNSO_ISJ_E10value_typeEPSK_NS1_7vsmem_tEENKUlT_SI_SJ_SK_E_clIPiSD_S10_SD_EESH_SX_SI_SJ_SK_EUlSX_E_NS1_11comp_targetILNS1_3genE4ELNS1_11target_archE910ELNS1_3gpuE8ELNS1_3repE0EEENS1_48merge_mergepath_partition_config_static_selectorELNS0_4arch9wavefront6targetE0EEEvSJ_
; %bb.0:
	.section	.rodata,"a",@progbits
	.p2align	6, 0x0
	.amdhsa_kernel _ZN7rocprim17ROCPRIM_400000_NS6detail17trampoline_kernelINS0_14default_configENS1_38merge_sort_block_merge_config_selectorIiiEEZZNS1_27merge_sort_block_merge_implIS3_N6thrust23THRUST_200600_302600_NS6detail15normal_iteratorINS8_10device_ptrIiEEEESD_jNS1_19radix_merge_compareILb1ELb0EiNS0_19identity_decomposerEEEEE10hipError_tT0_T1_T2_jT3_P12ihipStream_tbPNSt15iterator_traitsISI_E10value_typeEPNSO_ISJ_E10value_typeEPSK_NS1_7vsmem_tEENKUlT_SI_SJ_SK_E_clIPiSD_S10_SD_EESH_SX_SI_SJ_SK_EUlSX_E_NS1_11comp_targetILNS1_3genE4ELNS1_11target_archE910ELNS1_3gpuE8ELNS1_3repE0EEENS1_48merge_mergepath_partition_config_static_selectorELNS0_4arch9wavefront6targetE0EEEvSJ_
		.amdhsa_group_segment_fixed_size 0
		.amdhsa_private_segment_fixed_size 0
		.amdhsa_kernarg_size 40
		.amdhsa_user_sgpr_count 6
		.amdhsa_user_sgpr_private_segment_buffer 1
		.amdhsa_user_sgpr_dispatch_ptr 0
		.amdhsa_user_sgpr_queue_ptr 0
		.amdhsa_user_sgpr_kernarg_segment_ptr 1
		.amdhsa_user_sgpr_dispatch_id 0
		.amdhsa_user_sgpr_flat_scratch_init 0
		.amdhsa_user_sgpr_private_segment_size 0
		.amdhsa_wavefront_size32 1
		.amdhsa_uses_dynamic_stack 0
		.amdhsa_system_sgpr_private_segment_wavefront_offset 0
		.amdhsa_system_sgpr_workgroup_id_x 1
		.amdhsa_system_sgpr_workgroup_id_y 0
		.amdhsa_system_sgpr_workgroup_id_z 0
		.amdhsa_system_sgpr_workgroup_info 0
		.amdhsa_system_vgpr_workitem_id 0
		.amdhsa_next_free_vgpr 1
		.amdhsa_next_free_sgpr 1
		.amdhsa_reserve_vcc 0
		.amdhsa_reserve_flat_scratch 0
		.amdhsa_float_round_mode_32 0
		.amdhsa_float_round_mode_16_64 0
		.amdhsa_float_denorm_mode_32 3
		.amdhsa_float_denorm_mode_16_64 3
		.amdhsa_dx10_clamp 1
		.amdhsa_ieee_mode 1
		.amdhsa_fp16_overflow 0
		.amdhsa_workgroup_processor_mode 1
		.amdhsa_memory_ordered 1
		.amdhsa_forward_progress 1
		.amdhsa_shared_vgpr_count 0
		.amdhsa_exception_fp_ieee_invalid_op 0
		.amdhsa_exception_fp_denorm_src 0
		.amdhsa_exception_fp_ieee_div_zero 0
		.amdhsa_exception_fp_ieee_overflow 0
		.amdhsa_exception_fp_ieee_underflow 0
		.amdhsa_exception_fp_ieee_inexact 0
		.amdhsa_exception_int_div_zero 0
	.end_amdhsa_kernel
	.section	.text._ZN7rocprim17ROCPRIM_400000_NS6detail17trampoline_kernelINS0_14default_configENS1_38merge_sort_block_merge_config_selectorIiiEEZZNS1_27merge_sort_block_merge_implIS3_N6thrust23THRUST_200600_302600_NS6detail15normal_iteratorINS8_10device_ptrIiEEEESD_jNS1_19radix_merge_compareILb1ELb0EiNS0_19identity_decomposerEEEEE10hipError_tT0_T1_T2_jT3_P12ihipStream_tbPNSt15iterator_traitsISI_E10value_typeEPNSO_ISJ_E10value_typeEPSK_NS1_7vsmem_tEENKUlT_SI_SJ_SK_E_clIPiSD_S10_SD_EESH_SX_SI_SJ_SK_EUlSX_E_NS1_11comp_targetILNS1_3genE4ELNS1_11target_archE910ELNS1_3gpuE8ELNS1_3repE0EEENS1_48merge_mergepath_partition_config_static_selectorELNS0_4arch9wavefront6targetE0EEEvSJ_,"axG",@progbits,_ZN7rocprim17ROCPRIM_400000_NS6detail17trampoline_kernelINS0_14default_configENS1_38merge_sort_block_merge_config_selectorIiiEEZZNS1_27merge_sort_block_merge_implIS3_N6thrust23THRUST_200600_302600_NS6detail15normal_iteratorINS8_10device_ptrIiEEEESD_jNS1_19radix_merge_compareILb1ELb0EiNS0_19identity_decomposerEEEEE10hipError_tT0_T1_T2_jT3_P12ihipStream_tbPNSt15iterator_traitsISI_E10value_typeEPNSO_ISJ_E10value_typeEPSK_NS1_7vsmem_tEENKUlT_SI_SJ_SK_E_clIPiSD_S10_SD_EESH_SX_SI_SJ_SK_EUlSX_E_NS1_11comp_targetILNS1_3genE4ELNS1_11target_archE910ELNS1_3gpuE8ELNS1_3repE0EEENS1_48merge_mergepath_partition_config_static_selectorELNS0_4arch9wavefront6targetE0EEEvSJ_,comdat
.Lfunc_end888:
	.size	_ZN7rocprim17ROCPRIM_400000_NS6detail17trampoline_kernelINS0_14default_configENS1_38merge_sort_block_merge_config_selectorIiiEEZZNS1_27merge_sort_block_merge_implIS3_N6thrust23THRUST_200600_302600_NS6detail15normal_iteratorINS8_10device_ptrIiEEEESD_jNS1_19radix_merge_compareILb1ELb0EiNS0_19identity_decomposerEEEEE10hipError_tT0_T1_T2_jT3_P12ihipStream_tbPNSt15iterator_traitsISI_E10value_typeEPNSO_ISJ_E10value_typeEPSK_NS1_7vsmem_tEENKUlT_SI_SJ_SK_E_clIPiSD_S10_SD_EESH_SX_SI_SJ_SK_EUlSX_E_NS1_11comp_targetILNS1_3genE4ELNS1_11target_archE910ELNS1_3gpuE8ELNS1_3repE0EEENS1_48merge_mergepath_partition_config_static_selectorELNS0_4arch9wavefront6targetE0EEEvSJ_, .Lfunc_end888-_ZN7rocprim17ROCPRIM_400000_NS6detail17trampoline_kernelINS0_14default_configENS1_38merge_sort_block_merge_config_selectorIiiEEZZNS1_27merge_sort_block_merge_implIS3_N6thrust23THRUST_200600_302600_NS6detail15normal_iteratorINS8_10device_ptrIiEEEESD_jNS1_19radix_merge_compareILb1ELb0EiNS0_19identity_decomposerEEEEE10hipError_tT0_T1_T2_jT3_P12ihipStream_tbPNSt15iterator_traitsISI_E10value_typeEPNSO_ISJ_E10value_typeEPSK_NS1_7vsmem_tEENKUlT_SI_SJ_SK_E_clIPiSD_S10_SD_EESH_SX_SI_SJ_SK_EUlSX_E_NS1_11comp_targetILNS1_3genE4ELNS1_11target_archE910ELNS1_3gpuE8ELNS1_3repE0EEENS1_48merge_mergepath_partition_config_static_selectorELNS0_4arch9wavefront6targetE0EEEvSJ_
                                        ; -- End function
	.set _ZN7rocprim17ROCPRIM_400000_NS6detail17trampoline_kernelINS0_14default_configENS1_38merge_sort_block_merge_config_selectorIiiEEZZNS1_27merge_sort_block_merge_implIS3_N6thrust23THRUST_200600_302600_NS6detail15normal_iteratorINS8_10device_ptrIiEEEESD_jNS1_19radix_merge_compareILb1ELb0EiNS0_19identity_decomposerEEEEE10hipError_tT0_T1_T2_jT3_P12ihipStream_tbPNSt15iterator_traitsISI_E10value_typeEPNSO_ISJ_E10value_typeEPSK_NS1_7vsmem_tEENKUlT_SI_SJ_SK_E_clIPiSD_S10_SD_EESH_SX_SI_SJ_SK_EUlSX_E_NS1_11comp_targetILNS1_3genE4ELNS1_11target_archE910ELNS1_3gpuE8ELNS1_3repE0EEENS1_48merge_mergepath_partition_config_static_selectorELNS0_4arch9wavefront6targetE0EEEvSJ_.num_vgpr, 0
	.set _ZN7rocprim17ROCPRIM_400000_NS6detail17trampoline_kernelINS0_14default_configENS1_38merge_sort_block_merge_config_selectorIiiEEZZNS1_27merge_sort_block_merge_implIS3_N6thrust23THRUST_200600_302600_NS6detail15normal_iteratorINS8_10device_ptrIiEEEESD_jNS1_19radix_merge_compareILb1ELb0EiNS0_19identity_decomposerEEEEE10hipError_tT0_T1_T2_jT3_P12ihipStream_tbPNSt15iterator_traitsISI_E10value_typeEPNSO_ISJ_E10value_typeEPSK_NS1_7vsmem_tEENKUlT_SI_SJ_SK_E_clIPiSD_S10_SD_EESH_SX_SI_SJ_SK_EUlSX_E_NS1_11comp_targetILNS1_3genE4ELNS1_11target_archE910ELNS1_3gpuE8ELNS1_3repE0EEENS1_48merge_mergepath_partition_config_static_selectorELNS0_4arch9wavefront6targetE0EEEvSJ_.num_agpr, 0
	.set _ZN7rocprim17ROCPRIM_400000_NS6detail17trampoline_kernelINS0_14default_configENS1_38merge_sort_block_merge_config_selectorIiiEEZZNS1_27merge_sort_block_merge_implIS3_N6thrust23THRUST_200600_302600_NS6detail15normal_iteratorINS8_10device_ptrIiEEEESD_jNS1_19radix_merge_compareILb1ELb0EiNS0_19identity_decomposerEEEEE10hipError_tT0_T1_T2_jT3_P12ihipStream_tbPNSt15iterator_traitsISI_E10value_typeEPNSO_ISJ_E10value_typeEPSK_NS1_7vsmem_tEENKUlT_SI_SJ_SK_E_clIPiSD_S10_SD_EESH_SX_SI_SJ_SK_EUlSX_E_NS1_11comp_targetILNS1_3genE4ELNS1_11target_archE910ELNS1_3gpuE8ELNS1_3repE0EEENS1_48merge_mergepath_partition_config_static_selectorELNS0_4arch9wavefront6targetE0EEEvSJ_.numbered_sgpr, 0
	.set _ZN7rocprim17ROCPRIM_400000_NS6detail17trampoline_kernelINS0_14default_configENS1_38merge_sort_block_merge_config_selectorIiiEEZZNS1_27merge_sort_block_merge_implIS3_N6thrust23THRUST_200600_302600_NS6detail15normal_iteratorINS8_10device_ptrIiEEEESD_jNS1_19radix_merge_compareILb1ELb0EiNS0_19identity_decomposerEEEEE10hipError_tT0_T1_T2_jT3_P12ihipStream_tbPNSt15iterator_traitsISI_E10value_typeEPNSO_ISJ_E10value_typeEPSK_NS1_7vsmem_tEENKUlT_SI_SJ_SK_E_clIPiSD_S10_SD_EESH_SX_SI_SJ_SK_EUlSX_E_NS1_11comp_targetILNS1_3genE4ELNS1_11target_archE910ELNS1_3gpuE8ELNS1_3repE0EEENS1_48merge_mergepath_partition_config_static_selectorELNS0_4arch9wavefront6targetE0EEEvSJ_.num_named_barrier, 0
	.set _ZN7rocprim17ROCPRIM_400000_NS6detail17trampoline_kernelINS0_14default_configENS1_38merge_sort_block_merge_config_selectorIiiEEZZNS1_27merge_sort_block_merge_implIS3_N6thrust23THRUST_200600_302600_NS6detail15normal_iteratorINS8_10device_ptrIiEEEESD_jNS1_19radix_merge_compareILb1ELb0EiNS0_19identity_decomposerEEEEE10hipError_tT0_T1_T2_jT3_P12ihipStream_tbPNSt15iterator_traitsISI_E10value_typeEPNSO_ISJ_E10value_typeEPSK_NS1_7vsmem_tEENKUlT_SI_SJ_SK_E_clIPiSD_S10_SD_EESH_SX_SI_SJ_SK_EUlSX_E_NS1_11comp_targetILNS1_3genE4ELNS1_11target_archE910ELNS1_3gpuE8ELNS1_3repE0EEENS1_48merge_mergepath_partition_config_static_selectorELNS0_4arch9wavefront6targetE0EEEvSJ_.private_seg_size, 0
	.set _ZN7rocprim17ROCPRIM_400000_NS6detail17trampoline_kernelINS0_14default_configENS1_38merge_sort_block_merge_config_selectorIiiEEZZNS1_27merge_sort_block_merge_implIS3_N6thrust23THRUST_200600_302600_NS6detail15normal_iteratorINS8_10device_ptrIiEEEESD_jNS1_19radix_merge_compareILb1ELb0EiNS0_19identity_decomposerEEEEE10hipError_tT0_T1_T2_jT3_P12ihipStream_tbPNSt15iterator_traitsISI_E10value_typeEPNSO_ISJ_E10value_typeEPSK_NS1_7vsmem_tEENKUlT_SI_SJ_SK_E_clIPiSD_S10_SD_EESH_SX_SI_SJ_SK_EUlSX_E_NS1_11comp_targetILNS1_3genE4ELNS1_11target_archE910ELNS1_3gpuE8ELNS1_3repE0EEENS1_48merge_mergepath_partition_config_static_selectorELNS0_4arch9wavefront6targetE0EEEvSJ_.uses_vcc, 0
	.set _ZN7rocprim17ROCPRIM_400000_NS6detail17trampoline_kernelINS0_14default_configENS1_38merge_sort_block_merge_config_selectorIiiEEZZNS1_27merge_sort_block_merge_implIS3_N6thrust23THRUST_200600_302600_NS6detail15normal_iteratorINS8_10device_ptrIiEEEESD_jNS1_19radix_merge_compareILb1ELb0EiNS0_19identity_decomposerEEEEE10hipError_tT0_T1_T2_jT3_P12ihipStream_tbPNSt15iterator_traitsISI_E10value_typeEPNSO_ISJ_E10value_typeEPSK_NS1_7vsmem_tEENKUlT_SI_SJ_SK_E_clIPiSD_S10_SD_EESH_SX_SI_SJ_SK_EUlSX_E_NS1_11comp_targetILNS1_3genE4ELNS1_11target_archE910ELNS1_3gpuE8ELNS1_3repE0EEENS1_48merge_mergepath_partition_config_static_selectorELNS0_4arch9wavefront6targetE0EEEvSJ_.uses_flat_scratch, 0
	.set _ZN7rocprim17ROCPRIM_400000_NS6detail17trampoline_kernelINS0_14default_configENS1_38merge_sort_block_merge_config_selectorIiiEEZZNS1_27merge_sort_block_merge_implIS3_N6thrust23THRUST_200600_302600_NS6detail15normal_iteratorINS8_10device_ptrIiEEEESD_jNS1_19radix_merge_compareILb1ELb0EiNS0_19identity_decomposerEEEEE10hipError_tT0_T1_T2_jT3_P12ihipStream_tbPNSt15iterator_traitsISI_E10value_typeEPNSO_ISJ_E10value_typeEPSK_NS1_7vsmem_tEENKUlT_SI_SJ_SK_E_clIPiSD_S10_SD_EESH_SX_SI_SJ_SK_EUlSX_E_NS1_11comp_targetILNS1_3genE4ELNS1_11target_archE910ELNS1_3gpuE8ELNS1_3repE0EEENS1_48merge_mergepath_partition_config_static_selectorELNS0_4arch9wavefront6targetE0EEEvSJ_.has_dyn_sized_stack, 0
	.set _ZN7rocprim17ROCPRIM_400000_NS6detail17trampoline_kernelINS0_14default_configENS1_38merge_sort_block_merge_config_selectorIiiEEZZNS1_27merge_sort_block_merge_implIS3_N6thrust23THRUST_200600_302600_NS6detail15normal_iteratorINS8_10device_ptrIiEEEESD_jNS1_19radix_merge_compareILb1ELb0EiNS0_19identity_decomposerEEEEE10hipError_tT0_T1_T2_jT3_P12ihipStream_tbPNSt15iterator_traitsISI_E10value_typeEPNSO_ISJ_E10value_typeEPSK_NS1_7vsmem_tEENKUlT_SI_SJ_SK_E_clIPiSD_S10_SD_EESH_SX_SI_SJ_SK_EUlSX_E_NS1_11comp_targetILNS1_3genE4ELNS1_11target_archE910ELNS1_3gpuE8ELNS1_3repE0EEENS1_48merge_mergepath_partition_config_static_selectorELNS0_4arch9wavefront6targetE0EEEvSJ_.has_recursion, 0
	.set _ZN7rocprim17ROCPRIM_400000_NS6detail17trampoline_kernelINS0_14default_configENS1_38merge_sort_block_merge_config_selectorIiiEEZZNS1_27merge_sort_block_merge_implIS3_N6thrust23THRUST_200600_302600_NS6detail15normal_iteratorINS8_10device_ptrIiEEEESD_jNS1_19radix_merge_compareILb1ELb0EiNS0_19identity_decomposerEEEEE10hipError_tT0_T1_T2_jT3_P12ihipStream_tbPNSt15iterator_traitsISI_E10value_typeEPNSO_ISJ_E10value_typeEPSK_NS1_7vsmem_tEENKUlT_SI_SJ_SK_E_clIPiSD_S10_SD_EESH_SX_SI_SJ_SK_EUlSX_E_NS1_11comp_targetILNS1_3genE4ELNS1_11target_archE910ELNS1_3gpuE8ELNS1_3repE0EEENS1_48merge_mergepath_partition_config_static_selectorELNS0_4arch9wavefront6targetE0EEEvSJ_.has_indirect_call, 0
	.section	.AMDGPU.csdata,"",@progbits
; Kernel info:
; codeLenInByte = 0
; TotalNumSgprs: 0
; NumVgprs: 0
; ScratchSize: 0
; MemoryBound: 0
; FloatMode: 240
; IeeeMode: 1
; LDSByteSize: 0 bytes/workgroup (compile time only)
; SGPRBlocks: 0
; VGPRBlocks: 0
; NumSGPRsForWavesPerEU: 1
; NumVGPRsForWavesPerEU: 1
; Occupancy: 16
; WaveLimiterHint : 0
; COMPUTE_PGM_RSRC2:SCRATCH_EN: 0
; COMPUTE_PGM_RSRC2:USER_SGPR: 6
; COMPUTE_PGM_RSRC2:TRAP_HANDLER: 0
; COMPUTE_PGM_RSRC2:TGID_X_EN: 1
; COMPUTE_PGM_RSRC2:TGID_Y_EN: 0
; COMPUTE_PGM_RSRC2:TGID_Z_EN: 0
; COMPUTE_PGM_RSRC2:TIDIG_COMP_CNT: 0
	.section	.text._ZN7rocprim17ROCPRIM_400000_NS6detail17trampoline_kernelINS0_14default_configENS1_38merge_sort_block_merge_config_selectorIiiEEZZNS1_27merge_sort_block_merge_implIS3_N6thrust23THRUST_200600_302600_NS6detail15normal_iteratorINS8_10device_ptrIiEEEESD_jNS1_19radix_merge_compareILb1ELb0EiNS0_19identity_decomposerEEEEE10hipError_tT0_T1_T2_jT3_P12ihipStream_tbPNSt15iterator_traitsISI_E10value_typeEPNSO_ISJ_E10value_typeEPSK_NS1_7vsmem_tEENKUlT_SI_SJ_SK_E_clIPiSD_S10_SD_EESH_SX_SI_SJ_SK_EUlSX_E_NS1_11comp_targetILNS1_3genE3ELNS1_11target_archE908ELNS1_3gpuE7ELNS1_3repE0EEENS1_48merge_mergepath_partition_config_static_selectorELNS0_4arch9wavefront6targetE0EEEvSJ_,"axG",@progbits,_ZN7rocprim17ROCPRIM_400000_NS6detail17trampoline_kernelINS0_14default_configENS1_38merge_sort_block_merge_config_selectorIiiEEZZNS1_27merge_sort_block_merge_implIS3_N6thrust23THRUST_200600_302600_NS6detail15normal_iteratorINS8_10device_ptrIiEEEESD_jNS1_19radix_merge_compareILb1ELb0EiNS0_19identity_decomposerEEEEE10hipError_tT0_T1_T2_jT3_P12ihipStream_tbPNSt15iterator_traitsISI_E10value_typeEPNSO_ISJ_E10value_typeEPSK_NS1_7vsmem_tEENKUlT_SI_SJ_SK_E_clIPiSD_S10_SD_EESH_SX_SI_SJ_SK_EUlSX_E_NS1_11comp_targetILNS1_3genE3ELNS1_11target_archE908ELNS1_3gpuE7ELNS1_3repE0EEENS1_48merge_mergepath_partition_config_static_selectorELNS0_4arch9wavefront6targetE0EEEvSJ_,comdat
	.protected	_ZN7rocprim17ROCPRIM_400000_NS6detail17trampoline_kernelINS0_14default_configENS1_38merge_sort_block_merge_config_selectorIiiEEZZNS1_27merge_sort_block_merge_implIS3_N6thrust23THRUST_200600_302600_NS6detail15normal_iteratorINS8_10device_ptrIiEEEESD_jNS1_19radix_merge_compareILb1ELb0EiNS0_19identity_decomposerEEEEE10hipError_tT0_T1_T2_jT3_P12ihipStream_tbPNSt15iterator_traitsISI_E10value_typeEPNSO_ISJ_E10value_typeEPSK_NS1_7vsmem_tEENKUlT_SI_SJ_SK_E_clIPiSD_S10_SD_EESH_SX_SI_SJ_SK_EUlSX_E_NS1_11comp_targetILNS1_3genE3ELNS1_11target_archE908ELNS1_3gpuE7ELNS1_3repE0EEENS1_48merge_mergepath_partition_config_static_selectorELNS0_4arch9wavefront6targetE0EEEvSJ_ ; -- Begin function _ZN7rocprim17ROCPRIM_400000_NS6detail17trampoline_kernelINS0_14default_configENS1_38merge_sort_block_merge_config_selectorIiiEEZZNS1_27merge_sort_block_merge_implIS3_N6thrust23THRUST_200600_302600_NS6detail15normal_iteratorINS8_10device_ptrIiEEEESD_jNS1_19radix_merge_compareILb1ELb0EiNS0_19identity_decomposerEEEEE10hipError_tT0_T1_T2_jT3_P12ihipStream_tbPNSt15iterator_traitsISI_E10value_typeEPNSO_ISJ_E10value_typeEPSK_NS1_7vsmem_tEENKUlT_SI_SJ_SK_E_clIPiSD_S10_SD_EESH_SX_SI_SJ_SK_EUlSX_E_NS1_11comp_targetILNS1_3genE3ELNS1_11target_archE908ELNS1_3gpuE7ELNS1_3repE0EEENS1_48merge_mergepath_partition_config_static_selectorELNS0_4arch9wavefront6targetE0EEEvSJ_
	.globl	_ZN7rocprim17ROCPRIM_400000_NS6detail17trampoline_kernelINS0_14default_configENS1_38merge_sort_block_merge_config_selectorIiiEEZZNS1_27merge_sort_block_merge_implIS3_N6thrust23THRUST_200600_302600_NS6detail15normal_iteratorINS8_10device_ptrIiEEEESD_jNS1_19radix_merge_compareILb1ELb0EiNS0_19identity_decomposerEEEEE10hipError_tT0_T1_T2_jT3_P12ihipStream_tbPNSt15iterator_traitsISI_E10value_typeEPNSO_ISJ_E10value_typeEPSK_NS1_7vsmem_tEENKUlT_SI_SJ_SK_E_clIPiSD_S10_SD_EESH_SX_SI_SJ_SK_EUlSX_E_NS1_11comp_targetILNS1_3genE3ELNS1_11target_archE908ELNS1_3gpuE7ELNS1_3repE0EEENS1_48merge_mergepath_partition_config_static_selectorELNS0_4arch9wavefront6targetE0EEEvSJ_
	.p2align	8
	.type	_ZN7rocprim17ROCPRIM_400000_NS6detail17trampoline_kernelINS0_14default_configENS1_38merge_sort_block_merge_config_selectorIiiEEZZNS1_27merge_sort_block_merge_implIS3_N6thrust23THRUST_200600_302600_NS6detail15normal_iteratorINS8_10device_ptrIiEEEESD_jNS1_19radix_merge_compareILb1ELb0EiNS0_19identity_decomposerEEEEE10hipError_tT0_T1_T2_jT3_P12ihipStream_tbPNSt15iterator_traitsISI_E10value_typeEPNSO_ISJ_E10value_typeEPSK_NS1_7vsmem_tEENKUlT_SI_SJ_SK_E_clIPiSD_S10_SD_EESH_SX_SI_SJ_SK_EUlSX_E_NS1_11comp_targetILNS1_3genE3ELNS1_11target_archE908ELNS1_3gpuE7ELNS1_3repE0EEENS1_48merge_mergepath_partition_config_static_selectorELNS0_4arch9wavefront6targetE0EEEvSJ_,@function
_ZN7rocprim17ROCPRIM_400000_NS6detail17trampoline_kernelINS0_14default_configENS1_38merge_sort_block_merge_config_selectorIiiEEZZNS1_27merge_sort_block_merge_implIS3_N6thrust23THRUST_200600_302600_NS6detail15normal_iteratorINS8_10device_ptrIiEEEESD_jNS1_19radix_merge_compareILb1ELb0EiNS0_19identity_decomposerEEEEE10hipError_tT0_T1_T2_jT3_P12ihipStream_tbPNSt15iterator_traitsISI_E10value_typeEPNSO_ISJ_E10value_typeEPSK_NS1_7vsmem_tEENKUlT_SI_SJ_SK_E_clIPiSD_S10_SD_EESH_SX_SI_SJ_SK_EUlSX_E_NS1_11comp_targetILNS1_3genE3ELNS1_11target_archE908ELNS1_3gpuE7ELNS1_3repE0EEENS1_48merge_mergepath_partition_config_static_selectorELNS0_4arch9wavefront6targetE0EEEvSJ_: ; @_ZN7rocprim17ROCPRIM_400000_NS6detail17trampoline_kernelINS0_14default_configENS1_38merge_sort_block_merge_config_selectorIiiEEZZNS1_27merge_sort_block_merge_implIS3_N6thrust23THRUST_200600_302600_NS6detail15normal_iteratorINS8_10device_ptrIiEEEESD_jNS1_19radix_merge_compareILb1ELb0EiNS0_19identity_decomposerEEEEE10hipError_tT0_T1_T2_jT3_P12ihipStream_tbPNSt15iterator_traitsISI_E10value_typeEPNSO_ISJ_E10value_typeEPSK_NS1_7vsmem_tEENKUlT_SI_SJ_SK_E_clIPiSD_S10_SD_EESH_SX_SI_SJ_SK_EUlSX_E_NS1_11comp_targetILNS1_3genE3ELNS1_11target_archE908ELNS1_3gpuE7ELNS1_3repE0EEENS1_48merge_mergepath_partition_config_static_selectorELNS0_4arch9wavefront6targetE0EEEvSJ_
; %bb.0:
	.section	.rodata,"a",@progbits
	.p2align	6, 0x0
	.amdhsa_kernel _ZN7rocprim17ROCPRIM_400000_NS6detail17trampoline_kernelINS0_14default_configENS1_38merge_sort_block_merge_config_selectorIiiEEZZNS1_27merge_sort_block_merge_implIS3_N6thrust23THRUST_200600_302600_NS6detail15normal_iteratorINS8_10device_ptrIiEEEESD_jNS1_19radix_merge_compareILb1ELb0EiNS0_19identity_decomposerEEEEE10hipError_tT0_T1_T2_jT3_P12ihipStream_tbPNSt15iterator_traitsISI_E10value_typeEPNSO_ISJ_E10value_typeEPSK_NS1_7vsmem_tEENKUlT_SI_SJ_SK_E_clIPiSD_S10_SD_EESH_SX_SI_SJ_SK_EUlSX_E_NS1_11comp_targetILNS1_3genE3ELNS1_11target_archE908ELNS1_3gpuE7ELNS1_3repE0EEENS1_48merge_mergepath_partition_config_static_selectorELNS0_4arch9wavefront6targetE0EEEvSJ_
		.amdhsa_group_segment_fixed_size 0
		.amdhsa_private_segment_fixed_size 0
		.amdhsa_kernarg_size 40
		.amdhsa_user_sgpr_count 6
		.amdhsa_user_sgpr_private_segment_buffer 1
		.amdhsa_user_sgpr_dispatch_ptr 0
		.amdhsa_user_sgpr_queue_ptr 0
		.amdhsa_user_sgpr_kernarg_segment_ptr 1
		.amdhsa_user_sgpr_dispatch_id 0
		.amdhsa_user_sgpr_flat_scratch_init 0
		.amdhsa_user_sgpr_private_segment_size 0
		.amdhsa_wavefront_size32 1
		.amdhsa_uses_dynamic_stack 0
		.amdhsa_system_sgpr_private_segment_wavefront_offset 0
		.amdhsa_system_sgpr_workgroup_id_x 1
		.amdhsa_system_sgpr_workgroup_id_y 0
		.amdhsa_system_sgpr_workgroup_id_z 0
		.amdhsa_system_sgpr_workgroup_info 0
		.amdhsa_system_vgpr_workitem_id 0
		.amdhsa_next_free_vgpr 1
		.amdhsa_next_free_sgpr 1
		.amdhsa_reserve_vcc 0
		.amdhsa_reserve_flat_scratch 0
		.amdhsa_float_round_mode_32 0
		.amdhsa_float_round_mode_16_64 0
		.amdhsa_float_denorm_mode_32 3
		.amdhsa_float_denorm_mode_16_64 3
		.amdhsa_dx10_clamp 1
		.amdhsa_ieee_mode 1
		.amdhsa_fp16_overflow 0
		.amdhsa_workgroup_processor_mode 1
		.amdhsa_memory_ordered 1
		.amdhsa_forward_progress 1
		.amdhsa_shared_vgpr_count 0
		.amdhsa_exception_fp_ieee_invalid_op 0
		.amdhsa_exception_fp_denorm_src 0
		.amdhsa_exception_fp_ieee_div_zero 0
		.amdhsa_exception_fp_ieee_overflow 0
		.amdhsa_exception_fp_ieee_underflow 0
		.amdhsa_exception_fp_ieee_inexact 0
		.amdhsa_exception_int_div_zero 0
	.end_amdhsa_kernel
	.section	.text._ZN7rocprim17ROCPRIM_400000_NS6detail17trampoline_kernelINS0_14default_configENS1_38merge_sort_block_merge_config_selectorIiiEEZZNS1_27merge_sort_block_merge_implIS3_N6thrust23THRUST_200600_302600_NS6detail15normal_iteratorINS8_10device_ptrIiEEEESD_jNS1_19radix_merge_compareILb1ELb0EiNS0_19identity_decomposerEEEEE10hipError_tT0_T1_T2_jT3_P12ihipStream_tbPNSt15iterator_traitsISI_E10value_typeEPNSO_ISJ_E10value_typeEPSK_NS1_7vsmem_tEENKUlT_SI_SJ_SK_E_clIPiSD_S10_SD_EESH_SX_SI_SJ_SK_EUlSX_E_NS1_11comp_targetILNS1_3genE3ELNS1_11target_archE908ELNS1_3gpuE7ELNS1_3repE0EEENS1_48merge_mergepath_partition_config_static_selectorELNS0_4arch9wavefront6targetE0EEEvSJ_,"axG",@progbits,_ZN7rocprim17ROCPRIM_400000_NS6detail17trampoline_kernelINS0_14default_configENS1_38merge_sort_block_merge_config_selectorIiiEEZZNS1_27merge_sort_block_merge_implIS3_N6thrust23THRUST_200600_302600_NS6detail15normal_iteratorINS8_10device_ptrIiEEEESD_jNS1_19radix_merge_compareILb1ELb0EiNS0_19identity_decomposerEEEEE10hipError_tT0_T1_T2_jT3_P12ihipStream_tbPNSt15iterator_traitsISI_E10value_typeEPNSO_ISJ_E10value_typeEPSK_NS1_7vsmem_tEENKUlT_SI_SJ_SK_E_clIPiSD_S10_SD_EESH_SX_SI_SJ_SK_EUlSX_E_NS1_11comp_targetILNS1_3genE3ELNS1_11target_archE908ELNS1_3gpuE7ELNS1_3repE0EEENS1_48merge_mergepath_partition_config_static_selectorELNS0_4arch9wavefront6targetE0EEEvSJ_,comdat
.Lfunc_end889:
	.size	_ZN7rocprim17ROCPRIM_400000_NS6detail17trampoline_kernelINS0_14default_configENS1_38merge_sort_block_merge_config_selectorIiiEEZZNS1_27merge_sort_block_merge_implIS3_N6thrust23THRUST_200600_302600_NS6detail15normal_iteratorINS8_10device_ptrIiEEEESD_jNS1_19radix_merge_compareILb1ELb0EiNS0_19identity_decomposerEEEEE10hipError_tT0_T1_T2_jT3_P12ihipStream_tbPNSt15iterator_traitsISI_E10value_typeEPNSO_ISJ_E10value_typeEPSK_NS1_7vsmem_tEENKUlT_SI_SJ_SK_E_clIPiSD_S10_SD_EESH_SX_SI_SJ_SK_EUlSX_E_NS1_11comp_targetILNS1_3genE3ELNS1_11target_archE908ELNS1_3gpuE7ELNS1_3repE0EEENS1_48merge_mergepath_partition_config_static_selectorELNS0_4arch9wavefront6targetE0EEEvSJ_, .Lfunc_end889-_ZN7rocprim17ROCPRIM_400000_NS6detail17trampoline_kernelINS0_14default_configENS1_38merge_sort_block_merge_config_selectorIiiEEZZNS1_27merge_sort_block_merge_implIS3_N6thrust23THRUST_200600_302600_NS6detail15normal_iteratorINS8_10device_ptrIiEEEESD_jNS1_19radix_merge_compareILb1ELb0EiNS0_19identity_decomposerEEEEE10hipError_tT0_T1_T2_jT3_P12ihipStream_tbPNSt15iterator_traitsISI_E10value_typeEPNSO_ISJ_E10value_typeEPSK_NS1_7vsmem_tEENKUlT_SI_SJ_SK_E_clIPiSD_S10_SD_EESH_SX_SI_SJ_SK_EUlSX_E_NS1_11comp_targetILNS1_3genE3ELNS1_11target_archE908ELNS1_3gpuE7ELNS1_3repE0EEENS1_48merge_mergepath_partition_config_static_selectorELNS0_4arch9wavefront6targetE0EEEvSJ_
                                        ; -- End function
	.set _ZN7rocprim17ROCPRIM_400000_NS6detail17trampoline_kernelINS0_14default_configENS1_38merge_sort_block_merge_config_selectorIiiEEZZNS1_27merge_sort_block_merge_implIS3_N6thrust23THRUST_200600_302600_NS6detail15normal_iteratorINS8_10device_ptrIiEEEESD_jNS1_19radix_merge_compareILb1ELb0EiNS0_19identity_decomposerEEEEE10hipError_tT0_T1_T2_jT3_P12ihipStream_tbPNSt15iterator_traitsISI_E10value_typeEPNSO_ISJ_E10value_typeEPSK_NS1_7vsmem_tEENKUlT_SI_SJ_SK_E_clIPiSD_S10_SD_EESH_SX_SI_SJ_SK_EUlSX_E_NS1_11comp_targetILNS1_3genE3ELNS1_11target_archE908ELNS1_3gpuE7ELNS1_3repE0EEENS1_48merge_mergepath_partition_config_static_selectorELNS0_4arch9wavefront6targetE0EEEvSJ_.num_vgpr, 0
	.set _ZN7rocprim17ROCPRIM_400000_NS6detail17trampoline_kernelINS0_14default_configENS1_38merge_sort_block_merge_config_selectorIiiEEZZNS1_27merge_sort_block_merge_implIS3_N6thrust23THRUST_200600_302600_NS6detail15normal_iteratorINS8_10device_ptrIiEEEESD_jNS1_19radix_merge_compareILb1ELb0EiNS0_19identity_decomposerEEEEE10hipError_tT0_T1_T2_jT3_P12ihipStream_tbPNSt15iterator_traitsISI_E10value_typeEPNSO_ISJ_E10value_typeEPSK_NS1_7vsmem_tEENKUlT_SI_SJ_SK_E_clIPiSD_S10_SD_EESH_SX_SI_SJ_SK_EUlSX_E_NS1_11comp_targetILNS1_3genE3ELNS1_11target_archE908ELNS1_3gpuE7ELNS1_3repE0EEENS1_48merge_mergepath_partition_config_static_selectorELNS0_4arch9wavefront6targetE0EEEvSJ_.num_agpr, 0
	.set _ZN7rocprim17ROCPRIM_400000_NS6detail17trampoline_kernelINS0_14default_configENS1_38merge_sort_block_merge_config_selectorIiiEEZZNS1_27merge_sort_block_merge_implIS3_N6thrust23THRUST_200600_302600_NS6detail15normal_iteratorINS8_10device_ptrIiEEEESD_jNS1_19radix_merge_compareILb1ELb0EiNS0_19identity_decomposerEEEEE10hipError_tT0_T1_T2_jT3_P12ihipStream_tbPNSt15iterator_traitsISI_E10value_typeEPNSO_ISJ_E10value_typeEPSK_NS1_7vsmem_tEENKUlT_SI_SJ_SK_E_clIPiSD_S10_SD_EESH_SX_SI_SJ_SK_EUlSX_E_NS1_11comp_targetILNS1_3genE3ELNS1_11target_archE908ELNS1_3gpuE7ELNS1_3repE0EEENS1_48merge_mergepath_partition_config_static_selectorELNS0_4arch9wavefront6targetE0EEEvSJ_.numbered_sgpr, 0
	.set _ZN7rocprim17ROCPRIM_400000_NS6detail17trampoline_kernelINS0_14default_configENS1_38merge_sort_block_merge_config_selectorIiiEEZZNS1_27merge_sort_block_merge_implIS3_N6thrust23THRUST_200600_302600_NS6detail15normal_iteratorINS8_10device_ptrIiEEEESD_jNS1_19radix_merge_compareILb1ELb0EiNS0_19identity_decomposerEEEEE10hipError_tT0_T1_T2_jT3_P12ihipStream_tbPNSt15iterator_traitsISI_E10value_typeEPNSO_ISJ_E10value_typeEPSK_NS1_7vsmem_tEENKUlT_SI_SJ_SK_E_clIPiSD_S10_SD_EESH_SX_SI_SJ_SK_EUlSX_E_NS1_11comp_targetILNS1_3genE3ELNS1_11target_archE908ELNS1_3gpuE7ELNS1_3repE0EEENS1_48merge_mergepath_partition_config_static_selectorELNS0_4arch9wavefront6targetE0EEEvSJ_.num_named_barrier, 0
	.set _ZN7rocprim17ROCPRIM_400000_NS6detail17trampoline_kernelINS0_14default_configENS1_38merge_sort_block_merge_config_selectorIiiEEZZNS1_27merge_sort_block_merge_implIS3_N6thrust23THRUST_200600_302600_NS6detail15normal_iteratorINS8_10device_ptrIiEEEESD_jNS1_19radix_merge_compareILb1ELb0EiNS0_19identity_decomposerEEEEE10hipError_tT0_T1_T2_jT3_P12ihipStream_tbPNSt15iterator_traitsISI_E10value_typeEPNSO_ISJ_E10value_typeEPSK_NS1_7vsmem_tEENKUlT_SI_SJ_SK_E_clIPiSD_S10_SD_EESH_SX_SI_SJ_SK_EUlSX_E_NS1_11comp_targetILNS1_3genE3ELNS1_11target_archE908ELNS1_3gpuE7ELNS1_3repE0EEENS1_48merge_mergepath_partition_config_static_selectorELNS0_4arch9wavefront6targetE0EEEvSJ_.private_seg_size, 0
	.set _ZN7rocprim17ROCPRIM_400000_NS6detail17trampoline_kernelINS0_14default_configENS1_38merge_sort_block_merge_config_selectorIiiEEZZNS1_27merge_sort_block_merge_implIS3_N6thrust23THRUST_200600_302600_NS6detail15normal_iteratorINS8_10device_ptrIiEEEESD_jNS1_19radix_merge_compareILb1ELb0EiNS0_19identity_decomposerEEEEE10hipError_tT0_T1_T2_jT3_P12ihipStream_tbPNSt15iterator_traitsISI_E10value_typeEPNSO_ISJ_E10value_typeEPSK_NS1_7vsmem_tEENKUlT_SI_SJ_SK_E_clIPiSD_S10_SD_EESH_SX_SI_SJ_SK_EUlSX_E_NS1_11comp_targetILNS1_3genE3ELNS1_11target_archE908ELNS1_3gpuE7ELNS1_3repE0EEENS1_48merge_mergepath_partition_config_static_selectorELNS0_4arch9wavefront6targetE0EEEvSJ_.uses_vcc, 0
	.set _ZN7rocprim17ROCPRIM_400000_NS6detail17trampoline_kernelINS0_14default_configENS1_38merge_sort_block_merge_config_selectorIiiEEZZNS1_27merge_sort_block_merge_implIS3_N6thrust23THRUST_200600_302600_NS6detail15normal_iteratorINS8_10device_ptrIiEEEESD_jNS1_19radix_merge_compareILb1ELb0EiNS0_19identity_decomposerEEEEE10hipError_tT0_T1_T2_jT3_P12ihipStream_tbPNSt15iterator_traitsISI_E10value_typeEPNSO_ISJ_E10value_typeEPSK_NS1_7vsmem_tEENKUlT_SI_SJ_SK_E_clIPiSD_S10_SD_EESH_SX_SI_SJ_SK_EUlSX_E_NS1_11comp_targetILNS1_3genE3ELNS1_11target_archE908ELNS1_3gpuE7ELNS1_3repE0EEENS1_48merge_mergepath_partition_config_static_selectorELNS0_4arch9wavefront6targetE0EEEvSJ_.uses_flat_scratch, 0
	.set _ZN7rocprim17ROCPRIM_400000_NS6detail17trampoline_kernelINS0_14default_configENS1_38merge_sort_block_merge_config_selectorIiiEEZZNS1_27merge_sort_block_merge_implIS3_N6thrust23THRUST_200600_302600_NS6detail15normal_iteratorINS8_10device_ptrIiEEEESD_jNS1_19radix_merge_compareILb1ELb0EiNS0_19identity_decomposerEEEEE10hipError_tT0_T1_T2_jT3_P12ihipStream_tbPNSt15iterator_traitsISI_E10value_typeEPNSO_ISJ_E10value_typeEPSK_NS1_7vsmem_tEENKUlT_SI_SJ_SK_E_clIPiSD_S10_SD_EESH_SX_SI_SJ_SK_EUlSX_E_NS1_11comp_targetILNS1_3genE3ELNS1_11target_archE908ELNS1_3gpuE7ELNS1_3repE0EEENS1_48merge_mergepath_partition_config_static_selectorELNS0_4arch9wavefront6targetE0EEEvSJ_.has_dyn_sized_stack, 0
	.set _ZN7rocprim17ROCPRIM_400000_NS6detail17trampoline_kernelINS0_14default_configENS1_38merge_sort_block_merge_config_selectorIiiEEZZNS1_27merge_sort_block_merge_implIS3_N6thrust23THRUST_200600_302600_NS6detail15normal_iteratorINS8_10device_ptrIiEEEESD_jNS1_19radix_merge_compareILb1ELb0EiNS0_19identity_decomposerEEEEE10hipError_tT0_T1_T2_jT3_P12ihipStream_tbPNSt15iterator_traitsISI_E10value_typeEPNSO_ISJ_E10value_typeEPSK_NS1_7vsmem_tEENKUlT_SI_SJ_SK_E_clIPiSD_S10_SD_EESH_SX_SI_SJ_SK_EUlSX_E_NS1_11comp_targetILNS1_3genE3ELNS1_11target_archE908ELNS1_3gpuE7ELNS1_3repE0EEENS1_48merge_mergepath_partition_config_static_selectorELNS0_4arch9wavefront6targetE0EEEvSJ_.has_recursion, 0
	.set _ZN7rocprim17ROCPRIM_400000_NS6detail17trampoline_kernelINS0_14default_configENS1_38merge_sort_block_merge_config_selectorIiiEEZZNS1_27merge_sort_block_merge_implIS3_N6thrust23THRUST_200600_302600_NS6detail15normal_iteratorINS8_10device_ptrIiEEEESD_jNS1_19radix_merge_compareILb1ELb0EiNS0_19identity_decomposerEEEEE10hipError_tT0_T1_T2_jT3_P12ihipStream_tbPNSt15iterator_traitsISI_E10value_typeEPNSO_ISJ_E10value_typeEPSK_NS1_7vsmem_tEENKUlT_SI_SJ_SK_E_clIPiSD_S10_SD_EESH_SX_SI_SJ_SK_EUlSX_E_NS1_11comp_targetILNS1_3genE3ELNS1_11target_archE908ELNS1_3gpuE7ELNS1_3repE0EEENS1_48merge_mergepath_partition_config_static_selectorELNS0_4arch9wavefront6targetE0EEEvSJ_.has_indirect_call, 0
	.section	.AMDGPU.csdata,"",@progbits
; Kernel info:
; codeLenInByte = 0
; TotalNumSgprs: 0
; NumVgprs: 0
; ScratchSize: 0
; MemoryBound: 0
; FloatMode: 240
; IeeeMode: 1
; LDSByteSize: 0 bytes/workgroup (compile time only)
; SGPRBlocks: 0
; VGPRBlocks: 0
; NumSGPRsForWavesPerEU: 1
; NumVGPRsForWavesPerEU: 1
; Occupancy: 16
; WaveLimiterHint : 0
; COMPUTE_PGM_RSRC2:SCRATCH_EN: 0
; COMPUTE_PGM_RSRC2:USER_SGPR: 6
; COMPUTE_PGM_RSRC2:TRAP_HANDLER: 0
; COMPUTE_PGM_RSRC2:TGID_X_EN: 1
; COMPUTE_PGM_RSRC2:TGID_Y_EN: 0
; COMPUTE_PGM_RSRC2:TGID_Z_EN: 0
; COMPUTE_PGM_RSRC2:TIDIG_COMP_CNT: 0
	.section	.text._ZN7rocprim17ROCPRIM_400000_NS6detail17trampoline_kernelINS0_14default_configENS1_38merge_sort_block_merge_config_selectorIiiEEZZNS1_27merge_sort_block_merge_implIS3_N6thrust23THRUST_200600_302600_NS6detail15normal_iteratorINS8_10device_ptrIiEEEESD_jNS1_19radix_merge_compareILb1ELb0EiNS0_19identity_decomposerEEEEE10hipError_tT0_T1_T2_jT3_P12ihipStream_tbPNSt15iterator_traitsISI_E10value_typeEPNSO_ISJ_E10value_typeEPSK_NS1_7vsmem_tEENKUlT_SI_SJ_SK_E_clIPiSD_S10_SD_EESH_SX_SI_SJ_SK_EUlSX_E_NS1_11comp_targetILNS1_3genE2ELNS1_11target_archE906ELNS1_3gpuE6ELNS1_3repE0EEENS1_48merge_mergepath_partition_config_static_selectorELNS0_4arch9wavefront6targetE0EEEvSJ_,"axG",@progbits,_ZN7rocprim17ROCPRIM_400000_NS6detail17trampoline_kernelINS0_14default_configENS1_38merge_sort_block_merge_config_selectorIiiEEZZNS1_27merge_sort_block_merge_implIS3_N6thrust23THRUST_200600_302600_NS6detail15normal_iteratorINS8_10device_ptrIiEEEESD_jNS1_19radix_merge_compareILb1ELb0EiNS0_19identity_decomposerEEEEE10hipError_tT0_T1_T2_jT3_P12ihipStream_tbPNSt15iterator_traitsISI_E10value_typeEPNSO_ISJ_E10value_typeEPSK_NS1_7vsmem_tEENKUlT_SI_SJ_SK_E_clIPiSD_S10_SD_EESH_SX_SI_SJ_SK_EUlSX_E_NS1_11comp_targetILNS1_3genE2ELNS1_11target_archE906ELNS1_3gpuE6ELNS1_3repE0EEENS1_48merge_mergepath_partition_config_static_selectorELNS0_4arch9wavefront6targetE0EEEvSJ_,comdat
	.protected	_ZN7rocprim17ROCPRIM_400000_NS6detail17trampoline_kernelINS0_14default_configENS1_38merge_sort_block_merge_config_selectorIiiEEZZNS1_27merge_sort_block_merge_implIS3_N6thrust23THRUST_200600_302600_NS6detail15normal_iteratorINS8_10device_ptrIiEEEESD_jNS1_19radix_merge_compareILb1ELb0EiNS0_19identity_decomposerEEEEE10hipError_tT0_T1_T2_jT3_P12ihipStream_tbPNSt15iterator_traitsISI_E10value_typeEPNSO_ISJ_E10value_typeEPSK_NS1_7vsmem_tEENKUlT_SI_SJ_SK_E_clIPiSD_S10_SD_EESH_SX_SI_SJ_SK_EUlSX_E_NS1_11comp_targetILNS1_3genE2ELNS1_11target_archE906ELNS1_3gpuE6ELNS1_3repE0EEENS1_48merge_mergepath_partition_config_static_selectorELNS0_4arch9wavefront6targetE0EEEvSJ_ ; -- Begin function _ZN7rocprim17ROCPRIM_400000_NS6detail17trampoline_kernelINS0_14default_configENS1_38merge_sort_block_merge_config_selectorIiiEEZZNS1_27merge_sort_block_merge_implIS3_N6thrust23THRUST_200600_302600_NS6detail15normal_iteratorINS8_10device_ptrIiEEEESD_jNS1_19radix_merge_compareILb1ELb0EiNS0_19identity_decomposerEEEEE10hipError_tT0_T1_T2_jT3_P12ihipStream_tbPNSt15iterator_traitsISI_E10value_typeEPNSO_ISJ_E10value_typeEPSK_NS1_7vsmem_tEENKUlT_SI_SJ_SK_E_clIPiSD_S10_SD_EESH_SX_SI_SJ_SK_EUlSX_E_NS1_11comp_targetILNS1_3genE2ELNS1_11target_archE906ELNS1_3gpuE6ELNS1_3repE0EEENS1_48merge_mergepath_partition_config_static_selectorELNS0_4arch9wavefront6targetE0EEEvSJ_
	.globl	_ZN7rocprim17ROCPRIM_400000_NS6detail17trampoline_kernelINS0_14default_configENS1_38merge_sort_block_merge_config_selectorIiiEEZZNS1_27merge_sort_block_merge_implIS3_N6thrust23THRUST_200600_302600_NS6detail15normal_iteratorINS8_10device_ptrIiEEEESD_jNS1_19radix_merge_compareILb1ELb0EiNS0_19identity_decomposerEEEEE10hipError_tT0_T1_T2_jT3_P12ihipStream_tbPNSt15iterator_traitsISI_E10value_typeEPNSO_ISJ_E10value_typeEPSK_NS1_7vsmem_tEENKUlT_SI_SJ_SK_E_clIPiSD_S10_SD_EESH_SX_SI_SJ_SK_EUlSX_E_NS1_11comp_targetILNS1_3genE2ELNS1_11target_archE906ELNS1_3gpuE6ELNS1_3repE0EEENS1_48merge_mergepath_partition_config_static_selectorELNS0_4arch9wavefront6targetE0EEEvSJ_
	.p2align	8
	.type	_ZN7rocprim17ROCPRIM_400000_NS6detail17trampoline_kernelINS0_14default_configENS1_38merge_sort_block_merge_config_selectorIiiEEZZNS1_27merge_sort_block_merge_implIS3_N6thrust23THRUST_200600_302600_NS6detail15normal_iteratorINS8_10device_ptrIiEEEESD_jNS1_19radix_merge_compareILb1ELb0EiNS0_19identity_decomposerEEEEE10hipError_tT0_T1_T2_jT3_P12ihipStream_tbPNSt15iterator_traitsISI_E10value_typeEPNSO_ISJ_E10value_typeEPSK_NS1_7vsmem_tEENKUlT_SI_SJ_SK_E_clIPiSD_S10_SD_EESH_SX_SI_SJ_SK_EUlSX_E_NS1_11comp_targetILNS1_3genE2ELNS1_11target_archE906ELNS1_3gpuE6ELNS1_3repE0EEENS1_48merge_mergepath_partition_config_static_selectorELNS0_4arch9wavefront6targetE0EEEvSJ_,@function
_ZN7rocprim17ROCPRIM_400000_NS6detail17trampoline_kernelINS0_14default_configENS1_38merge_sort_block_merge_config_selectorIiiEEZZNS1_27merge_sort_block_merge_implIS3_N6thrust23THRUST_200600_302600_NS6detail15normal_iteratorINS8_10device_ptrIiEEEESD_jNS1_19radix_merge_compareILb1ELb0EiNS0_19identity_decomposerEEEEE10hipError_tT0_T1_T2_jT3_P12ihipStream_tbPNSt15iterator_traitsISI_E10value_typeEPNSO_ISJ_E10value_typeEPSK_NS1_7vsmem_tEENKUlT_SI_SJ_SK_E_clIPiSD_S10_SD_EESH_SX_SI_SJ_SK_EUlSX_E_NS1_11comp_targetILNS1_3genE2ELNS1_11target_archE906ELNS1_3gpuE6ELNS1_3repE0EEENS1_48merge_mergepath_partition_config_static_selectorELNS0_4arch9wavefront6targetE0EEEvSJ_: ; @_ZN7rocprim17ROCPRIM_400000_NS6detail17trampoline_kernelINS0_14default_configENS1_38merge_sort_block_merge_config_selectorIiiEEZZNS1_27merge_sort_block_merge_implIS3_N6thrust23THRUST_200600_302600_NS6detail15normal_iteratorINS8_10device_ptrIiEEEESD_jNS1_19radix_merge_compareILb1ELb0EiNS0_19identity_decomposerEEEEE10hipError_tT0_T1_T2_jT3_P12ihipStream_tbPNSt15iterator_traitsISI_E10value_typeEPNSO_ISJ_E10value_typeEPSK_NS1_7vsmem_tEENKUlT_SI_SJ_SK_E_clIPiSD_S10_SD_EESH_SX_SI_SJ_SK_EUlSX_E_NS1_11comp_targetILNS1_3genE2ELNS1_11target_archE906ELNS1_3gpuE6ELNS1_3repE0EEENS1_48merge_mergepath_partition_config_static_selectorELNS0_4arch9wavefront6targetE0EEEvSJ_
; %bb.0:
	.section	.rodata,"a",@progbits
	.p2align	6, 0x0
	.amdhsa_kernel _ZN7rocprim17ROCPRIM_400000_NS6detail17trampoline_kernelINS0_14default_configENS1_38merge_sort_block_merge_config_selectorIiiEEZZNS1_27merge_sort_block_merge_implIS3_N6thrust23THRUST_200600_302600_NS6detail15normal_iteratorINS8_10device_ptrIiEEEESD_jNS1_19radix_merge_compareILb1ELb0EiNS0_19identity_decomposerEEEEE10hipError_tT0_T1_T2_jT3_P12ihipStream_tbPNSt15iterator_traitsISI_E10value_typeEPNSO_ISJ_E10value_typeEPSK_NS1_7vsmem_tEENKUlT_SI_SJ_SK_E_clIPiSD_S10_SD_EESH_SX_SI_SJ_SK_EUlSX_E_NS1_11comp_targetILNS1_3genE2ELNS1_11target_archE906ELNS1_3gpuE6ELNS1_3repE0EEENS1_48merge_mergepath_partition_config_static_selectorELNS0_4arch9wavefront6targetE0EEEvSJ_
		.amdhsa_group_segment_fixed_size 0
		.amdhsa_private_segment_fixed_size 0
		.amdhsa_kernarg_size 40
		.amdhsa_user_sgpr_count 6
		.amdhsa_user_sgpr_private_segment_buffer 1
		.amdhsa_user_sgpr_dispatch_ptr 0
		.amdhsa_user_sgpr_queue_ptr 0
		.amdhsa_user_sgpr_kernarg_segment_ptr 1
		.amdhsa_user_sgpr_dispatch_id 0
		.amdhsa_user_sgpr_flat_scratch_init 0
		.amdhsa_user_sgpr_private_segment_size 0
		.amdhsa_wavefront_size32 1
		.amdhsa_uses_dynamic_stack 0
		.amdhsa_system_sgpr_private_segment_wavefront_offset 0
		.amdhsa_system_sgpr_workgroup_id_x 1
		.amdhsa_system_sgpr_workgroup_id_y 0
		.amdhsa_system_sgpr_workgroup_id_z 0
		.amdhsa_system_sgpr_workgroup_info 0
		.amdhsa_system_vgpr_workitem_id 0
		.amdhsa_next_free_vgpr 1
		.amdhsa_next_free_sgpr 1
		.amdhsa_reserve_vcc 0
		.amdhsa_reserve_flat_scratch 0
		.amdhsa_float_round_mode_32 0
		.amdhsa_float_round_mode_16_64 0
		.amdhsa_float_denorm_mode_32 3
		.amdhsa_float_denorm_mode_16_64 3
		.amdhsa_dx10_clamp 1
		.amdhsa_ieee_mode 1
		.amdhsa_fp16_overflow 0
		.amdhsa_workgroup_processor_mode 1
		.amdhsa_memory_ordered 1
		.amdhsa_forward_progress 1
		.amdhsa_shared_vgpr_count 0
		.amdhsa_exception_fp_ieee_invalid_op 0
		.amdhsa_exception_fp_denorm_src 0
		.amdhsa_exception_fp_ieee_div_zero 0
		.amdhsa_exception_fp_ieee_overflow 0
		.amdhsa_exception_fp_ieee_underflow 0
		.amdhsa_exception_fp_ieee_inexact 0
		.amdhsa_exception_int_div_zero 0
	.end_amdhsa_kernel
	.section	.text._ZN7rocprim17ROCPRIM_400000_NS6detail17trampoline_kernelINS0_14default_configENS1_38merge_sort_block_merge_config_selectorIiiEEZZNS1_27merge_sort_block_merge_implIS3_N6thrust23THRUST_200600_302600_NS6detail15normal_iteratorINS8_10device_ptrIiEEEESD_jNS1_19radix_merge_compareILb1ELb0EiNS0_19identity_decomposerEEEEE10hipError_tT0_T1_T2_jT3_P12ihipStream_tbPNSt15iterator_traitsISI_E10value_typeEPNSO_ISJ_E10value_typeEPSK_NS1_7vsmem_tEENKUlT_SI_SJ_SK_E_clIPiSD_S10_SD_EESH_SX_SI_SJ_SK_EUlSX_E_NS1_11comp_targetILNS1_3genE2ELNS1_11target_archE906ELNS1_3gpuE6ELNS1_3repE0EEENS1_48merge_mergepath_partition_config_static_selectorELNS0_4arch9wavefront6targetE0EEEvSJ_,"axG",@progbits,_ZN7rocprim17ROCPRIM_400000_NS6detail17trampoline_kernelINS0_14default_configENS1_38merge_sort_block_merge_config_selectorIiiEEZZNS1_27merge_sort_block_merge_implIS3_N6thrust23THRUST_200600_302600_NS6detail15normal_iteratorINS8_10device_ptrIiEEEESD_jNS1_19radix_merge_compareILb1ELb0EiNS0_19identity_decomposerEEEEE10hipError_tT0_T1_T2_jT3_P12ihipStream_tbPNSt15iterator_traitsISI_E10value_typeEPNSO_ISJ_E10value_typeEPSK_NS1_7vsmem_tEENKUlT_SI_SJ_SK_E_clIPiSD_S10_SD_EESH_SX_SI_SJ_SK_EUlSX_E_NS1_11comp_targetILNS1_3genE2ELNS1_11target_archE906ELNS1_3gpuE6ELNS1_3repE0EEENS1_48merge_mergepath_partition_config_static_selectorELNS0_4arch9wavefront6targetE0EEEvSJ_,comdat
.Lfunc_end890:
	.size	_ZN7rocprim17ROCPRIM_400000_NS6detail17trampoline_kernelINS0_14default_configENS1_38merge_sort_block_merge_config_selectorIiiEEZZNS1_27merge_sort_block_merge_implIS3_N6thrust23THRUST_200600_302600_NS6detail15normal_iteratorINS8_10device_ptrIiEEEESD_jNS1_19radix_merge_compareILb1ELb0EiNS0_19identity_decomposerEEEEE10hipError_tT0_T1_T2_jT3_P12ihipStream_tbPNSt15iterator_traitsISI_E10value_typeEPNSO_ISJ_E10value_typeEPSK_NS1_7vsmem_tEENKUlT_SI_SJ_SK_E_clIPiSD_S10_SD_EESH_SX_SI_SJ_SK_EUlSX_E_NS1_11comp_targetILNS1_3genE2ELNS1_11target_archE906ELNS1_3gpuE6ELNS1_3repE0EEENS1_48merge_mergepath_partition_config_static_selectorELNS0_4arch9wavefront6targetE0EEEvSJ_, .Lfunc_end890-_ZN7rocprim17ROCPRIM_400000_NS6detail17trampoline_kernelINS0_14default_configENS1_38merge_sort_block_merge_config_selectorIiiEEZZNS1_27merge_sort_block_merge_implIS3_N6thrust23THRUST_200600_302600_NS6detail15normal_iteratorINS8_10device_ptrIiEEEESD_jNS1_19radix_merge_compareILb1ELb0EiNS0_19identity_decomposerEEEEE10hipError_tT0_T1_T2_jT3_P12ihipStream_tbPNSt15iterator_traitsISI_E10value_typeEPNSO_ISJ_E10value_typeEPSK_NS1_7vsmem_tEENKUlT_SI_SJ_SK_E_clIPiSD_S10_SD_EESH_SX_SI_SJ_SK_EUlSX_E_NS1_11comp_targetILNS1_3genE2ELNS1_11target_archE906ELNS1_3gpuE6ELNS1_3repE0EEENS1_48merge_mergepath_partition_config_static_selectorELNS0_4arch9wavefront6targetE0EEEvSJ_
                                        ; -- End function
	.set _ZN7rocprim17ROCPRIM_400000_NS6detail17trampoline_kernelINS0_14default_configENS1_38merge_sort_block_merge_config_selectorIiiEEZZNS1_27merge_sort_block_merge_implIS3_N6thrust23THRUST_200600_302600_NS6detail15normal_iteratorINS8_10device_ptrIiEEEESD_jNS1_19radix_merge_compareILb1ELb0EiNS0_19identity_decomposerEEEEE10hipError_tT0_T1_T2_jT3_P12ihipStream_tbPNSt15iterator_traitsISI_E10value_typeEPNSO_ISJ_E10value_typeEPSK_NS1_7vsmem_tEENKUlT_SI_SJ_SK_E_clIPiSD_S10_SD_EESH_SX_SI_SJ_SK_EUlSX_E_NS1_11comp_targetILNS1_3genE2ELNS1_11target_archE906ELNS1_3gpuE6ELNS1_3repE0EEENS1_48merge_mergepath_partition_config_static_selectorELNS0_4arch9wavefront6targetE0EEEvSJ_.num_vgpr, 0
	.set _ZN7rocprim17ROCPRIM_400000_NS6detail17trampoline_kernelINS0_14default_configENS1_38merge_sort_block_merge_config_selectorIiiEEZZNS1_27merge_sort_block_merge_implIS3_N6thrust23THRUST_200600_302600_NS6detail15normal_iteratorINS8_10device_ptrIiEEEESD_jNS1_19radix_merge_compareILb1ELb0EiNS0_19identity_decomposerEEEEE10hipError_tT0_T1_T2_jT3_P12ihipStream_tbPNSt15iterator_traitsISI_E10value_typeEPNSO_ISJ_E10value_typeEPSK_NS1_7vsmem_tEENKUlT_SI_SJ_SK_E_clIPiSD_S10_SD_EESH_SX_SI_SJ_SK_EUlSX_E_NS1_11comp_targetILNS1_3genE2ELNS1_11target_archE906ELNS1_3gpuE6ELNS1_3repE0EEENS1_48merge_mergepath_partition_config_static_selectorELNS0_4arch9wavefront6targetE0EEEvSJ_.num_agpr, 0
	.set _ZN7rocprim17ROCPRIM_400000_NS6detail17trampoline_kernelINS0_14default_configENS1_38merge_sort_block_merge_config_selectorIiiEEZZNS1_27merge_sort_block_merge_implIS3_N6thrust23THRUST_200600_302600_NS6detail15normal_iteratorINS8_10device_ptrIiEEEESD_jNS1_19radix_merge_compareILb1ELb0EiNS0_19identity_decomposerEEEEE10hipError_tT0_T1_T2_jT3_P12ihipStream_tbPNSt15iterator_traitsISI_E10value_typeEPNSO_ISJ_E10value_typeEPSK_NS1_7vsmem_tEENKUlT_SI_SJ_SK_E_clIPiSD_S10_SD_EESH_SX_SI_SJ_SK_EUlSX_E_NS1_11comp_targetILNS1_3genE2ELNS1_11target_archE906ELNS1_3gpuE6ELNS1_3repE0EEENS1_48merge_mergepath_partition_config_static_selectorELNS0_4arch9wavefront6targetE0EEEvSJ_.numbered_sgpr, 0
	.set _ZN7rocprim17ROCPRIM_400000_NS6detail17trampoline_kernelINS0_14default_configENS1_38merge_sort_block_merge_config_selectorIiiEEZZNS1_27merge_sort_block_merge_implIS3_N6thrust23THRUST_200600_302600_NS6detail15normal_iteratorINS8_10device_ptrIiEEEESD_jNS1_19radix_merge_compareILb1ELb0EiNS0_19identity_decomposerEEEEE10hipError_tT0_T1_T2_jT3_P12ihipStream_tbPNSt15iterator_traitsISI_E10value_typeEPNSO_ISJ_E10value_typeEPSK_NS1_7vsmem_tEENKUlT_SI_SJ_SK_E_clIPiSD_S10_SD_EESH_SX_SI_SJ_SK_EUlSX_E_NS1_11comp_targetILNS1_3genE2ELNS1_11target_archE906ELNS1_3gpuE6ELNS1_3repE0EEENS1_48merge_mergepath_partition_config_static_selectorELNS0_4arch9wavefront6targetE0EEEvSJ_.num_named_barrier, 0
	.set _ZN7rocprim17ROCPRIM_400000_NS6detail17trampoline_kernelINS0_14default_configENS1_38merge_sort_block_merge_config_selectorIiiEEZZNS1_27merge_sort_block_merge_implIS3_N6thrust23THRUST_200600_302600_NS6detail15normal_iteratorINS8_10device_ptrIiEEEESD_jNS1_19radix_merge_compareILb1ELb0EiNS0_19identity_decomposerEEEEE10hipError_tT0_T1_T2_jT3_P12ihipStream_tbPNSt15iterator_traitsISI_E10value_typeEPNSO_ISJ_E10value_typeEPSK_NS1_7vsmem_tEENKUlT_SI_SJ_SK_E_clIPiSD_S10_SD_EESH_SX_SI_SJ_SK_EUlSX_E_NS1_11comp_targetILNS1_3genE2ELNS1_11target_archE906ELNS1_3gpuE6ELNS1_3repE0EEENS1_48merge_mergepath_partition_config_static_selectorELNS0_4arch9wavefront6targetE0EEEvSJ_.private_seg_size, 0
	.set _ZN7rocprim17ROCPRIM_400000_NS6detail17trampoline_kernelINS0_14default_configENS1_38merge_sort_block_merge_config_selectorIiiEEZZNS1_27merge_sort_block_merge_implIS3_N6thrust23THRUST_200600_302600_NS6detail15normal_iteratorINS8_10device_ptrIiEEEESD_jNS1_19radix_merge_compareILb1ELb0EiNS0_19identity_decomposerEEEEE10hipError_tT0_T1_T2_jT3_P12ihipStream_tbPNSt15iterator_traitsISI_E10value_typeEPNSO_ISJ_E10value_typeEPSK_NS1_7vsmem_tEENKUlT_SI_SJ_SK_E_clIPiSD_S10_SD_EESH_SX_SI_SJ_SK_EUlSX_E_NS1_11comp_targetILNS1_3genE2ELNS1_11target_archE906ELNS1_3gpuE6ELNS1_3repE0EEENS1_48merge_mergepath_partition_config_static_selectorELNS0_4arch9wavefront6targetE0EEEvSJ_.uses_vcc, 0
	.set _ZN7rocprim17ROCPRIM_400000_NS6detail17trampoline_kernelINS0_14default_configENS1_38merge_sort_block_merge_config_selectorIiiEEZZNS1_27merge_sort_block_merge_implIS3_N6thrust23THRUST_200600_302600_NS6detail15normal_iteratorINS8_10device_ptrIiEEEESD_jNS1_19radix_merge_compareILb1ELb0EiNS0_19identity_decomposerEEEEE10hipError_tT0_T1_T2_jT3_P12ihipStream_tbPNSt15iterator_traitsISI_E10value_typeEPNSO_ISJ_E10value_typeEPSK_NS1_7vsmem_tEENKUlT_SI_SJ_SK_E_clIPiSD_S10_SD_EESH_SX_SI_SJ_SK_EUlSX_E_NS1_11comp_targetILNS1_3genE2ELNS1_11target_archE906ELNS1_3gpuE6ELNS1_3repE0EEENS1_48merge_mergepath_partition_config_static_selectorELNS0_4arch9wavefront6targetE0EEEvSJ_.uses_flat_scratch, 0
	.set _ZN7rocprim17ROCPRIM_400000_NS6detail17trampoline_kernelINS0_14default_configENS1_38merge_sort_block_merge_config_selectorIiiEEZZNS1_27merge_sort_block_merge_implIS3_N6thrust23THRUST_200600_302600_NS6detail15normal_iteratorINS8_10device_ptrIiEEEESD_jNS1_19radix_merge_compareILb1ELb0EiNS0_19identity_decomposerEEEEE10hipError_tT0_T1_T2_jT3_P12ihipStream_tbPNSt15iterator_traitsISI_E10value_typeEPNSO_ISJ_E10value_typeEPSK_NS1_7vsmem_tEENKUlT_SI_SJ_SK_E_clIPiSD_S10_SD_EESH_SX_SI_SJ_SK_EUlSX_E_NS1_11comp_targetILNS1_3genE2ELNS1_11target_archE906ELNS1_3gpuE6ELNS1_3repE0EEENS1_48merge_mergepath_partition_config_static_selectorELNS0_4arch9wavefront6targetE0EEEvSJ_.has_dyn_sized_stack, 0
	.set _ZN7rocprim17ROCPRIM_400000_NS6detail17trampoline_kernelINS0_14default_configENS1_38merge_sort_block_merge_config_selectorIiiEEZZNS1_27merge_sort_block_merge_implIS3_N6thrust23THRUST_200600_302600_NS6detail15normal_iteratorINS8_10device_ptrIiEEEESD_jNS1_19radix_merge_compareILb1ELb0EiNS0_19identity_decomposerEEEEE10hipError_tT0_T1_T2_jT3_P12ihipStream_tbPNSt15iterator_traitsISI_E10value_typeEPNSO_ISJ_E10value_typeEPSK_NS1_7vsmem_tEENKUlT_SI_SJ_SK_E_clIPiSD_S10_SD_EESH_SX_SI_SJ_SK_EUlSX_E_NS1_11comp_targetILNS1_3genE2ELNS1_11target_archE906ELNS1_3gpuE6ELNS1_3repE0EEENS1_48merge_mergepath_partition_config_static_selectorELNS0_4arch9wavefront6targetE0EEEvSJ_.has_recursion, 0
	.set _ZN7rocprim17ROCPRIM_400000_NS6detail17trampoline_kernelINS0_14default_configENS1_38merge_sort_block_merge_config_selectorIiiEEZZNS1_27merge_sort_block_merge_implIS3_N6thrust23THRUST_200600_302600_NS6detail15normal_iteratorINS8_10device_ptrIiEEEESD_jNS1_19radix_merge_compareILb1ELb0EiNS0_19identity_decomposerEEEEE10hipError_tT0_T1_T2_jT3_P12ihipStream_tbPNSt15iterator_traitsISI_E10value_typeEPNSO_ISJ_E10value_typeEPSK_NS1_7vsmem_tEENKUlT_SI_SJ_SK_E_clIPiSD_S10_SD_EESH_SX_SI_SJ_SK_EUlSX_E_NS1_11comp_targetILNS1_3genE2ELNS1_11target_archE906ELNS1_3gpuE6ELNS1_3repE0EEENS1_48merge_mergepath_partition_config_static_selectorELNS0_4arch9wavefront6targetE0EEEvSJ_.has_indirect_call, 0
	.section	.AMDGPU.csdata,"",@progbits
; Kernel info:
; codeLenInByte = 0
; TotalNumSgprs: 0
; NumVgprs: 0
; ScratchSize: 0
; MemoryBound: 0
; FloatMode: 240
; IeeeMode: 1
; LDSByteSize: 0 bytes/workgroup (compile time only)
; SGPRBlocks: 0
; VGPRBlocks: 0
; NumSGPRsForWavesPerEU: 1
; NumVGPRsForWavesPerEU: 1
; Occupancy: 16
; WaveLimiterHint : 0
; COMPUTE_PGM_RSRC2:SCRATCH_EN: 0
; COMPUTE_PGM_RSRC2:USER_SGPR: 6
; COMPUTE_PGM_RSRC2:TRAP_HANDLER: 0
; COMPUTE_PGM_RSRC2:TGID_X_EN: 1
; COMPUTE_PGM_RSRC2:TGID_Y_EN: 0
; COMPUTE_PGM_RSRC2:TGID_Z_EN: 0
; COMPUTE_PGM_RSRC2:TIDIG_COMP_CNT: 0
	.section	.text._ZN7rocprim17ROCPRIM_400000_NS6detail17trampoline_kernelINS0_14default_configENS1_38merge_sort_block_merge_config_selectorIiiEEZZNS1_27merge_sort_block_merge_implIS3_N6thrust23THRUST_200600_302600_NS6detail15normal_iteratorINS8_10device_ptrIiEEEESD_jNS1_19radix_merge_compareILb1ELb0EiNS0_19identity_decomposerEEEEE10hipError_tT0_T1_T2_jT3_P12ihipStream_tbPNSt15iterator_traitsISI_E10value_typeEPNSO_ISJ_E10value_typeEPSK_NS1_7vsmem_tEENKUlT_SI_SJ_SK_E_clIPiSD_S10_SD_EESH_SX_SI_SJ_SK_EUlSX_E_NS1_11comp_targetILNS1_3genE9ELNS1_11target_archE1100ELNS1_3gpuE3ELNS1_3repE0EEENS1_48merge_mergepath_partition_config_static_selectorELNS0_4arch9wavefront6targetE0EEEvSJ_,"axG",@progbits,_ZN7rocprim17ROCPRIM_400000_NS6detail17trampoline_kernelINS0_14default_configENS1_38merge_sort_block_merge_config_selectorIiiEEZZNS1_27merge_sort_block_merge_implIS3_N6thrust23THRUST_200600_302600_NS6detail15normal_iteratorINS8_10device_ptrIiEEEESD_jNS1_19radix_merge_compareILb1ELb0EiNS0_19identity_decomposerEEEEE10hipError_tT0_T1_T2_jT3_P12ihipStream_tbPNSt15iterator_traitsISI_E10value_typeEPNSO_ISJ_E10value_typeEPSK_NS1_7vsmem_tEENKUlT_SI_SJ_SK_E_clIPiSD_S10_SD_EESH_SX_SI_SJ_SK_EUlSX_E_NS1_11comp_targetILNS1_3genE9ELNS1_11target_archE1100ELNS1_3gpuE3ELNS1_3repE0EEENS1_48merge_mergepath_partition_config_static_selectorELNS0_4arch9wavefront6targetE0EEEvSJ_,comdat
	.protected	_ZN7rocprim17ROCPRIM_400000_NS6detail17trampoline_kernelINS0_14default_configENS1_38merge_sort_block_merge_config_selectorIiiEEZZNS1_27merge_sort_block_merge_implIS3_N6thrust23THRUST_200600_302600_NS6detail15normal_iteratorINS8_10device_ptrIiEEEESD_jNS1_19radix_merge_compareILb1ELb0EiNS0_19identity_decomposerEEEEE10hipError_tT0_T1_T2_jT3_P12ihipStream_tbPNSt15iterator_traitsISI_E10value_typeEPNSO_ISJ_E10value_typeEPSK_NS1_7vsmem_tEENKUlT_SI_SJ_SK_E_clIPiSD_S10_SD_EESH_SX_SI_SJ_SK_EUlSX_E_NS1_11comp_targetILNS1_3genE9ELNS1_11target_archE1100ELNS1_3gpuE3ELNS1_3repE0EEENS1_48merge_mergepath_partition_config_static_selectorELNS0_4arch9wavefront6targetE0EEEvSJ_ ; -- Begin function _ZN7rocprim17ROCPRIM_400000_NS6detail17trampoline_kernelINS0_14default_configENS1_38merge_sort_block_merge_config_selectorIiiEEZZNS1_27merge_sort_block_merge_implIS3_N6thrust23THRUST_200600_302600_NS6detail15normal_iteratorINS8_10device_ptrIiEEEESD_jNS1_19radix_merge_compareILb1ELb0EiNS0_19identity_decomposerEEEEE10hipError_tT0_T1_T2_jT3_P12ihipStream_tbPNSt15iterator_traitsISI_E10value_typeEPNSO_ISJ_E10value_typeEPSK_NS1_7vsmem_tEENKUlT_SI_SJ_SK_E_clIPiSD_S10_SD_EESH_SX_SI_SJ_SK_EUlSX_E_NS1_11comp_targetILNS1_3genE9ELNS1_11target_archE1100ELNS1_3gpuE3ELNS1_3repE0EEENS1_48merge_mergepath_partition_config_static_selectorELNS0_4arch9wavefront6targetE0EEEvSJ_
	.globl	_ZN7rocprim17ROCPRIM_400000_NS6detail17trampoline_kernelINS0_14default_configENS1_38merge_sort_block_merge_config_selectorIiiEEZZNS1_27merge_sort_block_merge_implIS3_N6thrust23THRUST_200600_302600_NS6detail15normal_iteratorINS8_10device_ptrIiEEEESD_jNS1_19radix_merge_compareILb1ELb0EiNS0_19identity_decomposerEEEEE10hipError_tT0_T1_T2_jT3_P12ihipStream_tbPNSt15iterator_traitsISI_E10value_typeEPNSO_ISJ_E10value_typeEPSK_NS1_7vsmem_tEENKUlT_SI_SJ_SK_E_clIPiSD_S10_SD_EESH_SX_SI_SJ_SK_EUlSX_E_NS1_11comp_targetILNS1_3genE9ELNS1_11target_archE1100ELNS1_3gpuE3ELNS1_3repE0EEENS1_48merge_mergepath_partition_config_static_selectorELNS0_4arch9wavefront6targetE0EEEvSJ_
	.p2align	8
	.type	_ZN7rocprim17ROCPRIM_400000_NS6detail17trampoline_kernelINS0_14default_configENS1_38merge_sort_block_merge_config_selectorIiiEEZZNS1_27merge_sort_block_merge_implIS3_N6thrust23THRUST_200600_302600_NS6detail15normal_iteratorINS8_10device_ptrIiEEEESD_jNS1_19radix_merge_compareILb1ELb0EiNS0_19identity_decomposerEEEEE10hipError_tT0_T1_T2_jT3_P12ihipStream_tbPNSt15iterator_traitsISI_E10value_typeEPNSO_ISJ_E10value_typeEPSK_NS1_7vsmem_tEENKUlT_SI_SJ_SK_E_clIPiSD_S10_SD_EESH_SX_SI_SJ_SK_EUlSX_E_NS1_11comp_targetILNS1_3genE9ELNS1_11target_archE1100ELNS1_3gpuE3ELNS1_3repE0EEENS1_48merge_mergepath_partition_config_static_selectorELNS0_4arch9wavefront6targetE0EEEvSJ_,@function
_ZN7rocprim17ROCPRIM_400000_NS6detail17trampoline_kernelINS0_14default_configENS1_38merge_sort_block_merge_config_selectorIiiEEZZNS1_27merge_sort_block_merge_implIS3_N6thrust23THRUST_200600_302600_NS6detail15normal_iteratorINS8_10device_ptrIiEEEESD_jNS1_19radix_merge_compareILb1ELb0EiNS0_19identity_decomposerEEEEE10hipError_tT0_T1_T2_jT3_P12ihipStream_tbPNSt15iterator_traitsISI_E10value_typeEPNSO_ISJ_E10value_typeEPSK_NS1_7vsmem_tEENKUlT_SI_SJ_SK_E_clIPiSD_S10_SD_EESH_SX_SI_SJ_SK_EUlSX_E_NS1_11comp_targetILNS1_3genE9ELNS1_11target_archE1100ELNS1_3gpuE3ELNS1_3repE0EEENS1_48merge_mergepath_partition_config_static_selectorELNS0_4arch9wavefront6targetE0EEEvSJ_: ; @_ZN7rocprim17ROCPRIM_400000_NS6detail17trampoline_kernelINS0_14default_configENS1_38merge_sort_block_merge_config_selectorIiiEEZZNS1_27merge_sort_block_merge_implIS3_N6thrust23THRUST_200600_302600_NS6detail15normal_iteratorINS8_10device_ptrIiEEEESD_jNS1_19radix_merge_compareILb1ELb0EiNS0_19identity_decomposerEEEEE10hipError_tT0_T1_T2_jT3_P12ihipStream_tbPNSt15iterator_traitsISI_E10value_typeEPNSO_ISJ_E10value_typeEPSK_NS1_7vsmem_tEENKUlT_SI_SJ_SK_E_clIPiSD_S10_SD_EESH_SX_SI_SJ_SK_EUlSX_E_NS1_11comp_targetILNS1_3genE9ELNS1_11target_archE1100ELNS1_3gpuE3ELNS1_3repE0EEENS1_48merge_mergepath_partition_config_static_selectorELNS0_4arch9wavefront6targetE0EEEvSJ_
; %bb.0:
	.section	.rodata,"a",@progbits
	.p2align	6, 0x0
	.amdhsa_kernel _ZN7rocprim17ROCPRIM_400000_NS6detail17trampoline_kernelINS0_14default_configENS1_38merge_sort_block_merge_config_selectorIiiEEZZNS1_27merge_sort_block_merge_implIS3_N6thrust23THRUST_200600_302600_NS6detail15normal_iteratorINS8_10device_ptrIiEEEESD_jNS1_19radix_merge_compareILb1ELb0EiNS0_19identity_decomposerEEEEE10hipError_tT0_T1_T2_jT3_P12ihipStream_tbPNSt15iterator_traitsISI_E10value_typeEPNSO_ISJ_E10value_typeEPSK_NS1_7vsmem_tEENKUlT_SI_SJ_SK_E_clIPiSD_S10_SD_EESH_SX_SI_SJ_SK_EUlSX_E_NS1_11comp_targetILNS1_3genE9ELNS1_11target_archE1100ELNS1_3gpuE3ELNS1_3repE0EEENS1_48merge_mergepath_partition_config_static_selectorELNS0_4arch9wavefront6targetE0EEEvSJ_
		.amdhsa_group_segment_fixed_size 0
		.amdhsa_private_segment_fixed_size 0
		.amdhsa_kernarg_size 40
		.amdhsa_user_sgpr_count 6
		.amdhsa_user_sgpr_private_segment_buffer 1
		.amdhsa_user_sgpr_dispatch_ptr 0
		.amdhsa_user_sgpr_queue_ptr 0
		.amdhsa_user_sgpr_kernarg_segment_ptr 1
		.amdhsa_user_sgpr_dispatch_id 0
		.amdhsa_user_sgpr_flat_scratch_init 0
		.amdhsa_user_sgpr_private_segment_size 0
		.amdhsa_wavefront_size32 1
		.amdhsa_uses_dynamic_stack 0
		.amdhsa_system_sgpr_private_segment_wavefront_offset 0
		.amdhsa_system_sgpr_workgroup_id_x 1
		.amdhsa_system_sgpr_workgroup_id_y 0
		.amdhsa_system_sgpr_workgroup_id_z 0
		.amdhsa_system_sgpr_workgroup_info 0
		.amdhsa_system_vgpr_workitem_id 0
		.amdhsa_next_free_vgpr 1
		.amdhsa_next_free_sgpr 1
		.amdhsa_reserve_vcc 0
		.amdhsa_reserve_flat_scratch 0
		.amdhsa_float_round_mode_32 0
		.amdhsa_float_round_mode_16_64 0
		.amdhsa_float_denorm_mode_32 3
		.amdhsa_float_denorm_mode_16_64 3
		.amdhsa_dx10_clamp 1
		.amdhsa_ieee_mode 1
		.amdhsa_fp16_overflow 0
		.amdhsa_workgroup_processor_mode 1
		.amdhsa_memory_ordered 1
		.amdhsa_forward_progress 1
		.amdhsa_shared_vgpr_count 0
		.amdhsa_exception_fp_ieee_invalid_op 0
		.amdhsa_exception_fp_denorm_src 0
		.amdhsa_exception_fp_ieee_div_zero 0
		.amdhsa_exception_fp_ieee_overflow 0
		.amdhsa_exception_fp_ieee_underflow 0
		.amdhsa_exception_fp_ieee_inexact 0
		.amdhsa_exception_int_div_zero 0
	.end_amdhsa_kernel
	.section	.text._ZN7rocprim17ROCPRIM_400000_NS6detail17trampoline_kernelINS0_14default_configENS1_38merge_sort_block_merge_config_selectorIiiEEZZNS1_27merge_sort_block_merge_implIS3_N6thrust23THRUST_200600_302600_NS6detail15normal_iteratorINS8_10device_ptrIiEEEESD_jNS1_19radix_merge_compareILb1ELb0EiNS0_19identity_decomposerEEEEE10hipError_tT0_T1_T2_jT3_P12ihipStream_tbPNSt15iterator_traitsISI_E10value_typeEPNSO_ISJ_E10value_typeEPSK_NS1_7vsmem_tEENKUlT_SI_SJ_SK_E_clIPiSD_S10_SD_EESH_SX_SI_SJ_SK_EUlSX_E_NS1_11comp_targetILNS1_3genE9ELNS1_11target_archE1100ELNS1_3gpuE3ELNS1_3repE0EEENS1_48merge_mergepath_partition_config_static_selectorELNS0_4arch9wavefront6targetE0EEEvSJ_,"axG",@progbits,_ZN7rocprim17ROCPRIM_400000_NS6detail17trampoline_kernelINS0_14default_configENS1_38merge_sort_block_merge_config_selectorIiiEEZZNS1_27merge_sort_block_merge_implIS3_N6thrust23THRUST_200600_302600_NS6detail15normal_iteratorINS8_10device_ptrIiEEEESD_jNS1_19radix_merge_compareILb1ELb0EiNS0_19identity_decomposerEEEEE10hipError_tT0_T1_T2_jT3_P12ihipStream_tbPNSt15iterator_traitsISI_E10value_typeEPNSO_ISJ_E10value_typeEPSK_NS1_7vsmem_tEENKUlT_SI_SJ_SK_E_clIPiSD_S10_SD_EESH_SX_SI_SJ_SK_EUlSX_E_NS1_11comp_targetILNS1_3genE9ELNS1_11target_archE1100ELNS1_3gpuE3ELNS1_3repE0EEENS1_48merge_mergepath_partition_config_static_selectorELNS0_4arch9wavefront6targetE0EEEvSJ_,comdat
.Lfunc_end891:
	.size	_ZN7rocprim17ROCPRIM_400000_NS6detail17trampoline_kernelINS0_14default_configENS1_38merge_sort_block_merge_config_selectorIiiEEZZNS1_27merge_sort_block_merge_implIS3_N6thrust23THRUST_200600_302600_NS6detail15normal_iteratorINS8_10device_ptrIiEEEESD_jNS1_19radix_merge_compareILb1ELb0EiNS0_19identity_decomposerEEEEE10hipError_tT0_T1_T2_jT3_P12ihipStream_tbPNSt15iterator_traitsISI_E10value_typeEPNSO_ISJ_E10value_typeEPSK_NS1_7vsmem_tEENKUlT_SI_SJ_SK_E_clIPiSD_S10_SD_EESH_SX_SI_SJ_SK_EUlSX_E_NS1_11comp_targetILNS1_3genE9ELNS1_11target_archE1100ELNS1_3gpuE3ELNS1_3repE0EEENS1_48merge_mergepath_partition_config_static_selectorELNS0_4arch9wavefront6targetE0EEEvSJ_, .Lfunc_end891-_ZN7rocprim17ROCPRIM_400000_NS6detail17trampoline_kernelINS0_14default_configENS1_38merge_sort_block_merge_config_selectorIiiEEZZNS1_27merge_sort_block_merge_implIS3_N6thrust23THRUST_200600_302600_NS6detail15normal_iteratorINS8_10device_ptrIiEEEESD_jNS1_19radix_merge_compareILb1ELb0EiNS0_19identity_decomposerEEEEE10hipError_tT0_T1_T2_jT3_P12ihipStream_tbPNSt15iterator_traitsISI_E10value_typeEPNSO_ISJ_E10value_typeEPSK_NS1_7vsmem_tEENKUlT_SI_SJ_SK_E_clIPiSD_S10_SD_EESH_SX_SI_SJ_SK_EUlSX_E_NS1_11comp_targetILNS1_3genE9ELNS1_11target_archE1100ELNS1_3gpuE3ELNS1_3repE0EEENS1_48merge_mergepath_partition_config_static_selectorELNS0_4arch9wavefront6targetE0EEEvSJ_
                                        ; -- End function
	.set _ZN7rocprim17ROCPRIM_400000_NS6detail17trampoline_kernelINS0_14default_configENS1_38merge_sort_block_merge_config_selectorIiiEEZZNS1_27merge_sort_block_merge_implIS3_N6thrust23THRUST_200600_302600_NS6detail15normal_iteratorINS8_10device_ptrIiEEEESD_jNS1_19radix_merge_compareILb1ELb0EiNS0_19identity_decomposerEEEEE10hipError_tT0_T1_T2_jT3_P12ihipStream_tbPNSt15iterator_traitsISI_E10value_typeEPNSO_ISJ_E10value_typeEPSK_NS1_7vsmem_tEENKUlT_SI_SJ_SK_E_clIPiSD_S10_SD_EESH_SX_SI_SJ_SK_EUlSX_E_NS1_11comp_targetILNS1_3genE9ELNS1_11target_archE1100ELNS1_3gpuE3ELNS1_3repE0EEENS1_48merge_mergepath_partition_config_static_selectorELNS0_4arch9wavefront6targetE0EEEvSJ_.num_vgpr, 0
	.set _ZN7rocprim17ROCPRIM_400000_NS6detail17trampoline_kernelINS0_14default_configENS1_38merge_sort_block_merge_config_selectorIiiEEZZNS1_27merge_sort_block_merge_implIS3_N6thrust23THRUST_200600_302600_NS6detail15normal_iteratorINS8_10device_ptrIiEEEESD_jNS1_19radix_merge_compareILb1ELb0EiNS0_19identity_decomposerEEEEE10hipError_tT0_T1_T2_jT3_P12ihipStream_tbPNSt15iterator_traitsISI_E10value_typeEPNSO_ISJ_E10value_typeEPSK_NS1_7vsmem_tEENKUlT_SI_SJ_SK_E_clIPiSD_S10_SD_EESH_SX_SI_SJ_SK_EUlSX_E_NS1_11comp_targetILNS1_3genE9ELNS1_11target_archE1100ELNS1_3gpuE3ELNS1_3repE0EEENS1_48merge_mergepath_partition_config_static_selectorELNS0_4arch9wavefront6targetE0EEEvSJ_.num_agpr, 0
	.set _ZN7rocprim17ROCPRIM_400000_NS6detail17trampoline_kernelINS0_14default_configENS1_38merge_sort_block_merge_config_selectorIiiEEZZNS1_27merge_sort_block_merge_implIS3_N6thrust23THRUST_200600_302600_NS6detail15normal_iteratorINS8_10device_ptrIiEEEESD_jNS1_19radix_merge_compareILb1ELb0EiNS0_19identity_decomposerEEEEE10hipError_tT0_T1_T2_jT3_P12ihipStream_tbPNSt15iterator_traitsISI_E10value_typeEPNSO_ISJ_E10value_typeEPSK_NS1_7vsmem_tEENKUlT_SI_SJ_SK_E_clIPiSD_S10_SD_EESH_SX_SI_SJ_SK_EUlSX_E_NS1_11comp_targetILNS1_3genE9ELNS1_11target_archE1100ELNS1_3gpuE3ELNS1_3repE0EEENS1_48merge_mergepath_partition_config_static_selectorELNS0_4arch9wavefront6targetE0EEEvSJ_.numbered_sgpr, 0
	.set _ZN7rocprim17ROCPRIM_400000_NS6detail17trampoline_kernelINS0_14default_configENS1_38merge_sort_block_merge_config_selectorIiiEEZZNS1_27merge_sort_block_merge_implIS3_N6thrust23THRUST_200600_302600_NS6detail15normal_iteratorINS8_10device_ptrIiEEEESD_jNS1_19radix_merge_compareILb1ELb0EiNS0_19identity_decomposerEEEEE10hipError_tT0_T1_T2_jT3_P12ihipStream_tbPNSt15iterator_traitsISI_E10value_typeEPNSO_ISJ_E10value_typeEPSK_NS1_7vsmem_tEENKUlT_SI_SJ_SK_E_clIPiSD_S10_SD_EESH_SX_SI_SJ_SK_EUlSX_E_NS1_11comp_targetILNS1_3genE9ELNS1_11target_archE1100ELNS1_3gpuE3ELNS1_3repE0EEENS1_48merge_mergepath_partition_config_static_selectorELNS0_4arch9wavefront6targetE0EEEvSJ_.num_named_barrier, 0
	.set _ZN7rocprim17ROCPRIM_400000_NS6detail17trampoline_kernelINS0_14default_configENS1_38merge_sort_block_merge_config_selectorIiiEEZZNS1_27merge_sort_block_merge_implIS3_N6thrust23THRUST_200600_302600_NS6detail15normal_iteratorINS8_10device_ptrIiEEEESD_jNS1_19radix_merge_compareILb1ELb0EiNS0_19identity_decomposerEEEEE10hipError_tT0_T1_T2_jT3_P12ihipStream_tbPNSt15iterator_traitsISI_E10value_typeEPNSO_ISJ_E10value_typeEPSK_NS1_7vsmem_tEENKUlT_SI_SJ_SK_E_clIPiSD_S10_SD_EESH_SX_SI_SJ_SK_EUlSX_E_NS1_11comp_targetILNS1_3genE9ELNS1_11target_archE1100ELNS1_3gpuE3ELNS1_3repE0EEENS1_48merge_mergepath_partition_config_static_selectorELNS0_4arch9wavefront6targetE0EEEvSJ_.private_seg_size, 0
	.set _ZN7rocprim17ROCPRIM_400000_NS6detail17trampoline_kernelINS0_14default_configENS1_38merge_sort_block_merge_config_selectorIiiEEZZNS1_27merge_sort_block_merge_implIS3_N6thrust23THRUST_200600_302600_NS6detail15normal_iteratorINS8_10device_ptrIiEEEESD_jNS1_19radix_merge_compareILb1ELb0EiNS0_19identity_decomposerEEEEE10hipError_tT0_T1_T2_jT3_P12ihipStream_tbPNSt15iterator_traitsISI_E10value_typeEPNSO_ISJ_E10value_typeEPSK_NS1_7vsmem_tEENKUlT_SI_SJ_SK_E_clIPiSD_S10_SD_EESH_SX_SI_SJ_SK_EUlSX_E_NS1_11comp_targetILNS1_3genE9ELNS1_11target_archE1100ELNS1_3gpuE3ELNS1_3repE0EEENS1_48merge_mergepath_partition_config_static_selectorELNS0_4arch9wavefront6targetE0EEEvSJ_.uses_vcc, 0
	.set _ZN7rocprim17ROCPRIM_400000_NS6detail17trampoline_kernelINS0_14default_configENS1_38merge_sort_block_merge_config_selectorIiiEEZZNS1_27merge_sort_block_merge_implIS3_N6thrust23THRUST_200600_302600_NS6detail15normal_iteratorINS8_10device_ptrIiEEEESD_jNS1_19radix_merge_compareILb1ELb0EiNS0_19identity_decomposerEEEEE10hipError_tT0_T1_T2_jT3_P12ihipStream_tbPNSt15iterator_traitsISI_E10value_typeEPNSO_ISJ_E10value_typeEPSK_NS1_7vsmem_tEENKUlT_SI_SJ_SK_E_clIPiSD_S10_SD_EESH_SX_SI_SJ_SK_EUlSX_E_NS1_11comp_targetILNS1_3genE9ELNS1_11target_archE1100ELNS1_3gpuE3ELNS1_3repE0EEENS1_48merge_mergepath_partition_config_static_selectorELNS0_4arch9wavefront6targetE0EEEvSJ_.uses_flat_scratch, 0
	.set _ZN7rocprim17ROCPRIM_400000_NS6detail17trampoline_kernelINS0_14default_configENS1_38merge_sort_block_merge_config_selectorIiiEEZZNS1_27merge_sort_block_merge_implIS3_N6thrust23THRUST_200600_302600_NS6detail15normal_iteratorINS8_10device_ptrIiEEEESD_jNS1_19radix_merge_compareILb1ELb0EiNS0_19identity_decomposerEEEEE10hipError_tT0_T1_T2_jT3_P12ihipStream_tbPNSt15iterator_traitsISI_E10value_typeEPNSO_ISJ_E10value_typeEPSK_NS1_7vsmem_tEENKUlT_SI_SJ_SK_E_clIPiSD_S10_SD_EESH_SX_SI_SJ_SK_EUlSX_E_NS1_11comp_targetILNS1_3genE9ELNS1_11target_archE1100ELNS1_3gpuE3ELNS1_3repE0EEENS1_48merge_mergepath_partition_config_static_selectorELNS0_4arch9wavefront6targetE0EEEvSJ_.has_dyn_sized_stack, 0
	.set _ZN7rocprim17ROCPRIM_400000_NS6detail17trampoline_kernelINS0_14default_configENS1_38merge_sort_block_merge_config_selectorIiiEEZZNS1_27merge_sort_block_merge_implIS3_N6thrust23THRUST_200600_302600_NS6detail15normal_iteratorINS8_10device_ptrIiEEEESD_jNS1_19radix_merge_compareILb1ELb0EiNS0_19identity_decomposerEEEEE10hipError_tT0_T1_T2_jT3_P12ihipStream_tbPNSt15iterator_traitsISI_E10value_typeEPNSO_ISJ_E10value_typeEPSK_NS1_7vsmem_tEENKUlT_SI_SJ_SK_E_clIPiSD_S10_SD_EESH_SX_SI_SJ_SK_EUlSX_E_NS1_11comp_targetILNS1_3genE9ELNS1_11target_archE1100ELNS1_3gpuE3ELNS1_3repE0EEENS1_48merge_mergepath_partition_config_static_selectorELNS0_4arch9wavefront6targetE0EEEvSJ_.has_recursion, 0
	.set _ZN7rocprim17ROCPRIM_400000_NS6detail17trampoline_kernelINS0_14default_configENS1_38merge_sort_block_merge_config_selectorIiiEEZZNS1_27merge_sort_block_merge_implIS3_N6thrust23THRUST_200600_302600_NS6detail15normal_iteratorINS8_10device_ptrIiEEEESD_jNS1_19radix_merge_compareILb1ELb0EiNS0_19identity_decomposerEEEEE10hipError_tT0_T1_T2_jT3_P12ihipStream_tbPNSt15iterator_traitsISI_E10value_typeEPNSO_ISJ_E10value_typeEPSK_NS1_7vsmem_tEENKUlT_SI_SJ_SK_E_clIPiSD_S10_SD_EESH_SX_SI_SJ_SK_EUlSX_E_NS1_11comp_targetILNS1_3genE9ELNS1_11target_archE1100ELNS1_3gpuE3ELNS1_3repE0EEENS1_48merge_mergepath_partition_config_static_selectorELNS0_4arch9wavefront6targetE0EEEvSJ_.has_indirect_call, 0
	.section	.AMDGPU.csdata,"",@progbits
; Kernel info:
; codeLenInByte = 0
; TotalNumSgprs: 0
; NumVgprs: 0
; ScratchSize: 0
; MemoryBound: 0
; FloatMode: 240
; IeeeMode: 1
; LDSByteSize: 0 bytes/workgroup (compile time only)
; SGPRBlocks: 0
; VGPRBlocks: 0
; NumSGPRsForWavesPerEU: 1
; NumVGPRsForWavesPerEU: 1
; Occupancy: 16
; WaveLimiterHint : 0
; COMPUTE_PGM_RSRC2:SCRATCH_EN: 0
; COMPUTE_PGM_RSRC2:USER_SGPR: 6
; COMPUTE_PGM_RSRC2:TRAP_HANDLER: 0
; COMPUTE_PGM_RSRC2:TGID_X_EN: 1
; COMPUTE_PGM_RSRC2:TGID_Y_EN: 0
; COMPUTE_PGM_RSRC2:TGID_Z_EN: 0
; COMPUTE_PGM_RSRC2:TIDIG_COMP_CNT: 0
	.section	.text._ZN7rocprim17ROCPRIM_400000_NS6detail17trampoline_kernelINS0_14default_configENS1_38merge_sort_block_merge_config_selectorIiiEEZZNS1_27merge_sort_block_merge_implIS3_N6thrust23THRUST_200600_302600_NS6detail15normal_iteratorINS8_10device_ptrIiEEEESD_jNS1_19radix_merge_compareILb1ELb0EiNS0_19identity_decomposerEEEEE10hipError_tT0_T1_T2_jT3_P12ihipStream_tbPNSt15iterator_traitsISI_E10value_typeEPNSO_ISJ_E10value_typeEPSK_NS1_7vsmem_tEENKUlT_SI_SJ_SK_E_clIPiSD_S10_SD_EESH_SX_SI_SJ_SK_EUlSX_E_NS1_11comp_targetILNS1_3genE8ELNS1_11target_archE1030ELNS1_3gpuE2ELNS1_3repE0EEENS1_48merge_mergepath_partition_config_static_selectorELNS0_4arch9wavefront6targetE0EEEvSJ_,"axG",@progbits,_ZN7rocprim17ROCPRIM_400000_NS6detail17trampoline_kernelINS0_14default_configENS1_38merge_sort_block_merge_config_selectorIiiEEZZNS1_27merge_sort_block_merge_implIS3_N6thrust23THRUST_200600_302600_NS6detail15normal_iteratorINS8_10device_ptrIiEEEESD_jNS1_19radix_merge_compareILb1ELb0EiNS0_19identity_decomposerEEEEE10hipError_tT0_T1_T2_jT3_P12ihipStream_tbPNSt15iterator_traitsISI_E10value_typeEPNSO_ISJ_E10value_typeEPSK_NS1_7vsmem_tEENKUlT_SI_SJ_SK_E_clIPiSD_S10_SD_EESH_SX_SI_SJ_SK_EUlSX_E_NS1_11comp_targetILNS1_3genE8ELNS1_11target_archE1030ELNS1_3gpuE2ELNS1_3repE0EEENS1_48merge_mergepath_partition_config_static_selectorELNS0_4arch9wavefront6targetE0EEEvSJ_,comdat
	.protected	_ZN7rocprim17ROCPRIM_400000_NS6detail17trampoline_kernelINS0_14default_configENS1_38merge_sort_block_merge_config_selectorIiiEEZZNS1_27merge_sort_block_merge_implIS3_N6thrust23THRUST_200600_302600_NS6detail15normal_iteratorINS8_10device_ptrIiEEEESD_jNS1_19radix_merge_compareILb1ELb0EiNS0_19identity_decomposerEEEEE10hipError_tT0_T1_T2_jT3_P12ihipStream_tbPNSt15iterator_traitsISI_E10value_typeEPNSO_ISJ_E10value_typeEPSK_NS1_7vsmem_tEENKUlT_SI_SJ_SK_E_clIPiSD_S10_SD_EESH_SX_SI_SJ_SK_EUlSX_E_NS1_11comp_targetILNS1_3genE8ELNS1_11target_archE1030ELNS1_3gpuE2ELNS1_3repE0EEENS1_48merge_mergepath_partition_config_static_selectorELNS0_4arch9wavefront6targetE0EEEvSJ_ ; -- Begin function _ZN7rocprim17ROCPRIM_400000_NS6detail17trampoline_kernelINS0_14default_configENS1_38merge_sort_block_merge_config_selectorIiiEEZZNS1_27merge_sort_block_merge_implIS3_N6thrust23THRUST_200600_302600_NS6detail15normal_iteratorINS8_10device_ptrIiEEEESD_jNS1_19radix_merge_compareILb1ELb0EiNS0_19identity_decomposerEEEEE10hipError_tT0_T1_T2_jT3_P12ihipStream_tbPNSt15iterator_traitsISI_E10value_typeEPNSO_ISJ_E10value_typeEPSK_NS1_7vsmem_tEENKUlT_SI_SJ_SK_E_clIPiSD_S10_SD_EESH_SX_SI_SJ_SK_EUlSX_E_NS1_11comp_targetILNS1_3genE8ELNS1_11target_archE1030ELNS1_3gpuE2ELNS1_3repE0EEENS1_48merge_mergepath_partition_config_static_selectorELNS0_4arch9wavefront6targetE0EEEvSJ_
	.globl	_ZN7rocprim17ROCPRIM_400000_NS6detail17trampoline_kernelINS0_14default_configENS1_38merge_sort_block_merge_config_selectorIiiEEZZNS1_27merge_sort_block_merge_implIS3_N6thrust23THRUST_200600_302600_NS6detail15normal_iteratorINS8_10device_ptrIiEEEESD_jNS1_19radix_merge_compareILb1ELb0EiNS0_19identity_decomposerEEEEE10hipError_tT0_T1_T2_jT3_P12ihipStream_tbPNSt15iterator_traitsISI_E10value_typeEPNSO_ISJ_E10value_typeEPSK_NS1_7vsmem_tEENKUlT_SI_SJ_SK_E_clIPiSD_S10_SD_EESH_SX_SI_SJ_SK_EUlSX_E_NS1_11comp_targetILNS1_3genE8ELNS1_11target_archE1030ELNS1_3gpuE2ELNS1_3repE0EEENS1_48merge_mergepath_partition_config_static_selectorELNS0_4arch9wavefront6targetE0EEEvSJ_
	.p2align	8
	.type	_ZN7rocprim17ROCPRIM_400000_NS6detail17trampoline_kernelINS0_14default_configENS1_38merge_sort_block_merge_config_selectorIiiEEZZNS1_27merge_sort_block_merge_implIS3_N6thrust23THRUST_200600_302600_NS6detail15normal_iteratorINS8_10device_ptrIiEEEESD_jNS1_19radix_merge_compareILb1ELb0EiNS0_19identity_decomposerEEEEE10hipError_tT0_T1_T2_jT3_P12ihipStream_tbPNSt15iterator_traitsISI_E10value_typeEPNSO_ISJ_E10value_typeEPSK_NS1_7vsmem_tEENKUlT_SI_SJ_SK_E_clIPiSD_S10_SD_EESH_SX_SI_SJ_SK_EUlSX_E_NS1_11comp_targetILNS1_3genE8ELNS1_11target_archE1030ELNS1_3gpuE2ELNS1_3repE0EEENS1_48merge_mergepath_partition_config_static_selectorELNS0_4arch9wavefront6targetE0EEEvSJ_,@function
_ZN7rocprim17ROCPRIM_400000_NS6detail17trampoline_kernelINS0_14default_configENS1_38merge_sort_block_merge_config_selectorIiiEEZZNS1_27merge_sort_block_merge_implIS3_N6thrust23THRUST_200600_302600_NS6detail15normal_iteratorINS8_10device_ptrIiEEEESD_jNS1_19radix_merge_compareILb1ELb0EiNS0_19identity_decomposerEEEEE10hipError_tT0_T1_T2_jT3_P12ihipStream_tbPNSt15iterator_traitsISI_E10value_typeEPNSO_ISJ_E10value_typeEPSK_NS1_7vsmem_tEENKUlT_SI_SJ_SK_E_clIPiSD_S10_SD_EESH_SX_SI_SJ_SK_EUlSX_E_NS1_11comp_targetILNS1_3genE8ELNS1_11target_archE1030ELNS1_3gpuE2ELNS1_3repE0EEENS1_48merge_mergepath_partition_config_static_selectorELNS0_4arch9wavefront6targetE0EEEvSJ_: ; @_ZN7rocprim17ROCPRIM_400000_NS6detail17trampoline_kernelINS0_14default_configENS1_38merge_sort_block_merge_config_selectorIiiEEZZNS1_27merge_sort_block_merge_implIS3_N6thrust23THRUST_200600_302600_NS6detail15normal_iteratorINS8_10device_ptrIiEEEESD_jNS1_19radix_merge_compareILb1ELb0EiNS0_19identity_decomposerEEEEE10hipError_tT0_T1_T2_jT3_P12ihipStream_tbPNSt15iterator_traitsISI_E10value_typeEPNSO_ISJ_E10value_typeEPSK_NS1_7vsmem_tEENKUlT_SI_SJ_SK_E_clIPiSD_S10_SD_EESH_SX_SI_SJ_SK_EUlSX_E_NS1_11comp_targetILNS1_3genE8ELNS1_11target_archE1030ELNS1_3gpuE2ELNS1_3repE0EEENS1_48merge_mergepath_partition_config_static_selectorELNS0_4arch9wavefront6targetE0EEEvSJ_
; %bb.0:
	s_load_dword s0, s[4:5], 0x0
	v_lshl_or_b32 v0, s6, 7, v0
	s_waitcnt lgkmcnt(0)
	v_cmp_gt_u32_e32 vcc_lo, s0, v0
	s_and_saveexec_b32 s0, vcc_lo
	s_cbranch_execz .LBB892_6
; %bb.1:
	s_load_dwordx2 s[0:1], s[4:5], 0x4
	s_waitcnt lgkmcnt(0)
	s_lshr_b32 s2, s0, 9
	s_and_b32 s2, s2, 0x7ffffe
	s_sub_i32 s3, 0, s2
	s_add_i32 s2, s2, -1
	v_and_b32_e32 v1, s3, v0
	v_and_b32_e32 v5, s2, v0
	s_mov_b32 s3, 0
	s_mov_b32 s2, exec_lo
	v_lshlrev_b32_e32 v1, 10, v1
	v_add_nc_u32_e32 v2, s0, v1
	v_min_u32_e32 v4, s1, v2
	v_min_u32_e32 v2, s1, v1
	v_add_nc_u32_e32 v3, s0, v4
	v_min_u32_e32 v1, s1, v3
	s_load_dwordx2 s[0:1], s[4:5], 0x20
	v_lshlrev_b32_e32 v3, 10, v5
	v_sub_nc_u32_e32 v5, v1, v2
	v_sub_nc_u32_e32 v6, v1, v4
	v_min_u32_e32 v1, v5, v3
	v_sub_nc_u32_e32 v3, v4, v2
	v_sub_nc_u32_e64 v6, v1, v6 clamp
	v_min_u32_e32 v7, v1, v3
	v_cmpx_lt_u32_e64 v6, v7
	s_cbranch_execz .LBB892_5
; %bb.2:
	s_load_dwordx2 s[4:5], s[4:5], 0x10
	v_mov_b32_e32 v5, 0
	v_mov_b32_e32 v3, v5
	v_lshlrev_b64 v[10:11], 2, v[4:5]
	v_lshlrev_b64 v[8:9], 2, v[2:3]
	s_waitcnt lgkmcnt(0)
	v_add_co_u32 v3, vcc_lo, s4, v8
	v_add_co_ci_u32_e64 v8, null, s5, v9, vcc_lo
	v_add_co_u32 v9, vcc_lo, s4, v10
	v_add_co_ci_u32_e64 v10, null, s5, v11, vcc_lo
	.p2align	6
.LBB892_3:                              ; =>This Inner Loop Header: Depth=1
	v_add_nc_u32_e32 v4, v7, v6
	v_mov_b32_e32 v12, v5
	v_lshrrev_b32_e32 v4, 1, v4
	v_xad_u32 v11, v4, -1, v1
	v_lshlrev_b64 v[13:14], 2, v[4:5]
	v_lshlrev_b64 v[11:12], 2, v[11:12]
	v_add_co_u32 v13, vcc_lo, v3, v13
	v_add_co_ci_u32_e64 v14, null, v8, v14, vcc_lo
	v_add_co_u32 v11, vcc_lo, v9, v11
	v_add_co_ci_u32_e64 v12, null, v10, v12, vcc_lo
	s_clause 0x1
	global_load_dword v13, v[13:14], off
	global_load_dword v11, v[11:12], off
	v_add_nc_u32_e32 v12, 1, v4
	s_waitcnt vmcnt(0)
	v_cmp_gt_i32_e32 vcc_lo, v11, v13
	v_cndmask_b32_e32 v7, v7, v4, vcc_lo
	v_cndmask_b32_e32 v6, v12, v6, vcc_lo
	v_cmp_ge_u32_e32 vcc_lo, v6, v7
	s_or_b32 s3, vcc_lo, s3
	s_andn2_b32 exec_lo, exec_lo, s3
	s_cbranch_execnz .LBB892_3
; %bb.4:
	s_or_b32 exec_lo, exec_lo, s3
.LBB892_5:
	s_or_b32 exec_lo, exec_lo, s2
	v_mov_b32_e32 v1, 0
	v_add_nc_u32_e32 v2, v6, v2
	v_lshlrev_b64 v[0:1], 2, v[0:1]
	s_waitcnt lgkmcnt(0)
	v_add_co_u32 v0, vcc_lo, s0, v0
	v_add_co_ci_u32_e64 v1, null, s1, v1, vcc_lo
	global_store_dword v[0:1], v2, off
.LBB892_6:
	s_endpgm
	.section	.rodata,"a",@progbits
	.p2align	6, 0x0
	.amdhsa_kernel _ZN7rocprim17ROCPRIM_400000_NS6detail17trampoline_kernelINS0_14default_configENS1_38merge_sort_block_merge_config_selectorIiiEEZZNS1_27merge_sort_block_merge_implIS3_N6thrust23THRUST_200600_302600_NS6detail15normal_iteratorINS8_10device_ptrIiEEEESD_jNS1_19radix_merge_compareILb1ELb0EiNS0_19identity_decomposerEEEEE10hipError_tT0_T1_T2_jT3_P12ihipStream_tbPNSt15iterator_traitsISI_E10value_typeEPNSO_ISJ_E10value_typeEPSK_NS1_7vsmem_tEENKUlT_SI_SJ_SK_E_clIPiSD_S10_SD_EESH_SX_SI_SJ_SK_EUlSX_E_NS1_11comp_targetILNS1_3genE8ELNS1_11target_archE1030ELNS1_3gpuE2ELNS1_3repE0EEENS1_48merge_mergepath_partition_config_static_selectorELNS0_4arch9wavefront6targetE0EEEvSJ_
		.amdhsa_group_segment_fixed_size 0
		.amdhsa_private_segment_fixed_size 0
		.amdhsa_kernarg_size 40
		.amdhsa_user_sgpr_count 6
		.amdhsa_user_sgpr_private_segment_buffer 1
		.amdhsa_user_sgpr_dispatch_ptr 0
		.amdhsa_user_sgpr_queue_ptr 0
		.amdhsa_user_sgpr_kernarg_segment_ptr 1
		.amdhsa_user_sgpr_dispatch_id 0
		.amdhsa_user_sgpr_flat_scratch_init 0
		.amdhsa_user_sgpr_private_segment_size 0
		.amdhsa_wavefront_size32 1
		.amdhsa_uses_dynamic_stack 0
		.amdhsa_system_sgpr_private_segment_wavefront_offset 0
		.amdhsa_system_sgpr_workgroup_id_x 1
		.amdhsa_system_sgpr_workgroup_id_y 0
		.amdhsa_system_sgpr_workgroup_id_z 0
		.amdhsa_system_sgpr_workgroup_info 0
		.amdhsa_system_vgpr_workitem_id 0
		.amdhsa_next_free_vgpr 15
		.amdhsa_next_free_sgpr 7
		.amdhsa_reserve_vcc 1
		.amdhsa_reserve_flat_scratch 0
		.amdhsa_float_round_mode_32 0
		.amdhsa_float_round_mode_16_64 0
		.amdhsa_float_denorm_mode_32 3
		.amdhsa_float_denorm_mode_16_64 3
		.amdhsa_dx10_clamp 1
		.amdhsa_ieee_mode 1
		.amdhsa_fp16_overflow 0
		.amdhsa_workgroup_processor_mode 1
		.amdhsa_memory_ordered 1
		.amdhsa_forward_progress 1
		.amdhsa_shared_vgpr_count 0
		.amdhsa_exception_fp_ieee_invalid_op 0
		.amdhsa_exception_fp_denorm_src 0
		.amdhsa_exception_fp_ieee_div_zero 0
		.amdhsa_exception_fp_ieee_overflow 0
		.amdhsa_exception_fp_ieee_underflow 0
		.amdhsa_exception_fp_ieee_inexact 0
		.amdhsa_exception_int_div_zero 0
	.end_amdhsa_kernel
	.section	.text._ZN7rocprim17ROCPRIM_400000_NS6detail17trampoline_kernelINS0_14default_configENS1_38merge_sort_block_merge_config_selectorIiiEEZZNS1_27merge_sort_block_merge_implIS3_N6thrust23THRUST_200600_302600_NS6detail15normal_iteratorINS8_10device_ptrIiEEEESD_jNS1_19radix_merge_compareILb1ELb0EiNS0_19identity_decomposerEEEEE10hipError_tT0_T1_T2_jT3_P12ihipStream_tbPNSt15iterator_traitsISI_E10value_typeEPNSO_ISJ_E10value_typeEPSK_NS1_7vsmem_tEENKUlT_SI_SJ_SK_E_clIPiSD_S10_SD_EESH_SX_SI_SJ_SK_EUlSX_E_NS1_11comp_targetILNS1_3genE8ELNS1_11target_archE1030ELNS1_3gpuE2ELNS1_3repE0EEENS1_48merge_mergepath_partition_config_static_selectorELNS0_4arch9wavefront6targetE0EEEvSJ_,"axG",@progbits,_ZN7rocprim17ROCPRIM_400000_NS6detail17trampoline_kernelINS0_14default_configENS1_38merge_sort_block_merge_config_selectorIiiEEZZNS1_27merge_sort_block_merge_implIS3_N6thrust23THRUST_200600_302600_NS6detail15normal_iteratorINS8_10device_ptrIiEEEESD_jNS1_19radix_merge_compareILb1ELb0EiNS0_19identity_decomposerEEEEE10hipError_tT0_T1_T2_jT3_P12ihipStream_tbPNSt15iterator_traitsISI_E10value_typeEPNSO_ISJ_E10value_typeEPSK_NS1_7vsmem_tEENKUlT_SI_SJ_SK_E_clIPiSD_S10_SD_EESH_SX_SI_SJ_SK_EUlSX_E_NS1_11comp_targetILNS1_3genE8ELNS1_11target_archE1030ELNS1_3gpuE2ELNS1_3repE0EEENS1_48merge_mergepath_partition_config_static_selectorELNS0_4arch9wavefront6targetE0EEEvSJ_,comdat
.Lfunc_end892:
	.size	_ZN7rocprim17ROCPRIM_400000_NS6detail17trampoline_kernelINS0_14default_configENS1_38merge_sort_block_merge_config_selectorIiiEEZZNS1_27merge_sort_block_merge_implIS3_N6thrust23THRUST_200600_302600_NS6detail15normal_iteratorINS8_10device_ptrIiEEEESD_jNS1_19radix_merge_compareILb1ELb0EiNS0_19identity_decomposerEEEEE10hipError_tT0_T1_T2_jT3_P12ihipStream_tbPNSt15iterator_traitsISI_E10value_typeEPNSO_ISJ_E10value_typeEPSK_NS1_7vsmem_tEENKUlT_SI_SJ_SK_E_clIPiSD_S10_SD_EESH_SX_SI_SJ_SK_EUlSX_E_NS1_11comp_targetILNS1_3genE8ELNS1_11target_archE1030ELNS1_3gpuE2ELNS1_3repE0EEENS1_48merge_mergepath_partition_config_static_selectorELNS0_4arch9wavefront6targetE0EEEvSJ_, .Lfunc_end892-_ZN7rocprim17ROCPRIM_400000_NS6detail17trampoline_kernelINS0_14default_configENS1_38merge_sort_block_merge_config_selectorIiiEEZZNS1_27merge_sort_block_merge_implIS3_N6thrust23THRUST_200600_302600_NS6detail15normal_iteratorINS8_10device_ptrIiEEEESD_jNS1_19radix_merge_compareILb1ELb0EiNS0_19identity_decomposerEEEEE10hipError_tT0_T1_T2_jT3_P12ihipStream_tbPNSt15iterator_traitsISI_E10value_typeEPNSO_ISJ_E10value_typeEPSK_NS1_7vsmem_tEENKUlT_SI_SJ_SK_E_clIPiSD_S10_SD_EESH_SX_SI_SJ_SK_EUlSX_E_NS1_11comp_targetILNS1_3genE8ELNS1_11target_archE1030ELNS1_3gpuE2ELNS1_3repE0EEENS1_48merge_mergepath_partition_config_static_selectorELNS0_4arch9wavefront6targetE0EEEvSJ_
                                        ; -- End function
	.set _ZN7rocprim17ROCPRIM_400000_NS6detail17trampoline_kernelINS0_14default_configENS1_38merge_sort_block_merge_config_selectorIiiEEZZNS1_27merge_sort_block_merge_implIS3_N6thrust23THRUST_200600_302600_NS6detail15normal_iteratorINS8_10device_ptrIiEEEESD_jNS1_19radix_merge_compareILb1ELb0EiNS0_19identity_decomposerEEEEE10hipError_tT0_T1_T2_jT3_P12ihipStream_tbPNSt15iterator_traitsISI_E10value_typeEPNSO_ISJ_E10value_typeEPSK_NS1_7vsmem_tEENKUlT_SI_SJ_SK_E_clIPiSD_S10_SD_EESH_SX_SI_SJ_SK_EUlSX_E_NS1_11comp_targetILNS1_3genE8ELNS1_11target_archE1030ELNS1_3gpuE2ELNS1_3repE0EEENS1_48merge_mergepath_partition_config_static_selectorELNS0_4arch9wavefront6targetE0EEEvSJ_.num_vgpr, 15
	.set _ZN7rocprim17ROCPRIM_400000_NS6detail17trampoline_kernelINS0_14default_configENS1_38merge_sort_block_merge_config_selectorIiiEEZZNS1_27merge_sort_block_merge_implIS3_N6thrust23THRUST_200600_302600_NS6detail15normal_iteratorINS8_10device_ptrIiEEEESD_jNS1_19radix_merge_compareILb1ELb0EiNS0_19identity_decomposerEEEEE10hipError_tT0_T1_T2_jT3_P12ihipStream_tbPNSt15iterator_traitsISI_E10value_typeEPNSO_ISJ_E10value_typeEPSK_NS1_7vsmem_tEENKUlT_SI_SJ_SK_E_clIPiSD_S10_SD_EESH_SX_SI_SJ_SK_EUlSX_E_NS1_11comp_targetILNS1_3genE8ELNS1_11target_archE1030ELNS1_3gpuE2ELNS1_3repE0EEENS1_48merge_mergepath_partition_config_static_selectorELNS0_4arch9wavefront6targetE0EEEvSJ_.num_agpr, 0
	.set _ZN7rocprim17ROCPRIM_400000_NS6detail17trampoline_kernelINS0_14default_configENS1_38merge_sort_block_merge_config_selectorIiiEEZZNS1_27merge_sort_block_merge_implIS3_N6thrust23THRUST_200600_302600_NS6detail15normal_iteratorINS8_10device_ptrIiEEEESD_jNS1_19radix_merge_compareILb1ELb0EiNS0_19identity_decomposerEEEEE10hipError_tT0_T1_T2_jT3_P12ihipStream_tbPNSt15iterator_traitsISI_E10value_typeEPNSO_ISJ_E10value_typeEPSK_NS1_7vsmem_tEENKUlT_SI_SJ_SK_E_clIPiSD_S10_SD_EESH_SX_SI_SJ_SK_EUlSX_E_NS1_11comp_targetILNS1_3genE8ELNS1_11target_archE1030ELNS1_3gpuE2ELNS1_3repE0EEENS1_48merge_mergepath_partition_config_static_selectorELNS0_4arch9wavefront6targetE0EEEvSJ_.numbered_sgpr, 7
	.set _ZN7rocprim17ROCPRIM_400000_NS6detail17trampoline_kernelINS0_14default_configENS1_38merge_sort_block_merge_config_selectorIiiEEZZNS1_27merge_sort_block_merge_implIS3_N6thrust23THRUST_200600_302600_NS6detail15normal_iteratorINS8_10device_ptrIiEEEESD_jNS1_19radix_merge_compareILb1ELb0EiNS0_19identity_decomposerEEEEE10hipError_tT0_T1_T2_jT3_P12ihipStream_tbPNSt15iterator_traitsISI_E10value_typeEPNSO_ISJ_E10value_typeEPSK_NS1_7vsmem_tEENKUlT_SI_SJ_SK_E_clIPiSD_S10_SD_EESH_SX_SI_SJ_SK_EUlSX_E_NS1_11comp_targetILNS1_3genE8ELNS1_11target_archE1030ELNS1_3gpuE2ELNS1_3repE0EEENS1_48merge_mergepath_partition_config_static_selectorELNS0_4arch9wavefront6targetE0EEEvSJ_.num_named_barrier, 0
	.set _ZN7rocprim17ROCPRIM_400000_NS6detail17trampoline_kernelINS0_14default_configENS1_38merge_sort_block_merge_config_selectorIiiEEZZNS1_27merge_sort_block_merge_implIS3_N6thrust23THRUST_200600_302600_NS6detail15normal_iteratorINS8_10device_ptrIiEEEESD_jNS1_19radix_merge_compareILb1ELb0EiNS0_19identity_decomposerEEEEE10hipError_tT0_T1_T2_jT3_P12ihipStream_tbPNSt15iterator_traitsISI_E10value_typeEPNSO_ISJ_E10value_typeEPSK_NS1_7vsmem_tEENKUlT_SI_SJ_SK_E_clIPiSD_S10_SD_EESH_SX_SI_SJ_SK_EUlSX_E_NS1_11comp_targetILNS1_3genE8ELNS1_11target_archE1030ELNS1_3gpuE2ELNS1_3repE0EEENS1_48merge_mergepath_partition_config_static_selectorELNS0_4arch9wavefront6targetE0EEEvSJ_.private_seg_size, 0
	.set _ZN7rocprim17ROCPRIM_400000_NS6detail17trampoline_kernelINS0_14default_configENS1_38merge_sort_block_merge_config_selectorIiiEEZZNS1_27merge_sort_block_merge_implIS3_N6thrust23THRUST_200600_302600_NS6detail15normal_iteratorINS8_10device_ptrIiEEEESD_jNS1_19radix_merge_compareILb1ELb0EiNS0_19identity_decomposerEEEEE10hipError_tT0_T1_T2_jT3_P12ihipStream_tbPNSt15iterator_traitsISI_E10value_typeEPNSO_ISJ_E10value_typeEPSK_NS1_7vsmem_tEENKUlT_SI_SJ_SK_E_clIPiSD_S10_SD_EESH_SX_SI_SJ_SK_EUlSX_E_NS1_11comp_targetILNS1_3genE8ELNS1_11target_archE1030ELNS1_3gpuE2ELNS1_3repE0EEENS1_48merge_mergepath_partition_config_static_selectorELNS0_4arch9wavefront6targetE0EEEvSJ_.uses_vcc, 1
	.set _ZN7rocprim17ROCPRIM_400000_NS6detail17trampoline_kernelINS0_14default_configENS1_38merge_sort_block_merge_config_selectorIiiEEZZNS1_27merge_sort_block_merge_implIS3_N6thrust23THRUST_200600_302600_NS6detail15normal_iteratorINS8_10device_ptrIiEEEESD_jNS1_19radix_merge_compareILb1ELb0EiNS0_19identity_decomposerEEEEE10hipError_tT0_T1_T2_jT3_P12ihipStream_tbPNSt15iterator_traitsISI_E10value_typeEPNSO_ISJ_E10value_typeEPSK_NS1_7vsmem_tEENKUlT_SI_SJ_SK_E_clIPiSD_S10_SD_EESH_SX_SI_SJ_SK_EUlSX_E_NS1_11comp_targetILNS1_3genE8ELNS1_11target_archE1030ELNS1_3gpuE2ELNS1_3repE0EEENS1_48merge_mergepath_partition_config_static_selectorELNS0_4arch9wavefront6targetE0EEEvSJ_.uses_flat_scratch, 0
	.set _ZN7rocprim17ROCPRIM_400000_NS6detail17trampoline_kernelINS0_14default_configENS1_38merge_sort_block_merge_config_selectorIiiEEZZNS1_27merge_sort_block_merge_implIS3_N6thrust23THRUST_200600_302600_NS6detail15normal_iteratorINS8_10device_ptrIiEEEESD_jNS1_19radix_merge_compareILb1ELb0EiNS0_19identity_decomposerEEEEE10hipError_tT0_T1_T2_jT3_P12ihipStream_tbPNSt15iterator_traitsISI_E10value_typeEPNSO_ISJ_E10value_typeEPSK_NS1_7vsmem_tEENKUlT_SI_SJ_SK_E_clIPiSD_S10_SD_EESH_SX_SI_SJ_SK_EUlSX_E_NS1_11comp_targetILNS1_3genE8ELNS1_11target_archE1030ELNS1_3gpuE2ELNS1_3repE0EEENS1_48merge_mergepath_partition_config_static_selectorELNS0_4arch9wavefront6targetE0EEEvSJ_.has_dyn_sized_stack, 0
	.set _ZN7rocprim17ROCPRIM_400000_NS6detail17trampoline_kernelINS0_14default_configENS1_38merge_sort_block_merge_config_selectorIiiEEZZNS1_27merge_sort_block_merge_implIS3_N6thrust23THRUST_200600_302600_NS6detail15normal_iteratorINS8_10device_ptrIiEEEESD_jNS1_19radix_merge_compareILb1ELb0EiNS0_19identity_decomposerEEEEE10hipError_tT0_T1_T2_jT3_P12ihipStream_tbPNSt15iterator_traitsISI_E10value_typeEPNSO_ISJ_E10value_typeEPSK_NS1_7vsmem_tEENKUlT_SI_SJ_SK_E_clIPiSD_S10_SD_EESH_SX_SI_SJ_SK_EUlSX_E_NS1_11comp_targetILNS1_3genE8ELNS1_11target_archE1030ELNS1_3gpuE2ELNS1_3repE0EEENS1_48merge_mergepath_partition_config_static_selectorELNS0_4arch9wavefront6targetE0EEEvSJ_.has_recursion, 0
	.set _ZN7rocprim17ROCPRIM_400000_NS6detail17trampoline_kernelINS0_14default_configENS1_38merge_sort_block_merge_config_selectorIiiEEZZNS1_27merge_sort_block_merge_implIS3_N6thrust23THRUST_200600_302600_NS6detail15normal_iteratorINS8_10device_ptrIiEEEESD_jNS1_19radix_merge_compareILb1ELb0EiNS0_19identity_decomposerEEEEE10hipError_tT0_T1_T2_jT3_P12ihipStream_tbPNSt15iterator_traitsISI_E10value_typeEPNSO_ISJ_E10value_typeEPSK_NS1_7vsmem_tEENKUlT_SI_SJ_SK_E_clIPiSD_S10_SD_EESH_SX_SI_SJ_SK_EUlSX_E_NS1_11comp_targetILNS1_3genE8ELNS1_11target_archE1030ELNS1_3gpuE2ELNS1_3repE0EEENS1_48merge_mergepath_partition_config_static_selectorELNS0_4arch9wavefront6targetE0EEEvSJ_.has_indirect_call, 0
	.section	.AMDGPU.csdata,"",@progbits
; Kernel info:
; codeLenInByte = 436
; TotalNumSgprs: 9
; NumVgprs: 15
; ScratchSize: 0
; MemoryBound: 0
; FloatMode: 240
; IeeeMode: 1
; LDSByteSize: 0 bytes/workgroup (compile time only)
; SGPRBlocks: 0
; VGPRBlocks: 1
; NumSGPRsForWavesPerEU: 9
; NumVGPRsForWavesPerEU: 15
; Occupancy: 16
; WaveLimiterHint : 0
; COMPUTE_PGM_RSRC2:SCRATCH_EN: 0
; COMPUTE_PGM_RSRC2:USER_SGPR: 6
; COMPUTE_PGM_RSRC2:TRAP_HANDLER: 0
; COMPUTE_PGM_RSRC2:TGID_X_EN: 1
; COMPUTE_PGM_RSRC2:TGID_Y_EN: 0
; COMPUTE_PGM_RSRC2:TGID_Z_EN: 0
; COMPUTE_PGM_RSRC2:TIDIG_COMP_CNT: 0
	.section	.text._ZN7rocprim17ROCPRIM_400000_NS6detail17trampoline_kernelINS0_14default_configENS1_38merge_sort_block_merge_config_selectorIiiEEZZNS1_27merge_sort_block_merge_implIS3_N6thrust23THRUST_200600_302600_NS6detail15normal_iteratorINS8_10device_ptrIiEEEESD_jNS1_19radix_merge_compareILb1ELb0EiNS0_19identity_decomposerEEEEE10hipError_tT0_T1_T2_jT3_P12ihipStream_tbPNSt15iterator_traitsISI_E10value_typeEPNSO_ISJ_E10value_typeEPSK_NS1_7vsmem_tEENKUlT_SI_SJ_SK_E_clIPiSD_S10_SD_EESH_SX_SI_SJ_SK_EUlSX_E0_NS1_11comp_targetILNS1_3genE0ELNS1_11target_archE4294967295ELNS1_3gpuE0ELNS1_3repE0EEENS1_38merge_mergepath_config_static_selectorELNS0_4arch9wavefront6targetE0EEEvSJ_,"axG",@progbits,_ZN7rocprim17ROCPRIM_400000_NS6detail17trampoline_kernelINS0_14default_configENS1_38merge_sort_block_merge_config_selectorIiiEEZZNS1_27merge_sort_block_merge_implIS3_N6thrust23THRUST_200600_302600_NS6detail15normal_iteratorINS8_10device_ptrIiEEEESD_jNS1_19radix_merge_compareILb1ELb0EiNS0_19identity_decomposerEEEEE10hipError_tT0_T1_T2_jT3_P12ihipStream_tbPNSt15iterator_traitsISI_E10value_typeEPNSO_ISJ_E10value_typeEPSK_NS1_7vsmem_tEENKUlT_SI_SJ_SK_E_clIPiSD_S10_SD_EESH_SX_SI_SJ_SK_EUlSX_E0_NS1_11comp_targetILNS1_3genE0ELNS1_11target_archE4294967295ELNS1_3gpuE0ELNS1_3repE0EEENS1_38merge_mergepath_config_static_selectorELNS0_4arch9wavefront6targetE0EEEvSJ_,comdat
	.protected	_ZN7rocprim17ROCPRIM_400000_NS6detail17trampoline_kernelINS0_14default_configENS1_38merge_sort_block_merge_config_selectorIiiEEZZNS1_27merge_sort_block_merge_implIS3_N6thrust23THRUST_200600_302600_NS6detail15normal_iteratorINS8_10device_ptrIiEEEESD_jNS1_19radix_merge_compareILb1ELb0EiNS0_19identity_decomposerEEEEE10hipError_tT0_T1_T2_jT3_P12ihipStream_tbPNSt15iterator_traitsISI_E10value_typeEPNSO_ISJ_E10value_typeEPSK_NS1_7vsmem_tEENKUlT_SI_SJ_SK_E_clIPiSD_S10_SD_EESH_SX_SI_SJ_SK_EUlSX_E0_NS1_11comp_targetILNS1_3genE0ELNS1_11target_archE4294967295ELNS1_3gpuE0ELNS1_3repE0EEENS1_38merge_mergepath_config_static_selectorELNS0_4arch9wavefront6targetE0EEEvSJ_ ; -- Begin function _ZN7rocprim17ROCPRIM_400000_NS6detail17trampoline_kernelINS0_14default_configENS1_38merge_sort_block_merge_config_selectorIiiEEZZNS1_27merge_sort_block_merge_implIS3_N6thrust23THRUST_200600_302600_NS6detail15normal_iteratorINS8_10device_ptrIiEEEESD_jNS1_19radix_merge_compareILb1ELb0EiNS0_19identity_decomposerEEEEE10hipError_tT0_T1_T2_jT3_P12ihipStream_tbPNSt15iterator_traitsISI_E10value_typeEPNSO_ISJ_E10value_typeEPSK_NS1_7vsmem_tEENKUlT_SI_SJ_SK_E_clIPiSD_S10_SD_EESH_SX_SI_SJ_SK_EUlSX_E0_NS1_11comp_targetILNS1_3genE0ELNS1_11target_archE4294967295ELNS1_3gpuE0ELNS1_3repE0EEENS1_38merge_mergepath_config_static_selectorELNS0_4arch9wavefront6targetE0EEEvSJ_
	.globl	_ZN7rocprim17ROCPRIM_400000_NS6detail17trampoline_kernelINS0_14default_configENS1_38merge_sort_block_merge_config_selectorIiiEEZZNS1_27merge_sort_block_merge_implIS3_N6thrust23THRUST_200600_302600_NS6detail15normal_iteratorINS8_10device_ptrIiEEEESD_jNS1_19radix_merge_compareILb1ELb0EiNS0_19identity_decomposerEEEEE10hipError_tT0_T1_T2_jT3_P12ihipStream_tbPNSt15iterator_traitsISI_E10value_typeEPNSO_ISJ_E10value_typeEPSK_NS1_7vsmem_tEENKUlT_SI_SJ_SK_E_clIPiSD_S10_SD_EESH_SX_SI_SJ_SK_EUlSX_E0_NS1_11comp_targetILNS1_3genE0ELNS1_11target_archE4294967295ELNS1_3gpuE0ELNS1_3repE0EEENS1_38merge_mergepath_config_static_selectorELNS0_4arch9wavefront6targetE0EEEvSJ_
	.p2align	8
	.type	_ZN7rocprim17ROCPRIM_400000_NS6detail17trampoline_kernelINS0_14default_configENS1_38merge_sort_block_merge_config_selectorIiiEEZZNS1_27merge_sort_block_merge_implIS3_N6thrust23THRUST_200600_302600_NS6detail15normal_iteratorINS8_10device_ptrIiEEEESD_jNS1_19radix_merge_compareILb1ELb0EiNS0_19identity_decomposerEEEEE10hipError_tT0_T1_T2_jT3_P12ihipStream_tbPNSt15iterator_traitsISI_E10value_typeEPNSO_ISJ_E10value_typeEPSK_NS1_7vsmem_tEENKUlT_SI_SJ_SK_E_clIPiSD_S10_SD_EESH_SX_SI_SJ_SK_EUlSX_E0_NS1_11comp_targetILNS1_3genE0ELNS1_11target_archE4294967295ELNS1_3gpuE0ELNS1_3repE0EEENS1_38merge_mergepath_config_static_selectorELNS0_4arch9wavefront6targetE0EEEvSJ_,@function
_ZN7rocprim17ROCPRIM_400000_NS6detail17trampoline_kernelINS0_14default_configENS1_38merge_sort_block_merge_config_selectorIiiEEZZNS1_27merge_sort_block_merge_implIS3_N6thrust23THRUST_200600_302600_NS6detail15normal_iteratorINS8_10device_ptrIiEEEESD_jNS1_19radix_merge_compareILb1ELb0EiNS0_19identity_decomposerEEEEE10hipError_tT0_T1_T2_jT3_P12ihipStream_tbPNSt15iterator_traitsISI_E10value_typeEPNSO_ISJ_E10value_typeEPSK_NS1_7vsmem_tEENKUlT_SI_SJ_SK_E_clIPiSD_S10_SD_EESH_SX_SI_SJ_SK_EUlSX_E0_NS1_11comp_targetILNS1_3genE0ELNS1_11target_archE4294967295ELNS1_3gpuE0ELNS1_3repE0EEENS1_38merge_mergepath_config_static_selectorELNS0_4arch9wavefront6targetE0EEEvSJ_: ; @_ZN7rocprim17ROCPRIM_400000_NS6detail17trampoline_kernelINS0_14default_configENS1_38merge_sort_block_merge_config_selectorIiiEEZZNS1_27merge_sort_block_merge_implIS3_N6thrust23THRUST_200600_302600_NS6detail15normal_iteratorINS8_10device_ptrIiEEEESD_jNS1_19radix_merge_compareILb1ELb0EiNS0_19identity_decomposerEEEEE10hipError_tT0_T1_T2_jT3_P12ihipStream_tbPNSt15iterator_traitsISI_E10value_typeEPNSO_ISJ_E10value_typeEPSK_NS1_7vsmem_tEENKUlT_SI_SJ_SK_E_clIPiSD_S10_SD_EESH_SX_SI_SJ_SK_EUlSX_E0_NS1_11comp_targetILNS1_3genE0ELNS1_11target_archE4294967295ELNS1_3gpuE0ELNS1_3repE0EEENS1_38merge_mergepath_config_static_selectorELNS0_4arch9wavefront6targetE0EEEvSJ_
; %bb.0:
	.section	.rodata,"a",@progbits
	.p2align	6, 0x0
	.amdhsa_kernel _ZN7rocprim17ROCPRIM_400000_NS6detail17trampoline_kernelINS0_14default_configENS1_38merge_sort_block_merge_config_selectorIiiEEZZNS1_27merge_sort_block_merge_implIS3_N6thrust23THRUST_200600_302600_NS6detail15normal_iteratorINS8_10device_ptrIiEEEESD_jNS1_19radix_merge_compareILb1ELb0EiNS0_19identity_decomposerEEEEE10hipError_tT0_T1_T2_jT3_P12ihipStream_tbPNSt15iterator_traitsISI_E10value_typeEPNSO_ISJ_E10value_typeEPSK_NS1_7vsmem_tEENKUlT_SI_SJ_SK_E_clIPiSD_S10_SD_EESH_SX_SI_SJ_SK_EUlSX_E0_NS1_11comp_targetILNS1_3genE0ELNS1_11target_archE4294967295ELNS1_3gpuE0ELNS1_3repE0EEENS1_38merge_mergepath_config_static_selectorELNS0_4arch9wavefront6targetE0EEEvSJ_
		.amdhsa_group_segment_fixed_size 0
		.amdhsa_private_segment_fixed_size 0
		.amdhsa_kernarg_size 64
		.amdhsa_user_sgpr_count 6
		.amdhsa_user_sgpr_private_segment_buffer 1
		.amdhsa_user_sgpr_dispatch_ptr 0
		.amdhsa_user_sgpr_queue_ptr 0
		.amdhsa_user_sgpr_kernarg_segment_ptr 1
		.amdhsa_user_sgpr_dispatch_id 0
		.amdhsa_user_sgpr_flat_scratch_init 0
		.amdhsa_user_sgpr_private_segment_size 0
		.amdhsa_wavefront_size32 1
		.amdhsa_uses_dynamic_stack 0
		.amdhsa_system_sgpr_private_segment_wavefront_offset 0
		.amdhsa_system_sgpr_workgroup_id_x 1
		.amdhsa_system_sgpr_workgroup_id_y 0
		.amdhsa_system_sgpr_workgroup_id_z 0
		.amdhsa_system_sgpr_workgroup_info 0
		.amdhsa_system_vgpr_workitem_id 0
		.amdhsa_next_free_vgpr 1
		.amdhsa_next_free_sgpr 1
		.amdhsa_reserve_vcc 0
		.amdhsa_reserve_flat_scratch 0
		.amdhsa_float_round_mode_32 0
		.amdhsa_float_round_mode_16_64 0
		.amdhsa_float_denorm_mode_32 3
		.amdhsa_float_denorm_mode_16_64 3
		.amdhsa_dx10_clamp 1
		.amdhsa_ieee_mode 1
		.amdhsa_fp16_overflow 0
		.amdhsa_workgroup_processor_mode 1
		.amdhsa_memory_ordered 1
		.amdhsa_forward_progress 1
		.amdhsa_shared_vgpr_count 0
		.amdhsa_exception_fp_ieee_invalid_op 0
		.amdhsa_exception_fp_denorm_src 0
		.amdhsa_exception_fp_ieee_div_zero 0
		.amdhsa_exception_fp_ieee_overflow 0
		.amdhsa_exception_fp_ieee_underflow 0
		.amdhsa_exception_fp_ieee_inexact 0
		.amdhsa_exception_int_div_zero 0
	.end_amdhsa_kernel
	.section	.text._ZN7rocprim17ROCPRIM_400000_NS6detail17trampoline_kernelINS0_14default_configENS1_38merge_sort_block_merge_config_selectorIiiEEZZNS1_27merge_sort_block_merge_implIS3_N6thrust23THRUST_200600_302600_NS6detail15normal_iteratorINS8_10device_ptrIiEEEESD_jNS1_19radix_merge_compareILb1ELb0EiNS0_19identity_decomposerEEEEE10hipError_tT0_T1_T2_jT3_P12ihipStream_tbPNSt15iterator_traitsISI_E10value_typeEPNSO_ISJ_E10value_typeEPSK_NS1_7vsmem_tEENKUlT_SI_SJ_SK_E_clIPiSD_S10_SD_EESH_SX_SI_SJ_SK_EUlSX_E0_NS1_11comp_targetILNS1_3genE0ELNS1_11target_archE4294967295ELNS1_3gpuE0ELNS1_3repE0EEENS1_38merge_mergepath_config_static_selectorELNS0_4arch9wavefront6targetE0EEEvSJ_,"axG",@progbits,_ZN7rocprim17ROCPRIM_400000_NS6detail17trampoline_kernelINS0_14default_configENS1_38merge_sort_block_merge_config_selectorIiiEEZZNS1_27merge_sort_block_merge_implIS3_N6thrust23THRUST_200600_302600_NS6detail15normal_iteratorINS8_10device_ptrIiEEEESD_jNS1_19radix_merge_compareILb1ELb0EiNS0_19identity_decomposerEEEEE10hipError_tT0_T1_T2_jT3_P12ihipStream_tbPNSt15iterator_traitsISI_E10value_typeEPNSO_ISJ_E10value_typeEPSK_NS1_7vsmem_tEENKUlT_SI_SJ_SK_E_clIPiSD_S10_SD_EESH_SX_SI_SJ_SK_EUlSX_E0_NS1_11comp_targetILNS1_3genE0ELNS1_11target_archE4294967295ELNS1_3gpuE0ELNS1_3repE0EEENS1_38merge_mergepath_config_static_selectorELNS0_4arch9wavefront6targetE0EEEvSJ_,comdat
.Lfunc_end893:
	.size	_ZN7rocprim17ROCPRIM_400000_NS6detail17trampoline_kernelINS0_14default_configENS1_38merge_sort_block_merge_config_selectorIiiEEZZNS1_27merge_sort_block_merge_implIS3_N6thrust23THRUST_200600_302600_NS6detail15normal_iteratorINS8_10device_ptrIiEEEESD_jNS1_19radix_merge_compareILb1ELb0EiNS0_19identity_decomposerEEEEE10hipError_tT0_T1_T2_jT3_P12ihipStream_tbPNSt15iterator_traitsISI_E10value_typeEPNSO_ISJ_E10value_typeEPSK_NS1_7vsmem_tEENKUlT_SI_SJ_SK_E_clIPiSD_S10_SD_EESH_SX_SI_SJ_SK_EUlSX_E0_NS1_11comp_targetILNS1_3genE0ELNS1_11target_archE4294967295ELNS1_3gpuE0ELNS1_3repE0EEENS1_38merge_mergepath_config_static_selectorELNS0_4arch9wavefront6targetE0EEEvSJ_, .Lfunc_end893-_ZN7rocprim17ROCPRIM_400000_NS6detail17trampoline_kernelINS0_14default_configENS1_38merge_sort_block_merge_config_selectorIiiEEZZNS1_27merge_sort_block_merge_implIS3_N6thrust23THRUST_200600_302600_NS6detail15normal_iteratorINS8_10device_ptrIiEEEESD_jNS1_19radix_merge_compareILb1ELb0EiNS0_19identity_decomposerEEEEE10hipError_tT0_T1_T2_jT3_P12ihipStream_tbPNSt15iterator_traitsISI_E10value_typeEPNSO_ISJ_E10value_typeEPSK_NS1_7vsmem_tEENKUlT_SI_SJ_SK_E_clIPiSD_S10_SD_EESH_SX_SI_SJ_SK_EUlSX_E0_NS1_11comp_targetILNS1_3genE0ELNS1_11target_archE4294967295ELNS1_3gpuE0ELNS1_3repE0EEENS1_38merge_mergepath_config_static_selectorELNS0_4arch9wavefront6targetE0EEEvSJ_
                                        ; -- End function
	.set _ZN7rocprim17ROCPRIM_400000_NS6detail17trampoline_kernelINS0_14default_configENS1_38merge_sort_block_merge_config_selectorIiiEEZZNS1_27merge_sort_block_merge_implIS3_N6thrust23THRUST_200600_302600_NS6detail15normal_iteratorINS8_10device_ptrIiEEEESD_jNS1_19radix_merge_compareILb1ELb0EiNS0_19identity_decomposerEEEEE10hipError_tT0_T1_T2_jT3_P12ihipStream_tbPNSt15iterator_traitsISI_E10value_typeEPNSO_ISJ_E10value_typeEPSK_NS1_7vsmem_tEENKUlT_SI_SJ_SK_E_clIPiSD_S10_SD_EESH_SX_SI_SJ_SK_EUlSX_E0_NS1_11comp_targetILNS1_3genE0ELNS1_11target_archE4294967295ELNS1_3gpuE0ELNS1_3repE0EEENS1_38merge_mergepath_config_static_selectorELNS0_4arch9wavefront6targetE0EEEvSJ_.num_vgpr, 0
	.set _ZN7rocprim17ROCPRIM_400000_NS6detail17trampoline_kernelINS0_14default_configENS1_38merge_sort_block_merge_config_selectorIiiEEZZNS1_27merge_sort_block_merge_implIS3_N6thrust23THRUST_200600_302600_NS6detail15normal_iteratorINS8_10device_ptrIiEEEESD_jNS1_19radix_merge_compareILb1ELb0EiNS0_19identity_decomposerEEEEE10hipError_tT0_T1_T2_jT3_P12ihipStream_tbPNSt15iterator_traitsISI_E10value_typeEPNSO_ISJ_E10value_typeEPSK_NS1_7vsmem_tEENKUlT_SI_SJ_SK_E_clIPiSD_S10_SD_EESH_SX_SI_SJ_SK_EUlSX_E0_NS1_11comp_targetILNS1_3genE0ELNS1_11target_archE4294967295ELNS1_3gpuE0ELNS1_3repE0EEENS1_38merge_mergepath_config_static_selectorELNS0_4arch9wavefront6targetE0EEEvSJ_.num_agpr, 0
	.set _ZN7rocprim17ROCPRIM_400000_NS6detail17trampoline_kernelINS0_14default_configENS1_38merge_sort_block_merge_config_selectorIiiEEZZNS1_27merge_sort_block_merge_implIS3_N6thrust23THRUST_200600_302600_NS6detail15normal_iteratorINS8_10device_ptrIiEEEESD_jNS1_19radix_merge_compareILb1ELb0EiNS0_19identity_decomposerEEEEE10hipError_tT0_T1_T2_jT3_P12ihipStream_tbPNSt15iterator_traitsISI_E10value_typeEPNSO_ISJ_E10value_typeEPSK_NS1_7vsmem_tEENKUlT_SI_SJ_SK_E_clIPiSD_S10_SD_EESH_SX_SI_SJ_SK_EUlSX_E0_NS1_11comp_targetILNS1_3genE0ELNS1_11target_archE4294967295ELNS1_3gpuE0ELNS1_3repE0EEENS1_38merge_mergepath_config_static_selectorELNS0_4arch9wavefront6targetE0EEEvSJ_.numbered_sgpr, 0
	.set _ZN7rocprim17ROCPRIM_400000_NS6detail17trampoline_kernelINS0_14default_configENS1_38merge_sort_block_merge_config_selectorIiiEEZZNS1_27merge_sort_block_merge_implIS3_N6thrust23THRUST_200600_302600_NS6detail15normal_iteratorINS8_10device_ptrIiEEEESD_jNS1_19radix_merge_compareILb1ELb0EiNS0_19identity_decomposerEEEEE10hipError_tT0_T1_T2_jT3_P12ihipStream_tbPNSt15iterator_traitsISI_E10value_typeEPNSO_ISJ_E10value_typeEPSK_NS1_7vsmem_tEENKUlT_SI_SJ_SK_E_clIPiSD_S10_SD_EESH_SX_SI_SJ_SK_EUlSX_E0_NS1_11comp_targetILNS1_3genE0ELNS1_11target_archE4294967295ELNS1_3gpuE0ELNS1_3repE0EEENS1_38merge_mergepath_config_static_selectorELNS0_4arch9wavefront6targetE0EEEvSJ_.num_named_barrier, 0
	.set _ZN7rocprim17ROCPRIM_400000_NS6detail17trampoline_kernelINS0_14default_configENS1_38merge_sort_block_merge_config_selectorIiiEEZZNS1_27merge_sort_block_merge_implIS3_N6thrust23THRUST_200600_302600_NS6detail15normal_iteratorINS8_10device_ptrIiEEEESD_jNS1_19radix_merge_compareILb1ELb0EiNS0_19identity_decomposerEEEEE10hipError_tT0_T1_T2_jT3_P12ihipStream_tbPNSt15iterator_traitsISI_E10value_typeEPNSO_ISJ_E10value_typeEPSK_NS1_7vsmem_tEENKUlT_SI_SJ_SK_E_clIPiSD_S10_SD_EESH_SX_SI_SJ_SK_EUlSX_E0_NS1_11comp_targetILNS1_3genE0ELNS1_11target_archE4294967295ELNS1_3gpuE0ELNS1_3repE0EEENS1_38merge_mergepath_config_static_selectorELNS0_4arch9wavefront6targetE0EEEvSJ_.private_seg_size, 0
	.set _ZN7rocprim17ROCPRIM_400000_NS6detail17trampoline_kernelINS0_14default_configENS1_38merge_sort_block_merge_config_selectorIiiEEZZNS1_27merge_sort_block_merge_implIS3_N6thrust23THRUST_200600_302600_NS6detail15normal_iteratorINS8_10device_ptrIiEEEESD_jNS1_19radix_merge_compareILb1ELb0EiNS0_19identity_decomposerEEEEE10hipError_tT0_T1_T2_jT3_P12ihipStream_tbPNSt15iterator_traitsISI_E10value_typeEPNSO_ISJ_E10value_typeEPSK_NS1_7vsmem_tEENKUlT_SI_SJ_SK_E_clIPiSD_S10_SD_EESH_SX_SI_SJ_SK_EUlSX_E0_NS1_11comp_targetILNS1_3genE0ELNS1_11target_archE4294967295ELNS1_3gpuE0ELNS1_3repE0EEENS1_38merge_mergepath_config_static_selectorELNS0_4arch9wavefront6targetE0EEEvSJ_.uses_vcc, 0
	.set _ZN7rocprim17ROCPRIM_400000_NS6detail17trampoline_kernelINS0_14default_configENS1_38merge_sort_block_merge_config_selectorIiiEEZZNS1_27merge_sort_block_merge_implIS3_N6thrust23THRUST_200600_302600_NS6detail15normal_iteratorINS8_10device_ptrIiEEEESD_jNS1_19radix_merge_compareILb1ELb0EiNS0_19identity_decomposerEEEEE10hipError_tT0_T1_T2_jT3_P12ihipStream_tbPNSt15iterator_traitsISI_E10value_typeEPNSO_ISJ_E10value_typeEPSK_NS1_7vsmem_tEENKUlT_SI_SJ_SK_E_clIPiSD_S10_SD_EESH_SX_SI_SJ_SK_EUlSX_E0_NS1_11comp_targetILNS1_3genE0ELNS1_11target_archE4294967295ELNS1_3gpuE0ELNS1_3repE0EEENS1_38merge_mergepath_config_static_selectorELNS0_4arch9wavefront6targetE0EEEvSJ_.uses_flat_scratch, 0
	.set _ZN7rocprim17ROCPRIM_400000_NS6detail17trampoline_kernelINS0_14default_configENS1_38merge_sort_block_merge_config_selectorIiiEEZZNS1_27merge_sort_block_merge_implIS3_N6thrust23THRUST_200600_302600_NS6detail15normal_iteratorINS8_10device_ptrIiEEEESD_jNS1_19radix_merge_compareILb1ELb0EiNS0_19identity_decomposerEEEEE10hipError_tT0_T1_T2_jT3_P12ihipStream_tbPNSt15iterator_traitsISI_E10value_typeEPNSO_ISJ_E10value_typeEPSK_NS1_7vsmem_tEENKUlT_SI_SJ_SK_E_clIPiSD_S10_SD_EESH_SX_SI_SJ_SK_EUlSX_E0_NS1_11comp_targetILNS1_3genE0ELNS1_11target_archE4294967295ELNS1_3gpuE0ELNS1_3repE0EEENS1_38merge_mergepath_config_static_selectorELNS0_4arch9wavefront6targetE0EEEvSJ_.has_dyn_sized_stack, 0
	.set _ZN7rocprim17ROCPRIM_400000_NS6detail17trampoline_kernelINS0_14default_configENS1_38merge_sort_block_merge_config_selectorIiiEEZZNS1_27merge_sort_block_merge_implIS3_N6thrust23THRUST_200600_302600_NS6detail15normal_iteratorINS8_10device_ptrIiEEEESD_jNS1_19radix_merge_compareILb1ELb0EiNS0_19identity_decomposerEEEEE10hipError_tT0_T1_T2_jT3_P12ihipStream_tbPNSt15iterator_traitsISI_E10value_typeEPNSO_ISJ_E10value_typeEPSK_NS1_7vsmem_tEENKUlT_SI_SJ_SK_E_clIPiSD_S10_SD_EESH_SX_SI_SJ_SK_EUlSX_E0_NS1_11comp_targetILNS1_3genE0ELNS1_11target_archE4294967295ELNS1_3gpuE0ELNS1_3repE0EEENS1_38merge_mergepath_config_static_selectorELNS0_4arch9wavefront6targetE0EEEvSJ_.has_recursion, 0
	.set _ZN7rocprim17ROCPRIM_400000_NS6detail17trampoline_kernelINS0_14default_configENS1_38merge_sort_block_merge_config_selectorIiiEEZZNS1_27merge_sort_block_merge_implIS3_N6thrust23THRUST_200600_302600_NS6detail15normal_iteratorINS8_10device_ptrIiEEEESD_jNS1_19radix_merge_compareILb1ELb0EiNS0_19identity_decomposerEEEEE10hipError_tT0_T1_T2_jT3_P12ihipStream_tbPNSt15iterator_traitsISI_E10value_typeEPNSO_ISJ_E10value_typeEPSK_NS1_7vsmem_tEENKUlT_SI_SJ_SK_E_clIPiSD_S10_SD_EESH_SX_SI_SJ_SK_EUlSX_E0_NS1_11comp_targetILNS1_3genE0ELNS1_11target_archE4294967295ELNS1_3gpuE0ELNS1_3repE0EEENS1_38merge_mergepath_config_static_selectorELNS0_4arch9wavefront6targetE0EEEvSJ_.has_indirect_call, 0
	.section	.AMDGPU.csdata,"",@progbits
; Kernel info:
; codeLenInByte = 0
; TotalNumSgprs: 0
; NumVgprs: 0
; ScratchSize: 0
; MemoryBound: 0
; FloatMode: 240
; IeeeMode: 1
; LDSByteSize: 0 bytes/workgroup (compile time only)
; SGPRBlocks: 0
; VGPRBlocks: 0
; NumSGPRsForWavesPerEU: 1
; NumVGPRsForWavesPerEU: 1
; Occupancy: 16
; WaveLimiterHint : 0
; COMPUTE_PGM_RSRC2:SCRATCH_EN: 0
; COMPUTE_PGM_RSRC2:USER_SGPR: 6
; COMPUTE_PGM_RSRC2:TRAP_HANDLER: 0
; COMPUTE_PGM_RSRC2:TGID_X_EN: 1
; COMPUTE_PGM_RSRC2:TGID_Y_EN: 0
; COMPUTE_PGM_RSRC2:TGID_Z_EN: 0
; COMPUTE_PGM_RSRC2:TIDIG_COMP_CNT: 0
	.section	.text._ZN7rocprim17ROCPRIM_400000_NS6detail17trampoline_kernelINS0_14default_configENS1_38merge_sort_block_merge_config_selectorIiiEEZZNS1_27merge_sort_block_merge_implIS3_N6thrust23THRUST_200600_302600_NS6detail15normal_iteratorINS8_10device_ptrIiEEEESD_jNS1_19radix_merge_compareILb1ELb0EiNS0_19identity_decomposerEEEEE10hipError_tT0_T1_T2_jT3_P12ihipStream_tbPNSt15iterator_traitsISI_E10value_typeEPNSO_ISJ_E10value_typeEPSK_NS1_7vsmem_tEENKUlT_SI_SJ_SK_E_clIPiSD_S10_SD_EESH_SX_SI_SJ_SK_EUlSX_E0_NS1_11comp_targetILNS1_3genE10ELNS1_11target_archE1201ELNS1_3gpuE5ELNS1_3repE0EEENS1_38merge_mergepath_config_static_selectorELNS0_4arch9wavefront6targetE0EEEvSJ_,"axG",@progbits,_ZN7rocprim17ROCPRIM_400000_NS6detail17trampoline_kernelINS0_14default_configENS1_38merge_sort_block_merge_config_selectorIiiEEZZNS1_27merge_sort_block_merge_implIS3_N6thrust23THRUST_200600_302600_NS6detail15normal_iteratorINS8_10device_ptrIiEEEESD_jNS1_19radix_merge_compareILb1ELb0EiNS0_19identity_decomposerEEEEE10hipError_tT0_T1_T2_jT3_P12ihipStream_tbPNSt15iterator_traitsISI_E10value_typeEPNSO_ISJ_E10value_typeEPSK_NS1_7vsmem_tEENKUlT_SI_SJ_SK_E_clIPiSD_S10_SD_EESH_SX_SI_SJ_SK_EUlSX_E0_NS1_11comp_targetILNS1_3genE10ELNS1_11target_archE1201ELNS1_3gpuE5ELNS1_3repE0EEENS1_38merge_mergepath_config_static_selectorELNS0_4arch9wavefront6targetE0EEEvSJ_,comdat
	.protected	_ZN7rocprim17ROCPRIM_400000_NS6detail17trampoline_kernelINS0_14default_configENS1_38merge_sort_block_merge_config_selectorIiiEEZZNS1_27merge_sort_block_merge_implIS3_N6thrust23THRUST_200600_302600_NS6detail15normal_iteratorINS8_10device_ptrIiEEEESD_jNS1_19radix_merge_compareILb1ELb0EiNS0_19identity_decomposerEEEEE10hipError_tT0_T1_T2_jT3_P12ihipStream_tbPNSt15iterator_traitsISI_E10value_typeEPNSO_ISJ_E10value_typeEPSK_NS1_7vsmem_tEENKUlT_SI_SJ_SK_E_clIPiSD_S10_SD_EESH_SX_SI_SJ_SK_EUlSX_E0_NS1_11comp_targetILNS1_3genE10ELNS1_11target_archE1201ELNS1_3gpuE5ELNS1_3repE0EEENS1_38merge_mergepath_config_static_selectorELNS0_4arch9wavefront6targetE0EEEvSJ_ ; -- Begin function _ZN7rocprim17ROCPRIM_400000_NS6detail17trampoline_kernelINS0_14default_configENS1_38merge_sort_block_merge_config_selectorIiiEEZZNS1_27merge_sort_block_merge_implIS3_N6thrust23THRUST_200600_302600_NS6detail15normal_iteratorINS8_10device_ptrIiEEEESD_jNS1_19radix_merge_compareILb1ELb0EiNS0_19identity_decomposerEEEEE10hipError_tT0_T1_T2_jT3_P12ihipStream_tbPNSt15iterator_traitsISI_E10value_typeEPNSO_ISJ_E10value_typeEPSK_NS1_7vsmem_tEENKUlT_SI_SJ_SK_E_clIPiSD_S10_SD_EESH_SX_SI_SJ_SK_EUlSX_E0_NS1_11comp_targetILNS1_3genE10ELNS1_11target_archE1201ELNS1_3gpuE5ELNS1_3repE0EEENS1_38merge_mergepath_config_static_selectorELNS0_4arch9wavefront6targetE0EEEvSJ_
	.globl	_ZN7rocprim17ROCPRIM_400000_NS6detail17trampoline_kernelINS0_14default_configENS1_38merge_sort_block_merge_config_selectorIiiEEZZNS1_27merge_sort_block_merge_implIS3_N6thrust23THRUST_200600_302600_NS6detail15normal_iteratorINS8_10device_ptrIiEEEESD_jNS1_19radix_merge_compareILb1ELb0EiNS0_19identity_decomposerEEEEE10hipError_tT0_T1_T2_jT3_P12ihipStream_tbPNSt15iterator_traitsISI_E10value_typeEPNSO_ISJ_E10value_typeEPSK_NS1_7vsmem_tEENKUlT_SI_SJ_SK_E_clIPiSD_S10_SD_EESH_SX_SI_SJ_SK_EUlSX_E0_NS1_11comp_targetILNS1_3genE10ELNS1_11target_archE1201ELNS1_3gpuE5ELNS1_3repE0EEENS1_38merge_mergepath_config_static_selectorELNS0_4arch9wavefront6targetE0EEEvSJ_
	.p2align	8
	.type	_ZN7rocprim17ROCPRIM_400000_NS6detail17trampoline_kernelINS0_14default_configENS1_38merge_sort_block_merge_config_selectorIiiEEZZNS1_27merge_sort_block_merge_implIS3_N6thrust23THRUST_200600_302600_NS6detail15normal_iteratorINS8_10device_ptrIiEEEESD_jNS1_19radix_merge_compareILb1ELb0EiNS0_19identity_decomposerEEEEE10hipError_tT0_T1_T2_jT3_P12ihipStream_tbPNSt15iterator_traitsISI_E10value_typeEPNSO_ISJ_E10value_typeEPSK_NS1_7vsmem_tEENKUlT_SI_SJ_SK_E_clIPiSD_S10_SD_EESH_SX_SI_SJ_SK_EUlSX_E0_NS1_11comp_targetILNS1_3genE10ELNS1_11target_archE1201ELNS1_3gpuE5ELNS1_3repE0EEENS1_38merge_mergepath_config_static_selectorELNS0_4arch9wavefront6targetE0EEEvSJ_,@function
_ZN7rocprim17ROCPRIM_400000_NS6detail17trampoline_kernelINS0_14default_configENS1_38merge_sort_block_merge_config_selectorIiiEEZZNS1_27merge_sort_block_merge_implIS3_N6thrust23THRUST_200600_302600_NS6detail15normal_iteratorINS8_10device_ptrIiEEEESD_jNS1_19radix_merge_compareILb1ELb0EiNS0_19identity_decomposerEEEEE10hipError_tT0_T1_T2_jT3_P12ihipStream_tbPNSt15iterator_traitsISI_E10value_typeEPNSO_ISJ_E10value_typeEPSK_NS1_7vsmem_tEENKUlT_SI_SJ_SK_E_clIPiSD_S10_SD_EESH_SX_SI_SJ_SK_EUlSX_E0_NS1_11comp_targetILNS1_3genE10ELNS1_11target_archE1201ELNS1_3gpuE5ELNS1_3repE0EEENS1_38merge_mergepath_config_static_selectorELNS0_4arch9wavefront6targetE0EEEvSJ_: ; @_ZN7rocprim17ROCPRIM_400000_NS6detail17trampoline_kernelINS0_14default_configENS1_38merge_sort_block_merge_config_selectorIiiEEZZNS1_27merge_sort_block_merge_implIS3_N6thrust23THRUST_200600_302600_NS6detail15normal_iteratorINS8_10device_ptrIiEEEESD_jNS1_19radix_merge_compareILb1ELb0EiNS0_19identity_decomposerEEEEE10hipError_tT0_T1_T2_jT3_P12ihipStream_tbPNSt15iterator_traitsISI_E10value_typeEPNSO_ISJ_E10value_typeEPSK_NS1_7vsmem_tEENKUlT_SI_SJ_SK_E_clIPiSD_S10_SD_EESH_SX_SI_SJ_SK_EUlSX_E0_NS1_11comp_targetILNS1_3genE10ELNS1_11target_archE1201ELNS1_3gpuE5ELNS1_3repE0EEENS1_38merge_mergepath_config_static_selectorELNS0_4arch9wavefront6targetE0EEEvSJ_
; %bb.0:
	.section	.rodata,"a",@progbits
	.p2align	6, 0x0
	.amdhsa_kernel _ZN7rocprim17ROCPRIM_400000_NS6detail17trampoline_kernelINS0_14default_configENS1_38merge_sort_block_merge_config_selectorIiiEEZZNS1_27merge_sort_block_merge_implIS3_N6thrust23THRUST_200600_302600_NS6detail15normal_iteratorINS8_10device_ptrIiEEEESD_jNS1_19radix_merge_compareILb1ELb0EiNS0_19identity_decomposerEEEEE10hipError_tT0_T1_T2_jT3_P12ihipStream_tbPNSt15iterator_traitsISI_E10value_typeEPNSO_ISJ_E10value_typeEPSK_NS1_7vsmem_tEENKUlT_SI_SJ_SK_E_clIPiSD_S10_SD_EESH_SX_SI_SJ_SK_EUlSX_E0_NS1_11comp_targetILNS1_3genE10ELNS1_11target_archE1201ELNS1_3gpuE5ELNS1_3repE0EEENS1_38merge_mergepath_config_static_selectorELNS0_4arch9wavefront6targetE0EEEvSJ_
		.amdhsa_group_segment_fixed_size 0
		.amdhsa_private_segment_fixed_size 0
		.amdhsa_kernarg_size 64
		.amdhsa_user_sgpr_count 6
		.amdhsa_user_sgpr_private_segment_buffer 1
		.amdhsa_user_sgpr_dispatch_ptr 0
		.amdhsa_user_sgpr_queue_ptr 0
		.amdhsa_user_sgpr_kernarg_segment_ptr 1
		.amdhsa_user_sgpr_dispatch_id 0
		.amdhsa_user_sgpr_flat_scratch_init 0
		.amdhsa_user_sgpr_private_segment_size 0
		.amdhsa_wavefront_size32 1
		.amdhsa_uses_dynamic_stack 0
		.amdhsa_system_sgpr_private_segment_wavefront_offset 0
		.amdhsa_system_sgpr_workgroup_id_x 1
		.amdhsa_system_sgpr_workgroup_id_y 0
		.amdhsa_system_sgpr_workgroup_id_z 0
		.amdhsa_system_sgpr_workgroup_info 0
		.amdhsa_system_vgpr_workitem_id 0
		.amdhsa_next_free_vgpr 1
		.amdhsa_next_free_sgpr 1
		.amdhsa_reserve_vcc 0
		.amdhsa_reserve_flat_scratch 0
		.amdhsa_float_round_mode_32 0
		.amdhsa_float_round_mode_16_64 0
		.amdhsa_float_denorm_mode_32 3
		.amdhsa_float_denorm_mode_16_64 3
		.amdhsa_dx10_clamp 1
		.amdhsa_ieee_mode 1
		.amdhsa_fp16_overflow 0
		.amdhsa_workgroup_processor_mode 1
		.amdhsa_memory_ordered 1
		.amdhsa_forward_progress 1
		.amdhsa_shared_vgpr_count 0
		.amdhsa_exception_fp_ieee_invalid_op 0
		.amdhsa_exception_fp_denorm_src 0
		.amdhsa_exception_fp_ieee_div_zero 0
		.amdhsa_exception_fp_ieee_overflow 0
		.amdhsa_exception_fp_ieee_underflow 0
		.amdhsa_exception_fp_ieee_inexact 0
		.amdhsa_exception_int_div_zero 0
	.end_amdhsa_kernel
	.section	.text._ZN7rocprim17ROCPRIM_400000_NS6detail17trampoline_kernelINS0_14default_configENS1_38merge_sort_block_merge_config_selectorIiiEEZZNS1_27merge_sort_block_merge_implIS3_N6thrust23THRUST_200600_302600_NS6detail15normal_iteratorINS8_10device_ptrIiEEEESD_jNS1_19radix_merge_compareILb1ELb0EiNS0_19identity_decomposerEEEEE10hipError_tT0_T1_T2_jT3_P12ihipStream_tbPNSt15iterator_traitsISI_E10value_typeEPNSO_ISJ_E10value_typeEPSK_NS1_7vsmem_tEENKUlT_SI_SJ_SK_E_clIPiSD_S10_SD_EESH_SX_SI_SJ_SK_EUlSX_E0_NS1_11comp_targetILNS1_3genE10ELNS1_11target_archE1201ELNS1_3gpuE5ELNS1_3repE0EEENS1_38merge_mergepath_config_static_selectorELNS0_4arch9wavefront6targetE0EEEvSJ_,"axG",@progbits,_ZN7rocprim17ROCPRIM_400000_NS6detail17trampoline_kernelINS0_14default_configENS1_38merge_sort_block_merge_config_selectorIiiEEZZNS1_27merge_sort_block_merge_implIS3_N6thrust23THRUST_200600_302600_NS6detail15normal_iteratorINS8_10device_ptrIiEEEESD_jNS1_19radix_merge_compareILb1ELb0EiNS0_19identity_decomposerEEEEE10hipError_tT0_T1_T2_jT3_P12ihipStream_tbPNSt15iterator_traitsISI_E10value_typeEPNSO_ISJ_E10value_typeEPSK_NS1_7vsmem_tEENKUlT_SI_SJ_SK_E_clIPiSD_S10_SD_EESH_SX_SI_SJ_SK_EUlSX_E0_NS1_11comp_targetILNS1_3genE10ELNS1_11target_archE1201ELNS1_3gpuE5ELNS1_3repE0EEENS1_38merge_mergepath_config_static_selectorELNS0_4arch9wavefront6targetE0EEEvSJ_,comdat
.Lfunc_end894:
	.size	_ZN7rocprim17ROCPRIM_400000_NS6detail17trampoline_kernelINS0_14default_configENS1_38merge_sort_block_merge_config_selectorIiiEEZZNS1_27merge_sort_block_merge_implIS3_N6thrust23THRUST_200600_302600_NS6detail15normal_iteratorINS8_10device_ptrIiEEEESD_jNS1_19radix_merge_compareILb1ELb0EiNS0_19identity_decomposerEEEEE10hipError_tT0_T1_T2_jT3_P12ihipStream_tbPNSt15iterator_traitsISI_E10value_typeEPNSO_ISJ_E10value_typeEPSK_NS1_7vsmem_tEENKUlT_SI_SJ_SK_E_clIPiSD_S10_SD_EESH_SX_SI_SJ_SK_EUlSX_E0_NS1_11comp_targetILNS1_3genE10ELNS1_11target_archE1201ELNS1_3gpuE5ELNS1_3repE0EEENS1_38merge_mergepath_config_static_selectorELNS0_4arch9wavefront6targetE0EEEvSJ_, .Lfunc_end894-_ZN7rocprim17ROCPRIM_400000_NS6detail17trampoline_kernelINS0_14default_configENS1_38merge_sort_block_merge_config_selectorIiiEEZZNS1_27merge_sort_block_merge_implIS3_N6thrust23THRUST_200600_302600_NS6detail15normal_iteratorINS8_10device_ptrIiEEEESD_jNS1_19radix_merge_compareILb1ELb0EiNS0_19identity_decomposerEEEEE10hipError_tT0_T1_T2_jT3_P12ihipStream_tbPNSt15iterator_traitsISI_E10value_typeEPNSO_ISJ_E10value_typeEPSK_NS1_7vsmem_tEENKUlT_SI_SJ_SK_E_clIPiSD_S10_SD_EESH_SX_SI_SJ_SK_EUlSX_E0_NS1_11comp_targetILNS1_3genE10ELNS1_11target_archE1201ELNS1_3gpuE5ELNS1_3repE0EEENS1_38merge_mergepath_config_static_selectorELNS0_4arch9wavefront6targetE0EEEvSJ_
                                        ; -- End function
	.set _ZN7rocprim17ROCPRIM_400000_NS6detail17trampoline_kernelINS0_14default_configENS1_38merge_sort_block_merge_config_selectorIiiEEZZNS1_27merge_sort_block_merge_implIS3_N6thrust23THRUST_200600_302600_NS6detail15normal_iteratorINS8_10device_ptrIiEEEESD_jNS1_19radix_merge_compareILb1ELb0EiNS0_19identity_decomposerEEEEE10hipError_tT0_T1_T2_jT3_P12ihipStream_tbPNSt15iterator_traitsISI_E10value_typeEPNSO_ISJ_E10value_typeEPSK_NS1_7vsmem_tEENKUlT_SI_SJ_SK_E_clIPiSD_S10_SD_EESH_SX_SI_SJ_SK_EUlSX_E0_NS1_11comp_targetILNS1_3genE10ELNS1_11target_archE1201ELNS1_3gpuE5ELNS1_3repE0EEENS1_38merge_mergepath_config_static_selectorELNS0_4arch9wavefront6targetE0EEEvSJ_.num_vgpr, 0
	.set _ZN7rocprim17ROCPRIM_400000_NS6detail17trampoline_kernelINS0_14default_configENS1_38merge_sort_block_merge_config_selectorIiiEEZZNS1_27merge_sort_block_merge_implIS3_N6thrust23THRUST_200600_302600_NS6detail15normal_iteratorINS8_10device_ptrIiEEEESD_jNS1_19radix_merge_compareILb1ELb0EiNS0_19identity_decomposerEEEEE10hipError_tT0_T1_T2_jT3_P12ihipStream_tbPNSt15iterator_traitsISI_E10value_typeEPNSO_ISJ_E10value_typeEPSK_NS1_7vsmem_tEENKUlT_SI_SJ_SK_E_clIPiSD_S10_SD_EESH_SX_SI_SJ_SK_EUlSX_E0_NS1_11comp_targetILNS1_3genE10ELNS1_11target_archE1201ELNS1_3gpuE5ELNS1_3repE0EEENS1_38merge_mergepath_config_static_selectorELNS0_4arch9wavefront6targetE0EEEvSJ_.num_agpr, 0
	.set _ZN7rocprim17ROCPRIM_400000_NS6detail17trampoline_kernelINS0_14default_configENS1_38merge_sort_block_merge_config_selectorIiiEEZZNS1_27merge_sort_block_merge_implIS3_N6thrust23THRUST_200600_302600_NS6detail15normal_iteratorINS8_10device_ptrIiEEEESD_jNS1_19radix_merge_compareILb1ELb0EiNS0_19identity_decomposerEEEEE10hipError_tT0_T1_T2_jT3_P12ihipStream_tbPNSt15iterator_traitsISI_E10value_typeEPNSO_ISJ_E10value_typeEPSK_NS1_7vsmem_tEENKUlT_SI_SJ_SK_E_clIPiSD_S10_SD_EESH_SX_SI_SJ_SK_EUlSX_E0_NS1_11comp_targetILNS1_3genE10ELNS1_11target_archE1201ELNS1_3gpuE5ELNS1_3repE0EEENS1_38merge_mergepath_config_static_selectorELNS0_4arch9wavefront6targetE0EEEvSJ_.numbered_sgpr, 0
	.set _ZN7rocprim17ROCPRIM_400000_NS6detail17trampoline_kernelINS0_14default_configENS1_38merge_sort_block_merge_config_selectorIiiEEZZNS1_27merge_sort_block_merge_implIS3_N6thrust23THRUST_200600_302600_NS6detail15normal_iteratorINS8_10device_ptrIiEEEESD_jNS1_19radix_merge_compareILb1ELb0EiNS0_19identity_decomposerEEEEE10hipError_tT0_T1_T2_jT3_P12ihipStream_tbPNSt15iterator_traitsISI_E10value_typeEPNSO_ISJ_E10value_typeEPSK_NS1_7vsmem_tEENKUlT_SI_SJ_SK_E_clIPiSD_S10_SD_EESH_SX_SI_SJ_SK_EUlSX_E0_NS1_11comp_targetILNS1_3genE10ELNS1_11target_archE1201ELNS1_3gpuE5ELNS1_3repE0EEENS1_38merge_mergepath_config_static_selectorELNS0_4arch9wavefront6targetE0EEEvSJ_.num_named_barrier, 0
	.set _ZN7rocprim17ROCPRIM_400000_NS6detail17trampoline_kernelINS0_14default_configENS1_38merge_sort_block_merge_config_selectorIiiEEZZNS1_27merge_sort_block_merge_implIS3_N6thrust23THRUST_200600_302600_NS6detail15normal_iteratorINS8_10device_ptrIiEEEESD_jNS1_19radix_merge_compareILb1ELb0EiNS0_19identity_decomposerEEEEE10hipError_tT0_T1_T2_jT3_P12ihipStream_tbPNSt15iterator_traitsISI_E10value_typeEPNSO_ISJ_E10value_typeEPSK_NS1_7vsmem_tEENKUlT_SI_SJ_SK_E_clIPiSD_S10_SD_EESH_SX_SI_SJ_SK_EUlSX_E0_NS1_11comp_targetILNS1_3genE10ELNS1_11target_archE1201ELNS1_3gpuE5ELNS1_3repE0EEENS1_38merge_mergepath_config_static_selectorELNS0_4arch9wavefront6targetE0EEEvSJ_.private_seg_size, 0
	.set _ZN7rocprim17ROCPRIM_400000_NS6detail17trampoline_kernelINS0_14default_configENS1_38merge_sort_block_merge_config_selectorIiiEEZZNS1_27merge_sort_block_merge_implIS3_N6thrust23THRUST_200600_302600_NS6detail15normal_iteratorINS8_10device_ptrIiEEEESD_jNS1_19radix_merge_compareILb1ELb0EiNS0_19identity_decomposerEEEEE10hipError_tT0_T1_T2_jT3_P12ihipStream_tbPNSt15iterator_traitsISI_E10value_typeEPNSO_ISJ_E10value_typeEPSK_NS1_7vsmem_tEENKUlT_SI_SJ_SK_E_clIPiSD_S10_SD_EESH_SX_SI_SJ_SK_EUlSX_E0_NS1_11comp_targetILNS1_3genE10ELNS1_11target_archE1201ELNS1_3gpuE5ELNS1_3repE0EEENS1_38merge_mergepath_config_static_selectorELNS0_4arch9wavefront6targetE0EEEvSJ_.uses_vcc, 0
	.set _ZN7rocprim17ROCPRIM_400000_NS6detail17trampoline_kernelINS0_14default_configENS1_38merge_sort_block_merge_config_selectorIiiEEZZNS1_27merge_sort_block_merge_implIS3_N6thrust23THRUST_200600_302600_NS6detail15normal_iteratorINS8_10device_ptrIiEEEESD_jNS1_19radix_merge_compareILb1ELb0EiNS0_19identity_decomposerEEEEE10hipError_tT0_T1_T2_jT3_P12ihipStream_tbPNSt15iterator_traitsISI_E10value_typeEPNSO_ISJ_E10value_typeEPSK_NS1_7vsmem_tEENKUlT_SI_SJ_SK_E_clIPiSD_S10_SD_EESH_SX_SI_SJ_SK_EUlSX_E0_NS1_11comp_targetILNS1_3genE10ELNS1_11target_archE1201ELNS1_3gpuE5ELNS1_3repE0EEENS1_38merge_mergepath_config_static_selectorELNS0_4arch9wavefront6targetE0EEEvSJ_.uses_flat_scratch, 0
	.set _ZN7rocprim17ROCPRIM_400000_NS6detail17trampoline_kernelINS0_14default_configENS1_38merge_sort_block_merge_config_selectorIiiEEZZNS1_27merge_sort_block_merge_implIS3_N6thrust23THRUST_200600_302600_NS6detail15normal_iteratorINS8_10device_ptrIiEEEESD_jNS1_19radix_merge_compareILb1ELb0EiNS0_19identity_decomposerEEEEE10hipError_tT0_T1_T2_jT3_P12ihipStream_tbPNSt15iterator_traitsISI_E10value_typeEPNSO_ISJ_E10value_typeEPSK_NS1_7vsmem_tEENKUlT_SI_SJ_SK_E_clIPiSD_S10_SD_EESH_SX_SI_SJ_SK_EUlSX_E0_NS1_11comp_targetILNS1_3genE10ELNS1_11target_archE1201ELNS1_3gpuE5ELNS1_3repE0EEENS1_38merge_mergepath_config_static_selectorELNS0_4arch9wavefront6targetE0EEEvSJ_.has_dyn_sized_stack, 0
	.set _ZN7rocprim17ROCPRIM_400000_NS6detail17trampoline_kernelINS0_14default_configENS1_38merge_sort_block_merge_config_selectorIiiEEZZNS1_27merge_sort_block_merge_implIS3_N6thrust23THRUST_200600_302600_NS6detail15normal_iteratorINS8_10device_ptrIiEEEESD_jNS1_19radix_merge_compareILb1ELb0EiNS0_19identity_decomposerEEEEE10hipError_tT0_T1_T2_jT3_P12ihipStream_tbPNSt15iterator_traitsISI_E10value_typeEPNSO_ISJ_E10value_typeEPSK_NS1_7vsmem_tEENKUlT_SI_SJ_SK_E_clIPiSD_S10_SD_EESH_SX_SI_SJ_SK_EUlSX_E0_NS1_11comp_targetILNS1_3genE10ELNS1_11target_archE1201ELNS1_3gpuE5ELNS1_3repE0EEENS1_38merge_mergepath_config_static_selectorELNS0_4arch9wavefront6targetE0EEEvSJ_.has_recursion, 0
	.set _ZN7rocprim17ROCPRIM_400000_NS6detail17trampoline_kernelINS0_14default_configENS1_38merge_sort_block_merge_config_selectorIiiEEZZNS1_27merge_sort_block_merge_implIS3_N6thrust23THRUST_200600_302600_NS6detail15normal_iteratorINS8_10device_ptrIiEEEESD_jNS1_19radix_merge_compareILb1ELb0EiNS0_19identity_decomposerEEEEE10hipError_tT0_T1_T2_jT3_P12ihipStream_tbPNSt15iterator_traitsISI_E10value_typeEPNSO_ISJ_E10value_typeEPSK_NS1_7vsmem_tEENKUlT_SI_SJ_SK_E_clIPiSD_S10_SD_EESH_SX_SI_SJ_SK_EUlSX_E0_NS1_11comp_targetILNS1_3genE10ELNS1_11target_archE1201ELNS1_3gpuE5ELNS1_3repE0EEENS1_38merge_mergepath_config_static_selectorELNS0_4arch9wavefront6targetE0EEEvSJ_.has_indirect_call, 0
	.section	.AMDGPU.csdata,"",@progbits
; Kernel info:
; codeLenInByte = 0
; TotalNumSgprs: 0
; NumVgprs: 0
; ScratchSize: 0
; MemoryBound: 0
; FloatMode: 240
; IeeeMode: 1
; LDSByteSize: 0 bytes/workgroup (compile time only)
; SGPRBlocks: 0
; VGPRBlocks: 0
; NumSGPRsForWavesPerEU: 1
; NumVGPRsForWavesPerEU: 1
; Occupancy: 16
; WaveLimiterHint : 0
; COMPUTE_PGM_RSRC2:SCRATCH_EN: 0
; COMPUTE_PGM_RSRC2:USER_SGPR: 6
; COMPUTE_PGM_RSRC2:TRAP_HANDLER: 0
; COMPUTE_PGM_RSRC2:TGID_X_EN: 1
; COMPUTE_PGM_RSRC2:TGID_Y_EN: 0
; COMPUTE_PGM_RSRC2:TGID_Z_EN: 0
; COMPUTE_PGM_RSRC2:TIDIG_COMP_CNT: 0
	.section	.text._ZN7rocprim17ROCPRIM_400000_NS6detail17trampoline_kernelINS0_14default_configENS1_38merge_sort_block_merge_config_selectorIiiEEZZNS1_27merge_sort_block_merge_implIS3_N6thrust23THRUST_200600_302600_NS6detail15normal_iteratorINS8_10device_ptrIiEEEESD_jNS1_19radix_merge_compareILb1ELb0EiNS0_19identity_decomposerEEEEE10hipError_tT0_T1_T2_jT3_P12ihipStream_tbPNSt15iterator_traitsISI_E10value_typeEPNSO_ISJ_E10value_typeEPSK_NS1_7vsmem_tEENKUlT_SI_SJ_SK_E_clIPiSD_S10_SD_EESH_SX_SI_SJ_SK_EUlSX_E0_NS1_11comp_targetILNS1_3genE5ELNS1_11target_archE942ELNS1_3gpuE9ELNS1_3repE0EEENS1_38merge_mergepath_config_static_selectorELNS0_4arch9wavefront6targetE0EEEvSJ_,"axG",@progbits,_ZN7rocprim17ROCPRIM_400000_NS6detail17trampoline_kernelINS0_14default_configENS1_38merge_sort_block_merge_config_selectorIiiEEZZNS1_27merge_sort_block_merge_implIS3_N6thrust23THRUST_200600_302600_NS6detail15normal_iteratorINS8_10device_ptrIiEEEESD_jNS1_19radix_merge_compareILb1ELb0EiNS0_19identity_decomposerEEEEE10hipError_tT0_T1_T2_jT3_P12ihipStream_tbPNSt15iterator_traitsISI_E10value_typeEPNSO_ISJ_E10value_typeEPSK_NS1_7vsmem_tEENKUlT_SI_SJ_SK_E_clIPiSD_S10_SD_EESH_SX_SI_SJ_SK_EUlSX_E0_NS1_11comp_targetILNS1_3genE5ELNS1_11target_archE942ELNS1_3gpuE9ELNS1_3repE0EEENS1_38merge_mergepath_config_static_selectorELNS0_4arch9wavefront6targetE0EEEvSJ_,comdat
	.protected	_ZN7rocprim17ROCPRIM_400000_NS6detail17trampoline_kernelINS0_14default_configENS1_38merge_sort_block_merge_config_selectorIiiEEZZNS1_27merge_sort_block_merge_implIS3_N6thrust23THRUST_200600_302600_NS6detail15normal_iteratorINS8_10device_ptrIiEEEESD_jNS1_19radix_merge_compareILb1ELb0EiNS0_19identity_decomposerEEEEE10hipError_tT0_T1_T2_jT3_P12ihipStream_tbPNSt15iterator_traitsISI_E10value_typeEPNSO_ISJ_E10value_typeEPSK_NS1_7vsmem_tEENKUlT_SI_SJ_SK_E_clIPiSD_S10_SD_EESH_SX_SI_SJ_SK_EUlSX_E0_NS1_11comp_targetILNS1_3genE5ELNS1_11target_archE942ELNS1_3gpuE9ELNS1_3repE0EEENS1_38merge_mergepath_config_static_selectorELNS0_4arch9wavefront6targetE0EEEvSJ_ ; -- Begin function _ZN7rocprim17ROCPRIM_400000_NS6detail17trampoline_kernelINS0_14default_configENS1_38merge_sort_block_merge_config_selectorIiiEEZZNS1_27merge_sort_block_merge_implIS3_N6thrust23THRUST_200600_302600_NS6detail15normal_iteratorINS8_10device_ptrIiEEEESD_jNS1_19radix_merge_compareILb1ELb0EiNS0_19identity_decomposerEEEEE10hipError_tT0_T1_T2_jT3_P12ihipStream_tbPNSt15iterator_traitsISI_E10value_typeEPNSO_ISJ_E10value_typeEPSK_NS1_7vsmem_tEENKUlT_SI_SJ_SK_E_clIPiSD_S10_SD_EESH_SX_SI_SJ_SK_EUlSX_E0_NS1_11comp_targetILNS1_3genE5ELNS1_11target_archE942ELNS1_3gpuE9ELNS1_3repE0EEENS1_38merge_mergepath_config_static_selectorELNS0_4arch9wavefront6targetE0EEEvSJ_
	.globl	_ZN7rocprim17ROCPRIM_400000_NS6detail17trampoline_kernelINS0_14default_configENS1_38merge_sort_block_merge_config_selectorIiiEEZZNS1_27merge_sort_block_merge_implIS3_N6thrust23THRUST_200600_302600_NS6detail15normal_iteratorINS8_10device_ptrIiEEEESD_jNS1_19radix_merge_compareILb1ELb0EiNS0_19identity_decomposerEEEEE10hipError_tT0_T1_T2_jT3_P12ihipStream_tbPNSt15iterator_traitsISI_E10value_typeEPNSO_ISJ_E10value_typeEPSK_NS1_7vsmem_tEENKUlT_SI_SJ_SK_E_clIPiSD_S10_SD_EESH_SX_SI_SJ_SK_EUlSX_E0_NS1_11comp_targetILNS1_3genE5ELNS1_11target_archE942ELNS1_3gpuE9ELNS1_3repE0EEENS1_38merge_mergepath_config_static_selectorELNS0_4arch9wavefront6targetE0EEEvSJ_
	.p2align	8
	.type	_ZN7rocprim17ROCPRIM_400000_NS6detail17trampoline_kernelINS0_14default_configENS1_38merge_sort_block_merge_config_selectorIiiEEZZNS1_27merge_sort_block_merge_implIS3_N6thrust23THRUST_200600_302600_NS6detail15normal_iteratorINS8_10device_ptrIiEEEESD_jNS1_19radix_merge_compareILb1ELb0EiNS0_19identity_decomposerEEEEE10hipError_tT0_T1_T2_jT3_P12ihipStream_tbPNSt15iterator_traitsISI_E10value_typeEPNSO_ISJ_E10value_typeEPSK_NS1_7vsmem_tEENKUlT_SI_SJ_SK_E_clIPiSD_S10_SD_EESH_SX_SI_SJ_SK_EUlSX_E0_NS1_11comp_targetILNS1_3genE5ELNS1_11target_archE942ELNS1_3gpuE9ELNS1_3repE0EEENS1_38merge_mergepath_config_static_selectorELNS0_4arch9wavefront6targetE0EEEvSJ_,@function
_ZN7rocprim17ROCPRIM_400000_NS6detail17trampoline_kernelINS0_14default_configENS1_38merge_sort_block_merge_config_selectorIiiEEZZNS1_27merge_sort_block_merge_implIS3_N6thrust23THRUST_200600_302600_NS6detail15normal_iteratorINS8_10device_ptrIiEEEESD_jNS1_19radix_merge_compareILb1ELb0EiNS0_19identity_decomposerEEEEE10hipError_tT0_T1_T2_jT3_P12ihipStream_tbPNSt15iterator_traitsISI_E10value_typeEPNSO_ISJ_E10value_typeEPSK_NS1_7vsmem_tEENKUlT_SI_SJ_SK_E_clIPiSD_S10_SD_EESH_SX_SI_SJ_SK_EUlSX_E0_NS1_11comp_targetILNS1_3genE5ELNS1_11target_archE942ELNS1_3gpuE9ELNS1_3repE0EEENS1_38merge_mergepath_config_static_selectorELNS0_4arch9wavefront6targetE0EEEvSJ_: ; @_ZN7rocprim17ROCPRIM_400000_NS6detail17trampoline_kernelINS0_14default_configENS1_38merge_sort_block_merge_config_selectorIiiEEZZNS1_27merge_sort_block_merge_implIS3_N6thrust23THRUST_200600_302600_NS6detail15normal_iteratorINS8_10device_ptrIiEEEESD_jNS1_19radix_merge_compareILb1ELb0EiNS0_19identity_decomposerEEEEE10hipError_tT0_T1_T2_jT3_P12ihipStream_tbPNSt15iterator_traitsISI_E10value_typeEPNSO_ISJ_E10value_typeEPSK_NS1_7vsmem_tEENKUlT_SI_SJ_SK_E_clIPiSD_S10_SD_EESH_SX_SI_SJ_SK_EUlSX_E0_NS1_11comp_targetILNS1_3genE5ELNS1_11target_archE942ELNS1_3gpuE9ELNS1_3repE0EEENS1_38merge_mergepath_config_static_selectorELNS0_4arch9wavefront6targetE0EEEvSJ_
; %bb.0:
	.section	.rodata,"a",@progbits
	.p2align	6, 0x0
	.amdhsa_kernel _ZN7rocprim17ROCPRIM_400000_NS6detail17trampoline_kernelINS0_14default_configENS1_38merge_sort_block_merge_config_selectorIiiEEZZNS1_27merge_sort_block_merge_implIS3_N6thrust23THRUST_200600_302600_NS6detail15normal_iteratorINS8_10device_ptrIiEEEESD_jNS1_19radix_merge_compareILb1ELb0EiNS0_19identity_decomposerEEEEE10hipError_tT0_T1_T2_jT3_P12ihipStream_tbPNSt15iterator_traitsISI_E10value_typeEPNSO_ISJ_E10value_typeEPSK_NS1_7vsmem_tEENKUlT_SI_SJ_SK_E_clIPiSD_S10_SD_EESH_SX_SI_SJ_SK_EUlSX_E0_NS1_11comp_targetILNS1_3genE5ELNS1_11target_archE942ELNS1_3gpuE9ELNS1_3repE0EEENS1_38merge_mergepath_config_static_selectorELNS0_4arch9wavefront6targetE0EEEvSJ_
		.amdhsa_group_segment_fixed_size 0
		.amdhsa_private_segment_fixed_size 0
		.amdhsa_kernarg_size 64
		.amdhsa_user_sgpr_count 6
		.amdhsa_user_sgpr_private_segment_buffer 1
		.amdhsa_user_sgpr_dispatch_ptr 0
		.amdhsa_user_sgpr_queue_ptr 0
		.amdhsa_user_sgpr_kernarg_segment_ptr 1
		.amdhsa_user_sgpr_dispatch_id 0
		.amdhsa_user_sgpr_flat_scratch_init 0
		.amdhsa_user_sgpr_private_segment_size 0
		.amdhsa_wavefront_size32 1
		.amdhsa_uses_dynamic_stack 0
		.amdhsa_system_sgpr_private_segment_wavefront_offset 0
		.amdhsa_system_sgpr_workgroup_id_x 1
		.amdhsa_system_sgpr_workgroup_id_y 0
		.amdhsa_system_sgpr_workgroup_id_z 0
		.amdhsa_system_sgpr_workgroup_info 0
		.amdhsa_system_vgpr_workitem_id 0
		.amdhsa_next_free_vgpr 1
		.amdhsa_next_free_sgpr 1
		.amdhsa_reserve_vcc 0
		.amdhsa_reserve_flat_scratch 0
		.amdhsa_float_round_mode_32 0
		.amdhsa_float_round_mode_16_64 0
		.amdhsa_float_denorm_mode_32 3
		.amdhsa_float_denorm_mode_16_64 3
		.amdhsa_dx10_clamp 1
		.amdhsa_ieee_mode 1
		.amdhsa_fp16_overflow 0
		.amdhsa_workgroup_processor_mode 1
		.amdhsa_memory_ordered 1
		.amdhsa_forward_progress 1
		.amdhsa_shared_vgpr_count 0
		.amdhsa_exception_fp_ieee_invalid_op 0
		.amdhsa_exception_fp_denorm_src 0
		.amdhsa_exception_fp_ieee_div_zero 0
		.amdhsa_exception_fp_ieee_overflow 0
		.amdhsa_exception_fp_ieee_underflow 0
		.amdhsa_exception_fp_ieee_inexact 0
		.amdhsa_exception_int_div_zero 0
	.end_amdhsa_kernel
	.section	.text._ZN7rocprim17ROCPRIM_400000_NS6detail17trampoline_kernelINS0_14default_configENS1_38merge_sort_block_merge_config_selectorIiiEEZZNS1_27merge_sort_block_merge_implIS3_N6thrust23THRUST_200600_302600_NS6detail15normal_iteratorINS8_10device_ptrIiEEEESD_jNS1_19radix_merge_compareILb1ELb0EiNS0_19identity_decomposerEEEEE10hipError_tT0_T1_T2_jT3_P12ihipStream_tbPNSt15iterator_traitsISI_E10value_typeEPNSO_ISJ_E10value_typeEPSK_NS1_7vsmem_tEENKUlT_SI_SJ_SK_E_clIPiSD_S10_SD_EESH_SX_SI_SJ_SK_EUlSX_E0_NS1_11comp_targetILNS1_3genE5ELNS1_11target_archE942ELNS1_3gpuE9ELNS1_3repE0EEENS1_38merge_mergepath_config_static_selectorELNS0_4arch9wavefront6targetE0EEEvSJ_,"axG",@progbits,_ZN7rocprim17ROCPRIM_400000_NS6detail17trampoline_kernelINS0_14default_configENS1_38merge_sort_block_merge_config_selectorIiiEEZZNS1_27merge_sort_block_merge_implIS3_N6thrust23THRUST_200600_302600_NS6detail15normal_iteratorINS8_10device_ptrIiEEEESD_jNS1_19radix_merge_compareILb1ELb0EiNS0_19identity_decomposerEEEEE10hipError_tT0_T1_T2_jT3_P12ihipStream_tbPNSt15iterator_traitsISI_E10value_typeEPNSO_ISJ_E10value_typeEPSK_NS1_7vsmem_tEENKUlT_SI_SJ_SK_E_clIPiSD_S10_SD_EESH_SX_SI_SJ_SK_EUlSX_E0_NS1_11comp_targetILNS1_3genE5ELNS1_11target_archE942ELNS1_3gpuE9ELNS1_3repE0EEENS1_38merge_mergepath_config_static_selectorELNS0_4arch9wavefront6targetE0EEEvSJ_,comdat
.Lfunc_end895:
	.size	_ZN7rocprim17ROCPRIM_400000_NS6detail17trampoline_kernelINS0_14default_configENS1_38merge_sort_block_merge_config_selectorIiiEEZZNS1_27merge_sort_block_merge_implIS3_N6thrust23THRUST_200600_302600_NS6detail15normal_iteratorINS8_10device_ptrIiEEEESD_jNS1_19radix_merge_compareILb1ELb0EiNS0_19identity_decomposerEEEEE10hipError_tT0_T1_T2_jT3_P12ihipStream_tbPNSt15iterator_traitsISI_E10value_typeEPNSO_ISJ_E10value_typeEPSK_NS1_7vsmem_tEENKUlT_SI_SJ_SK_E_clIPiSD_S10_SD_EESH_SX_SI_SJ_SK_EUlSX_E0_NS1_11comp_targetILNS1_3genE5ELNS1_11target_archE942ELNS1_3gpuE9ELNS1_3repE0EEENS1_38merge_mergepath_config_static_selectorELNS0_4arch9wavefront6targetE0EEEvSJ_, .Lfunc_end895-_ZN7rocprim17ROCPRIM_400000_NS6detail17trampoline_kernelINS0_14default_configENS1_38merge_sort_block_merge_config_selectorIiiEEZZNS1_27merge_sort_block_merge_implIS3_N6thrust23THRUST_200600_302600_NS6detail15normal_iteratorINS8_10device_ptrIiEEEESD_jNS1_19radix_merge_compareILb1ELb0EiNS0_19identity_decomposerEEEEE10hipError_tT0_T1_T2_jT3_P12ihipStream_tbPNSt15iterator_traitsISI_E10value_typeEPNSO_ISJ_E10value_typeEPSK_NS1_7vsmem_tEENKUlT_SI_SJ_SK_E_clIPiSD_S10_SD_EESH_SX_SI_SJ_SK_EUlSX_E0_NS1_11comp_targetILNS1_3genE5ELNS1_11target_archE942ELNS1_3gpuE9ELNS1_3repE0EEENS1_38merge_mergepath_config_static_selectorELNS0_4arch9wavefront6targetE0EEEvSJ_
                                        ; -- End function
	.set _ZN7rocprim17ROCPRIM_400000_NS6detail17trampoline_kernelINS0_14default_configENS1_38merge_sort_block_merge_config_selectorIiiEEZZNS1_27merge_sort_block_merge_implIS3_N6thrust23THRUST_200600_302600_NS6detail15normal_iteratorINS8_10device_ptrIiEEEESD_jNS1_19radix_merge_compareILb1ELb0EiNS0_19identity_decomposerEEEEE10hipError_tT0_T1_T2_jT3_P12ihipStream_tbPNSt15iterator_traitsISI_E10value_typeEPNSO_ISJ_E10value_typeEPSK_NS1_7vsmem_tEENKUlT_SI_SJ_SK_E_clIPiSD_S10_SD_EESH_SX_SI_SJ_SK_EUlSX_E0_NS1_11comp_targetILNS1_3genE5ELNS1_11target_archE942ELNS1_3gpuE9ELNS1_3repE0EEENS1_38merge_mergepath_config_static_selectorELNS0_4arch9wavefront6targetE0EEEvSJ_.num_vgpr, 0
	.set _ZN7rocprim17ROCPRIM_400000_NS6detail17trampoline_kernelINS0_14default_configENS1_38merge_sort_block_merge_config_selectorIiiEEZZNS1_27merge_sort_block_merge_implIS3_N6thrust23THRUST_200600_302600_NS6detail15normal_iteratorINS8_10device_ptrIiEEEESD_jNS1_19radix_merge_compareILb1ELb0EiNS0_19identity_decomposerEEEEE10hipError_tT0_T1_T2_jT3_P12ihipStream_tbPNSt15iterator_traitsISI_E10value_typeEPNSO_ISJ_E10value_typeEPSK_NS1_7vsmem_tEENKUlT_SI_SJ_SK_E_clIPiSD_S10_SD_EESH_SX_SI_SJ_SK_EUlSX_E0_NS1_11comp_targetILNS1_3genE5ELNS1_11target_archE942ELNS1_3gpuE9ELNS1_3repE0EEENS1_38merge_mergepath_config_static_selectorELNS0_4arch9wavefront6targetE0EEEvSJ_.num_agpr, 0
	.set _ZN7rocprim17ROCPRIM_400000_NS6detail17trampoline_kernelINS0_14default_configENS1_38merge_sort_block_merge_config_selectorIiiEEZZNS1_27merge_sort_block_merge_implIS3_N6thrust23THRUST_200600_302600_NS6detail15normal_iteratorINS8_10device_ptrIiEEEESD_jNS1_19radix_merge_compareILb1ELb0EiNS0_19identity_decomposerEEEEE10hipError_tT0_T1_T2_jT3_P12ihipStream_tbPNSt15iterator_traitsISI_E10value_typeEPNSO_ISJ_E10value_typeEPSK_NS1_7vsmem_tEENKUlT_SI_SJ_SK_E_clIPiSD_S10_SD_EESH_SX_SI_SJ_SK_EUlSX_E0_NS1_11comp_targetILNS1_3genE5ELNS1_11target_archE942ELNS1_3gpuE9ELNS1_3repE0EEENS1_38merge_mergepath_config_static_selectorELNS0_4arch9wavefront6targetE0EEEvSJ_.numbered_sgpr, 0
	.set _ZN7rocprim17ROCPRIM_400000_NS6detail17trampoline_kernelINS0_14default_configENS1_38merge_sort_block_merge_config_selectorIiiEEZZNS1_27merge_sort_block_merge_implIS3_N6thrust23THRUST_200600_302600_NS6detail15normal_iteratorINS8_10device_ptrIiEEEESD_jNS1_19radix_merge_compareILb1ELb0EiNS0_19identity_decomposerEEEEE10hipError_tT0_T1_T2_jT3_P12ihipStream_tbPNSt15iterator_traitsISI_E10value_typeEPNSO_ISJ_E10value_typeEPSK_NS1_7vsmem_tEENKUlT_SI_SJ_SK_E_clIPiSD_S10_SD_EESH_SX_SI_SJ_SK_EUlSX_E0_NS1_11comp_targetILNS1_3genE5ELNS1_11target_archE942ELNS1_3gpuE9ELNS1_3repE0EEENS1_38merge_mergepath_config_static_selectorELNS0_4arch9wavefront6targetE0EEEvSJ_.num_named_barrier, 0
	.set _ZN7rocprim17ROCPRIM_400000_NS6detail17trampoline_kernelINS0_14default_configENS1_38merge_sort_block_merge_config_selectorIiiEEZZNS1_27merge_sort_block_merge_implIS3_N6thrust23THRUST_200600_302600_NS6detail15normal_iteratorINS8_10device_ptrIiEEEESD_jNS1_19radix_merge_compareILb1ELb0EiNS0_19identity_decomposerEEEEE10hipError_tT0_T1_T2_jT3_P12ihipStream_tbPNSt15iterator_traitsISI_E10value_typeEPNSO_ISJ_E10value_typeEPSK_NS1_7vsmem_tEENKUlT_SI_SJ_SK_E_clIPiSD_S10_SD_EESH_SX_SI_SJ_SK_EUlSX_E0_NS1_11comp_targetILNS1_3genE5ELNS1_11target_archE942ELNS1_3gpuE9ELNS1_3repE0EEENS1_38merge_mergepath_config_static_selectorELNS0_4arch9wavefront6targetE0EEEvSJ_.private_seg_size, 0
	.set _ZN7rocprim17ROCPRIM_400000_NS6detail17trampoline_kernelINS0_14default_configENS1_38merge_sort_block_merge_config_selectorIiiEEZZNS1_27merge_sort_block_merge_implIS3_N6thrust23THRUST_200600_302600_NS6detail15normal_iteratorINS8_10device_ptrIiEEEESD_jNS1_19radix_merge_compareILb1ELb0EiNS0_19identity_decomposerEEEEE10hipError_tT0_T1_T2_jT3_P12ihipStream_tbPNSt15iterator_traitsISI_E10value_typeEPNSO_ISJ_E10value_typeEPSK_NS1_7vsmem_tEENKUlT_SI_SJ_SK_E_clIPiSD_S10_SD_EESH_SX_SI_SJ_SK_EUlSX_E0_NS1_11comp_targetILNS1_3genE5ELNS1_11target_archE942ELNS1_3gpuE9ELNS1_3repE0EEENS1_38merge_mergepath_config_static_selectorELNS0_4arch9wavefront6targetE0EEEvSJ_.uses_vcc, 0
	.set _ZN7rocprim17ROCPRIM_400000_NS6detail17trampoline_kernelINS0_14default_configENS1_38merge_sort_block_merge_config_selectorIiiEEZZNS1_27merge_sort_block_merge_implIS3_N6thrust23THRUST_200600_302600_NS6detail15normal_iteratorINS8_10device_ptrIiEEEESD_jNS1_19radix_merge_compareILb1ELb0EiNS0_19identity_decomposerEEEEE10hipError_tT0_T1_T2_jT3_P12ihipStream_tbPNSt15iterator_traitsISI_E10value_typeEPNSO_ISJ_E10value_typeEPSK_NS1_7vsmem_tEENKUlT_SI_SJ_SK_E_clIPiSD_S10_SD_EESH_SX_SI_SJ_SK_EUlSX_E0_NS1_11comp_targetILNS1_3genE5ELNS1_11target_archE942ELNS1_3gpuE9ELNS1_3repE0EEENS1_38merge_mergepath_config_static_selectorELNS0_4arch9wavefront6targetE0EEEvSJ_.uses_flat_scratch, 0
	.set _ZN7rocprim17ROCPRIM_400000_NS6detail17trampoline_kernelINS0_14default_configENS1_38merge_sort_block_merge_config_selectorIiiEEZZNS1_27merge_sort_block_merge_implIS3_N6thrust23THRUST_200600_302600_NS6detail15normal_iteratorINS8_10device_ptrIiEEEESD_jNS1_19radix_merge_compareILb1ELb0EiNS0_19identity_decomposerEEEEE10hipError_tT0_T1_T2_jT3_P12ihipStream_tbPNSt15iterator_traitsISI_E10value_typeEPNSO_ISJ_E10value_typeEPSK_NS1_7vsmem_tEENKUlT_SI_SJ_SK_E_clIPiSD_S10_SD_EESH_SX_SI_SJ_SK_EUlSX_E0_NS1_11comp_targetILNS1_3genE5ELNS1_11target_archE942ELNS1_3gpuE9ELNS1_3repE0EEENS1_38merge_mergepath_config_static_selectorELNS0_4arch9wavefront6targetE0EEEvSJ_.has_dyn_sized_stack, 0
	.set _ZN7rocprim17ROCPRIM_400000_NS6detail17trampoline_kernelINS0_14default_configENS1_38merge_sort_block_merge_config_selectorIiiEEZZNS1_27merge_sort_block_merge_implIS3_N6thrust23THRUST_200600_302600_NS6detail15normal_iteratorINS8_10device_ptrIiEEEESD_jNS1_19radix_merge_compareILb1ELb0EiNS0_19identity_decomposerEEEEE10hipError_tT0_T1_T2_jT3_P12ihipStream_tbPNSt15iterator_traitsISI_E10value_typeEPNSO_ISJ_E10value_typeEPSK_NS1_7vsmem_tEENKUlT_SI_SJ_SK_E_clIPiSD_S10_SD_EESH_SX_SI_SJ_SK_EUlSX_E0_NS1_11comp_targetILNS1_3genE5ELNS1_11target_archE942ELNS1_3gpuE9ELNS1_3repE0EEENS1_38merge_mergepath_config_static_selectorELNS0_4arch9wavefront6targetE0EEEvSJ_.has_recursion, 0
	.set _ZN7rocprim17ROCPRIM_400000_NS6detail17trampoline_kernelINS0_14default_configENS1_38merge_sort_block_merge_config_selectorIiiEEZZNS1_27merge_sort_block_merge_implIS3_N6thrust23THRUST_200600_302600_NS6detail15normal_iteratorINS8_10device_ptrIiEEEESD_jNS1_19radix_merge_compareILb1ELb0EiNS0_19identity_decomposerEEEEE10hipError_tT0_T1_T2_jT3_P12ihipStream_tbPNSt15iterator_traitsISI_E10value_typeEPNSO_ISJ_E10value_typeEPSK_NS1_7vsmem_tEENKUlT_SI_SJ_SK_E_clIPiSD_S10_SD_EESH_SX_SI_SJ_SK_EUlSX_E0_NS1_11comp_targetILNS1_3genE5ELNS1_11target_archE942ELNS1_3gpuE9ELNS1_3repE0EEENS1_38merge_mergepath_config_static_selectorELNS0_4arch9wavefront6targetE0EEEvSJ_.has_indirect_call, 0
	.section	.AMDGPU.csdata,"",@progbits
; Kernel info:
; codeLenInByte = 0
; TotalNumSgprs: 0
; NumVgprs: 0
; ScratchSize: 0
; MemoryBound: 0
; FloatMode: 240
; IeeeMode: 1
; LDSByteSize: 0 bytes/workgroup (compile time only)
; SGPRBlocks: 0
; VGPRBlocks: 0
; NumSGPRsForWavesPerEU: 1
; NumVGPRsForWavesPerEU: 1
; Occupancy: 16
; WaveLimiterHint : 0
; COMPUTE_PGM_RSRC2:SCRATCH_EN: 0
; COMPUTE_PGM_RSRC2:USER_SGPR: 6
; COMPUTE_PGM_RSRC2:TRAP_HANDLER: 0
; COMPUTE_PGM_RSRC2:TGID_X_EN: 1
; COMPUTE_PGM_RSRC2:TGID_Y_EN: 0
; COMPUTE_PGM_RSRC2:TGID_Z_EN: 0
; COMPUTE_PGM_RSRC2:TIDIG_COMP_CNT: 0
	.section	.text._ZN7rocprim17ROCPRIM_400000_NS6detail17trampoline_kernelINS0_14default_configENS1_38merge_sort_block_merge_config_selectorIiiEEZZNS1_27merge_sort_block_merge_implIS3_N6thrust23THRUST_200600_302600_NS6detail15normal_iteratorINS8_10device_ptrIiEEEESD_jNS1_19radix_merge_compareILb1ELb0EiNS0_19identity_decomposerEEEEE10hipError_tT0_T1_T2_jT3_P12ihipStream_tbPNSt15iterator_traitsISI_E10value_typeEPNSO_ISJ_E10value_typeEPSK_NS1_7vsmem_tEENKUlT_SI_SJ_SK_E_clIPiSD_S10_SD_EESH_SX_SI_SJ_SK_EUlSX_E0_NS1_11comp_targetILNS1_3genE4ELNS1_11target_archE910ELNS1_3gpuE8ELNS1_3repE0EEENS1_38merge_mergepath_config_static_selectorELNS0_4arch9wavefront6targetE0EEEvSJ_,"axG",@progbits,_ZN7rocprim17ROCPRIM_400000_NS6detail17trampoline_kernelINS0_14default_configENS1_38merge_sort_block_merge_config_selectorIiiEEZZNS1_27merge_sort_block_merge_implIS3_N6thrust23THRUST_200600_302600_NS6detail15normal_iteratorINS8_10device_ptrIiEEEESD_jNS1_19radix_merge_compareILb1ELb0EiNS0_19identity_decomposerEEEEE10hipError_tT0_T1_T2_jT3_P12ihipStream_tbPNSt15iterator_traitsISI_E10value_typeEPNSO_ISJ_E10value_typeEPSK_NS1_7vsmem_tEENKUlT_SI_SJ_SK_E_clIPiSD_S10_SD_EESH_SX_SI_SJ_SK_EUlSX_E0_NS1_11comp_targetILNS1_3genE4ELNS1_11target_archE910ELNS1_3gpuE8ELNS1_3repE0EEENS1_38merge_mergepath_config_static_selectorELNS0_4arch9wavefront6targetE0EEEvSJ_,comdat
	.protected	_ZN7rocprim17ROCPRIM_400000_NS6detail17trampoline_kernelINS0_14default_configENS1_38merge_sort_block_merge_config_selectorIiiEEZZNS1_27merge_sort_block_merge_implIS3_N6thrust23THRUST_200600_302600_NS6detail15normal_iteratorINS8_10device_ptrIiEEEESD_jNS1_19radix_merge_compareILb1ELb0EiNS0_19identity_decomposerEEEEE10hipError_tT0_T1_T2_jT3_P12ihipStream_tbPNSt15iterator_traitsISI_E10value_typeEPNSO_ISJ_E10value_typeEPSK_NS1_7vsmem_tEENKUlT_SI_SJ_SK_E_clIPiSD_S10_SD_EESH_SX_SI_SJ_SK_EUlSX_E0_NS1_11comp_targetILNS1_3genE4ELNS1_11target_archE910ELNS1_3gpuE8ELNS1_3repE0EEENS1_38merge_mergepath_config_static_selectorELNS0_4arch9wavefront6targetE0EEEvSJ_ ; -- Begin function _ZN7rocprim17ROCPRIM_400000_NS6detail17trampoline_kernelINS0_14default_configENS1_38merge_sort_block_merge_config_selectorIiiEEZZNS1_27merge_sort_block_merge_implIS3_N6thrust23THRUST_200600_302600_NS6detail15normal_iteratorINS8_10device_ptrIiEEEESD_jNS1_19radix_merge_compareILb1ELb0EiNS0_19identity_decomposerEEEEE10hipError_tT0_T1_T2_jT3_P12ihipStream_tbPNSt15iterator_traitsISI_E10value_typeEPNSO_ISJ_E10value_typeEPSK_NS1_7vsmem_tEENKUlT_SI_SJ_SK_E_clIPiSD_S10_SD_EESH_SX_SI_SJ_SK_EUlSX_E0_NS1_11comp_targetILNS1_3genE4ELNS1_11target_archE910ELNS1_3gpuE8ELNS1_3repE0EEENS1_38merge_mergepath_config_static_selectorELNS0_4arch9wavefront6targetE0EEEvSJ_
	.globl	_ZN7rocprim17ROCPRIM_400000_NS6detail17trampoline_kernelINS0_14default_configENS1_38merge_sort_block_merge_config_selectorIiiEEZZNS1_27merge_sort_block_merge_implIS3_N6thrust23THRUST_200600_302600_NS6detail15normal_iteratorINS8_10device_ptrIiEEEESD_jNS1_19radix_merge_compareILb1ELb0EiNS0_19identity_decomposerEEEEE10hipError_tT0_T1_T2_jT3_P12ihipStream_tbPNSt15iterator_traitsISI_E10value_typeEPNSO_ISJ_E10value_typeEPSK_NS1_7vsmem_tEENKUlT_SI_SJ_SK_E_clIPiSD_S10_SD_EESH_SX_SI_SJ_SK_EUlSX_E0_NS1_11comp_targetILNS1_3genE4ELNS1_11target_archE910ELNS1_3gpuE8ELNS1_3repE0EEENS1_38merge_mergepath_config_static_selectorELNS0_4arch9wavefront6targetE0EEEvSJ_
	.p2align	8
	.type	_ZN7rocprim17ROCPRIM_400000_NS6detail17trampoline_kernelINS0_14default_configENS1_38merge_sort_block_merge_config_selectorIiiEEZZNS1_27merge_sort_block_merge_implIS3_N6thrust23THRUST_200600_302600_NS6detail15normal_iteratorINS8_10device_ptrIiEEEESD_jNS1_19radix_merge_compareILb1ELb0EiNS0_19identity_decomposerEEEEE10hipError_tT0_T1_T2_jT3_P12ihipStream_tbPNSt15iterator_traitsISI_E10value_typeEPNSO_ISJ_E10value_typeEPSK_NS1_7vsmem_tEENKUlT_SI_SJ_SK_E_clIPiSD_S10_SD_EESH_SX_SI_SJ_SK_EUlSX_E0_NS1_11comp_targetILNS1_3genE4ELNS1_11target_archE910ELNS1_3gpuE8ELNS1_3repE0EEENS1_38merge_mergepath_config_static_selectorELNS0_4arch9wavefront6targetE0EEEvSJ_,@function
_ZN7rocprim17ROCPRIM_400000_NS6detail17trampoline_kernelINS0_14default_configENS1_38merge_sort_block_merge_config_selectorIiiEEZZNS1_27merge_sort_block_merge_implIS3_N6thrust23THRUST_200600_302600_NS6detail15normal_iteratorINS8_10device_ptrIiEEEESD_jNS1_19radix_merge_compareILb1ELb0EiNS0_19identity_decomposerEEEEE10hipError_tT0_T1_T2_jT3_P12ihipStream_tbPNSt15iterator_traitsISI_E10value_typeEPNSO_ISJ_E10value_typeEPSK_NS1_7vsmem_tEENKUlT_SI_SJ_SK_E_clIPiSD_S10_SD_EESH_SX_SI_SJ_SK_EUlSX_E0_NS1_11comp_targetILNS1_3genE4ELNS1_11target_archE910ELNS1_3gpuE8ELNS1_3repE0EEENS1_38merge_mergepath_config_static_selectorELNS0_4arch9wavefront6targetE0EEEvSJ_: ; @_ZN7rocprim17ROCPRIM_400000_NS6detail17trampoline_kernelINS0_14default_configENS1_38merge_sort_block_merge_config_selectorIiiEEZZNS1_27merge_sort_block_merge_implIS3_N6thrust23THRUST_200600_302600_NS6detail15normal_iteratorINS8_10device_ptrIiEEEESD_jNS1_19radix_merge_compareILb1ELb0EiNS0_19identity_decomposerEEEEE10hipError_tT0_T1_T2_jT3_P12ihipStream_tbPNSt15iterator_traitsISI_E10value_typeEPNSO_ISJ_E10value_typeEPSK_NS1_7vsmem_tEENKUlT_SI_SJ_SK_E_clIPiSD_S10_SD_EESH_SX_SI_SJ_SK_EUlSX_E0_NS1_11comp_targetILNS1_3genE4ELNS1_11target_archE910ELNS1_3gpuE8ELNS1_3repE0EEENS1_38merge_mergepath_config_static_selectorELNS0_4arch9wavefront6targetE0EEEvSJ_
; %bb.0:
	.section	.rodata,"a",@progbits
	.p2align	6, 0x0
	.amdhsa_kernel _ZN7rocprim17ROCPRIM_400000_NS6detail17trampoline_kernelINS0_14default_configENS1_38merge_sort_block_merge_config_selectorIiiEEZZNS1_27merge_sort_block_merge_implIS3_N6thrust23THRUST_200600_302600_NS6detail15normal_iteratorINS8_10device_ptrIiEEEESD_jNS1_19radix_merge_compareILb1ELb0EiNS0_19identity_decomposerEEEEE10hipError_tT0_T1_T2_jT3_P12ihipStream_tbPNSt15iterator_traitsISI_E10value_typeEPNSO_ISJ_E10value_typeEPSK_NS1_7vsmem_tEENKUlT_SI_SJ_SK_E_clIPiSD_S10_SD_EESH_SX_SI_SJ_SK_EUlSX_E0_NS1_11comp_targetILNS1_3genE4ELNS1_11target_archE910ELNS1_3gpuE8ELNS1_3repE0EEENS1_38merge_mergepath_config_static_selectorELNS0_4arch9wavefront6targetE0EEEvSJ_
		.amdhsa_group_segment_fixed_size 0
		.amdhsa_private_segment_fixed_size 0
		.amdhsa_kernarg_size 64
		.amdhsa_user_sgpr_count 6
		.amdhsa_user_sgpr_private_segment_buffer 1
		.amdhsa_user_sgpr_dispatch_ptr 0
		.amdhsa_user_sgpr_queue_ptr 0
		.amdhsa_user_sgpr_kernarg_segment_ptr 1
		.amdhsa_user_sgpr_dispatch_id 0
		.amdhsa_user_sgpr_flat_scratch_init 0
		.amdhsa_user_sgpr_private_segment_size 0
		.amdhsa_wavefront_size32 1
		.amdhsa_uses_dynamic_stack 0
		.amdhsa_system_sgpr_private_segment_wavefront_offset 0
		.amdhsa_system_sgpr_workgroup_id_x 1
		.amdhsa_system_sgpr_workgroup_id_y 0
		.amdhsa_system_sgpr_workgroup_id_z 0
		.amdhsa_system_sgpr_workgroup_info 0
		.amdhsa_system_vgpr_workitem_id 0
		.amdhsa_next_free_vgpr 1
		.amdhsa_next_free_sgpr 1
		.amdhsa_reserve_vcc 0
		.amdhsa_reserve_flat_scratch 0
		.amdhsa_float_round_mode_32 0
		.amdhsa_float_round_mode_16_64 0
		.amdhsa_float_denorm_mode_32 3
		.amdhsa_float_denorm_mode_16_64 3
		.amdhsa_dx10_clamp 1
		.amdhsa_ieee_mode 1
		.amdhsa_fp16_overflow 0
		.amdhsa_workgroup_processor_mode 1
		.amdhsa_memory_ordered 1
		.amdhsa_forward_progress 1
		.amdhsa_shared_vgpr_count 0
		.amdhsa_exception_fp_ieee_invalid_op 0
		.amdhsa_exception_fp_denorm_src 0
		.amdhsa_exception_fp_ieee_div_zero 0
		.amdhsa_exception_fp_ieee_overflow 0
		.amdhsa_exception_fp_ieee_underflow 0
		.amdhsa_exception_fp_ieee_inexact 0
		.amdhsa_exception_int_div_zero 0
	.end_amdhsa_kernel
	.section	.text._ZN7rocprim17ROCPRIM_400000_NS6detail17trampoline_kernelINS0_14default_configENS1_38merge_sort_block_merge_config_selectorIiiEEZZNS1_27merge_sort_block_merge_implIS3_N6thrust23THRUST_200600_302600_NS6detail15normal_iteratorINS8_10device_ptrIiEEEESD_jNS1_19radix_merge_compareILb1ELb0EiNS0_19identity_decomposerEEEEE10hipError_tT0_T1_T2_jT3_P12ihipStream_tbPNSt15iterator_traitsISI_E10value_typeEPNSO_ISJ_E10value_typeEPSK_NS1_7vsmem_tEENKUlT_SI_SJ_SK_E_clIPiSD_S10_SD_EESH_SX_SI_SJ_SK_EUlSX_E0_NS1_11comp_targetILNS1_3genE4ELNS1_11target_archE910ELNS1_3gpuE8ELNS1_3repE0EEENS1_38merge_mergepath_config_static_selectorELNS0_4arch9wavefront6targetE0EEEvSJ_,"axG",@progbits,_ZN7rocprim17ROCPRIM_400000_NS6detail17trampoline_kernelINS0_14default_configENS1_38merge_sort_block_merge_config_selectorIiiEEZZNS1_27merge_sort_block_merge_implIS3_N6thrust23THRUST_200600_302600_NS6detail15normal_iteratorINS8_10device_ptrIiEEEESD_jNS1_19radix_merge_compareILb1ELb0EiNS0_19identity_decomposerEEEEE10hipError_tT0_T1_T2_jT3_P12ihipStream_tbPNSt15iterator_traitsISI_E10value_typeEPNSO_ISJ_E10value_typeEPSK_NS1_7vsmem_tEENKUlT_SI_SJ_SK_E_clIPiSD_S10_SD_EESH_SX_SI_SJ_SK_EUlSX_E0_NS1_11comp_targetILNS1_3genE4ELNS1_11target_archE910ELNS1_3gpuE8ELNS1_3repE0EEENS1_38merge_mergepath_config_static_selectorELNS0_4arch9wavefront6targetE0EEEvSJ_,comdat
.Lfunc_end896:
	.size	_ZN7rocprim17ROCPRIM_400000_NS6detail17trampoline_kernelINS0_14default_configENS1_38merge_sort_block_merge_config_selectorIiiEEZZNS1_27merge_sort_block_merge_implIS3_N6thrust23THRUST_200600_302600_NS6detail15normal_iteratorINS8_10device_ptrIiEEEESD_jNS1_19radix_merge_compareILb1ELb0EiNS0_19identity_decomposerEEEEE10hipError_tT0_T1_T2_jT3_P12ihipStream_tbPNSt15iterator_traitsISI_E10value_typeEPNSO_ISJ_E10value_typeEPSK_NS1_7vsmem_tEENKUlT_SI_SJ_SK_E_clIPiSD_S10_SD_EESH_SX_SI_SJ_SK_EUlSX_E0_NS1_11comp_targetILNS1_3genE4ELNS1_11target_archE910ELNS1_3gpuE8ELNS1_3repE0EEENS1_38merge_mergepath_config_static_selectorELNS0_4arch9wavefront6targetE0EEEvSJ_, .Lfunc_end896-_ZN7rocprim17ROCPRIM_400000_NS6detail17trampoline_kernelINS0_14default_configENS1_38merge_sort_block_merge_config_selectorIiiEEZZNS1_27merge_sort_block_merge_implIS3_N6thrust23THRUST_200600_302600_NS6detail15normal_iteratorINS8_10device_ptrIiEEEESD_jNS1_19radix_merge_compareILb1ELb0EiNS0_19identity_decomposerEEEEE10hipError_tT0_T1_T2_jT3_P12ihipStream_tbPNSt15iterator_traitsISI_E10value_typeEPNSO_ISJ_E10value_typeEPSK_NS1_7vsmem_tEENKUlT_SI_SJ_SK_E_clIPiSD_S10_SD_EESH_SX_SI_SJ_SK_EUlSX_E0_NS1_11comp_targetILNS1_3genE4ELNS1_11target_archE910ELNS1_3gpuE8ELNS1_3repE0EEENS1_38merge_mergepath_config_static_selectorELNS0_4arch9wavefront6targetE0EEEvSJ_
                                        ; -- End function
	.set _ZN7rocprim17ROCPRIM_400000_NS6detail17trampoline_kernelINS0_14default_configENS1_38merge_sort_block_merge_config_selectorIiiEEZZNS1_27merge_sort_block_merge_implIS3_N6thrust23THRUST_200600_302600_NS6detail15normal_iteratorINS8_10device_ptrIiEEEESD_jNS1_19radix_merge_compareILb1ELb0EiNS0_19identity_decomposerEEEEE10hipError_tT0_T1_T2_jT3_P12ihipStream_tbPNSt15iterator_traitsISI_E10value_typeEPNSO_ISJ_E10value_typeEPSK_NS1_7vsmem_tEENKUlT_SI_SJ_SK_E_clIPiSD_S10_SD_EESH_SX_SI_SJ_SK_EUlSX_E0_NS1_11comp_targetILNS1_3genE4ELNS1_11target_archE910ELNS1_3gpuE8ELNS1_3repE0EEENS1_38merge_mergepath_config_static_selectorELNS0_4arch9wavefront6targetE0EEEvSJ_.num_vgpr, 0
	.set _ZN7rocprim17ROCPRIM_400000_NS6detail17trampoline_kernelINS0_14default_configENS1_38merge_sort_block_merge_config_selectorIiiEEZZNS1_27merge_sort_block_merge_implIS3_N6thrust23THRUST_200600_302600_NS6detail15normal_iteratorINS8_10device_ptrIiEEEESD_jNS1_19radix_merge_compareILb1ELb0EiNS0_19identity_decomposerEEEEE10hipError_tT0_T1_T2_jT3_P12ihipStream_tbPNSt15iterator_traitsISI_E10value_typeEPNSO_ISJ_E10value_typeEPSK_NS1_7vsmem_tEENKUlT_SI_SJ_SK_E_clIPiSD_S10_SD_EESH_SX_SI_SJ_SK_EUlSX_E0_NS1_11comp_targetILNS1_3genE4ELNS1_11target_archE910ELNS1_3gpuE8ELNS1_3repE0EEENS1_38merge_mergepath_config_static_selectorELNS0_4arch9wavefront6targetE0EEEvSJ_.num_agpr, 0
	.set _ZN7rocprim17ROCPRIM_400000_NS6detail17trampoline_kernelINS0_14default_configENS1_38merge_sort_block_merge_config_selectorIiiEEZZNS1_27merge_sort_block_merge_implIS3_N6thrust23THRUST_200600_302600_NS6detail15normal_iteratorINS8_10device_ptrIiEEEESD_jNS1_19radix_merge_compareILb1ELb0EiNS0_19identity_decomposerEEEEE10hipError_tT0_T1_T2_jT3_P12ihipStream_tbPNSt15iterator_traitsISI_E10value_typeEPNSO_ISJ_E10value_typeEPSK_NS1_7vsmem_tEENKUlT_SI_SJ_SK_E_clIPiSD_S10_SD_EESH_SX_SI_SJ_SK_EUlSX_E0_NS1_11comp_targetILNS1_3genE4ELNS1_11target_archE910ELNS1_3gpuE8ELNS1_3repE0EEENS1_38merge_mergepath_config_static_selectorELNS0_4arch9wavefront6targetE0EEEvSJ_.numbered_sgpr, 0
	.set _ZN7rocprim17ROCPRIM_400000_NS6detail17trampoline_kernelINS0_14default_configENS1_38merge_sort_block_merge_config_selectorIiiEEZZNS1_27merge_sort_block_merge_implIS3_N6thrust23THRUST_200600_302600_NS6detail15normal_iteratorINS8_10device_ptrIiEEEESD_jNS1_19radix_merge_compareILb1ELb0EiNS0_19identity_decomposerEEEEE10hipError_tT0_T1_T2_jT3_P12ihipStream_tbPNSt15iterator_traitsISI_E10value_typeEPNSO_ISJ_E10value_typeEPSK_NS1_7vsmem_tEENKUlT_SI_SJ_SK_E_clIPiSD_S10_SD_EESH_SX_SI_SJ_SK_EUlSX_E0_NS1_11comp_targetILNS1_3genE4ELNS1_11target_archE910ELNS1_3gpuE8ELNS1_3repE0EEENS1_38merge_mergepath_config_static_selectorELNS0_4arch9wavefront6targetE0EEEvSJ_.num_named_barrier, 0
	.set _ZN7rocprim17ROCPRIM_400000_NS6detail17trampoline_kernelINS0_14default_configENS1_38merge_sort_block_merge_config_selectorIiiEEZZNS1_27merge_sort_block_merge_implIS3_N6thrust23THRUST_200600_302600_NS6detail15normal_iteratorINS8_10device_ptrIiEEEESD_jNS1_19radix_merge_compareILb1ELb0EiNS0_19identity_decomposerEEEEE10hipError_tT0_T1_T2_jT3_P12ihipStream_tbPNSt15iterator_traitsISI_E10value_typeEPNSO_ISJ_E10value_typeEPSK_NS1_7vsmem_tEENKUlT_SI_SJ_SK_E_clIPiSD_S10_SD_EESH_SX_SI_SJ_SK_EUlSX_E0_NS1_11comp_targetILNS1_3genE4ELNS1_11target_archE910ELNS1_3gpuE8ELNS1_3repE0EEENS1_38merge_mergepath_config_static_selectorELNS0_4arch9wavefront6targetE0EEEvSJ_.private_seg_size, 0
	.set _ZN7rocprim17ROCPRIM_400000_NS6detail17trampoline_kernelINS0_14default_configENS1_38merge_sort_block_merge_config_selectorIiiEEZZNS1_27merge_sort_block_merge_implIS3_N6thrust23THRUST_200600_302600_NS6detail15normal_iteratorINS8_10device_ptrIiEEEESD_jNS1_19radix_merge_compareILb1ELb0EiNS0_19identity_decomposerEEEEE10hipError_tT0_T1_T2_jT3_P12ihipStream_tbPNSt15iterator_traitsISI_E10value_typeEPNSO_ISJ_E10value_typeEPSK_NS1_7vsmem_tEENKUlT_SI_SJ_SK_E_clIPiSD_S10_SD_EESH_SX_SI_SJ_SK_EUlSX_E0_NS1_11comp_targetILNS1_3genE4ELNS1_11target_archE910ELNS1_3gpuE8ELNS1_3repE0EEENS1_38merge_mergepath_config_static_selectorELNS0_4arch9wavefront6targetE0EEEvSJ_.uses_vcc, 0
	.set _ZN7rocprim17ROCPRIM_400000_NS6detail17trampoline_kernelINS0_14default_configENS1_38merge_sort_block_merge_config_selectorIiiEEZZNS1_27merge_sort_block_merge_implIS3_N6thrust23THRUST_200600_302600_NS6detail15normal_iteratorINS8_10device_ptrIiEEEESD_jNS1_19radix_merge_compareILb1ELb0EiNS0_19identity_decomposerEEEEE10hipError_tT0_T1_T2_jT3_P12ihipStream_tbPNSt15iterator_traitsISI_E10value_typeEPNSO_ISJ_E10value_typeEPSK_NS1_7vsmem_tEENKUlT_SI_SJ_SK_E_clIPiSD_S10_SD_EESH_SX_SI_SJ_SK_EUlSX_E0_NS1_11comp_targetILNS1_3genE4ELNS1_11target_archE910ELNS1_3gpuE8ELNS1_3repE0EEENS1_38merge_mergepath_config_static_selectorELNS0_4arch9wavefront6targetE0EEEvSJ_.uses_flat_scratch, 0
	.set _ZN7rocprim17ROCPRIM_400000_NS6detail17trampoline_kernelINS0_14default_configENS1_38merge_sort_block_merge_config_selectorIiiEEZZNS1_27merge_sort_block_merge_implIS3_N6thrust23THRUST_200600_302600_NS6detail15normal_iteratorINS8_10device_ptrIiEEEESD_jNS1_19radix_merge_compareILb1ELb0EiNS0_19identity_decomposerEEEEE10hipError_tT0_T1_T2_jT3_P12ihipStream_tbPNSt15iterator_traitsISI_E10value_typeEPNSO_ISJ_E10value_typeEPSK_NS1_7vsmem_tEENKUlT_SI_SJ_SK_E_clIPiSD_S10_SD_EESH_SX_SI_SJ_SK_EUlSX_E0_NS1_11comp_targetILNS1_3genE4ELNS1_11target_archE910ELNS1_3gpuE8ELNS1_3repE0EEENS1_38merge_mergepath_config_static_selectorELNS0_4arch9wavefront6targetE0EEEvSJ_.has_dyn_sized_stack, 0
	.set _ZN7rocprim17ROCPRIM_400000_NS6detail17trampoline_kernelINS0_14default_configENS1_38merge_sort_block_merge_config_selectorIiiEEZZNS1_27merge_sort_block_merge_implIS3_N6thrust23THRUST_200600_302600_NS6detail15normal_iteratorINS8_10device_ptrIiEEEESD_jNS1_19radix_merge_compareILb1ELb0EiNS0_19identity_decomposerEEEEE10hipError_tT0_T1_T2_jT3_P12ihipStream_tbPNSt15iterator_traitsISI_E10value_typeEPNSO_ISJ_E10value_typeEPSK_NS1_7vsmem_tEENKUlT_SI_SJ_SK_E_clIPiSD_S10_SD_EESH_SX_SI_SJ_SK_EUlSX_E0_NS1_11comp_targetILNS1_3genE4ELNS1_11target_archE910ELNS1_3gpuE8ELNS1_3repE0EEENS1_38merge_mergepath_config_static_selectorELNS0_4arch9wavefront6targetE0EEEvSJ_.has_recursion, 0
	.set _ZN7rocprim17ROCPRIM_400000_NS6detail17trampoline_kernelINS0_14default_configENS1_38merge_sort_block_merge_config_selectorIiiEEZZNS1_27merge_sort_block_merge_implIS3_N6thrust23THRUST_200600_302600_NS6detail15normal_iteratorINS8_10device_ptrIiEEEESD_jNS1_19radix_merge_compareILb1ELb0EiNS0_19identity_decomposerEEEEE10hipError_tT0_T1_T2_jT3_P12ihipStream_tbPNSt15iterator_traitsISI_E10value_typeEPNSO_ISJ_E10value_typeEPSK_NS1_7vsmem_tEENKUlT_SI_SJ_SK_E_clIPiSD_S10_SD_EESH_SX_SI_SJ_SK_EUlSX_E0_NS1_11comp_targetILNS1_3genE4ELNS1_11target_archE910ELNS1_3gpuE8ELNS1_3repE0EEENS1_38merge_mergepath_config_static_selectorELNS0_4arch9wavefront6targetE0EEEvSJ_.has_indirect_call, 0
	.section	.AMDGPU.csdata,"",@progbits
; Kernel info:
; codeLenInByte = 0
; TotalNumSgprs: 0
; NumVgprs: 0
; ScratchSize: 0
; MemoryBound: 0
; FloatMode: 240
; IeeeMode: 1
; LDSByteSize: 0 bytes/workgroup (compile time only)
; SGPRBlocks: 0
; VGPRBlocks: 0
; NumSGPRsForWavesPerEU: 1
; NumVGPRsForWavesPerEU: 1
; Occupancy: 16
; WaveLimiterHint : 0
; COMPUTE_PGM_RSRC2:SCRATCH_EN: 0
; COMPUTE_PGM_RSRC2:USER_SGPR: 6
; COMPUTE_PGM_RSRC2:TRAP_HANDLER: 0
; COMPUTE_PGM_RSRC2:TGID_X_EN: 1
; COMPUTE_PGM_RSRC2:TGID_Y_EN: 0
; COMPUTE_PGM_RSRC2:TGID_Z_EN: 0
; COMPUTE_PGM_RSRC2:TIDIG_COMP_CNT: 0
	.section	.text._ZN7rocprim17ROCPRIM_400000_NS6detail17trampoline_kernelINS0_14default_configENS1_38merge_sort_block_merge_config_selectorIiiEEZZNS1_27merge_sort_block_merge_implIS3_N6thrust23THRUST_200600_302600_NS6detail15normal_iteratorINS8_10device_ptrIiEEEESD_jNS1_19radix_merge_compareILb1ELb0EiNS0_19identity_decomposerEEEEE10hipError_tT0_T1_T2_jT3_P12ihipStream_tbPNSt15iterator_traitsISI_E10value_typeEPNSO_ISJ_E10value_typeEPSK_NS1_7vsmem_tEENKUlT_SI_SJ_SK_E_clIPiSD_S10_SD_EESH_SX_SI_SJ_SK_EUlSX_E0_NS1_11comp_targetILNS1_3genE3ELNS1_11target_archE908ELNS1_3gpuE7ELNS1_3repE0EEENS1_38merge_mergepath_config_static_selectorELNS0_4arch9wavefront6targetE0EEEvSJ_,"axG",@progbits,_ZN7rocprim17ROCPRIM_400000_NS6detail17trampoline_kernelINS0_14default_configENS1_38merge_sort_block_merge_config_selectorIiiEEZZNS1_27merge_sort_block_merge_implIS3_N6thrust23THRUST_200600_302600_NS6detail15normal_iteratorINS8_10device_ptrIiEEEESD_jNS1_19radix_merge_compareILb1ELb0EiNS0_19identity_decomposerEEEEE10hipError_tT0_T1_T2_jT3_P12ihipStream_tbPNSt15iterator_traitsISI_E10value_typeEPNSO_ISJ_E10value_typeEPSK_NS1_7vsmem_tEENKUlT_SI_SJ_SK_E_clIPiSD_S10_SD_EESH_SX_SI_SJ_SK_EUlSX_E0_NS1_11comp_targetILNS1_3genE3ELNS1_11target_archE908ELNS1_3gpuE7ELNS1_3repE0EEENS1_38merge_mergepath_config_static_selectorELNS0_4arch9wavefront6targetE0EEEvSJ_,comdat
	.protected	_ZN7rocprim17ROCPRIM_400000_NS6detail17trampoline_kernelINS0_14default_configENS1_38merge_sort_block_merge_config_selectorIiiEEZZNS1_27merge_sort_block_merge_implIS3_N6thrust23THRUST_200600_302600_NS6detail15normal_iteratorINS8_10device_ptrIiEEEESD_jNS1_19radix_merge_compareILb1ELb0EiNS0_19identity_decomposerEEEEE10hipError_tT0_T1_T2_jT3_P12ihipStream_tbPNSt15iterator_traitsISI_E10value_typeEPNSO_ISJ_E10value_typeEPSK_NS1_7vsmem_tEENKUlT_SI_SJ_SK_E_clIPiSD_S10_SD_EESH_SX_SI_SJ_SK_EUlSX_E0_NS1_11comp_targetILNS1_3genE3ELNS1_11target_archE908ELNS1_3gpuE7ELNS1_3repE0EEENS1_38merge_mergepath_config_static_selectorELNS0_4arch9wavefront6targetE0EEEvSJ_ ; -- Begin function _ZN7rocprim17ROCPRIM_400000_NS6detail17trampoline_kernelINS0_14default_configENS1_38merge_sort_block_merge_config_selectorIiiEEZZNS1_27merge_sort_block_merge_implIS3_N6thrust23THRUST_200600_302600_NS6detail15normal_iteratorINS8_10device_ptrIiEEEESD_jNS1_19radix_merge_compareILb1ELb0EiNS0_19identity_decomposerEEEEE10hipError_tT0_T1_T2_jT3_P12ihipStream_tbPNSt15iterator_traitsISI_E10value_typeEPNSO_ISJ_E10value_typeEPSK_NS1_7vsmem_tEENKUlT_SI_SJ_SK_E_clIPiSD_S10_SD_EESH_SX_SI_SJ_SK_EUlSX_E0_NS1_11comp_targetILNS1_3genE3ELNS1_11target_archE908ELNS1_3gpuE7ELNS1_3repE0EEENS1_38merge_mergepath_config_static_selectorELNS0_4arch9wavefront6targetE0EEEvSJ_
	.globl	_ZN7rocprim17ROCPRIM_400000_NS6detail17trampoline_kernelINS0_14default_configENS1_38merge_sort_block_merge_config_selectorIiiEEZZNS1_27merge_sort_block_merge_implIS3_N6thrust23THRUST_200600_302600_NS6detail15normal_iteratorINS8_10device_ptrIiEEEESD_jNS1_19radix_merge_compareILb1ELb0EiNS0_19identity_decomposerEEEEE10hipError_tT0_T1_T2_jT3_P12ihipStream_tbPNSt15iterator_traitsISI_E10value_typeEPNSO_ISJ_E10value_typeEPSK_NS1_7vsmem_tEENKUlT_SI_SJ_SK_E_clIPiSD_S10_SD_EESH_SX_SI_SJ_SK_EUlSX_E0_NS1_11comp_targetILNS1_3genE3ELNS1_11target_archE908ELNS1_3gpuE7ELNS1_3repE0EEENS1_38merge_mergepath_config_static_selectorELNS0_4arch9wavefront6targetE0EEEvSJ_
	.p2align	8
	.type	_ZN7rocprim17ROCPRIM_400000_NS6detail17trampoline_kernelINS0_14default_configENS1_38merge_sort_block_merge_config_selectorIiiEEZZNS1_27merge_sort_block_merge_implIS3_N6thrust23THRUST_200600_302600_NS6detail15normal_iteratorINS8_10device_ptrIiEEEESD_jNS1_19radix_merge_compareILb1ELb0EiNS0_19identity_decomposerEEEEE10hipError_tT0_T1_T2_jT3_P12ihipStream_tbPNSt15iterator_traitsISI_E10value_typeEPNSO_ISJ_E10value_typeEPSK_NS1_7vsmem_tEENKUlT_SI_SJ_SK_E_clIPiSD_S10_SD_EESH_SX_SI_SJ_SK_EUlSX_E0_NS1_11comp_targetILNS1_3genE3ELNS1_11target_archE908ELNS1_3gpuE7ELNS1_3repE0EEENS1_38merge_mergepath_config_static_selectorELNS0_4arch9wavefront6targetE0EEEvSJ_,@function
_ZN7rocprim17ROCPRIM_400000_NS6detail17trampoline_kernelINS0_14default_configENS1_38merge_sort_block_merge_config_selectorIiiEEZZNS1_27merge_sort_block_merge_implIS3_N6thrust23THRUST_200600_302600_NS6detail15normal_iteratorINS8_10device_ptrIiEEEESD_jNS1_19radix_merge_compareILb1ELb0EiNS0_19identity_decomposerEEEEE10hipError_tT0_T1_T2_jT3_P12ihipStream_tbPNSt15iterator_traitsISI_E10value_typeEPNSO_ISJ_E10value_typeEPSK_NS1_7vsmem_tEENKUlT_SI_SJ_SK_E_clIPiSD_S10_SD_EESH_SX_SI_SJ_SK_EUlSX_E0_NS1_11comp_targetILNS1_3genE3ELNS1_11target_archE908ELNS1_3gpuE7ELNS1_3repE0EEENS1_38merge_mergepath_config_static_selectorELNS0_4arch9wavefront6targetE0EEEvSJ_: ; @_ZN7rocprim17ROCPRIM_400000_NS6detail17trampoline_kernelINS0_14default_configENS1_38merge_sort_block_merge_config_selectorIiiEEZZNS1_27merge_sort_block_merge_implIS3_N6thrust23THRUST_200600_302600_NS6detail15normal_iteratorINS8_10device_ptrIiEEEESD_jNS1_19radix_merge_compareILb1ELb0EiNS0_19identity_decomposerEEEEE10hipError_tT0_T1_T2_jT3_P12ihipStream_tbPNSt15iterator_traitsISI_E10value_typeEPNSO_ISJ_E10value_typeEPSK_NS1_7vsmem_tEENKUlT_SI_SJ_SK_E_clIPiSD_S10_SD_EESH_SX_SI_SJ_SK_EUlSX_E0_NS1_11comp_targetILNS1_3genE3ELNS1_11target_archE908ELNS1_3gpuE7ELNS1_3repE0EEENS1_38merge_mergepath_config_static_selectorELNS0_4arch9wavefront6targetE0EEEvSJ_
; %bb.0:
	.section	.rodata,"a",@progbits
	.p2align	6, 0x0
	.amdhsa_kernel _ZN7rocprim17ROCPRIM_400000_NS6detail17trampoline_kernelINS0_14default_configENS1_38merge_sort_block_merge_config_selectorIiiEEZZNS1_27merge_sort_block_merge_implIS3_N6thrust23THRUST_200600_302600_NS6detail15normal_iteratorINS8_10device_ptrIiEEEESD_jNS1_19radix_merge_compareILb1ELb0EiNS0_19identity_decomposerEEEEE10hipError_tT0_T1_T2_jT3_P12ihipStream_tbPNSt15iterator_traitsISI_E10value_typeEPNSO_ISJ_E10value_typeEPSK_NS1_7vsmem_tEENKUlT_SI_SJ_SK_E_clIPiSD_S10_SD_EESH_SX_SI_SJ_SK_EUlSX_E0_NS1_11comp_targetILNS1_3genE3ELNS1_11target_archE908ELNS1_3gpuE7ELNS1_3repE0EEENS1_38merge_mergepath_config_static_selectorELNS0_4arch9wavefront6targetE0EEEvSJ_
		.amdhsa_group_segment_fixed_size 0
		.amdhsa_private_segment_fixed_size 0
		.amdhsa_kernarg_size 64
		.amdhsa_user_sgpr_count 6
		.amdhsa_user_sgpr_private_segment_buffer 1
		.amdhsa_user_sgpr_dispatch_ptr 0
		.amdhsa_user_sgpr_queue_ptr 0
		.amdhsa_user_sgpr_kernarg_segment_ptr 1
		.amdhsa_user_sgpr_dispatch_id 0
		.amdhsa_user_sgpr_flat_scratch_init 0
		.amdhsa_user_sgpr_private_segment_size 0
		.amdhsa_wavefront_size32 1
		.amdhsa_uses_dynamic_stack 0
		.amdhsa_system_sgpr_private_segment_wavefront_offset 0
		.amdhsa_system_sgpr_workgroup_id_x 1
		.amdhsa_system_sgpr_workgroup_id_y 0
		.amdhsa_system_sgpr_workgroup_id_z 0
		.amdhsa_system_sgpr_workgroup_info 0
		.amdhsa_system_vgpr_workitem_id 0
		.amdhsa_next_free_vgpr 1
		.amdhsa_next_free_sgpr 1
		.amdhsa_reserve_vcc 0
		.amdhsa_reserve_flat_scratch 0
		.amdhsa_float_round_mode_32 0
		.amdhsa_float_round_mode_16_64 0
		.amdhsa_float_denorm_mode_32 3
		.amdhsa_float_denorm_mode_16_64 3
		.amdhsa_dx10_clamp 1
		.amdhsa_ieee_mode 1
		.amdhsa_fp16_overflow 0
		.amdhsa_workgroup_processor_mode 1
		.amdhsa_memory_ordered 1
		.amdhsa_forward_progress 1
		.amdhsa_shared_vgpr_count 0
		.amdhsa_exception_fp_ieee_invalid_op 0
		.amdhsa_exception_fp_denorm_src 0
		.amdhsa_exception_fp_ieee_div_zero 0
		.amdhsa_exception_fp_ieee_overflow 0
		.amdhsa_exception_fp_ieee_underflow 0
		.amdhsa_exception_fp_ieee_inexact 0
		.amdhsa_exception_int_div_zero 0
	.end_amdhsa_kernel
	.section	.text._ZN7rocprim17ROCPRIM_400000_NS6detail17trampoline_kernelINS0_14default_configENS1_38merge_sort_block_merge_config_selectorIiiEEZZNS1_27merge_sort_block_merge_implIS3_N6thrust23THRUST_200600_302600_NS6detail15normal_iteratorINS8_10device_ptrIiEEEESD_jNS1_19radix_merge_compareILb1ELb0EiNS0_19identity_decomposerEEEEE10hipError_tT0_T1_T2_jT3_P12ihipStream_tbPNSt15iterator_traitsISI_E10value_typeEPNSO_ISJ_E10value_typeEPSK_NS1_7vsmem_tEENKUlT_SI_SJ_SK_E_clIPiSD_S10_SD_EESH_SX_SI_SJ_SK_EUlSX_E0_NS1_11comp_targetILNS1_3genE3ELNS1_11target_archE908ELNS1_3gpuE7ELNS1_3repE0EEENS1_38merge_mergepath_config_static_selectorELNS0_4arch9wavefront6targetE0EEEvSJ_,"axG",@progbits,_ZN7rocprim17ROCPRIM_400000_NS6detail17trampoline_kernelINS0_14default_configENS1_38merge_sort_block_merge_config_selectorIiiEEZZNS1_27merge_sort_block_merge_implIS3_N6thrust23THRUST_200600_302600_NS6detail15normal_iteratorINS8_10device_ptrIiEEEESD_jNS1_19radix_merge_compareILb1ELb0EiNS0_19identity_decomposerEEEEE10hipError_tT0_T1_T2_jT3_P12ihipStream_tbPNSt15iterator_traitsISI_E10value_typeEPNSO_ISJ_E10value_typeEPSK_NS1_7vsmem_tEENKUlT_SI_SJ_SK_E_clIPiSD_S10_SD_EESH_SX_SI_SJ_SK_EUlSX_E0_NS1_11comp_targetILNS1_3genE3ELNS1_11target_archE908ELNS1_3gpuE7ELNS1_3repE0EEENS1_38merge_mergepath_config_static_selectorELNS0_4arch9wavefront6targetE0EEEvSJ_,comdat
.Lfunc_end897:
	.size	_ZN7rocprim17ROCPRIM_400000_NS6detail17trampoline_kernelINS0_14default_configENS1_38merge_sort_block_merge_config_selectorIiiEEZZNS1_27merge_sort_block_merge_implIS3_N6thrust23THRUST_200600_302600_NS6detail15normal_iteratorINS8_10device_ptrIiEEEESD_jNS1_19radix_merge_compareILb1ELb0EiNS0_19identity_decomposerEEEEE10hipError_tT0_T1_T2_jT3_P12ihipStream_tbPNSt15iterator_traitsISI_E10value_typeEPNSO_ISJ_E10value_typeEPSK_NS1_7vsmem_tEENKUlT_SI_SJ_SK_E_clIPiSD_S10_SD_EESH_SX_SI_SJ_SK_EUlSX_E0_NS1_11comp_targetILNS1_3genE3ELNS1_11target_archE908ELNS1_3gpuE7ELNS1_3repE0EEENS1_38merge_mergepath_config_static_selectorELNS0_4arch9wavefront6targetE0EEEvSJ_, .Lfunc_end897-_ZN7rocprim17ROCPRIM_400000_NS6detail17trampoline_kernelINS0_14default_configENS1_38merge_sort_block_merge_config_selectorIiiEEZZNS1_27merge_sort_block_merge_implIS3_N6thrust23THRUST_200600_302600_NS6detail15normal_iteratorINS8_10device_ptrIiEEEESD_jNS1_19radix_merge_compareILb1ELb0EiNS0_19identity_decomposerEEEEE10hipError_tT0_T1_T2_jT3_P12ihipStream_tbPNSt15iterator_traitsISI_E10value_typeEPNSO_ISJ_E10value_typeEPSK_NS1_7vsmem_tEENKUlT_SI_SJ_SK_E_clIPiSD_S10_SD_EESH_SX_SI_SJ_SK_EUlSX_E0_NS1_11comp_targetILNS1_3genE3ELNS1_11target_archE908ELNS1_3gpuE7ELNS1_3repE0EEENS1_38merge_mergepath_config_static_selectorELNS0_4arch9wavefront6targetE0EEEvSJ_
                                        ; -- End function
	.set _ZN7rocprim17ROCPRIM_400000_NS6detail17trampoline_kernelINS0_14default_configENS1_38merge_sort_block_merge_config_selectorIiiEEZZNS1_27merge_sort_block_merge_implIS3_N6thrust23THRUST_200600_302600_NS6detail15normal_iteratorINS8_10device_ptrIiEEEESD_jNS1_19radix_merge_compareILb1ELb0EiNS0_19identity_decomposerEEEEE10hipError_tT0_T1_T2_jT3_P12ihipStream_tbPNSt15iterator_traitsISI_E10value_typeEPNSO_ISJ_E10value_typeEPSK_NS1_7vsmem_tEENKUlT_SI_SJ_SK_E_clIPiSD_S10_SD_EESH_SX_SI_SJ_SK_EUlSX_E0_NS1_11comp_targetILNS1_3genE3ELNS1_11target_archE908ELNS1_3gpuE7ELNS1_3repE0EEENS1_38merge_mergepath_config_static_selectorELNS0_4arch9wavefront6targetE0EEEvSJ_.num_vgpr, 0
	.set _ZN7rocprim17ROCPRIM_400000_NS6detail17trampoline_kernelINS0_14default_configENS1_38merge_sort_block_merge_config_selectorIiiEEZZNS1_27merge_sort_block_merge_implIS3_N6thrust23THRUST_200600_302600_NS6detail15normal_iteratorINS8_10device_ptrIiEEEESD_jNS1_19radix_merge_compareILb1ELb0EiNS0_19identity_decomposerEEEEE10hipError_tT0_T1_T2_jT3_P12ihipStream_tbPNSt15iterator_traitsISI_E10value_typeEPNSO_ISJ_E10value_typeEPSK_NS1_7vsmem_tEENKUlT_SI_SJ_SK_E_clIPiSD_S10_SD_EESH_SX_SI_SJ_SK_EUlSX_E0_NS1_11comp_targetILNS1_3genE3ELNS1_11target_archE908ELNS1_3gpuE7ELNS1_3repE0EEENS1_38merge_mergepath_config_static_selectorELNS0_4arch9wavefront6targetE0EEEvSJ_.num_agpr, 0
	.set _ZN7rocprim17ROCPRIM_400000_NS6detail17trampoline_kernelINS0_14default_configENS1_38merge_sort_block_merge_config_selectorIiiEEZZNS1_27merge_sort_block_merge_implIS3_N6thrust23THRUST_200600_302600_NS6detail15normal_iteratorINS8_10device_ptrIiEEEESD_jNS1_19radix_merge_compareILb1ELb0EiNS0_19identity_decomposerEEEEE10hipError_tT0_T1_T2_jT3_P12ihipStream_tbPNSt15iterator_traitsISI_E10value_typeEPNSO_ISJ_E10value_typeEPSK_NS1_7vsmem_tEENKUlT_SI_SJ_SK_E_clIPiSD_S10_SD_EESH_SX_SI_SJ_SK_EUlSX_E0_NS1_11comp_targetILNS1_3genE3ELNS1_11target_archE908ELNS1_3gpuE7ELNS1_3repE0EEENS1_38merge_mergepath_config_static_selectorELNS0_4arch9wavefront6targetE0EEEvSJ_.numbered_sgpr, 0
	.set _ZN7rocprim17ROCPRIM_400000_NS6detail17trampoline_kernelINS0_14default_configENS1_38merge_sort_block_merge_config_selectorIiiEEZZNS1_27merge_sort_block_merge_implIS3_N6thrust23THRUST_200600_302600_NS6detail15normal_iteratorINS8_10device_ptrIiEEEESD_jNS1_19radix_merge_compareILb1ELb0EiNS0_19identity_decomposerEEEEE10hipError_tT0_T1_T2_jT3_P12ihipStream_tbPNSt15iterator_traitsISI_E10value_typeEPNSO_ISJ_E10value_typeEPSK_NS1_7vsmem_tEENKUlT_SI_SJ_SK_E_clIPiSD_S10_SD_EESH_SX_SI_SJ_SK_EUlSX_E0_NS1_11comp_targetILNS1_3genE3ELNS1_11target_archE908ELNS1_3gpuE7ELNS1_3repE0EEENS1_38merge_mergepath_config_static_selectorELNS0_4arch9wavefront6targetE0EEEvSJ_.num_named_barrier, 0
	.set _ZN7rocprim17ROCPRIM_400000_NS6detail17trampoline_kernelINS0_14default_configENS1_38merge_sort_block_merge_config_selectorIiiEEZZNS1_27merge_sort_block_merge_implIS3_N6thrust23THRUST_200600_302600_NS6detail15normal_iteratorINS8_10device_ptrIiEEEESD_jNS1_19radix_merge_compareILb1ELb0EiNS0_19identity_decomposerEEEEE10hipError_tT0_T1_T2_jT3_P12ihipStream_tbPNSt15iterator_traitsISI_E10value_typeEPNSO_ISJ_E10value_typeEPSK_NS1_7vsmem_tEENKUlT_SI_SJ_SK_E_clIPiSD_S10_SD_EESH_SX_SI_SJ_SK_EUlSX_E0_NS1_11comp_targetILNS1_3genE3ELNS1_11target_archE908ELNS1_3gpuE7ELNS1_3repE0EEENS1_38merge_mergepath_config_static_selectorELNS0_4arch9wavefront6targetE0EEEvSJ_.private_seg_size, 0
	.set _ZN7rocprim17ROCPRIM_400000_NS6detail17trampoline_kernelINS0_14default_configENS1_38merge_sort_block_merge_config_selectorIiiEEZZNS1_27merge_sort_block_merge_implIS3_N6thrust23THRUST_200600_302600_NS6detail15normal_iteratorINS8_10device_ptrIiEEEESD_jNS1_19radix_merge_compareILb1ELb0EiNS0_19identity_decomposerEEEEE10hipError_tT0_T1_T2_jT3_P12ihipStream_tbPNSt15iterator_traitsISI_E10value_typeEPNSO_ISJ_E10value_typeEPSK_NS1_7vsmem_tEENKUlT_SI_SJ_SK_E_clIPiSD_S10_SD_EESH_SX_SI_SJ_SK_EUlSX_E0_NS1_11comp_targetILNS1_3genE3ELNS1_11target_archE908ELNS1_3gpuE7ELNS1_3repE0EEENS1_38merge_mergepath_config_static_selectorELNS0_4arch9wavefront6targetE0EEEvSJ_.uses_vcc, 0
	.set _ZN7rocprim17ROCPRIM_400000_NS6detail17trampoline_kernelINS0_14default_configENS1_38merge_sort_block_merge_config_selectorIiiEEZZNS1_27merge_sort_block_merge_implIS3_N6thrust23THRUST_200600_302600_NS6detail15normal_iteratorINS8_10device_ptrIiEEEESD_jNS1_19radix_merge_compareILb1ELb0EiNS0_19identity_decomposerEEEEE10hipError_tT0_T1_T2_jT3_P12ihipStream_tbPNSt15iterator_traitsISI_E10value_typeEPNSO_ISJ_E10value_typeEPSK_NS1_7vsmem_tEENKUlT_SI_SJ_SK_E_clIPiSD_S10_SD_EESH_SX_SI_SJ_SK_EUlSX_E0_NS1_11comp_targetILNS1_3genE3ELNS1_11target_archE908ELNS1_3gpuE7ELNS1_3repE0EEENS1_38merge_mergepath_config_static_selectorELNS0_4arch9wavefront6targetE0EEEvSJ_.uses_flat_scratch, 0
	.set _ZN7rocprim17ROCPRIM_400000_NS6detail17trampoline_kernelINS0_14default_configENS1_38merge_sort_block_merge_config_selectorIiiEEZZNS1_27merge_sort_block_merge_implIS3_N6thrust23THRUST_200600_302600_NS6detail15normal_iteratorINS8_10device_ptrIiEEEESD_jNS1_19radix_merge_compareILb1ELb0EiNS0_19identity_decomposerEEEEE10hipError_tT0_T1_T2_jT3_P12ihipStream_tbPNSt15iterator_traitsISI_E10value_typeEPNSO_ISJ_E10value_typeEPSK_NS1_7vsmem_tEENKUlT_SI_SJ_SK_E_clIPiSD_S10_SD_EESH_SX_SI_SJ_SK_EUlSX_E0_NS1_11comp_targetILNS1_3genE3ELNS1_11target_archE908ELNS1_3gpuE7ELNS1_3repE0EEENS1_38merge_mergepath_config_static_selectorELNS0_4arch9wavefront6targetE0EEEvSJ_.has_dyn_sized_stack, 0
	.set _ZN7rocprim17ROCPRIM_400000_NS6detail17trampoline_kernelINS0_14default_configENS1_38merge_sort_block_merge_config_selectorIiiEEZZNS1_27merge_sort_block_merge_implIS3_N6thrust23THRUST_200600_302600_NS6detail15normal_iteratorINS8_10device_ptrIiEEEESD_jNS1_19radix_merge_compareILb1ELb0EiNS0_19identity_decomposerEEEEE10hipError_tT0_T1_T2_jT3_P12ihipStream_tbPNSt15iterator_traitsISI_E10value_typeEPNSO_ISJ_E10value_typeEPSK_NS1_7vsmem_tEENKUlT_SI_SJ_SK_E_clIPiSD_S10_SD_EESH_SX_SI_SJ_SK_EUlSX_E0_NS1_11comp_targetILNS1_3genE3ELNS1_11target_archE908ELNS1_3gpuE7ELNS1_3repE0EEENS1_38merge_mergepath_config_static_selectorELNS0_4arch9wavefront6targetE0EEEvSJ_.has_recursion, 0
	.set _ZN7rocprim17ROCPRIM_400000_NS6detail17trampoline_kernelINS0_14default_configENS1_38merge_sort_block_merge_config_selectorIiiEEZZNS1_27merge_sort_block_merge_implIS3_N6thrust23THRUST_200600_302600_NS6detail15normal_iteratorINS8_10device_ptrIiEEEESD_jNS1_19radix_merge_compareILb1ELb0EiNS0_19identity_decomposerEEEEE10hipError_tT0_T1_T2_jT3_P12ihipStream_tbPNSt15iterator_traitsISI_E10value_typeEPNSO_ISJ_E10value_typeEPSK_NS1_7vsmem_tEENKUlT_SI_SJ_SK_E_clIPiSD_S10_SD_EESH_SX_SI_SJ_SK_EUlSX_E0_NS1_11comp_targetILNS1_3genE3ELNS1_11target_archE908ELNS1_3gpuE7ELNS1_3repE0EEENS1_38merge_mergepath_config_static_selectorELNS0_4arch9wavefront6targetE0EEEvSJ_.has_indirect_call, 0
	.section	.AMDGPU.csdata,"",@progbits
; Kernel info:
; codeLenInByte = 0
; TotalNumSgprs: 0
; NumVgprs: 0
; ScratchSize: 0
; MemoryBound: 0
; FloatMode: 240
; IeeeMode: 1
; LDSByteSize: 0 bytes/workgroup (compile time only)
; SGPRBlocks: 0
; VGPRBlocks: 0
; NumSGPRsForWavesPerEU: 1
; NumVGPRsForWavesPerEU: 1
; Occupancy: 16
; WaveLimiterHint : 0
; COMPUTE_PGM_RSRC2:SCRATCH_EN: 0
; COMPUTE_PGM_RSRC2:USER_SGPR: 6
; COMPUTE_PGM_RSRC2:TRAP_HANDLER: 0
; COMPUTE_PGM_RSRC2:TGID_X_EN: 1
; COMPUTE_PGM_RSRC2:TGID_Y_EN: 0
; COMPUTE_PGM_RSRC2:TGID_Z_EN: 0
; COMPUTE_PGM_RSRC2:TIDIG_COMP_CNT: 0
	.section	.text._ZN7rocprim17ROCPRIM_400000_NS6detail17trampoline_kernelINS0_14default_configENS1_38merge_sort_block_merge_config_selectorIiiEEZZNS1_27merge_sort_block_merge_implIS3_N6thrust23THRUST_200600_302600_NS6detail15normal_iteratorINS8_10device_ptrIiEEEESD_jNS1_19radix_merge_compareILb1ELb0EiNS0_19identity_decomposerEEEEE10hipError_tT0_T1_T2_jT3_P12ihipStream_tbPNSt15iterator_traitsISI_E10value_typeEPNSO_ISJ_E10value_typeEPSK_NS1_7vsmem_tEENKUlT_SI_SJ_SK_E_clIPiSD_S10_SD_EESH_SX_SI_SJ_SK_EUlSX_E0_NS1_11comp_targetILNS1_3genE2ELNS1_11target_archE906ELNS1_3gpuE6ELNS1_3repE0EEENS1_38merge_mergepath_config_static_selectorELNS0_4arch9wavefront6targetE0EEEvSJ_,"axG",@progbits,_ZN7rocprim17ROCPRIM_400000_NS6detail17trampoline_kernelINS0_14default_configENS1_38merge_sort_block_merge_config_selectorIiiEEZZNS1_27merge_sort_block_merge_implIS3_N6thrust23THRUST_200600_302600_NS6detail15normal_iteratorINS8_10device_ptrIiEEEESD_jNS1_19radix_merge_compareILb1ELb0EiNS0_19identity_decomposerEEEEE10hipError_tT0_T1_T2_jT3_P12ihipStream_tbPNSt15iterator_traitsISI_E10value_typeEPNSO_ISJ_E10value_typeEPSK_NS1_7vsmem_tEENKUlT_SI_SJ_SK_E_clIPiSD_S10_SD_EESH_SX_SI_SJ_SK_EUlSX_E0_NS1_11comp_targetILNS1_3genE2ELNS1_11target_archE906ELNS1_3gpuE6ELNS1_3repE0EEENS1_38merge_mergepath_config_static_selectorELNS0_4arch9wavefront6targetE0EEEvSJ_,comdat
	.protected	_ZN7rocprim17ROCPRIM_400000_NS6detail17trampoline_kernelINS0_14default_configENS1_38merge_sort_block_merge_config_selectorIiiEEZZNS1_27merge_sort_block_merge_implIS3_N6thrust23THRUST_200600_302600_NS6detail15normal_iteratorINS8_10device_ptrIiEEEESD_jNS1_19radix_merge_compareILb1ELb0EiNS0_19identity_decomposerEEEEE10hipError_tT0_T1_T2_jT3_P12ihipStream_tbPNSt15iterator_traitsISI_E10value_typeEPNSO_ISJ_E10value_typeEPSK_NS1_7vsmem_tEENKUlT_SI_SJ_SK_E_clIPiSD_S10_SD_EESH_SX_SI_SJ_SK_EUlSX_E0_NS1_11comp_targetILNS1_3genE2ELNS1_11target_archE906ELNS1_3gpuE6ELNS1_3repE0EEENS1_38merge_mergepath_config_static_selectorELNS0_4arch9wavefront6targetE0EEEvSJ_ ; -- Begin function _ZN7rocprim17ROCPRIM_400000_NS6detail17trampoline_kernelINS0_14default_configENS1_38merge_sort_block_merge_config_selectorIiiEEZZNS1_27merge_sort_block_merge_implIS3_N6thrust23THRUST_200600_302600_NS6detail15normal_iteratorINS8_10device_ptrIiEEEESD_jNS1_19radix_merge_compareILb1ELb0EiNS0_19identity_decomposerEEEEE10hipError_tT0_T1_T2_jT3_P12ihipStream_tbPNSt15iterator_traitsISI_E10value_typeEPNSO_ISJ_E10value_typeEPSK_NS1_7vsmem_tEENKUlT_SI_SJ_SK_E_clIPiSD_S10_SD_EESH_SX_SI_SJ_SK_EUlSX_E0_NS1_11comp_targetILNS1_3genE2ELNS1_11target_archE906ELNS1_3gpuE6ELNS1_3repE0EEENS1_38merge_mergepath_config_static_selectorELNS0_4arch9wavefront6targetE0EEEvSJ_
	.globl	_ZN7rocprim17ROCPRIM_400000_NS6detail17trampoline_kernelINS0_14default_configENS1_38merge_sort_block_merge_config_selectorIiiEEZZNS1_27merge_sort_block_merge_implIS3_N6thrust23THRUST_200600_302600_NS6detail15normal_iteratorINS8_10device_ptrIiEEEESD_jNS1_19radix_merge_compareILb1ELb0EiNS0_19identity_decomposerEEEEE10hipError_tT0_T1_T2_jT3_P12ihipStream_tbPNSt15iterator_traitsISI_E10value_typeEPNSO_ISJ_E10value_typeEPSK_NS1_7vsmem_tEENKUlT_SI_SJ_SK_E_clIPiSD_S10_SD_EESH_SX_SI_SJ_SK_EUlSX_E0_NS1_11comp_targetILNS1_3genE2ELNS1_11target_archE906ELNS1_3gpuE6ELNS1_3repE0EEENS1_38merge_mergepath_config_static_selectorELNS0_4arch9wavefront6targetE0EEEvSJ_
	.p2align	8
	.type	_ZN7rocprim17ROCPRIM_400000_NS6detail17trampoline_kernelINS0_14default_configENS1_38merge_sort_block_merge_config_selectorIiiEEZZNS1_27merge_sort_block_merge_implIS3_N6thrust23THRUST_200600_302600_NS6detail15normal_iteratorINS8_10device_ptrIiEEEESD_jNS1_19radix_merge_compareILb1ELb0EiNS0_19identity_decomposerEEEEE10hipError_tT0_T1_T2_jT3_P12ihipStream_tbPNSt15iterator_traitsISI_E10value_typeEPNSO_ISJ_E10value_typeEPSK_NS1_7vsmem_tEENKUlT_SI_SJ_SK_E_clIPiSD_S10_SD_EESH_SX_SI_SJ_SK_EUlSX_E0_NS1_11comp_targetILNS1_3genE2ELNS1_11target_archE906ELNS1_3gpuE6ELNS1_3repE0EEENS1_38merge_mergepath_config_static_selectorELNS0_4arch9wavefront6targetE0EEEvSJ_,@function
_ZN7rocprim17ROCPRIM_400000_NS6detail17trampoline_kernelINS0_14default_configENS1_38merge_sort_block_merge_config_selectorIiiEEZZNS1_27merge_sort_block_merge_implIS3_N6thrust23THRUST_200600_302600_NS6detail15normal_iteratorINS8_10device_ptrIiEEEESD_jNS1_19radix_merge_compareILb1ELb0EiNS0_19identity_decomposerEEEEE10hipError_tT0_T1_T2_jT3_P12ihipStream_tbPNSt15iterator_traitsISI_E10value_typeEPNSO_ISJ_E10value_typeEPSK_NS1_7vsmem_tEENKUlT_SI_SJ_SK_E_clIPiSD_S10_SD_EESH_SX_SI_SJ_SK_EUlSX_E0_NS1_11comp_targetILNS1_3genE2ELNS1_11target_archE906ELNS1_3gpuE6ELNS1_3repE0EEENS1_38merge_mergepath_config_static_selectorELNS0_4arch9wavefront6targetE0EEEvSJ_: ; @_ZN7rocprim17ROCPRIM_400000_NS6detail17trampoline_kernelINS0_14default_configENS1_38merge_sort_block_merge_config_selectorIiiEEZZNS1_27merge_sort_block_merge_implIS3_N6thrust23THRUST_200600_302600_NS6detail15normal_iteratorINS8_10device_ptrIiEEEESD_jNS1_19radix_merge_compareILb1ELb0EiNS0_19identity_decomposerEEEEE10hipError_tT0_T1_T2_jT3_P12ihipStream_tbPNSt15iterator_traitsISI_E10value_typeEPNSO_ISJ_E10value_typeEPSK_NS1_7vsmem_tEENKUlT_SI_SJ_SK_E_clIPiSD_S10_SD_EESH_SX_SI_SJ_SK_EUlSX_E0_NS1_11comp_targetILNS1_3genE2ELNS1_11target_archE906ELNS1_3gpuE6ELNS1_3repE0EEENS1_38merge_mergepath_config_static_selectorELNS0_4arch9wavefront6targetE0EEEvSJ_
; %bb.0:
	.section	.rodata,"a",@progbits
	.p2align	6, 0x0
	.amdhsa_kernel _ZN7rocprim17ROCPRIM_400000_NS6detail17trampoline_kernelINS0_14default_configENS1_38merge_sort_block_merge_config_selectorIiiEEZZNS1_27merge_sort_block_merge_implIS3_N6thrust23THRUST_200600_302600_NS6detail15normal_iteratorINS8_10device_ptrIiEEEESD_jNS1_19radix_merge_compareILb1ELb0EiNS0_19identity_decomposerEEEEE10hipError_tT0_T1_T2_jT3_P12ihipStream_tbPNSt15iterator_traitsISI_E10value_typeEPNSO_ISJ_E10value_typeEPSK_NS1_7vsmem_tEENKUlT_SI_SJ_SK_E_clIPiSD_S10_SD_EESH_SX_SI_SJ_SK_EUlSX_E0_NS1_11comp_targetILNS1_3genE2ELNS1_11target_archE906ELNS1_3gpuE6ELNS1_3repE0EEENS1_38merge_mergepath_config_static_selectorELNS0_4arch9wavefront6targetE0EEEvSJ_
		.amdhsa_group_segment_fixed_size 0
		.amdhsa_private_segment_fixed_size 0
		.amdhsa_kernarg_size 64
		.amdhsa_user_sgpr_count 6
		.amdhsa_user_sgpr_private_segment_buffer 1
		.amdhsa_user_sgpr_dispatch_ptr 0
		.amdhsa_user_sgpr_queue_ptr 0
		.amdhsa_user_sgpr_kernarg_segment_ptr 1
		.amdhsa_user_sgpr_dispatch_id 0
		.amdhsa_user_sgpr_flat_scratch_init 0
		.amdhsa_user_sgpr_private_segment_size 0
		.amdhsa_wavefront_size32 1
		.amdhsa_uses_dynamic_stack 0
		.amdhsa_system_sgpr_private_segment_wavefront_offset 0
		.amdhsa_system_sgpr_workgroup_id_x 1
		.amdhsa_system_sgpr_workgroup_id_y 0
		.amdhsa_system_sgpr_workgroup_id_z 0
		.amdhsa_system_sgpr_workgroup_info 0
		.amdhsa_system_vgpr_workitem_id 0
		.amdhsa_next_free_vgpr 1
		.amdhsa_next_free_sgpr 1
		.amdhsa_reserve_vcc 0
		.amdhsa_reserve_flat_scratch 0
		.amdhsa_float_round_mode_32 0
		.amdhsa_float_round_mode_16_64 0
		.amdhsa_float_denorm_mode_32 3
		.amdhsa_float_denorm_mode_16_64 3
		.amdhsa_dx10_clamp 1
		.amdhsa_ieee_mode 1
		.amdhsa_fp16_overflow 0
		.amdhsa_workgroup_processor_mode 1
		.amdhsa_memory_ordered 1
		.amdhsa_forward_progress 1
		.amdhsa_shared_vgpr_count 0
		.amdhsa_exception_fp_ieee_invalid_op 0
		.amdhsa_exception_fp_denorm_src 0
		.amdhsa_exception_fp_ieee_div_zero 0
		.amdhsa_exception_fp_ieee_overflow 0
		.amdhsa_exception_fp_ieee_underflow 0
		.amdhsa_exception_fp_ieee_inexact 0
		.amdhsa_exception_int_div_zero 0
	.end_amdhsa_kernel
	.section	.text._ZN7rocprim17ROCPRIM_400000_NS6detail17trampoline_kernelINS0_14default_configENS1_38merge_sort_block_merge_config_selectorIiiEEZZNS1_27merge_sort_block_merge_implIS3_N6thrust23THRUST_200600_302600_NS6detail15normal_iteratorINS8_10device_ptrIiEEEESD_jNS1_19radix_merge_compareILb1ELb0EiNS0_19identity_decomposerEEEEE10hipError_tT0_T1_T2_jT3_P12ihipStream_tbPNSt15iterator_traitsISI_E10value_typeEPNSO_ISJ_E10value_typeEPSK_NS1_7vsmem_tEENKUlT_SI_SJ_SK_E_clIPiSD_S10_SD_EESH_SX_SI_SJ_SK_EUlSX_E0_NS1_11comp_targetILNS1_3genE2ELNS1_11target_archE906ELNS1_3gpuE6ELNS1_3repE0EEENS1_38merge_mergepath_config_static_selectorELNS0_4arch9wavefront6targetE0EEEvSJ_,"axG",@progbits,_ZN7rocprim17ROCPRIM_400000_NS6detail17trampoline_kernelINS0_14default_configENS1_38merge_sort_block_merge_config_selectorIiiEEZZNS1_27merge_sort_block_merge_implIS3_N6thrust23THRUST_200600_302600_NS6detail15normal_iteratorINS8_10device_ptrIiEEEESD_jNS1_19radix_merge_compareILb1ELb0EiNS0_19identity_decomposerEEEEE10hipError_tT0_T1_T2_jT3_P12ihipStream_tbPNSt15iterator_traitsISI_E10value_typeEPNSO_ISJ_E10value_typeEPSK_NS1_7vsmem_tEENKUlT_SI_SJ_SK_E_clIPiSD_S10_SD_EESH_SX_SI_SJ_SK_EUlSX_E0_NS1_11comp_targetILNS1_3genE2ELNS1_11target_archE906ELNS1_3gpuE6ELNS1_3repE0EEENS1_38merge_mergepath_config_static_selectorELNS0_4arch9wavefront6targetE0EEEvSJ_,comdat
.Lfunc_end898:
	.size	_ZN7rocprim17ROCPRIM_400000_NS6detail17trampoline_kernelINS0_14default_configENS1_38merge_sort_block_merge_config_selectorIiiEEZZNS1_27merge_sort_block_merge_implIS3_N6thrust23THRUST_200600_302600_NS6detail15normal_iteratorINS8_10device_ptrIiEEEESD_jNS1_19radix_merge_compareILb1ELb0EiNS0_19identity_decomposerEEEEE10hipError_tT0_T1_T2_jT3_P12ihipStream_tbPNSt15iterator_traitsISI_E10value_typeEPNSO_ISJ_E10value_typeEPSK_NS1_7vsmem_tEENKUlT_SI_SJ_SK_E_clIPiSD_S10_SD_EESH_SX_SI_SJ_SK_EUlSX_E0_NS1_11comp_targetILNS1_3genE2ELNS1_11target_archE906ELNS1_3gpuE6ELNS1_3repE0EEENS1_38merge_mergepath_config_static_selectorELNS0_4arch9wavefront6targetE0EEEvSJ_, .Lfunc_end898-_ZN7rocprim17ROCPRIM_400000_NS6detail17trampoline_kernelINS0_14default_configENS1_38merge_sort_block_merge_config_selectorIiiEEZZNS1_27merge_sort_block_merge_implIS3_N6thrust23THRUST_200600_302600_NS6detail15normal_iteratorINS8_10device_ptrIiEEEESD_jNS1_19radix_merge_compareILb1ELb0EiNS0_19identity_decomposerEEEEE10hipError_tT0_T1_T2_jT3_P12ihipStream_tbPNSt15iterator_traitsISI_E10value_typeEPNSO_ISJ_E10value_typeEPSK_NS1_7vsmem_tEENKUlT_SI_SJ_SK_E_clIPiSD_S10_SD_EESH_SX_SI_SJ_SK_EUlSX_E0_NS1_11comp_targetILNS1_3genE2ELNS1_11target_archE906ELNS1_3gpuE6ELNS1_3repE0EEENS1_38merge_mergepath_config_static_selectorELNS0_4arch9wavefront6targetE0EEEvSJ_
                                        ; -- End function
	.set _ZN7rocprim17ROCPRIM_400000_NS6detail17trampoline_kernelINS0_14default_configENS1_38merge_sort_block_merge_config_selectorIiiEEZZNS1_27merge_sort_block_merge_implIS3_N6thrust23THRUST_200600_302600_NS6detail15normal_iteratorINS8_10device_ptrIiEEEESD_jNS1_19radix_merge_compareILb1ELb0EiNS0_19identity_decomposerEEEEE10hipError_tT0_T1_T2_jT3_P12ihipStream_tbPNSt15iterator_traitsISI_E10value_typeEPNSO_ISJ_E10value_typeEPSK_NS1_7vsmem_tEENKUlT_SI_SJ_SK_E_clIPiSD_S10_SD_EESH_SX_SI_SJ_SK_EUlSX_E0_NS1_11comp_targetILNS1_3genE2ELNS1_11target_archE906ELNS1_3gpuE6ELNS1_3repE0EEENS1_38merge_mergepath_config_static_selectorELNS0_4arch9wavefront6targetE0EEEvSJ_.num_vgpr, 0
	.set _ZN7rocprim17ROCPRIM_400000_NS6detail17trampoline_kernelINS0_14default_configENS1_38merge_sort_block_merge_config_selectorIiiEEZZNS1_27merge_sort_block_merge_implIS3_N6thrust23THRUST_200600_302600_NS6detail15normal_iteratorINS8_10device_ptrIiEEEESD_jNS1_19radix_merge_compareILb1ELb0EiNS0_19identity_decomposerEEEEE10hipError_tT0_T1_T2_jT3_P12ihipStream_tbPNSt15iterator_traitsISI_E10value_typeEPNSO_ISJ_E10value_typeEPSK_NS1_7vsmem_tEENKUlT_SI_SJ_SK_E_clIPiSD_S10_SD_EESH_SX_SI_SJ_SK_EUlSX_E0_NS1_11comp_targetILNS1_3genE2ELNS1_11target_archE906ELNS1_3gpuE6ELNS1_3repE0EEENS1_38merge_mergepath_config_static_selectorELNS0_4arch9wavefront6targetE0EEEvSJ_.num_agpr, 0
	.set _ZN7rocprim17ROCPRIM_400000_NS6detail17trampoline_kernelINS0_14default_configENS1_38merge_sort_block_merge_config_selectorIiiEEZZNS1_27merge_sort_block_merge_implIS3_N6thrust23THRUST_200600_302600_NS6detail15normal_iteratorINS8_10device_ptrIiEEEESD_jNS1_19radix_merge_compareILb1ELb0EiNS0_19identity_decomposerEEEEE10hipError_tT0_T1_T2_jT3_P12ihipStream_tbPNSt15iterator_traitsISI_E10value_typeEPNSO_ISJ_E10value_typeEPSK_NS1_7vsmem_tEENKUlT_SI_SJ_SK_E_clIPiSD_S10_SD_EESH_SX_SI_SJ_SK_EUlSX_E0_NS1_11comp_targetILNS1_3genE2ELNS1_11target_archE906ELNS1_3gpuE6ELNS1_3repE0EEENS1_38merge_mergepath_config_static_selectorELNS0_4arch9wavefront6targetE0EEEvSJ_.numbered_sgpr, 0
	.set _ZN7rocprim17ROCPRIM_400000_NS6detail17trampoline_kernelINS0_14default_configENS1_38merge_sort_block_merge_config_selectorIiiEEZZNS1_27merge_sort_block_merge_implIS3_N6thrust23THRUST_200600_302600_NS6detail15normal_iteratorINS8_10device_ptrIiEEEESD_jNS1_19radix_merge_compareILb1ELb0EiNS0_19identity_decomposerEEEEE10hipError_tT0_T1_T2_jT3_P12ihipStream_tbPNSt15iterator_traitsISI_E10value_typeEPNSO_ISJ_E10value_typeEPSK_NS1_7vsmem_tEENKUlT_SI_SJ_SK_E_clIPiSD_S10_SD_EESH_SX_SI_SJ_SK_EUlSX_E0_NS1_11comp_targetILNS1_3genE2ELNS1_11target_archE906ELNS1_3gpuE6ELNS1_3repE0EEENS1_38merge_mergepath_config_static_selectorELNS0_4arch9wavefront6targetE0EEEvSJ_.num_named_barrier, 0
	.set _ZN7rocprim17ROCPRIM_400000_NS6detail17trampoline_kernelINS0_14default_configENS1_38merge_sort_block_merge_config_selectorIiiEEZZNS1_27merge_sort_block_merge_implIS3_N6thrust23THRUST_200600_302600_NS6detail15normal_iteratorINS8_10device_ptrIiEEEESD_jNS1_19radix_merge_compareILb1ELb0EiNS0_19identity_decomposerEEEEE10hipError_tT0_T1_T2_jT3_P12ihipStream_tbPNSt15iterator_traitsISI_E10value_typeEPNSO_ISJ_E10value_typeEPSK_NS1_7vsmem_tEENKUlT_SI_SJ_SK_E_clIPiSD_S10_SD_EESH_SX_SI_SJ_SK_EUlSX_E0_NS1_11comp_targetILNS1_3genE2ELNS1_11target_archE906ELNS1_3gpuE6ELNS1_3repE0EEENS1_38merge_mergepath_config_static_selectorELNS0_4arch9wavefront6targetE0EEEvSJ_.private_seg_size, 0
	.set _ZN7rocprim17ROCPRIM_400000_NS6detail17trampoline_kernelINS0_14default_configENS1_38merge_sort_block_merge_config_selectorIiiEEZZNS1_27merge_sort_block_merge_implIS3_N6thrust23THRUST_200600_302600_NS6detail15normal_iteratorINS8_10device_ptrIiEEEESD_jNS1_19radix_merge_compareILb1ELb0EiNS0_19identity_decomposerEEEEE10hipError_tT0_T1_T2_jT3_P12ihipStream_tbPNSt15iterator_traitsISI_E10value_typeEPNSO_ISJ_E10value_typeEPSK_NS1_7vsmem_tEENKUlT_SI_SJ_SK_E_clIPiSD_S10_SD_EESH_SX_SI_SJ_SK_EUlSX_E0_NS1_11comp_targetILNS1_3genE2ELNS1_11target_archE906ELNS1_3gpuE6ELNS1_3repE0EEENS1_38merge_mergepath_config_static_selectorELNS0_4arch9wavefront6targetE0EEEvSJ_.uses_vcc, 0
	.set _ZN7rocprim17ROCPRIM_400000_NS6detail17trampoline_kernelINS0_14default_configENS1_38merge_sort_block_merge_config_selectorIiiEEZZNS1_27merge_sort_block_merge_implIS3_N6thrust23THRUST_200600_302600_NS6detail15normal_iteratorINS8_10device_ptrIiEEEESD_jNS1_19radix_merge_compareILb1ELb0EiNS0_19identity_decomposerEEEEE10hipError_tT0_T1_T2_jT3_P12ihipStream_tbPNSt15iterator_traitsISI_E10value_typeEPNSO_ISJ_E10value_typeEPSK_NS1_7vsmem_tEENKUlT_SI_SJ_SK_E_clIPiSD_S10_SD_EESH_SX_SI_SJ_SK_EUlSX_E0_NS1_11comp_targetILNS1_3genE2ELNS1_11target_archE906ELNS1_3gpuE6ELNS1_3repE0EEENS1_38merge_mergepath_config_static_selectorELNS0_4arch9wavefront6targetE0EEEvSJ_.uses_flat_scratch, 0
	.set _ZN7rocprim17ROCPRIM_400000_NS6detail17trampoline_kernelINS0_14default_configENS1_38merge_sort_block_merge_config_selectorIiiEEZZNS1_27merge_sort_block_merge_implIS3_N6thrust23THRUST_200600_302600_NS6detail15normal_iteratorINS8_10device_ptrIiEEEESD_jNS1_19radix_merge_compareILb1ELb0EiNS0_19identity_decomposerEEEEE10hipError_tT0_T1_T2_jT3_P12ihipStream_tbPNSt15iterator_traitsISI_E10value_typeEPNSO_ISJ_E10value_typeEPSK_NS1_7vsmem_tEENKUlT_SI_SJ_SK_E_clIPiSD_S10_SD_EESH_SX_SI_SJ_SK_EUlSX_E0_NS1_11comp_targetILNS1_3genE2ELNS1_11target_archE906ELNS1_3gpuE6ELNS1_3repE0EEENS1_38merge_mergepath_config_static_selectorELNS0_4arch9wavefront6targetE0EEEvSJ_.has_dyn_sized_stack, 0
	.set _ZN7rocprim17ROCPRIM_400000_NS6detail17trampoline_kernelINS0_14default_configENS1_38merge_sort_block_merge_config_selectorIiiEEZZNS1_27merge_sort_block_merge_implIS3_N6thrust23THRUST_200600_302600_NS6detail15normal_iteratorINS8_10device_ptrIiEEEESD_jNS1_19radix_merge_compareILb1ELb0EiNS0_19identity_decomposerEEEEE10hipError_tT0_T1_T2_jT3_P12ihipStream_tbPNSt15iterator_traitsISI_E10value_typeEPNSO_ISJ_E10value_typeEPSK_NS1_7vsmem_tEENKUlT_SI_SJ_SK_E_clIPiSD_S10_SD_EESH_SX_SI_SJ_SK_EUlSX_E0_NS1_11comp_targetILNS1_3genE2ELNS1_11target_archE906ELNS1_3gpuE6ELNS1_3repE0EEENS1_38merge_mergepath_config_static_selectorELNS0_4arch9wavefront6targetE0EEEvSJ_.has_recursion, 0
	.set _ZN7rocprim17ROCPRIM_400000_NS6detail17trampoline_kernelINS0_14default_configENS1_38merge_sort_block_merge_config_selectorIiiEEZZNS1_27merge_sort_block_merge_implIS3_N6thrust23THRUST_200600_302600_NS6detail15normal_iteratorINS8_10device_ptrIiEEEESD_jNS1_19radix_merge_compareILb1ELb0EiNS0_19identity_decomposerEEEEE10hipError_tT0_T1_T2_jT3_P12ihipStream_tbPNSt15iterator_traitsISI_E10value_typeEPNSO_ISJ_E10value_typeEPSK_NS1_7vsmem_tEENKUlT_SI_SJ_SK_E_clIPiSD_S10_SD_EESH_SX_SI_SJ_SK_EUlSX_E0_NS1_11comp_targetILNS1_3genE2ELNS1_11target_archE906ELNS1_3gpuE6ELNS1_3repE0EEENS1_38merge_mergepath_config_static_selectorELNS0_4arch9wavefront6targetE0EEEvSJ_.has_indirect_call, 0
	.section	.AMDGPU.csdata,"",@progbits
; Kernel info:
; codeLenInByte = 0
; TotalNumSgprs: 0
; NumVgprs: 0
; ScratchSize: 0
; MemoryBound: 0
; FloatMode: 240
; IeeeMode: 1
; LDSByteSize: 0 bytes/workgroup (compile time only)
; SGPRBlocks: 0
; VGPRBlocks: 0
; NumSGPRsForWavesPerEU: 1
; NumVGPRsForWavesPerEU: 1
; Occupancy: 16
; WaveLimiterHint : 0
; COMPUTE_PGM_RSRC2:SCRATCH_EN: 0
; COMPUTE_PGM_RSRC2:USER_SGPR: 6
; COMPUTE_PGM_RSRC2:TRAP_HANDLER: 0
; COMPUTE_PGM_RSRC2:TGID_X_EN: 1
; COMPUTE_PGM_RSRC2:TGID_Y_EN: 0
; COMPUTE_PGM_RSRC2:TGID_Z_EN: 0
; COMPUTE_PGM_RSRC2:TIDIG_COMP_CNT: 0
	.section	.text._ZN7rocprim17ROCPRIM_400000_NS6detail17trampoline_kernelINS0_14default_configENS1_38merge_sort_block_merge_config_selectorIiiEEZZNS1_27merge_sort_block_merge_implIS3_N6thrust23THRUST_200600_302600_NS6detail15normal_iteratorINS8_10device_ptrIiEEEESD_jNS1_19radix_merge_compareILb1ELb0EiNS0_19identity_decomposerEEEEE10hipError_tT0_T1_T2_jT3_P12ihipStream_tbPNSt15iterator_traitsISI_E10value_typeEPNSO_ISJ_E10value_typeEPSK_NS1_7vsmem_tEENKUlT_SI_SJ_SK_E_clIPiSD_S10_SD_EESH_SX_SI_SJ_SK_EUlSX_E0_NS1_11comp_targetILNS1_3genE9ELNS1_11target_archE1100ELNS1_3gpuE3ELNS1_3repE0EEENS1_38merge_mergepath_config_static_selectorELNS0_4arch9wavefront6targetE0EEEvSJ_,"axG",@progbits,_ZN7rocprim17ROCPRIM_400000_NS6detail17trampoline_kernelINS0_14default_configENS1_38merge_sort_block_merge_config_selectorIiiEEZZNS1_27merge_sort_block_merge_implIS3_N6thrust23THRUST_200600_302600_NS6detail15normal_iteratorINS8_10device_ptrIiEEEESD_jNS1_19radix_merge_compareILb1ELb0EiNS0_19identity_decomposerEEEEE10hipError_tT0_T1_T2_jT3_P12ihipStream_tbPNSt15iterator_traitsISI_E10value_typeEPNSO_ISJ_E10value_typeEPSK_NS1_7vsmem_tEENKUlT_SI_SJ_SK_E_clIPiSD_S10_SD_EESH_SX_SI_SJ_SK_EUlSX_E0_NS1_11comp_targetILNS1_3genE9ELNS1_11target_archE1100ELNS1_3gpuE3ELNS1_3repE0EEENS1_38merge_mergepath_config_static_selectorELNS0_4arch9wavefront6targetE0EEEvSJ_,comdat
	.protected	_ZN7rocprim17ROCPRIM_400000_NS6detail17trampoline_kernelINS0_14default_configENS1_38merge_sort_block_merge_config_selectorIiiEEZZNS1_27merge_sort_block_merge_implIS3_N6thrust23THRUST_200600_302600_NS6detail15normal_iteratorINS8_10device_ptrIiEEEESD_jNS1_19radix_merge_compareILb1ELb0EiNS0_19identity_decomposerEEEEE10hipError_tT0_T1_T2_jT3_P12ihipStream_tbPNSt15iterator_traitsISI_E10value_typeEPNSO_ISJ_E10value_typeEPSK_NS1_7vsmem_tEENKUlT_SI_SJ_SK_E_clIPiSD_S10_SD_EESH_SX_SI_SJ_SK_EUlSX_E0_NS1_11comp_targetILNS1_3genE9ELNS1_11target_archE1100ELNS1_3gpuE3ELNS1_3repE0EEENS1_38merge_mergepath_config_static_selectorELNS0_4arch9wavefront6targetE0EEEvSJ_ ; -- Begin function _ZN7rocprim17ROCPRIM_400000_NS6detail17trampoline_kernelINS0_14default_configENS1_38merge_sort_block_merge_config_selectorIiiEEZZNS1_27merge_sort_block_merge_implIS3_N6thrust23THRUST_200600_302600_NS6detail15normal_iteratorINS8_10device_ptrIiEEEESD_jNS1_19radix_merge_compareILb1ELb0EiNS0_19identity_decomposerEEEEE10hipError_tT0_T1_T2_jT3_P12ihipStream_tbPNSt15iterator_traitsISI_E10value_typeEPNSO_ISJ_E10value_typeEPSK_NS1_7vsmem_tEENKUlT_SI_SJ_SK_E_clIPiSD_S10_SD_EESH_SX_SI_SJ_SK_EUlSX_E0_NS1_11comp_targetILNS1_3genE9ELNS1_11target_archE1100ELNS1_3gpuE3ELNS1_3repE0EEENS1_38merge_mergepath_config_static_selectorELNS0_4arch9wavefront6targetE0EEEvSJ_
	.globl	_ZN7rocprim17ROCPRIM_400000_NS6detail17trampoline_kernelINS0_14default_configENS1_38merge_sort_block_merge_config_selectorIiiEEZZNS1_27merge_sort_block_merge_implIS3_N6thrust23THRUST_200600_302600_NS6detail15normal_iteratorINS8_10device_ptrIiEEEESD_jNS1_19radix_merge_compareILb1ELb0EiNS0_19identity_decomposerEEEEE10hipError_tT0_T1_T2_jT3_P12ihipStream_tbPNSt15iterator_traitsISI_E10value_typeEPNSO_ISJ_E10value_typeEPSK_NS1_7vsmem_tEENKUlT_SI_SJ_SK_E_clIPiSD_S10_SD_EESH_SX_SI_SJ_SK_EUlSX_E0_NS1_11comp_targetILNS1_3genE9ELNS1_11target_archE1100ELNS1_3gpuE3ELNS1_3repE0EEENS1_38merge_mergepath_config_static_selectorELNS0_4arch9wavefront6targetE0EEEvSJ_
	.p2align	8
	.type	_ZN7rocprim17ROCPRIM_400000_NS6detail17trampoline_kernelINS0_14default_configENS1_38merge_sort_block_merge_config_selectorIiiEEZZNS1_27merge_sort_block_merge_implIS3_N6thrust23THRUST_200600_302600_NS6detail15normal_iteratorINS8_10device_ptrIiEEEESD_jNS1_19radix_merge_compareILb1ELb0EiNS0_19identity_decomposerEEEEE10hipError_tT0_T1_T2_jT3_P12ihipStream_tbPNSt15iterator_traitsISI_E10value_typeEPNSO_ISJ_E10value_typeEPSK_NS1_7vsmem_tEENKUlT_SI_SJ_SK_E_clIPiSD_S10_SD_EESH_SX_SI_SJ_SK_EUlSX_E0_NS1_11comp_targetILNS1_3genE9ELNS1_11target_archE1100ELNS1_3gpuE3ELNS1_3repE0EEENS1_38merge_mergepath_config_static_selectorELNS0_4arch9wavefront6targetE0EEEvSJ_,@function
_ZN7rocprim17ROCPRIM_400000_NS6detail17trampoline_kernelINS0_14default_configENS1_38merge_sort_block_merge_config_selectorIiiEEZZNS1_27merge_sort_block_merge_implIS3_N6thrust23THRUST_200600_302600_NS6detail15normal_iteratorINS8_10device_ptrIiEEEESD_jNS1_19radix_merge_compareILb1ELb0EiNS0_19identity_decomposerEEEEE10hipError_tT0_T1_T2_jT3_P12ihipStream_tbPNSt15iterator_traitsISI_E10value_typeEPNSO_ISJ_E10value_typeEPSK_NS1_7vsmem_tEENKUlT_SI_SJ_SK_E_clIPiSD_S10_SD_EESH_SX_SI_SJ_SK_EUlSX_E0_NS1_11comp_targetILNS1_3genE9ELNS1_11target_archE1100ELNS1_3gpuE3ELNS1_3repE0EEENS1_38merge_mergepath_config_static_selectorELNS0_4arch9wavefront6targetE0EEEvSJ_: ; @_ZN7rocprim17ROCPRIM_400000_NS6detail17trampoline_kernelINS0_14default_configENS1_38merge_sort_block_merge_config_selectorIiiEEZZNS1_27merge_sort_block_merge_implIS3_N6thrust23THRUST_200600_302600_NS6detail15normal_iteratorINS8_10device_ptrIiEEEESD_jNS1_19radix_merge_compareILb1ELb0EiNS0_19identity_decomposerEEEEE10hipError_tT0_T1_T2_jT3_P12ihipStream_tbPNSt15iterator_traitsISI_E10value_typeEPNSO_ISJ_E10value_typeEPSK_NS1_7vsmem_tEENKUlT_SI_SJ_SK_E_clIPiSD_S10_SD_EESH_SX_SI_SJ_SK_EUlSX_E0_NS1_11comp_targetILNS1_3genE9ELNS1_11target_archE1100ELNS1_3gpuE3ELNS1_3repE0EEENS1_38merge_mergepath_config_static_selectorELNS0_4arch9wavefront6targetE0EEEvSJ_
; %bb.0:
	.section	.rodata,"a",@progbits
	.p2align	6, 0x0
	.amdhsa_kernel _ZN7rocprim17ROCPRIM_400000_NS6detail17trampoline_kernelINS0_14default_configENS1_38merge_sort_block_merge_config_selectorIiiEEZZNS1_27merge_sort_block_merge_implIS3_N6thrust23THRUST_200600_302600_NS6detail15normal_iteratorINS8_10device_ptrIiEEEESD_jNS1_19radix_merge_compareILb1ELb0EiNS0_19identity_decomposerEEEEE10hipError_tT0_T1_T2_jT3_P12ihipStream_tbPNSt15iterator_traitsISI_E10value_typeEPNSO_ISJ_E10value_typeEPSK_NS1_7vsmem_tEENKUlT_SI_SJ_SK_E_clIPiSD_S10_SD_EESH_SX_SI_SJ_SK_EUlSX_E0_NS1_11comp_targetILNS1_3genE9ELNS1_11target_archE1100ELNS1_3gpuE3ELNS1_3repE0EEENS1_38merge_mergepath_config_static_selectorELNS0_4arch9wavefront6targetE0EEEvSJ_
		.amdhsa_group_segment_fixed_size 0
		.amdhsa_private_segment_fixed_size 0
		.amdhsa_kernarg_size 64
		.amdhsa_user_sgpr_count 6
		.amdhsa_user_sgpr_private_segment_buffer 1
		.amdhsa_user_sgpr_dispatch_ptr 0
		.amdhsa_user_sgpr_queue_ptr 0
		.amdhsa_user_sgpr_kernarg_segment_ptr 1
		.amdhsa_user_sgpr_dispatch_id 0
		.amdhsa_user_sgpr_flat_scratch_init 0
		.amdhsa_user_sgpr_private_segment_size 0
		.amdhsa_wavefront_size32 1
		.amdhsa_uses_dynamic_stack 0
		.amdhsa_system_sgpr_private_segment_wavefront_offset 0
		.amdhsa_system_sgpr_workgroup_id_x 1
		.amdhsa_system_sgpr_workgroup_id_y 0
		.amdhsa_system_sgpr_workgroup_id_z 0
		.amdhsa_system_sgpr_workgroup_info 0
		.amdhsa_system_vgpr_workitem_id 0
		.amdhsa_next_free_vgpr 1
		.amdhsa_next_free_sgpr 1
		.amdhsa_reserve_vcc 0
		.amdhsa_reserve_flat_scratch 0
		.amdhsa_float_round_mode_32 0
		.amdhsa_float_round_mode_16_64 0
		.amdhsa_float_denorm_mode_32 3
		.amdhsa_float_denorm_mode_16_64 3
		.amdhsa_dx10_clamp 1
		.amdhsa_ieee_mode 1
		.amdhsa_fp16_overflow 0
		.amdhsa_workgroup_processor_mode 1
		.amdhsa_memory_ordered 1
		.amdhsa_forward_progress 1
		.amdhsa_shared_vgpr_count 0
		.amdhsa_exception_fp_ieee_invalid_op 0
		.amdhsa_exception_fp_denorm_src 0
		.amdhsa_exception_fp_ieee_div_zero 0
		.amdhsa_exception_fp_ieee_overflow 0
		.amdhsa_exception_fp_ieee_underflow 0
		.amdhsa_exception_fp_ieee_inexact 0
		.amdhsa_exception_int_div_zero 0
	.end_amdhsa_kernel
	.section	.text._ZN7rocprim17ROCPRIM_400000_NS6detail17trampoline_kernelINS0_14default_configENS1_38merge_sort_block_merge_config_selectorIiiEEZZNS1_27merge_sort_block_merge_implIS3_N6thrust23THRUST_200600_302600_NS6detail15normal_iteratorINS8_10device_ptrIiEEEESD_jNS1_19radix_merge_compareILb1ELb0EiNS0_19identity_decomposerEEEEE10hipError_tT0_T1_T2_jT3_P12ihipStream_tbPNSt15iterator_traitsISI_E10value_typeEPNSO_ISJ_E10value_typeEPSK_NS1_7vsmem_tEENKUlT_SI_SJ_SK_E_clIPiSD_S10_SD_EESH_SX_SI_SJ_SK_EUlSX_E0_NS1_11comp_targetILNS1_3genE9ELNS1_11target_archE1100ELNS1_3gpuE3ELNS1_3repE0EEENS1_38merge_mergepath_config_static_selectorELNS0_4arch9wavefront6targetE0EEEvSJ_,"axG",@progbits,_ZN7rocprim17ROCPRIM_400000_NS6detail17trampoline_kernelINS0_14default_configENS1_38merge_sort_block_merge_config_selectorIiiEEZZNS1_27merge_sort_block_merge_implIS3_N6thrust23THRUST_200600_302600_NS6detail15normal_iteratorINS8_10device_ptrIiEEEESD_jNS1_19radix_merge_compareILb1ELb0EiNS0_19identity_decomposerEEEEE10hipError_tT0_T1_T2_jT3_P12ihipStream_tbPNSt15iterator_traitsISI_E10value_typeEPNSO_ISJ_E10value_typeEPSK_NS1_7vsmem_tEENKUlT_SI_SJ_SK_E_clIPiSD_S10_SD_EESH_SX_SI_SJ_SK_EUlSX_E0_NS1_11comp_targetILNS1_3genE9ELNS1_11target_archE1100ELNS1_3gpuE3ELNS1_3repE0EEENS1_38merge_mergepath_config_static_selectorELNS0_4arch9wavefront6targetE0EEEvSJ_,comdat
.Lfunc_end899:
	.size	_ZN7rocprim17ROCPRIM_400000_NS6detail17trampoline_kernelINS0_14default_configENS1_38merge_sort_block_merge_config_selectorIiiEEZZNS1_27merge_sort_block_merge_implIS3_N6thrust23THRUST_200600_302600_NS6detail15normal_iteratorINS8_10device_ptrIiEEEESD_jNS1_19radix_merge_compareILb1ELb0EiNS0_19identity_decomposerEEEEE10hipError_tT0_T1_T2_jT3_P12ihipStream_tbPNSt15iterator_traitsISI_E10value_typeEPNSO_ISJ_E10value_typeEPSK_NS1_7vsmem_tEENKUlT_SI_SJ_SK_E_clIPiSD_S10_SD_EESH_SX_SI_SJ_SK_EUlSX_E0_NS1_11comp_targetILNS1_3genE9ELNS1_11target_archE1100ELNS1_3gpuE3ELNS1_3repE0EEENS1_38merge_mergepath_config_static_selectorELNS0_4arch9wavefront6targetE0EEEvSJ_, .Lfunc_end899-_ZN7rocprim17ROCPRIM_400000_NS6detail17trampoline_kernelINS0_14default_configENS1_38merge_sort_block_merge_config_selectorIiiEEZZNS1_27merge_sort_block_merge_implIS3_N6thrust23THRUST_200600_302600_NS6detail15normal_iteratorINS8_10device_ptrIiEEEESD_jNS1_19radix_merge_compareILb1ELb0EiNS0_19identity_decomposerEEEEE10hipError_tT0_T1_T2_jT3_P12ihipStream_tbPNSt15iterator_traitsISI_E10value_typeEPNSO_ISJ_E10value_typeEPSK_NS1_7vsmem_tEENKUlT_SI_SJ_SK_E_clIPiSD_S10_SD_EESH_SX_SI_SJ_SK_EUlSX_E0_NS1_11comp_targetILNS1_3genE9ELNS1_11target_archE1100ELNS1_3gpuE3ELNS1_3repE0EEENS1_38merge_mergepath_config_static_selectorELNS0_4arch9wavefront6targetE0EEEvSJ_
                                        ; -- End function
	.set _ZN7rocprim17ROCPRIM_400000_NS6detail17trampoline_kernelINS0_14default_configENS1_38merge_sort_block_merge_config_selectorIiiEEZZNS1_27merge_sort_block_merge_implIS3_N6thrust23THRUST_200600_302600_NS6detail15normal_iteratorINS8_10device_ptrIiEEEESD_jNS1_19radix_merge_compareILb1ELb0EiNS0_19identity_decomposerEEEEE10hipError_tT0_T1_T2_jT3_P12ihipStream_tbPNSt15iterator_traitsISI_E10value_typeEPNSO_ISJ_E10value_typeEPSK_NS1_7vsmem_tEENKUlT_SI_SJ_SK_E_clIPiSD_S10_SD_EESH_SX_SI_SJ_SK_EUlSX_E0_NS1_11comp_targetILNS1_3genE9ELNS1_11target_archE1100ELNS1_3gpuE3ELNS1_3repE0EEENS1_38merge_mergepath_config_static_selectorELNS0_4arch9wavefront6targetE0EEEvSJ_.num_vgpr, 0
	.set _ZN7rocprim17ROCPRIM_400000_NS6detail17trampoline_kernelINS0_14default_configENS1_38merge_sort_block_merge_config_selectorIiiEEZZNS1_27merge_sort_block_merge_implIS3_N6thrust23THRUST_200600_302600_NS6detail15normal_iteratorINS8_10device_ptrIiEEEESD_jNS1_19radix_merge_compareILb1ELb0EiNS0_19identity_decomposerEEEEE10hipError_tT0_T1_T2_jT3_P12ihipStream_tbPNSt15iterator_traitsISI_E10value_typeEPNSO_ISJ_E10value_typeEPSK_NS1_7vsmem_tEENKUlT_SI_SJ_SK_E_clIPiSD_S10_SD_EESH_SX_SI_SJ_SK_EUlSX_E0_NS1_11comp_targetILNS1_3genE9ELNS1_11target_archE1100ELNS1_3gpuE3ELNS1_3repE0EEENS1_38merge_mergepath_config_static_selectorELNS0_4arch9wavefront6targetE0EEEvSJ_.num_agpr, 0
	.set _ZN7rocprim17ROCPRIM_400000_NS6detail17trampoline_kernelINS0_14default_configENS1_38merge_sort_block_merge_config_selectorIiiEEZZNS1_27merge_sort_block_merge_implIS3_N6thrust23THRUST_200600_302600_NS6detail15normal_iteratorINS8_10device_ptrIiEEEESD_jNS1_19radix_merge_compareILb1ELb0EiNS0_19identity_decomposerEEEEE10hipError_tT0_T1_T2_jT3_P12ihipStream_tbPNSt15iterator_traitsISI_E10value_typeEPNSO_ISJ_E10value_typeEPSK_NS1_7vsmem_tEENKUlT_SI_SJ_SK_E_clIPiSD_S10_SD_EESH_SX_SI_SJ_SK_EUlSX_E0_NS1_11comp_targetILNS1_3genE9ELNS1_11target_archE1100ELNS1_3gpuE3ELNS1_3repE0EEENS1_38merge_mergepath_config_static_selectorELNS0_4arch9wavefront6targetE0EEEvSJ_.numbered_sgpr, 0
	.set _ZN7rocprim17ROCPRIM_400000_NS6detail17trampoline_kernelINS0_14default_configENS1_38merge_sort_block_merge_config_selectorIiiEEZZNS1_27merge_sort_block_merge_implIS3_N6thrust23THRUST_200600_302600_NS6detail15normal_iteratorINS8_10device_ptrIiEEEESD_jNS1_19radix_merge_compareILb1ELb0EiNS0_19identity_decomposerEEEEE10hipError_tT0_T1_T2_jT3_P12ihipStream_tbPNSt15iterator_traitsISI_E10value_typeEPNSO_ISJ_E10value_typeEPSK_NS1_7vsmem_tEENKUlT_SI_SJ_SK_E_clIPiSD_S10_SD_EESH_SX_SI_SJ_SK_EUlSX_E0_NS1_11comp_targetILNS1_3genE9ELNS1_11target_archE1100ELNS1_3gpuE3ELNS1_3repE0EEENS1_38merge_mergepath_config_static_selectorELNS0_4arch9wavefront6targetE0EEEvSJ_.num_named_barrier, 0
	.set _ZN7rocprim17ROCPRIM_400000_NS6detail17trampoline_kernelINS0_14default_configENS1_38merge_sort_block_merge_config_selectorIiiEEZZNS1_27merge_sort_block_merge_implIS3_N6thrust23THRUST_200600_302600_NS6detail15normal_iteratorINS8_10device_ptrIiEEEESD_jNS1_19radix_merge_compareILb1ELb0EiNS0_19identity_decomposerEEEEE10hipError_tT0_T1_T2_jT3_P12ihipStream_tbPNSt15iterator_traitsISI_E10value_typeEPNSO_ISJ_E10value_typeEPSK_NS1_7vsmem_tEENKUlT_SI_SJ_SK_E_clIPiSD_S10_SD_EESH_SX_SI_SJ_SK_EUlSX_E0_NS1_11comp_targetILNS1_3genE9ELNS1_11target_archE1100ELNS1_3gpuE3ELNS1_3repE0EEENS1_38merge_mergepath_config_static_selectorELNS0_4arch9wavefront6targetE0EEEvSJ_.private_seg_size, 0
	.set _ZN7rocprim17ROCPRIM_400000_NS6detail17trampoline_kernelINS0_14default_configENS1_38merge_sort_block_merge_config_selectorIiiEEZZNS1_27merge_sort_block_merge_implIS3_N6thrust23THRUST_200600_302600_NS6detail15normal_iteratorINS8_10device_ptrIiEEEESD_jNS1_19radix_merge_compareILb1ELb0EiNS0_19identity_decomposerEEEEE10hipError_tT0_T1_T2_jT3_P12ihipStream_tbPNSt15iterator_traitsISI_E10value_typeEPNSO_ISJ_E10value_typeEPSK_NS1_7vsmem_tEENKUlT_SI_SJ_SK_E_clIPiSD_S10_SD_EESH_SX_SI_SJ_SK_EUlSX_E0_NS1_11comp_targetILNS1_3genE9ELNS1_11target_archE1100ELNS1_3gpuE3ELNS1_3repE0EEENS1_38merge_mergepath_config_static_selectorELNS0_4arch9wavefront6targetE0EEEvSJ_.uses_vcc, 0
	.set _ZN7rocprim17ROCPRIM_400000_NS6detail17trampoline_kernelINS0_14default_configENS1_38merge_sort_block_merge_config_selectorIiiEEZZNS1_27merge_sort_block_merge_implIS3_N6thrust23THRUST_200600_302600_NS6detail15normal_iteratorINS8_10device_ptrIiEEEESD_jNS1_19radix_merge_compareILb1ELb0EiNS0_19identity_decomposerEEEEE10hipError_tT0_T1_T2_jT3_P12ihipStream_tbPNSt15iterator_traitsISI_E10value_typeEPNSO_ISJ_E10value_typeEPSK_NS1_7vsmem_tEENKUlT_SI_SJ_SK_E_clIPiSD_S10_SD_EESH_SX_SI_SJ_SK_EUlSX_E0_NS1_11comp_targetILNS1_3genE9ELNS1_11target_archE1100ELNS1_3gpuE3ELNS1_3repE0EEENS1_38merge_mergepath_config_static_selectorELNS0_4arch9wavefront6targetE0EEEvSJ_.uses_flat_scratch, 0
	.set _ZN7rocprim17ROCPRIM_400000_NS6detail17trampoline_kernelINS0_14default_configENS1_38merge_sort_block_merge_config_selectorIiiEEZZNS1_27merge_sort_block_merge_implIS3_N6thrust23THRUST_200600_302600_NS6detail15normal_iteratorINS8_10device_ptrIiEEEESD_jNS1_19radix_merge_compareILb1ELb0EiNS0_19identity_decomposerEEEEE10hipError_tT0_T1_T2_jT3_P12ihipStream_tbPNSt15iterator_traitsISI_E10value_typeEPNSO_ISJ_E10value_typeEPSK_NS1_7vsmem_tEENKUlT_SI_SJ_SK_E_clIPiSD_S10_SD_EESH_SX_SI_SJ_SK_EUlSX_E0_NS1_11comp_targetILNS1_3genE9ELNS1_11target_archE1100ELNS1_3gpuE3ELNS1_3repE0EEENS1_38merge_mergepath_config_static_selectorELNS0_4arch9wavefront6targetE0EEEvSJ_.has_dyn_sized_stack, 0
	.set _ZN7rocprim17ROCPRIM_400000_NS6detail17trampoline_kernelINS0_14default_configENS1_38merge_sort_block_merge_config_selectorIiiEEZZNS1_27merge_sort_block_merge_implIS3_N6thrust23THRUST_200600_302600_NS6detail15normal_iteratorINS8_10device_ptrIiEEEESD_jNS1_19radix_merge_compareILb1ELb0EiNS0_19identity_decomposerEEEEE10hipError_tT0_T1_T2_jT3_P12ihipStream_tbPNSt15iterator_traitsISI_E10value_typeEPNSO_ISJ_E10value_typeEPSK_NS1_7vsmem_tEENKUlT_SI_SJ_SK_E_clIPiSD_S10_SD_EESH_SX_SI_SJ_SK_EUlSX_E0_NS1_11comp_targetILNS1_3genE9ELNS1_11target_archE1100ELNS1_3gpuE3ELNS1_3repE0EEENS1_38merge_mergepath_config_static_selectorELNS0_4arch9wavefront6targetE0EEEvSJ_.has_recursion, 0
	.set _ZN7rocprim17ROCPRIM_400000_NS6detail17trampoline_kernelINS0_14default_configENS1_38merge_sort_block_merge_config_selectorIiiEEZZNS1_27merge_sort_block_merge_implIS3_N6thrust23THRUST_200600_302600_NS6detail15normal_iteratorINS8_10device_ptrIiEEEESD_jNS1_19radix_merge_compareILb1ELb0EiNS0_19identity_decomposerEEEEE10hipError_tT0_T1_T2_jT3_P12ihipStream_tbPNSt15iterator_traitsISI_E10value_typeEPNSO_ISJ_E10value_typeEPSK_NS1_7vsmem_tEENKUlT_SI_SJ_SK_E_clIPiSD_S10_SD_EESH_SX_SI_SJ_SK_EUlSX_E0_NS1_11comp_targetILNS1_3genE9ELNS1_11target_archE1100ELNS1_3gpuE3ELNS1_3repE0EEENS1_38merge_mergepath_config_static_selectorELNS0_4arch9wavefront6targetE0EEEvSJ_.has_indirect_call, 0
	.section	.AMDGPU.csdata,"",@progbits
; Kernel info:
; codeLenInByte = 0
; TotalNumSgprs: 0
; NumVgprs: 0
; ScratchSize: 0
; MemoryBound: 0
; FloatMode: 240
; IeeeMode: 1
; LDSByteSize: 0 bytes/workgroup (compile time only)
; SGPRBlocks: 0
; VGPRBlocks: 0
; NumSGPRsForWavesPerEU: 1
; NumVGPRsForWavesPerEU: 1
; Occupancy: 16
; WaveLimiterHint : 0
; COMPUTE_PGM_RSRC2:SCRATCH_EN: 0
; COMPUTE_PGM_RSRC2:USER_SGPR: 6
; COMPUTE_PGM_RSRC2:TRAP_HANDLER: 0
; COMPUTE_PGM_RSRC2:TGID_X_EN: 1
; COMPUTE_PGM_RSRC2:TGID_Y_EN: 0
; COMPUTE_PGM_RSRC2:TGID_Z_EN: 0
; COMPUTE_PGM_RSRC2:TIDIG_COMP_CNT: 0
	.section	.text._ZN7rocprim17ROCPRIM_400000_NS6detail17trampoline_kernelINS0_14default_configENS1_38merge_sort_block_merge_config_selectorIiiEEZZNS1_27merge_sort_block_merge_implIS3_N6thrust23THRUST_200600_302600_NS6detail15normal_iteratorINS8_10device_ptrIiEEEESD_jNS1_19radix_merge_compareILb1ELb0EiNS0_19identity_decomposerEEEEE10hipError_tT0_T1_T2_jT3_P12ihipStream_tbPNSt15iterator_traitsISI_E10value_typeEPNSO_ISJ_E10value_typeEPSK_NS1_7vsmem_tEENKUlT_SI_SJ_SK_E_clIPiSD_S10_SD_EESH_SX_SI_SJ_SK_EUlSX_E0_NS1_11comp_targetILNS1_3genE8ELNS1_11target_archE1030ELNS1_3gpuE2ELNS1_3repE0EEENS1_38merge_mergepath_config_static_selectorELNS0_4arch9wavefront6targetE0EEEvSJ_,"axG",@progbits,_ZN7rocprim17ROCPRIM_400000_NS6detail17trampoline_kernelINS0_14default_configENS1_38merge_sort_block_merge_config_selectorIiiEEZZNS1_27merge_sort_block_merge_implIS3_N6thrust23THRUST_200600_302600_NS6detail15normal_iteratorINS8_10device_ptrIiEEEESD_jNS1_19radix_merge_compareILb1ELb0EiNS0_19identity_decomposerEEEEE10hipError_tT0_T1_T2_jT3_P12ihipStream_tbPNSt15iterator_traitsISI_E10value_typeEPNSO_ISJ_E10value_typeEPSK_NS1_7vsmem_tEENKUlT_SI_SJ_SK_E_clIPiSD_S10_SD_EESH_SX_SI_SJ_SK_EUlSX_E0_NS1_11comp_targetILNS1_3genE8ELNS1_11target_archE1030ELNS1_3gpuE2ELNS1_3repE0EEENS1_38merge_mergepath_config_static_selectorELNS0_4arch9wavefront6targetE0EEEvSJ_,comdat
	.protected	_ZN7rocprim17ROCPRIM_400000_NS6detail17trampoline_kernelINS0_14default_configENS1_38merge_sort_block_merge_config_selectorIiiEEZZNS1_27merge_sort_block_merge_implIS3_N6thrust23THRUST_200600_302600_NS6detail15normal_iteratorINS8_10device_ptrIiEEEESD_jNS1_19radix_merge_compareILb1ELb0EiNS0_19identity_decomposerEEEEE10hipError_tT0_T1_T2_jT3_P12ihipStream_tbPNSt15iterator_traitsISI_E10value_typeEPNSO_ISJ_E10value_typeEPSK_NS1_7vsmem_tEENKUlT_SI_SJ_SK_E_clIPiSD_S10_SD_EESH_SX_SI_SJ_SK_EUlSX_E0_NS1_11comp_targetILNS1_3genE8ELNS1_11target_archE1030ELNS1_3gpuE2ELNS1_3repE0EEENS1_38merge_mergepath_config_static_selectorELNS0_4arch9wavefront6targetE0EEEvSJ_ ; -- Begin function _ZN7rocprim17ROCPRIM_400000_NS6detail17trampoline_kernelINS0_14default_configENS1_38merge_sort_block_merge_config_selectorIiiEEZZNS1_27merge_sort_block_merge_implIS3_N6thrust23THRUST_200600_302600_NS6detail15normal_iteratorINS8_10device_ptrIiEEEESD_jNS1_19radix_merge_compareILb1ELb0EiNS0_19identity_decomposerEEEEE10hipError_tT0_T1_T2_jT3_P12ihipStream_tbPNSt15iterator_traitsISI_E10value_typeEPNSO_ISJ_E10value_typeEPSK_NS1_7vsmem_tEENKUlT_SI_SJ_SK_E_clIPiSD_S10_SD_EESH_SX_SI_SJ_SK_EUlSX_E0_NS1_11comp_targetILNS1_3genE8ELNS1_11target_archE1030ELNS1_3gpuE2ELNS1_3repE0EEENS1_38merge_mergepath_config_static_selectorELNS0_4arch9wavefront6targetE0EEEvSJ_
	.globl	_ZN7rocprim17ROCPRIM_400000_NS6detail17trampoline_kernelINS0_14default_configENS1_38merge_sort_block_merge_config_selectorIiiEEZZNS1_27merge_sort_block_merge_implIS3_N6thrust23THRUST_200600_302600_NS6detail15normal_iteratorINS8_10device_ptrIiEEEESD_jNS1_19radix_merge_compareILb1ELb0EiNS0_19identity_decomposerEEEEE10hipError_tT0_T1_T2_jT3_P12ihipStream_tbPNSt15iterator_traitsISI_E10value_typeEPNSO_ISJ_E10value_typeEPSK_NS1_7vsmem_tEENKUlT_SI_SJ_SK_E_clIPiSD_S10_SD_EESH_SX_SI_SJ_SK_EUlSX_E0_NS1_11comp_targetILNS1_3genE8ELNS1_11target_archE1030ELNS1_3gpuE2ELNS1_3repE0EEENS1_38merge_mergepath_config_static_selectorELNS0_4arch9wavefront6targetE0EEEvSJ_
	.p2align	8
	.type	_ZN7rocprim17ROCPRIM_400000_NS6detail17trampoline_kernelINS0_14default_configENS1_38merge_sort_block_merge_config_selectorIiiEEZZNS1_27merge_sort_block_merge_implIS3_N6thrust23THRUST_200600_302600_NS6detail15normal_iteratorINS8_10device_ptrIiEEEESD_jNS1_19radix_merge_compareILb1ELb0EiNS0_19identity_decomposerEEEEE10hipError_tT0_T1_T2_jT3_P12ihipStream_tbPNSt15iterator_traitsISI_E10value_typeEPNSO_ISJ_E10value_typeEPSK_NS1_7vsmem_tEENKUlT_SI_SJ_SK_E_clIPiSD_S10_SD_EESH_SX_SI_SJ_SK_EUlSX_E0_NS1_11comp_targetILNS1_3genE8ELNS1_11target_archE1030ELNS1_3gpuE2ELNS1_3repE0EEENS1_38merge_mergepath_config_static_selectorELNS0_4arch9wavefront6targetE0EEEvSJ_,@function
_ZN7rocprim17ROCPRIM_400000_NS6detail17trampoline_kernelINS0_14default_configENS1_38merge_sort_block_merge_config_selectorIiiEEZZNS1_27merge_sort_block_merge_implIS3_N6thrust23THRUST_200600_302600_NS6detail15normal_iteratorINS8_10device_ptrIiEEEESD_jNS1_19radix_merge_compareILb1ELb0EiNS0_19identity_decomposerEEEEE10hipError_tT0_T1_T2_jT3_P12ihipStream_tbPNSt15iterator_traitsISI_E10value_typeEPNSO_ISJ_E10value_typeEPSK_NS1_7vsmem_tEENKUlT_SI_SJ_SK_E_clIPiSD_S10_SD_EESH_SX_SI_SJ_SK_EUlSX_E0_NS1_11comp_targetILNS1_3genE8ELNS1_11target_archE1030ELNS1_3gpuE2ELNS1_3repE0EEENS1_38merge_mergepath_config_static_selectorELNS0_4arch9wavefront6targetE0EEEvSJ_: ; @_ZN7rocprim17ROCPRIM_400000_NS6detail17trampoline_kernelINS0_14default_configENS1_38merge_sort_block_merge_config_selectorIiiEEZZNS1_27merge_sort_block_merge_implIS3_N6thrust23THRUST_200600_302600_NS6detail15normal_iteratorINS8_10device_ptrIiEEEESD_jNS1_19radix_merge_compareILb1ELb0EiNS0_19identity_decomposerEEEEE10hipError_tT0_T1_T2_jT3_P12ihipStream_tbPNSt15iterator_traitsISI_E10value_typeEPNSO_ISJ_E10value_typeEPSK_NS1_7vsmem_tEENKUlT_SI_SJ_SK_E_clIPiSD_S10_SD_EESH_SX_SI_SJ_SK_EUlSX_E0_NS1_11comp_targetILNS1_3genE8ELNS1_11target_archE1030ELNS1_3gpuE2ELNS1_3repE0EEENS1_38merge_mergepath_config_static_selectorELNS0_4arch9wavefront6targetE0EEEvSJ_
; %bb.0:
	s_clause 0x1
	s_load_dwordx2 s[0:1], s[4:5], 0x40
	s_load_dword s2, s[4:5], 0x30
	s_waitcnt lgkmcnt(0)
	s_mul_i32 s1, s1, s8
	s_add_i32 s1, s1, s7
	s_mul_i32 s0, s1, s0
	s_add_i32 s14, s0, s6
	s_cmp_ge_u32 s14, s2
	s_cbranch_scc1 .LBB900_24
; %bb.1:
	s_clause 0x1
	s_load_dwordx2 s[10:11], s[4:5], 0x28
	s_load_dwordx2 s[0:1], s[4:5], 0x38
	s_mov_b32 s15, 0
	v_mov_b32_e32 v2, 0
                                        ; implicit-def: $vgpr3
	s_waitcnt lgkmcnt(0)
	s_lshr_b32 s2, s10, 10
	s_cmp_lg_u32 s14, s2
	s_cselect_b32 s16, -1, 0
	s_lshl_b64 s[2:3], s[14:15], 2
	s_add_u32 s0, s0, s2
	s_addc_u32 s1, s1, s3
	s_load_dwordx2 s[12:13], s[0:1], 0x0
	s_lshr_b32 s0, s11, 9
	s_and_b32 s8, s0, 0x7ffffe
	s_load_dwordx8 s[0:7], s[4:5], 0x8
	s_sub_i32 s9, 0, s8
	s_lshl_b32 s8, s14, 10
	s_and_b32 s17, s14, s9
	s_or_b32 s9, s14, s9
	s_lshl_b32 s14, s17, 11
	s_lshl_b32 s17, s17, 10
	s_add_i32 s14, s14, s11
	s_sub_i32 s18, s8, s17
	s_sub_i32 s17, s14, s17
	s_add_i32 s14, s14, s18
	s_min_u32 s18, s10, s17
	s_add_i32 s17, s17, s11
	s_waitcnt lgkmcnt(0)
	s_sub_i32 s19, s14, s12
	s_sub_i32 s20, s14, s13
	s_min_u32 s14, s10, s19
	s_addk_i32 s20, 0x400
	s_cmp_eq_u32 s9, -1
	s_cselect_b32 s9, s17, s20
	s_cselect_b32 s11, s18, s13
	s_min_u32 s9, s9, s10
	s_sub_i32 s11, s11, s12
	s_sub_i32 s17, s9, s14
	s_mov_b32 s13, s15
	s_add_i32 s9, s17, s11
	v_cmp_gt_u32_e32 vcc_lo, s9, v0
	s_or_b32 s18, s16, vcc_lo
	s_and_saveexec_b32 s19, s18
	s_xor_b32 s19, exec_lo, s19
	s_cbranch_execz .LBB900_3
; %bb.2:
	v_lshlrev_b32_e32 v1, 2, v0
	s_lshl_b64 s[20:21], s[12:13], 2
	s_add_u32 s20, s0, s20
	s_addc_u32 s21, s1, s21
	v_add_co_u32 v3, s20, s20, v1
	v_sub_co_u32 v1, vcc_lo, v0, s11
	v_add_co_ci_u32_e64 v4, null, s21, 0, s20
	s_lshl_b64 s[20:21], s[14:15], 2
	v_lshlrev_b64 v[1:2], 2, v[1:2]
	s_add_u32 s0, s0, s20
	s_addc_u32 s1, s1, s21
	v_add_co_u32 v1, s0, s0, v1
	v_add_co_ci_u32_e64 v2, null, s1, v2, s0
	v_cndmask_b32_e32 v1, v1, v3, vcc_lo
	v_cndmask_b32_e32 v2, v2, v4, vcc_lo
	global_load_dword v3, v[1:2], off
.LBB900_3:
	s_andn2_saveexec_b32 s0, s19
; %bb.4:
                                        ; implicit-def: $vgpr3
; %bb.5:
	s_or_b32 exec_lo, exec_lo, s0
	v_lshlrev_b32_e32 v1, 2, v0
                                        ; implicit-def: $vgpr2
	s_waitcnt vmcnt(0)
	ds_write_b32 v1, v3
	s_and_saveexec_b32 s1, s18
	s_cbranch_execz .LBB900_7
; %bb.6:
	v_mov_b32_e32 v5, 0
	v_sub_co_u32 v4, vcc_lo, v0, s11
	s_lshl_b64 s[12:13], s[12:13], 2
	s_add_u32 s0, s4, s12
	s_addc_u32 s12, s5, s13
	v_add_co_u32 v2, s0, s0, v1
	v_lshlrev_b64 v[4:5], 2, v[4:5]
	v_add_co_ci_u32_e64 v6, null, s12, 0, s0
	s_lshl_b64 s[12:13], s[14:15], 2
	s_add_u32 s0, s4, s12
	s_addc_u32 s4, s5, s13
	v_add_co_u32 v4, s0, s0, v4
	v_add_co_ci_u32_e64 v5, null, s4, v5, s0
	v_cndmask_b32_e32 v4, v4, v2, vcc_lo
	v_cndmask_b32_e32 v5, v5, v6, vcc_lo
	global_load_dword v2, v[4:5], off
.LBB900_7:
	s_or_b32 exec_lo, exec_lo, s1
	v_min_u32_e32 v5, s9, v0
	s_mov_b32 s0, exec_lo
	s_waitcnt vmcnt(0) lgkmcnt(0)
	s_barrier
	buffer_gl0_inv
	v_sub_nc_u32_e64 v4, v5, s17 clamp
	v_min_u32_e32 v6, s11, v5
	v_cmpx_lt_u32_e64 v4, v6
	s_cbranch_execz .LBB900_11
; %bb.8:
	v_lshlrev_b32_e32 v7, 2, v5
	s_mov_b32 s1, 0
	v_lshl_add_u32 v7, s11, 2, v7
	.p2align	6
.LBB900_9:                              ; =>This Inner Loop Header: Depth=1
	v_add_nc_u32_e32 v8, v6, v4
	v_lshrrev_b32_e32 v8, 1, v8
	v_not_b32_e32 v9, v8
	v_lshlrev_b32_e32 v10, 2, v8
	v_add_nc_u32_e32 v11, 1, v8
	v_lshl_add_u32 v9, v9, 2, v7
	ds_read_b32 v10, v10
	ds_read_b32 v9, v9
	s_waitcnt lgkmcnt(0)
	v_cmp_gt_i32_e32 vcc_lo, v9, v10
	v_cndmask_b32_e32 v6, v6, v8, vcc_lo
	v_cndmask_b32_e32 v4, v11, v4, vcc_lo
	v_cmp_ge_u32_e32 vcc_lo, v4, v6
	s_or_b32 s1, vcc_lo, s1
	s_andn2_b32 exec_lo, exec_lo, s1
	s_cbranch_execnz .LBB900_9
; %bb.10:
	s_or_b32 exec_lo, exec_lo, s1
.LBB900_11:
	s_or_b32 exec_lo, exec_lo, s0
	v_sub_nc_u32_e32 v5, v5, v4
	v_cmp_ge_u32_e32 vcc_lo, s11, v4
	v_mov_b32_e32 v6, 0
	v_add_nc_u32_e32 v5, s11, v5
	v_cmp_ge_u32_e64 s0, s9, v5
	s_or_b32 s0, vcc_lo, s0
	s_and_saveexec_b32 s4, s0
	s_cbranch_execz .LBB900_17
; %bb.12:
	v_cmp_gt_u32_e32 vcc_lo, s11, v4
                                        ; implicit-def: $vgpr3
	s_and_saveexec_b32 s0, vcc_lo
; %bb.13:
	v_lshlrev_b32_e32 v3, 2, v4
	ds_read_b32 v3, v3
; %bb.14:
	s_or_b32 exec_lo, exec_lo, s0
	v_cmp_le_u32_e64 s0, s9, v5
	s_mov_b32 s5, exec_lo
                                        ; implicit-def: $vgpr7
	v_cmpx_gt_u32_e64 s9, v5
; %bb.15:
	v_lshlrev_b32_e32 v6, 2, v5
	ds_read_b32 v7, v6
; %bb.16:
	s_or_b32 exec_lo, exec_lo, s5
	s_waitcnt lgkmcnt(0)
	v_cmp_le_i32_e64 s1, v7, v3
	s_and_b32 s1, vcc_lo, s1
	s_or_b32 vcc_lo, s0, s1
	v_cndmask_b32_e32 v6, v5, v4, vcc_lo
	v_cndmask_b32_e32 v3, v7, v3, vcc_lo
.LBB900_17:
	s_or_b32 exec_lo, exec_lo, s4
	v_lshlrev_b32_e32 v4, 2, v6
	s_barrier
	buffer_gl0_inv
	ds_write_b32 v1, v2
	s_waitcnt lgkmcnt(0)
	s_barrier
	buffer_gl0_inv
	ds_read_b32 v2, v4
	s_mov_b32 s9, 0
	s_and_b32 vcc_lo, exec_lo, s16
	s_mov_b32 s0, -1
	s_waitcnt lgkmcnt(0)
	s_barrier
	buffer_gl0_inv
	s_barrier
	buffer_gl0_inv
	ds_write_b32 v1, v3
	s_waitcnt lgkmcnt(0)
	s_cbranch_vccz .LBB900_19
; %bb.18:
	s_barrier
	buffer_gl0_inv
	ds_read_b32 v3, v1
	s_lshl_b64 s[0:1], s[8:9], 2
	s_add_u32 s4, s2, s0
	s_addc_u32 s5, s3, s1
	s_waitcnt lgkmcnt(0)
	global_store_dword v1, v3, s[4:5]
	s_waitcnt_vscnt null, 0x0
	s_barrier
	buffer_gl0_inv
	ds_write_b32 v1, v2
	s_waitcnt lgkmcnt(0)
	s_barrier
	buffer_gl0_inv
	ds_read_b32 v3, v1
	s_add_u32 s4, s6, s0
	s_addc_u32 s5, s7, s1
	s_mov_b32 s0, s9
	s_waitcnt lgkmcnt(0)
	global_store_dword v1, v3, s[4:5]
.LBB900_19:
	s_andn2_b32 vcc_lo, exec_lo, s0
	s_cbranch_vccnz .LBB900_24
; %bb.20:
	s_sub_i32 s0, s10, s8
	s_barrier
	v_cmp_gt_u32_e32 vcc_lo, s0, v0
	s_waitcnt_vscnt null, 0x0
	buffer_gl0_inv
	s_and_saveexec_b32 s0, vcc_lo
	s_cbranch_execz .LBB900_22
; %bb.21:
	ds_read_b32 v0, v1
	s_lshl_b64 s[4:5], s[8:9], 2
	s_add_u32 s2, s2, s4
	s_addc_u32 s3, s3, s5
	s_waitcnt lgkmcnt(0)
	global_store_dword v1, v0, s[2:3]
.LBB900_22:
	s_or_b32 exec_lo, exec_lo, s0
	s_waitcnt_vscnt null, 0x0
	s_barrier
	buffer_gl0_inv
	ds_write_b32 v1, v2
	s_waitcnt lgkmcnt(0)
	s_barrier
	buffer_gl0_inv
	s_and_saveexec_b32 s0, vcc_lo
	s_cbranch_execz .LBB900_24
; %bb.23:
	ds_read_b32 v0, v1
	s_lshl_b64 s[0:1], s[8:9], 2
	s_add_u32 s0, s6, s0
	s_addc_u32 s1, s7, s1
	s_waitcnt lgkmcnt(0)
	global_store_dword v1, v0, s[0:1]
.LBB900_24:
	s_endpgm
	.section	.rodata,"a",@progbits
	.p2align	6, 0x0
	.amdhsa_kernel _ZN7rocprim17ROCPRIM_400000_NS6detail17trampoline_kernelINS0_14default_configENS1_38merge_sort_block_merge_config_selectorIiiEEZZNS1_27merge_sort_block_merge_implIS3_N6thrust23THRUST_200600_302600_NS6detail15normal_iteratorINS8_10device_ptrIiEEEESD_jNS1_19radix_merge_compareILb1ELb0EiNS0_19identity_decomposerEEEEE10hipError_tT0_T1_T2_jT3_P12ihipStream_tbPNSt15iterator_traitsISI_E10value_typeEPNSO_ISJ_E10value_typeEPSK_NS1_7vsmem_tEENKUlT_SI_SJ_SK_E_clIPiSD_S10_SD_EESH_SX_SI_SJ_SK_EUlSX_E0_NS1_11comp_targetILNS1_3genE8ELNS1_11target_archE1030ELNS1_3gpuE2ELNS1_3repE0EEENS1_38merge_mergepath_config_static_selectorELNS0_4arch9wavefront6targetE0EEEvSJ_
		.amdhsa_group_segment_fixed_size 4112
		.amdhsa_private_segment_fixed_size 0
		.amdhsa_kernarg_size 320
		.amdhsa_user_sgpr_count 6
		.amdhsa_user_sgpr_private_segment_buffer 1
		.amdhsa_user_sgpr_dispatch_ptr 0
		.amdhsa_user_sgpr_queue_ptr 0
		.amdhsa_user_sgpr_kernarg_segment_ptr 1
		.amdhsa_user_sgpr_dispatch_id 0
		.amdhsa_user_sgpr_flat_scratch_init 0
		.amdhsa_user_sgpr_private_segment_size 0
		.amdhsa_wavefront_size32 1
		.amdhsa_uses_dynamic_stack 0
		.amdhsa_system_sgpr_private_segment_wavefront_offset 0
		.amdhsa_system_sgpr_workgroup_id_x 1
		.amdhsa_system_sgpr_workgroup_id_y 1
		.amdhsa_system_sgpr_workgroup_id_z 1
		.amdhsa_system_sgpr_workgroup_info 0
		.amdhsa_system_vgpr_workitem_id 0
		.amdhsa_next_free_vgpr 12
		.amdhsa_next_free_sgpr 22
		.amdhsa_reserve_vcc 1
		.amdhsa_reserve_flat_scratch 0
		.amdhsa_float_round_mode_32 0
		.amdhsa_float_round_mode_16_64 0
		.amdhsa_float_denorm_mode_32 3
		.amdhsa_float_denorm_mode_16_64 3
		.amdhsa_dx10_clamp 1
		.amdhsa_ieee_mode 1
		.amdhsa_fp16_overflow 0
		.amdhsa_workgroup_processor_mode 1
		.amdhsa_memory_ordered 1
		.amdhsa_forward_progress 1
		.amdhsa_shared_vgpr_count 0
		.amdhsa_exception_fp_ieee_invalid_op 0
		.amdhsa_exception_fp_denorm_src 0
		.amdhsa_exception_fp_ieee_div_zero 0
		.amdhsa_exception_fp_ieee_overflow 0
		.amdhsa_exception_fp_ieee_underflow 0
		.amdhsa_exception_fp_ieee_inexact 0
		.amdhsa_exception_int_div_zero 0
	.end_amdhsa_kernel
	.section	.text._ZN7rocprim17ROCPRIM_400000_NS6detail17trampoline_kernelINS0_14default_configENS1_38merge_sort_block_merge_config_selectorIiiEEZZNS1_27merge_sort_block_merge_implIS3_N6thrust23THRUST_200600_302600_NS6detail15normal_iteratorINS8_10device_ptrIiEEEESD_jNS1_19radix_merge_compareILb1ELb0EiNS0_19identity_decomposerEEEEE10hipError_tT0_T1_T2_jT3_P12ihipStream_tbPNSt15iterator_traitsISI_E10value_typeEPNSO_ISJ_E10value_typeEPSK_NS1_7vsmem_tEENKUlT_SI_SJ_SK_E_clIPiSD_S10_SD_EESH_SX_SI_SJ_SK_EUlSX_E0_NS1_11comp_targetILNS1_3genE8ELNS1_11target_archE1030ELNS1_3gpuE2ELNS1_3repE0EEENS1_38merge_mergepath_config_static_selectorELNS0_4arch9wavefront6targetE0EEEvSJ_,"axG",@progbits,_ZN7rocprim17ROCPRIM_400000_NS6detail17trampoline_kernelINS0_14default_configENS1_38merge_sort_block_merge_config_selectorIiiEEZZNS1_27merge_sort_block_merge_implIS3_N6thrust23THRUST_200600_302600_NS6detail15normal_iteratorINS8_10device_ptrIiEEEESD_jNS1_19radix_merge_compareILb1ELb0EiNS0_19identity_decomposerEEEEE10hipError_tT0_T1_T2_jT3_P12ihipStream_tbPNSt15iterator_traitsISI_E10value_typeEPNSO_ISJ_E10value_typeEPSK_NS1_7vsmem_tEENKUlT_SI_SJ_SK_E_clIPiSD_S10_SD_EESH_SX_SI_SJ_SK_EUlSX_E0_NS1_11comp_targetILNS1_3genE8ELNS1_11target_archE1030ELNS1_3gpuE2ELNS1_3repE0EEENS1_38merge_mergepath_config_static_selectorELNS0_4arch9wavefront6targetE0EEEvSJ_,comdat
.Lfunc_end900:
	.size	_ZN7rocprim17ROCPRIM_400000_NS6detail17trampoline_kernelINS0_14default_configENS1_38merge_sort_block_merge_config_selectorIiiEEZZNS1_27merge_sort_block_merge_implIS3_N6thrust23THRUST_200600_302600_NS6detail15normal_iteratorINS8_10device_ptrIiEEEESD_jNS1_19radix_merge_compareILb1ELb0EiNS0_19identity_decomposerEEEEE10hipError_tT0_T1_T2_jT3_P12ihipStream_tbPNSt15iterator_traitsISI_E10value_typeEPNSO_ISJ_E10value_typeEPSK_NS1_7vsmem_tEENKUlT_SI_SJ_SK_E_clIPiSD_S10_SD_EESH_SX_SI_SJ_SK_EUlSX_E0_NS1_11comp_targetILNS1_3genE8ELNS1_11target_archE1030ELNS1_3gpuE2ELNS1_3repE0EEENS1_38merge_mergepath_config_static_selectorELNS0_4arch9wavefront6targetE0EEEvSJ_, .Lfunc_end900-_ZN7rocprim17ROCPRIM_400000_NS6detail17trampoline_kernelINS0_14default_configENS1_38merge_sort_block_merge_config_selectorIiiEEZZNS1_27merge_sort_block_merge_implIS3_N6thrust23THRUST_200600_302600_NS6detail15normal_iteratorINS8_10device_ptrIiEEEESD_jNS1_19radix_merge_compareILb1ELb0EiNS0_19identity_decomposerEEEEE10hipError_tT0_T1_T2_jT3_P12ihipStream_tbPNSt15iterator_traitsISI_E10value_typeEPNSO_ISJ_E10value_typeEPSK_NS1_7vsmem_tEENKUlT_SI_SJ_SK_E_clIPiSD_S10_SD_EESH_SX_SI_SJ_SK_EUlSX_E0_NS1_11comp_targetILNS1_3genE8ELNS1_11target_archE1030ELNS1_3gpuE2ELNS1_3repE0EEENS1_38merge_mergepath_config_static_selectorELNS0_4arch9wavefront6targetE0EEEvSJ_
                                        ; -- End function
	.set _ZN7rocprim17ROCPRIM_400000_NS6detail17trampoline_kernelINS0_14default_configENS1_38merge_sort_block_merge_config_selectorIiiEEZZNS1_27merge_sort_block_merge_implIS3_N6thrust23THRUST_200600_302600_NS6detail15normal_iteratorINS8_10device_ptrIiEEEESD_jNS1_19radix_merge_compareILb1ELb0EiNS0_19identity_decomposerEEEEE10hipError_tT0_T1_T2_jT3_P12ihipStream_tbPNSt15iterator_traitsISI_E10value_typeEPNSO_ISJ_E10value_typeEPSK_NS1_7vsmem_tEENKUlT_SI_SJ_SK_E_clIPiSD_S10_SD_EESH_SX_SI_SJ_SK_EUlSX_E0_NS1_11comp_targetILNS1_3genE8ELNS1_11target_archE1030ELNS1_3gpuE2ELNS1_3repE0EEENS1_38merge_mergepath_config_static_selectorELNS0_4arch9wavefront6targetE0EEEvSJ_.num_vgpr, 12
	.set _ZN7rocprim17ROCPRIM_400000_NS6detail17trampoline_kernelINS0_14default_configENS1_38merge_sort_block_merge_config_selectorIiiEEZZNS1_27merge_sort_block_merge_implIS3_N6thrust23THRUST_200600_302600_NS6detail15normal_iteratorINS8_10device_ptrIiEEEESD_jNS1_19radix_merge_compareILb1ELb0EiNS0_19identity_decomposerEEEEE10hipError_tT0_T1_T2_jT3_P12ihipStream_tbPNSt15iterator_traitsISI_E10value_typeEPNSO_ISJ_E10value_typeEPSK_NS1_7vsmem_tEENKUlT_SI_SJ_SK_E_clIPiSD_S10_SD_EESH_SX_SI_SJ_SK_EUlSX_E0_NS1_11comp_targetILNS1_3genE8ELNS1_11target_archE1030ELNS1_3gpuE2ELNS1_3repE0EEENS1_38merge_mergepath_config_static_selectorELNS0_4arch9wavefront6targetE0EEEvSJ_.num_agpr, 0
	.set _ZN7rocprim17ROCPRIM_400000_NS6detail17trampoline_kernelINS0_14default_configENS1_38merge_sort_block_merge_config_selectorIiiEEZZNS1_27merge_sort_block_merge_implIS3_N6thrust23THRUST_200600_302600_NS6detail15normal_iteratorINS8_10device_ptrIiEEEESD_jNS1_19radix_merge_compareILb1ELb0EiNS0_19identity_decomposerEEEEE10hipError_tT0_T1_T2_jT3_P12ihipStream_tbPNSt15iterator_traitsISI_E10value_typeEPNSO_ISJ_E10value_typeEPSK_NS1_7vsmem_tEENKUlT_SI_SJ_SK_E_clIPiSD_S10_SD_EESH_SX_SI_SJ_SK_EUlSX_E0_NS1_11comp_targetILNS1_3genE8ELNS1_11target_archE1030ELNS1_3gpuE2ELNS1_3repE0EEENS1_38merge_mergepath_config_static_selectorELNS0_4arch9wavefront6targetE0EEEvSJ_.numbered_sgpr, 22
	.set _ZN7rocprim17ROCPRIM_400000_NS6detail17trampoline_kernelINS0_14default_configENS1_38merge_sort_block_merge_config_selectorIiiEEZZNS1_27merge_sort_block_merge_implIS3_N6thrust23THRUST_200600_302600_NS6detail15normal_iteratorINS8_10device_ptrIiEEEESD_jNS1_19radix_merge_compareILb1ELb0EiNS0_19identity_decomposerEEEEE10hipError_tT0_T1_T2_jT3_P12ihipStream_tbPNSt15iterator_traitsISI_E10value_typeEPNSO_ISJ_E10value_typeEPSK_NS1_7vsmem_tEENKUlT_SI_SJ_SK_E_clIPiSD_S10_SD_EESH_SX_SI_SJ_SK_EUlSX_E0_NS1_11comp_targetILNS1_3genE8ELNS1_11target_archE1030ELNS1_3gpuE2ELNS1_3repE0EEENS1_38merge_mergepath_config_static_selectorELNS0_4arch9wavefront6targetE0EEEvSJ_.num_named_barrier, 0
	.set _ZN7rocprim17ROCPRIM_400000_NS6detail17trampoline_kernelINS0_14default_configENS1_38merge_sort_block_merge_config_selectorIiiEEZZNS1_27merge_sort_block_merge_implIS3_N6thrust23THRUST_200600_302600_NS6detail15normal_iteratorINS8_10device_ptrIiEEEESD_jNS1_19radix_merge_compareILb1ELb0EiNS0_19identity_decomposerEEEEE10hipError_tT0_T1_T2_jT3_P12ihipStream_tbPNSt15iterator_traitsISI_E10value_typeEPNSO_ISJ_E10value_typeEPSK_NS1_7vsmem_tEENKUlT_SI_SJ_SK_E_clIPiSD_S10_SD_EESH_SX_SI_SJ_SK_EUlSX_E0_NS1_11comp_targetILNS1_3genE8ELNS1_11target_archE1030ELNS1_3gpuE2ELNS1_3repE0EEENS1_38merge_mergepath_config_static_selectorELNS0_4arch9wavefront6targetE0EEEvSJ_.private_seg_size, 0
	.set _ZN7rocprim17ROCPRIM_400000_NS6detail17trampoline_kernelINS0_14default_configENS1_38merge_sort_block_merge_config_selectorIiiEEZZNS1_27merge_sort_block_merge_implIS3_N6thrust23THRUST_200600_302600_NS6detail15normal_iteratorINS8_10device_ptrIiEEEESD_jNS1_19radix_merge_compareILb1ELb0EiNS0_19identity_decomposerEEEEE10hipError_tT0_T1_T2_jT3_P12ihipStream_tbPNSt15iterator_traitsISI_E10value_typeEPNSO_ISJ_E10value_typeEPSK_NS1_7vsmem_tEENKUlT_SI_SJ_SK_E_clIPiSD_S10_SD_EESH_SX_SI_SJ_SK_EUlSX_E0_NS1_11comp_targetILNS1_3genE8ELNS1_11target_archE1030ELNS1_3gpuE2ELNS1_3repE0EEENS1_38merge_mergepath_config_static_selectorELNS0_4arch9wavefront6targetE0EEEvSJ_.uses_vcc, 1
	.set _ZN7rocprim17ROCPRIM_400000_NS6detail17trampoline_kernelINS0_14default_configENS1_38merge_sort_block_merge_config_selectorIiiEEZZNS1_27merge_sort_block_merge_implIS3_N6thrust23THRUST_200600_302600_NS6detail15normal_iteratorINS8_10device_ptrIiEEEESD_jNS1_19radix_merge_compareILb1ELb0EiNS0_19identity_decomposerEEEEE10hipError_tT0_T1_T2_jT3_P12ihipStream_tbPNSt15iterator_traitsISI_E10value_typeEPNSO_ISJ_E10value_typeEPSK_NS1_7vsmem_tEENKUlT_SI_SJ_SK_E_clIPiSD_S10_SD_EESH_SX_SI_SJ_SK_EUlSX_E0_NS1_11comp_targetILNS1_3genE8ELNS1_11target_archE1030ELNS1_3gpuE2ELNS1_3repE0EEENS1_38merge_mergepath_config_static_selectorELNS0_4arch9wavefront6targetE0EEEvSJ_.uses_flat_scratch, 0
	.set _ZN7rocprim17ROCPRIM_400000_NS6detail17trampoline_kernelINS0_14default_configENS1_38merge_sort_block_merge_config_selectorIiiEEZZNS1_27merge_sort_block_merge_implIS3_N6thrust23THRUST_200600_302600_NS6detail15normal_iteratorINS8_10device_ptrIiEEEESD_jNS1_19radix_merge_compareILb1ELb0EiNS0_19identity_decomposerEEEEE10hipError_tT0_T1_T2_jT3_P12ihipStream_tbPNSt15iterator_traitsISI_E10value_typeEPNSO_ISJ_E10value_typeEPSK_NS1_7vsmem_tEENKUlT_SI_SJ_SK_E_clIPiSD_S10_SD_EESH_SX_SI_SJ_SK_EUlSX_E0_NS1_11comp_targetILNS1_3genE8ELNS1_11target_archE1030ELNS1_3gpuE2ELNS1_3repE0EEENS1_38merge_mergepath_config_static_selectorELNS0_4arch9wavefront6targetE0EEEvSJ_.has_dyn_sized_stack, 0
	.set _ZN7rocprim17ROCPRIM_400000_NS6detail17trampoline_kernelINS0_14default_configENS1_38merge_sort_block_merge_config_selectorIiiEEZZNS1_27merge_sort_block_merge_implIS3_N6thrust23THRUST_200600_302600_NS6detail15normal_iteratorINS8_10device_ptrIiEEEESD_jNS1_19radix_merge_compareILb1ELb0EiNS0_19identity_decomposerEEEEE10hipError_tT0_T1_T2_jT3_P12ihipStream_tbPNSt15iterator_traitsISI_E10value_typeEPNSO_ISJ_E10value_typeEPSK_NS1_7vsmem_tEENKUlT_SI_SJ_SK_E_clIPiSD_S10_SD_EESH_SX_SI_SJ_SK_EUlSX_E0_NS1_11comp_targetILNS1_3genE8ELNS1_11target_archE1030ELNS1_3gpuE2ELNS1_3repE0EEENS1_38merge_mergepath_config_static_selectorELNS0_4arch9wavefront6targetE0EEEvSJ_.has_recursion, 0
	.set _ZN7rocprim17ROCPRIM_400000_NS6detail17trampoline_kernelINS0_14default_configENS1_38merge_sort_block_merge_config_selectorIiiEEZZNS1_27merge_sort_block_merge_implIS3_N6thrust23THRUST_200600_302600_NS6detail15normal_iteratorINS8_10device_ptrIiEEEESD_jNS1_19radix_merge_compareILb1ELb0EiNS0_19identity_decomposerEEEEE10hipError_tT0_T1_T2_jT3_P12ihipStream_tbPNSt15iterator_traitsISI_E10value_typeEPNSO_ISJ_E10value_typeEPSK_NS1_7vsmem_tEENKUlT_SI_SJ_SK_E_clIPiSD_S10_SD_EESH_SX_SI_SJ_SK_EUlSX_E0_NS1_11comp_targetILNS1_3genE8ELNS1_11target_archE1030ELNS1_3gpuE2ELNS1_3repE0EEENS1_38merge_mergepath_config_static_selectorELNS0_4arch9wavefront6targetE0EEEvSJ_.has_indirect_call, 0
	.section	.AMDGPU.csdata,"",@progbits
; Kernel info:
; codeLenInByte = 1168
; TotalNumSgprs: 24
; NumVgprs: 12
; ScratchSize: 0
; MemoryBound: 0
; FloatMode: 240
; IeeeMode: 1
; LDSByteSize: 4112 bytes/workgroup (compile time only)
; SGPRBlocks: 0
; VGPRBlocks: 1
; NumSGPRsForWavesPerEU: 24
; NumVGPRsForWavesPerEU: 12
; Occupancy: 16
; WaveLimiterHint : 1
; COMPUTE_PGM_RSRC2:SCRATCH_EN: 0
; COMPUTE_PGM_RSRC2:USER_SGPR: 6
; COMPUTE_PGM_RSRC2:TRAP_HANDLER: 0
; COMPUTE_PGM_RSRC2:TGID_X_EN: 1
; COMPUTE_PGM_RSRC2:TGID_Y_EN: 1
; COMPUTE_PGM_RSRC2:TGID_Z_EN: 1
; COMPUTE_PGM_RSRC2:TIDIG_COMP_CNT: 0
	.section	.text._ZN7rocprim17ROCPRIM_400000_NS6detail17trampoline_kernelINS0_14default_configENS1_38merge_sort_block_merge_config_selectorIiiEEZZNS1_27merge_sort_block_merge_implIS3_N6thrust23THRUST_200600_302600_NS6detail15normal_iteratorINS8_10device_ptrIiEEEESD_jNS1_19radix_merge_compareILb1ELb0EiNS0_19identity_decomposerEEEEE10hipError_tT0_T1_T2_jT3_P12ihipStream_tbPNSt15iterator_traitsISI_E10value_typeEPNSO_ISJ_E10value_typeEPSK_NS1_7vsmem_tEENKUlT_SI_SJ_SK_E_clIPiSD_S10_SD_EESH_SX_SI_SJ_SK_EUlSX_E1_NS1_11comp_targetILNS1_3genE0ELNS1_11target_archE4294967295ELNS1_3gpuE0ELNS1_3repE0EEENS1_36merge_oddeven_config_static_selectorELNS0_4arch9wavefront6targetE0EEEvSJ_,"axG",@progbits,_ZN7rocprim17ROCPRIM_400000_NS6detail17trampoline_kernelINS0_14default_configENS1_38merge_sort_block_merge_config_selectorIiiEEZZNS1_27merge_sort_block_merge_implIS3_N6thrust23THRUST_200600_302600_NS6detail15normal_iteratorINS8_10device_ptrIiEEEESD_jNS1_19radix_merge_compareILb1ELb0EiNS0_19identity_decomposerEEEEE10hipError_tT0_T1_T2_jT3_P12ihipStream_tbPNSt15iterator_traitsISI_E10value_typeEPNSO_ISJ_E10value_typeEPSK_NS1_7vsmem_tEENKUlT_SI_SJ_SK_E_clIPiSD_S10_SD_EESH_SX_SI_SJ_SK_EUlSX_E1_NS1_11comp_targetILNS1_3genE0ELNS1_11target_archE4294967295ELNS1_3gpuE0ELNS1_3repE0EEENS1_36merge_oddeven_config_static_selectorELNS0_4arch9wavefront6targetE0EEEvSJ_,comdat
	.protected	_ZN7rocprim17ROCPRIM_400000_NS6detail17trampoline_kernelINS0_14default_configENS1_38merge_sort_block_merge_config_selectorIiiEEZZNS1_27merge_sort_block_merge_implIS3_N6thrust23THRUST_200600_302600_NS6detail15normal_iteratorINS8_10device_ptrIiEEEESD_jNS1_19radix_merge_compareILb1ELb0EiNS0_19identity_decomposerEEEEE10hipError_tT0_T1_T2_jT3_P12ihipStream_tbPNSt15iterator_traitsISI_E10value_typeEPNSO_ISJ_E10value_typeEPSK_NS1_7vsmem_tEENKUlT_SI_SJ_SK_E_clIPiSD_S10_SD_EESH_SX_SI_SJ_SK_EUlSX_E1_NS1_11comp_targetILNS1_3genE0ELNS1_11target_archE4294967295ELNS1_3gpuE0ELNS1_3repE0EEENS1_36merge_oddeven_config_static_selectorELNS0_4arch9wavefront6targetE0EEEvSJ_ ; -- Begin function _ZN7rocprim17ROCPRIM_400000_NS6detail17trampoline_kernelINS0_14default_configENS1_38merge_sort_block_merge_config_selectorIiiEEZZNS1_27merge_sort_block_merge_implIS3_N6thrust23THRUST_200600_302600_NS6detail15normal_iteratorINS8_10device_ptrIiEEEESD_jNS1_19radix_merge_compareILb1ELb0EiNS0_19identity_decomposerEEEEE10hipError_tT0_T1_T2_jT3_P12ihipStream_tbPNSt15iterator_traitsISI_E10value_typeEPNSO_ISJ_E10value_typeEPSK_NS1_7vsmem_tEENKUlT_SI_SJ_SK_E_clIPiSD_S10_SD_EESH_SX_SI_SJ_SK_EUlSX_E1_NS1_11comp_targetILNS1_3genE0ELNS1_11target_archE4294967295ELNS1_3gpuE0ELNS1_3repE0EEENS1_36merge_oddeven_config_static_selectorELNS0_4arch9wavefront6targetE0EEEvSJ_
	.globl	_ZN7rocprim17ROCPRIM_400000_NS6detail17trampoline_kernelINS0_14default_configENS1_38merge_sort_block_merge_config_selectorIiiEEZZNS1_27merge_sort_block_merge_implIS3_N6thrust23THRUST_200600_302600_NS6detail15normal_iteratorINS8_10device_ptrIiEEEESD_jNS1_19radix_merge_compareILb1ELb0EiNS0_19identity_decomposerEEEEE10hipError_tT0_T1_T2_jT3_P12ihipStream_tbPNSt15iterator_traitsISI_E10value_typeEPNSO_ISJ_E10value_typeEPSK_NS1_7vsmem_tEENKUlT_SI_SJ_SK_E_clIPiSD_S10_SD_EESH_SX_SI_SJ_SK_EUlSX_E1_NS1_11comp_targetILNS1_3genE0ELNS1_11target_archE4294967295ELNS1_3gpuE0ELNS1_3repE0EEENS1_36merge_oddeven_config_static_selectorELNS0_4arch9wavefront6targetE0EEEvSJ_
	.p2align	8
	.type	_ZN7rocprim17ROCPRIM_400000_NS6detail17trampoline_kernelINS0_14default_configENS1_38merge_sort_block_merge_config_selectorIiiEEZZNS1_27merge_sort_block_merge_implIS3_N6thrust23THRUST_200600_302600_NS6detail15normal_iteratorINS8_10device_ptrIiEEEESD_jNS1_19radix_merge_compareILb1ELb0EiNS0_19identity_decomposerEEEEE10hipError_tT0_T1_T2_jT3_P12ihipStream_tbPNSt15iterator_traitsISI_E10value_typeEPNSO_ISJ_E10value_typeEPSK_NS1_7vsmem_tEENKUlT_SI_SJ_SK_E_clIPiSD_S10_SD_EESH_SX_SI_SJ_SK_EUlSX_E1_NS1_11comp_targetILNS1_3genE0ELNS1_11target_archE4294967295ELNS1_3gpuE0ELNS1_3repE0EEENS1_36merge_oddeven_config_static_selectorELNS0_4arch9wavefront6targetE0EEEvSJ_,@function
_ZN7rocprim17ROCPRIM_400000_NS6detail17trampoline_kernelINS0_14default_configENS1_38merge_sort_block_merge_config_selectorIiiEEZZNS1_27merge_sort_block_merge_implIS3_N6thrust23THRUST_200600_302600_NS6detail15normal_iteratorINS8_10device_ptrIiEEEESD_jNS1_19radix_merge_compareILb1ELb0EiNS0_19identity_decomposerEEEEE10hipError_tT0_T1_T2_jT3_P12ihipStream_tbPNSt15iterator_traitsISI_E10value_typeEPNSO_ISJ_E10value_typeEPSK_NS1_7vsmem_tEENKUlT_SI_SJ_SK_E_clIPiSD_S10_SD_EESH_SX_SI_SJ_SK_EUlSX_E1_NS1_11comp_targetILNS1_3genE0ELNS1_11target_archE4294967295ELNS1_3gpuE0ELNS1_3repE0EEENS1_36merge_oddeven_config_static_selectorELNS0_4arch9wavefront6targetE0EEEvSJ_: ; @_ZN7rocprim17ROCPRIM_400000_NS6detail17trampoline_kernelINS0_14default_configENS1_38merge_sort_block_merge_config_selectorIiiEEZZNS1_27merge_sort_block_merge_implIS3_N6thrust23THRUST_200600_302600_NS6detail15normal_iteratorINS8_10device_ptrIiEEEESD_jNS1_19radix_merge_compareILb1ELb0EiNS0_19identity_decomposerEEEEE10hipError_tT0_T1_T2_jT3_P12ihipStream_tbPNSt15iterator_traitsISI_E10value_typeEPNSO_ISJ_E10value_typeEPSK_NS1_7vsmem_tEENKUlT_SI_SJ_SK_E_clIPiSD_S10_SD_EESH_SX_SI_SJ_SK_EUlSX_E1_NS1_11comp_targetILNS1_3genE0ELNS1_11target_archE4294967295ELNS1_3gpuE0ELNS1_3repE0EEENS1_36merge_oddeven_config_static_selectorELNS0_4arch9wavefront6targetE0EEEvSJ_
; %bb.0:
	.section	.rodata,"a",@progbits
	.p2align	6, 0x0
	.amdhsa_kernel _ZN7rocprim17ROCPRIM_400000_NS6detail17trampoline_kernelINS0_14default_configENS1_38merge_sort_block_merge_config_selectorIiiEEZZNS1_27merge_sort_block_merge_implIS3_N6thrust23THRUST_200600_302600_NS6detail15normal_iteratorINS8_10device_ptrIiEEEESD_jNS1_19radix_merge_compareILb1ELb0EiNS0_19identity_decomposerEEEEE10hipError_tT0_T1_T2_jT3_P12ihipStream_tbPNSt15iterator_traitsISI_E10value_typeEPNSO_ISJ_E10value_typeEPSK_NS1_7vsmem_tEENKUlT_SI_SJ_SK_E_clIPiSD_S10_SD_EESH_SX_SI_SJ_SK_EUlSX_E1_NS1_11comp_targetILNS1_3genE0ELNS1_11target_archE4294967295ELNS1_3gpuE0ELNS1_3repE0EEENS1_36merge_oddeven_config_static_selectorELNS0_4arch9wavefront6targetE0EEEvSJ_
		.amdhsa_group_segment_fixed_size 0
		.amdhsa_private_segment_fixed_size 0
		.amdhsa_kernarg_size 48
		.amdhsa_user_sgpr_count 6
		.amdhsa_user_sgpr_private_segment_buffer 1
		.amdhsa_user_sgpr_dispatch_ptr 0
		.amdhsa_user_sgpr_queue_ptr 0
		.amdhsa_user_sgpr_kernarg_segment_ptr 1
		.amdhsa_user_sgpr_dispatch_id 0
		.amdhsa_user_sgpr_flat_scratch_init 0
		.amdhsa_user_sgpr_private_segment_size 0
		.amdhsa_wavefront_size32 1
		.amdhsa_uses_dynamic_stack 0
		.amdhsa_system_sgpr_private_segment_wavefront_offset 0
		.amdhsa_system_sgpr_workgroup_id_x 1
		.amdhsa_system_sgpr_workgroup_id_y 0
		.amdhsa_system_sgpr_workgroup_id_z 0
		.amdhsa_system_sgpr_workgroup_info 0
		.amdhsa_system_vgpr_workitem_id 0
		.amdhsa_next_free_vgpr 1
		.amdhsa_next_free_sgpr 1
		.amdhsa_reserve_vcc 0
		.amdhsa_reserve_flat_scratch 0
		.amdhsa_float_round_mode_32 0
		.amdhsa_float_round_mode_16_64 0
		.amdhsa_float_denorm_mode_32 3
		.amdhsa_float_denorm_mode_16_64 3
		.amdhsa_dx10_clamp 1
		.amdhsa_ieee_mode 1
		.amdhsa_fp16_overflow 0
		.amdhsa_workgroup_processor_mode 1
		.amdhsa_memory_ordered 1
		.amdhsa_forward_progress 1
		.amdhsa_shared_vgpr_count 0
		.amdhsa_exception_fp_ieee_invalid_op 0
		.amdhsa_exception_fp_denorm_src 0
		.amdhsa_exception_fp_ieee_div_zero 0
		.amdhsa_exception_fp_ieee_overflow 0
		.amdhsa_exception_fp_ieee_underflow 0
		.amdhsa_exception_fp_ieee_inexact 0
		.amdhsa_exception_int_div_zero 0
	.end_amdhsa_kernel
	.section	.text._ZN7rocprim17ROCPRIM_400000_NS6detail17trampoline_kernelINS0_14default_configENS1_38merge_sort_block_merge_config_selectorIiiEEZZNS1_27merge_sort_block_merge_implIS3_N6thrust23THRUST_200600_302600_NS6detail15normal_iteratorINS8_10device_ptrIiEEEESD_jNS1_19radix_merge_compareILb1ELb0EiNS0_19identity_decomposerEEEEE10hipError_tT0_T1_T2_jT3_P12ihipStream_tbPNSt15iterator_traitsISI_E10value_typeEPNSO_ISJ_E10value_typeEPSK_NS1_7vsmem_tEENKUlT_SI_SJ_SK_E_clIPiSD_S10_SD_EESH_SX_SI_SJ_SK_EUlSX_E1_NS1_11comp_targetILNS1_3genE0ELNS1_11target_archE4294967295ELNS1_3gpuE0ELNS1_3repE0EEENS1_36merge_oddeven_config_static_selectorELNS0_4arch9wavefront6targetE0EEEvSJ_,"axG",@progbits,_ZN7rocprim17ROCPRIM_400000_NS6detail17trampoline_kernelINS0_14default_configENS1_38merge_sort_block_merge_config_selectorIiiEEZZNS1_27merge_sort_block_merge_implIS3_N6thrust23THRUST_200600_302600_NS6detail15normal_iteratorINS8_10device_ptrIiEEEESD_jNS1_19radix_merge_compareILb1ELb0EiNS0_19identity_decomposerEEEEE10hipError_tT0_T1_T2_jT3_P12ihipStream_tbPNSt15iterator_traitsISI_E10value_typeEPNSO_ISJ_E10value_typeEPSK_NS1_7vsmem_tEENKUlT_SI_SJ_SK_E_clIPiSD_S10_SD_EESH_SX_SI_SJ_SK_EUlSX_E1_NS1_11comp_targetILNS1_3genE0ELNS1_11target_archE4294967295ELNS1_3gpuE0ELNS1_3repE0EEENS1_36merge_oddeven_config_static_selectorELNS0_4arch9wavefront6targetE0EEEvSJ_,comdat
.Lfunc_end901:
	.size	_ZN7rocprim17ROCPRIM_400000_NS6detail17trampoline_kernelINS0_14default_configENS1_38merge_sort_block_merge_config_selectorIiiEEZZNS1_27merge_sort_block_merge_implIS3_N6thrust23THRUST_200600_302600_NS6detail15normal_iteratorINS8_10device_ptrIiEEEESD_jNS1_19radix_merge_compareILb1ELb0EiNS0_19identity_decomposerEEEEE10hipError_tT0_T1_T2_jT3_P12ihipStream_tbPNSt15iterator_traitsISI_E10value_typeEPNSO_ISJ_E10value_typeEPSK_NS1_7vsmem_tEENKUlT_SI_SJ_SK_E_clIPiSD_S10_SD_EESH_SX_SI_SJ_SK_EUlSX_E1_NS1_11comp_targetILNS1_3genE0ELNS1_11target_archE4294967295ELNS1_3gpuE0ELNS1_3repE0EEENS1_36merge_oddeven_config_static_selectorELNS0_4arch9wavefront6targetE0EEEvSJ_, .Lfunc_end901-_ZN7rocprim17ROCPRIM_400000_NS6detail17trampoline_kernelINS0_14default_configENS1_38merge_sort_block_merge_config_selectorIiiEEZZNS1_27merge_sort_block_merge_implIS3_N6thrust23THRUST_200600_302600_NS6detail15normal_iteratorINS8_10device_ptrIiEEEESD_jNS1_19radix_merge_compareILb1ELb0EiNS0_19identity_decomposerEEEEE10hipError_tT0_T1_T2_jT3_P12ihipStream_tbPNSt15iterator_traitsISI_E10value_typeEPNSO_ISJ_E10value_typeEPSK_NS1_7vsmem_tEENKUlT_SI_SJ_SK_E_clIPiSD_S10_SD_EESH_SX_SI_SJ_SK_EUlSX_E1_NS1_11comp_targetILNS1_3genE0ELNS1_11target_archE4294967295ELNS1_3gpuE0ELNS1_3repE0EEENS1_36merge_oddeven_config_static_selectorELNS0_4arch9wavefront6targetE0EEEvSJ_
                                        ; -- End function
	.set _ZN7rocprim17ROCPRIM_400000_NS6detail17trampoline_kernelINS0_14default_configENS1_38merge_sort_block_merge_config_selectorIiiEEZZNS1_27merge_sort_block_merge_implIS3_N6thrust23THRUST_200600_302600_NS6detail15normal_iteratorINS8_10device_ptrIiEEEESD_jNS1_19radix_merge_compareILb1ELb0EiNS0_19identity_decomposerEEEEE10hipError_tT0_T1_T2_jT3_P12ihipStream_tbPNSt15iterator_traitsISI_E10value_typeEPNSO_ISJ_E10value_typeEPSK_NS1_7vsmem_tEENKUlT_SI_SJ_SK_E_clIPiSD_S10_SD_EESH_SX_SI_SJ_SK_EUlSX_E1_NS1_11comp_targetILNS1_3genE0ELNS1_11target_archE4294967295ELNS1_3gpuE0ELNS1_3repE0EEENS1_36merge_oddeven_config_static_selectorELNS0_4arch9wavefront6targetE0EEEvSJ_.num_vgpr, 0
	.set _ZN7rocprim17ROCPRIM_400000_NS6detail17trampoline_kernelINS0_14default_configENS1_38merge_sort_block_merge_config_selectorIiiEEZZNS1_27merge_sort_block_merge_implIS3_N6thrust23THRUST_200600_302600_NS6detail15normal_iteratorINS8_10device_ptrIiEEEESD_jNS1_19radix_merge_compareILb1ELb0EiNS0_19identity_decomposerEEEEE10hipError_tT0_T1_T2_jT3_P12ihipStream_tbPNSt15iterator_traitsISI_E10value_typeEPNSO_ISJ_E10value_typeEPSK_NS1_7vsmem_tEENKUlT_SI_SJ_SK_E_clIPiSD_S10_SD_EESH_SX_SI_SJ_SK_EUlSX_E1_NS1_11comp_targetILNS1_3genE0ELNS1_11target_archE4294967295ELNS1_3gpuE0ELNS1_3repE0EEENS1_36merge_oddeven_config_static_selectorELNS0_4arch9wavefront6targetE0EEEvSJ_.num_agpr, 0
	.set _ZN7rocprim17ROCPRIM_400000_NS6detail17trampoline_kernelINS0_14default_configENS1_38merge_sort_block_merge_config_selectorIiiEEZZNS1_27merge_sort_block_merge_implIS3_N6thrust23THRUST_200600_302600_NS6detail15normal_iteratorINS8_10device_ptrIiEEEESD_jNS1_19radix_merge_compareILb1ELb0EiNS0_19identity_decomposerEEEEE10hipError_tT0_T1_T2_jT3_P12ihipStream_tbPNSt15iterator_traitsISI_E10value_typeEPNSO_ISJ_E10value_typeEPSK_NS1_7vsmem_tEENKUlT_SI_SJ_SK_E_clIPiSD_S10_SD_EESH_SX_SI_SJ_SK_EUlSX_E1_NS1_11comp_targetILNS1_3genE0ELNS1_11target_archE4294967295ELNS1_3gpuE0ELNS1_3repE0EEENS1_36merge_oddeven_config_static_selectorELNS0_4arch9wavefront6targetE0EEEvSJ_.numbered_sgpr, 0
	.set _ZN7rocprim17ROCPRIM_400000_NS6detail17trampoline_kernelINS0_14default_configENS1_38merge_sort_block_merge_config_selectorIiiEEZZNS1_27merge_sort_block_merge_implIS3_N6thrust23THRUST_200600_302600_NS6detail15normal_iteratorINS8_10device_ptrIiEEEESD_jNS1_19radix_merge_compareILb1ELb0EiNS0_19identity_decomposerEEEEE10hipError_tT0_T1_T2_jT3_P12ihipStream_tbPNSt15iterator_traitsISI_E10value_typeEPNSO_ISJ_E10value_typeEPSK_NS1_7vsmem_tEENKUlT_SI_SJ_SK_E_clIPiSD_S10_SD_EESH_SX_SI_SJ_SK_EUlSX_E1_NS1_11comp_targetILNS1_3genE0ELNS1_11target_archE4294967295ELNS1_3gpuE0ELNS1_3repE0EEENS1_36merge_oddeven_config_static_selectorELNS0_4arch9wavefront6targetE0EEEvSJ_.num_named_barrier, 0
	.set _ZN7rocprim17ROCPRIM_400000_NS6detail17trampoline_kernelINS0_14default_configENS1_38merge_sort_block_merge_config_selectorIiiEEZZNS1_27merge_sort_block_merge_implIS3_N6thrust23THRUST_200600_302600_NS6detail15normal_iteratorINS8_10device_ptrIiEEEESD_jNS1_19radix_merge_compareILb1ELb0EiNS0_19identity_decomposerEEEEE10hipError_tT0_T1_T2_jT3_P12ihipStream_tbPNSt15iterator_traitsISI_E10value_typeEPNSO_ISJ_E10value_typeEPSK_NS1_7vsmem_tEENKUlT_SI_SJ_SK_E_clIPiSD_S10_SD_EESH_SX_SI_SJ_SK_EUlSX_E1_NS1_11comp_targetILNS1_3genE0ELNS1_11target_archE4294967295ELNS1_3gpuE0ELNS1_3repE0EEENS1_36merge_oddeven_config_static_selectorELNS0_4arch9wavefront6targetE0EEEvSJ_.private_seg_size, 0
	.set _ZN7rocprim17ROCPRIM_400000_NS6detail17trampoline_kernelINS0_14default_configENS1_38merge_sort_block_merge_config_selectorIiiEEZZNS1_27merge_sort_block_merge_implIS3_N6thrust23THRUST_200600_302600_NS6detail15normal_iteratorINS8_10device_ptrIiEEEESD_jNS1_19radix_merge_compareILb1ELb0EiNS0_19identity_decomposerEEEEE10hipError_tT0_T1_T2_jT3_P12ihipStream_tbPNSt15iterator_traitsISI_E10value_typeEPNSO_ISJ_E10value_typeEPSK_NS1_7vsmem_tEENKUlT_SI_SJ_SK_E_clIPiSD_S10_SD_EESH_SX_SI_SJ_SK_EUlSX_E1_NS1_11comp_targetILNS1_3genE0ELNS1_11target_archE4294967295ELNS1_3gpuE0ELNS1_3repE0EEENS1_36merge_oddeven_config_static_selectorELNS0_4arch9wavefront6targetE0EEEvSJ_.uses_vcc, 0
	.set _ZN7rocprim17ROCPRIM_400000_NS6detail17trampoline_kernelINS0_14default_configENS1_38merge_sort_block_merge_config_selectorIiiEEZZNS1_27merge_sort_block_merge_implIS3_N6thrust23THRUST_200600_302600_NS6detail15normal_iteratorINS8_10device_ptrIiEEEESD_jNS1_19radix_merge_compareILb1ELb0EiNS0_19identity_decomposerEEEEE10hipError_tT0_T1_T2_jT3_P12ihipStream_tbPNSt15iterator_traitsISI_E10value_typeEPNSO_ISJ_E10value_typeEPSK_NS1_7vsmem_tEENKUlT_SI_SJ_SK_E_clIPiSD_S10_SD_EESH_SX_SI_SJ_SK_EUlSX_E1_NS1_11comp_targetILNS1_3genE0ELNS1_11target_archE4294967295ELNS1_3gpuE0ELNS1_3repE0EEENS1_36merge_oddeven_config_static_selectorELNS0_4arch9wavefront6targetE0EEEvSJ_.uses_flat_scratch, 0
	.set _ZN7rocprim17ROCPRIM_400000_NS6detail17trampoline_kernelINS0_14default_configENS1_38merge_sort_block_merge_config_selectorIiiEEZZNS1_27merge_sort_block_merge_implIS3_N6thrust23THRUST_200600_302600_NS6detail15normal_iteratorINS8_10device_ptrIiEEEESD_jNS1_19radix_merge_compareILb1ELb0EiNS0_19identity_decomposerEEEEE10hipError_tT0_T1_T2_jT3_P12ihipStream_tbPNSt15iterator_traitsISI_E10value_typeEPNSO_ISJ_E10value_typeEPSK_NS1_7vsmem_tEENKUlT_SI_SJ_SK_E_clIPiSD_S10_SD_EESH_SX_SI_SJ_SK_EUlSX_E1_NS1_11comp_targetILNS1_3genE0ELNS1_11target_archE4294967295ELNS1_3gpuE0ELNS1_3repE0EEENS1_36merge_oddeven_config_static_selectorELNS0_4arch9wavefront6targetE0EEEvSJ_.has_dyn_sized_stack, 0
	.set _ZN7rocprim17ROCPRIM_400000_NS6detail17trampoline_kernelINS0_14default_configENS1_38merge_sort_block_merge_config_selectorIiiEEZZNS1_27merge_sort_block_merge_implIS3_N6thrust23THRUST_200600_302600_NS6detail15normal_iteratorINS8_10device_ptrIiEEEESD_jNS1_19radix_merge_compareILb1ELb0EiNS0_19identity_decomposerEEEEE10hipError_tT0_T1_T2_jT3_P12ihipStream_tbPNSt15iterator_traitsISI_E10value_typeEPNSO_ISJ_E10value_typeEPSK_NS1_7vsmem_tEENKUlT_SI_SJ_SK_E_clIPiSD_S10_SD_EESH_SX_SI_SJ_SK_EUlSX_E1_NS1_11comp_targetILNS1_3genE0ELNS1_11target_archE4294967295ELNS1_3gpuE0ELNS1_3repE0EEENS1_36merge_oddeven_config_static_selectorELNS0_4arch9wavefront6targetE0EEEvSJ_.has_recursion, 0
	.set _ZN7rocprim17ROCPRIM_400000_NS6detail17trampoline_kernelINS0_14default_configENS1_38merge_sort_block_merge_config_selectorIiiEEZZNS1_27merge_sort_block_merge_implIS3_N6thrust23THRUST_200600_302600_NS6detail15normal_iteratorINS8_10device_ptrIiEEEESD_jNS1_19radix_merge_compareILb1ELb0EiNS0_19identity_decomposerEEEEE10hipError_tT0_T1_T2_jT3_P12ihipStream_tbPNSt15iterator_traitsISI_E10value_typeEPNSO_ISJ_E10value_typeEPSK_NS1_7vsmem_tEENKUlT_SI_SJ_SK_E_clIPiSD_S10_SD_EESH_SX_SI_SJ_SK_EUlSX_E1_NS1_11comp_targetILNS1_3genE0ELNS1_11target_archE4294967295ELNS1_3gpuE0ELNS1_3repE0EEENS1_36merge_oddeven_config_static_selectorELNS0_4arch9wavefront6targetE0EEEvSJ_.has_indirect_call, 0
	.section	.AMDGPU.csdata,"",@progbits
; Kernel info:
; codeLenInByte = 0
; TotalNumSgprs: 0
; NumVgprs: 0
; ScratchSize: 0
; MemoryBound: 0
; FloatMode: 240
; IeeeMode: 1
; LDSByteSize: 0 bytes/workgroup (compile time only)
; SGPRBlocks: 0
; VGPRBlocks: 0
; NumSGPRsForWavesPerEU: 1
; NumVGPRsForWavesPerEU: 1
; Occupancy: 16
; WaveLimiterHint : 0
; COMPUTE_PGM_RSRC2:SCRATCH_EN: 0
; COMPUTE_PGM_RSRC2:USER_SGPR: 6
; COMPUTE_PGM_RSRC2:TRAP_HANDLER: 0
; COMPUTE_PGM_RSRC2:TGID_X_EN: 1
; COMPUTE_PGM_RSRC2:TGID_Y_EN: 0
; COMPUTE_PGM_RSRC2:TGID_Z_EN: 0
; COMPUTE_PGM_RSRC2:TIDIG_COMP_CNT: 0
	.section	.text._ZN7rocprim17ROCPRIM_400000_NS6detail17trampoline_kernelINS0_14default_configENS1_38merge_sort_block_merge_config_selectorIiiEEZZNS1_27merge_sort_block_merge_implIS3_N6thrust23THRUST_200600_302600_NS6detail15normal_iteratorINS8_10device_ptrIiEEEESD_jNS1_19radix_merge_compareILb1ELb0EiNS0_19identity_decomposerEEEEE10hipError_tT0_T1_T2_jT3_P12ihipStream_tbPNSt15iterator_traitsISI_E10value_typeEPNSO_ISJ_E10value_typeEPSK_NS1_7vsmem_tEENKUlT_SI_SJ_SK_E_clIPiSD_S10_SD_EESH_SX_SI_SJ_SK_EUlSX_E1_NS1_11comp_targetILNS1_3genE10ELNS1_11target_archE1201ELNS1_3gpuE5ELNS1_3repE0EEENS1_36merge_oddeven_config_static_selectorELNS0_4arch9wavefront6targetE0EEEvSJ_,"axG",@progbits,_ZN7rocprim17ROCPRIM_400000_NS6detail17trampoline_kernelINS0_14default_configENS1_38merge_sort_block_merge_config_selectorIiiEEZZNS1_27merge_sort_block_merge_implIS3_N6thrust23THRUST_200600_302600_NS6detail15normal_iteratorINS8_10device_ptrIiEEEESD_jNS1_19radix_merge_compareILb1ELb0EiNS0_19identity_decomposerEEEEE10hipError_tT0_T1_T2_jT3_P12ihipStream_tbPNSt15iterator_traitsISI_E10value_typeEPNSO_ISJ_E10value_typeEPSK_NS1_7vsmem_tEENKUlT_SI_SJ_SK_E_clIPiSD_S10_SD_EESH_SX_SI_SJ_SK_EUlSX_E1_NS1_11comp_targetILNS1_3genE10ELNS1_11target_archE1201ELNS1_3gpuE5ELNS1_3repE0EEENS1_36merge_oddeven_config_static_selectorELNS0_4arch9wavefront6targetE0EEEvSJ_,comdat
	.protected	_ZN7rocprim17ROCPRIM_400000_NS6detail17trampoline_kernelINS0_14default_configENS1_38merge_sort_block_merge_config_selectorIiiEEZZNS1_27merge_sort_block_merge_implIS3_N6thrust23THRUST_200600_302600_NS6detail15normal_iteratorINS8_10device_ptrIiEEEESD_jNS1_19radix_merge_compareILb1ELb0EiNS0_19identity_decomposerEEEEE10hipError_tT0_T1_T2_jT3_P12ihipStream_tbPNSt15iterator_traitsISI_E10value_typeEPNSO_ISJ_E10value_typeEPSK_NS1_7vsmem_tEENKUlT_SI_SJ_SK_E_clIPiSD_S10_SD_EESH_SX_SI_SJ_SK_EUlSX_E1_NS1_11comp_targetILNS1_3genE10ELNS1_11target_archE1201ELNS1_3gpuE5ELNS1_3repE0EEENS1_36merge_oddeven_config_static_selectorELNS0_4arch9wavefront6targetE0EEEvSJ_ ; -- Begin function _ZN7rocprim17ROCPRIM_400000_NS6detail17trampoline_kernelINS0_14default_configENS1_38merge_sort_block_merge_config_selectorIiiEEZZNS1_27merge_sort_block_merge_implIS3_N6thrust23THRUST_200600_302600_NS6detail15normal_iteratorINS8_10device_ptrIiEEEESD_jNS1_19radix_merge_compareILb1ELb0EiNS0_19identity_decomposerEEEEE10hipError_tT0_T1_T2_jT3_P12ihipStream_tbPNSt15iterator_traitsISI_E10value_typeEPNSO_ISJ_E10value_typeEPSK_NS1_7vsmem_tEENKUlT_SI_SJ_SK_E_clIPiSD_S10_SD_EESH_SX_SI_SJ_SK_EUlSX_E1_NS1_11comp_targetILNS1_3genE10ELNS1_11target_archE1201ELNS1_3gpuE5ELNS1_3repE0EEENS1_36merge_oddeven_config_static_selectorELNS0_4arch9wavefront6targetE0EEEvSJ_
	.globl	_ZN7rocprim17ROCPRIM_400000_NS6detail17trampoline_kernelINS0_14default_configENS1_38merge_sort_block_merge_config_selectorIiiEEZZNS1_27merge_sort_block_merge_implIS3_N6thrust23THRUST_200600_302600_NS6detail15normal_iteratorINS8_10device_ptrIiEEEESD_jNS1_19radix_merge_compareILb1ELb0EiNS0_19identity_decomposerEEEEE10hipError_tT0_T1_T2_jT3_P12ihipStream_tbPNSt15iterator_traitsISI_E10value_typeEPNSO_ISJ_E10value_typeEPSK_NS1_7vsmem_tEENKUlT_SI_SJ_SK_E_clIPiSD_S10_SD_EESH_SX_SI_SJ_SK_EUlSX_E1_NS1_11comp_targetILNS1_3genE10ELNS1_11target_archE1201ELNS1_3gpuE5ELNS1_3repE0EEENS1_36merge_oddeven_config_static_selectorELNS0_4arch9wavefront6targetE0EEEvSJ_
	.p2align	8
	.type	_ZN7rocprim17ROCPRIM_400000_NS6detail17trampoline_kernelINS0_14default_configENS1_38merge_sort_block_merge_config_selectorIiiEEZZNS1_27merge_sort_block_merge_implIS3_N6thrust23THRUST_200600_302600_NS6detail15normal_iteratorINS8_10device_ptrIiEEEESD_jNS1_19radix_merge_compareILb1ELb0EiNS0_19identity_decomposerEEEEE10hipError_tT0_T1_T2_jT3_P12ihipStream_tbPNSt15iterator_traitsISI_E10value_typeEPNSO_ISJ_E10value_typeEPSK_NS1_7vsmem_tEENKUlT_SI_SJ_SK_E_clIPiSD_S10_SD_EESH_SX_SI_SJ_SK_EUlSX_E1_NS1_11comp_targetILNS1_3genE10ELNS1_11target_archE1201ELNS1_3gpuE5ELNS1_3repE0EEENS1_36merge_oddeven_config_static_selectorELNS0_4arch9wavefront6targetE0EEEvSJ_,@function
_ZN7rocprim17ROCPRIM_400000_NS6detail17trampoline_kernelINS0_14default_configENS1_38merge_sort_block_merge_config_selectorIiiEEZZNS1_27merge_sort_block_merge_implIS3_N6thrust23THRUST_200600_302600_NS6detail15normal_iteratorINS8_10device_ptrIiEEEESD_jNS1_19radix_merge_compareILb1ELb0EiNS0_19identity_decomposerEEEEE10hipError_tT0_T1_T2_jT3_P12ihipStream_tbPNSt15iterator_traitsISI_E10value_typeEPNSO_ISJ_E10value_typeEPSK_NS1_7vsmem_tEENKUlT_SI_SJ_SK_E_clIPiSD_S10_SD_EESH_SX_SI_SJ_SK_EUlSX_E1_NS1_11comp_targetILNS1_3genE10ELNS1_11target_archE1201ELNS1_3gpuE5ELNS1_3repE0EEENS1_36merge_oddeven_config_static_selectorELNS0_4arch9wavefront6targetE0EEEvSJ_: ; @_ZN7rocprim17ROCPRIM_400000_NS6detail17trampoline_kernelINS0_14default_configENS1_38merge_sort_block_merge_config_selectorIiiEEZZNS1_27merge_sort_block_merge_implIS3_N6thrust23THRUST_200600_302600_NS6detail15normal_iteratorINS8_10device_ptrIiEEEESD_jNS1_19radix_merge_compareILb1ELb0EiNS0_19identity_decomposerEEEEE10hipError_tT0_T1_T2_jT3_P12ihipStream_tbPNSt15iterator_traitsISI_E10value_typeEPNSO_ISJ_E10value_typeEPSK_NS1_7vsmem_tEENKUlT_SI_SJ_SK_E_clIPiSD_S10_SD_EESH_SX_SI_SJ_SK_EUlSX_E1_NS1_11comp_targetILNS1_3genE10ELNS1_11target_archE1201ELNS1_3gpuE5ELNS1_3repE0EEENS1_36merge_oddeven_config_static_selectorELNS0_4arch9wavefront6targetE0EEEvSJ_
; %bb.0:
	.section	.rodata,"a",@progbits
	.p2align	6, 0x0
	.amdhsa_kernel _ZN7rocprim17ROCPRIM_400000_NS6detail17trampoline_kernelINS0_14default_configENS1_38merge_sort_block_merge_config_selectorIiiEEZZNS1_27merge_sort_block_merge_implIS3_N6thrust23THRUST_200600_302600_NS6detail15normal_iteratorINS8_10device_ptrIiEEEESD_jNS1_19radix_merge_compareILb1ELb0EiNS0_19identity_decomposerEEEEE10hipError_tT0_T1_T2_jT3_P12ihipStream_tbPNSt15iterator_traitsISI_E10value_typeEPNSO_ISJ_E10value_typeEPSK_NS1_7vsmem_tEENKUlT_SI_SJ_SK_E_clIPiSD_S10_SD_EESH_SX_SI_SJ_SK_EUlSX_E1_NS1_11comp_targetILNS1_3genE10ELNS1_11target_archE1201ELNS1_3gpuE5ELNS1_3repE0EEENS1_36merge_oddeven_config_static_selectorELNS0_4arch9wavefront6targetE0EEEvSJ_
		.amdhsa_group_segment_fixed_size 0
		.amdhsa_private_segment_fixed_size 0
		.amdhsa_kernarg_size 48
		.amdhsa_user_sgpr_count 6
		.amdhsa_user_sgpr_private_segment_buffer 1
		.amdhsa_user_sgpr_dispatch_ptr 0
		.amdhsa_user_sgpr_queue_ptr 0
		.amdhsa_user_sgpr_kernarg_segment_ptr 1
		.amdhsa_user_sgpr_dispatch_id 0
		.amdhsa_user_sgpr_flat_scratch_init 0
		.amdhsa_user_sgpr_private_segment_size 0
		.amdhsa_wavefront_size32 1
		.amdhsa_uses_dynamic_stack 0
		.amdhsa_system_sgpr_private_segment_wavefront_offset 0
		.amdhsa_system_sgpr_workgroup_id_x 1
		.amdhsa_system_sgpr_workgroup_id_y 0
		.amdhsa_system_sgpr_workgroup_id_z 0
		.amdhsa_system_sgpr_workgroup_info 0
		.amdhsa_system_vgpr_workitem_id 0
		.amdhsa_next_free_vgpr 1
		.amdhsa_next_free_sgpr 1
		.amdhsa_reserve_vcc 0
		.amdhsa_reserve_flat_scratch 0
		.amdhsa_float_round_mode_32 0
		.amdhsa_float_round_mode_16_64 0
		.amdhsa_float_denorm_mode_32 3
		.amdhsa_float_denorm_mode_16_64 3
		.amdhsa_dx10_clamp 1
		.amdhsa_ieee_mode 1
		.amdhsa_fp16_overflow 0
		.amdhsa_workgroup_processor_mode 1
		.amdhsa_memory_ordered 1
		.amdhsa_forward_progress 1
		.amdhsa_shared_vgpr_count 0
		.amdhsa_exception_fp_ieee_invalid_op 0
		.amdhsa_exception_fp_denorm_src 0
		.amdhsa_exception_fp_ieee_div_zero 0
		.amdhsa_exception_fp_ieee_overflow 0
		.amdhsa_exception_fp_ieee_underflow 0
		.amdhsa_exception_fp_ieee_inexact 0
		.amdhsa_exception_int_div_zero 0
	.end_amdhsa_kernel
	.section	.text._ZN7rocprim17ROCPRIM_400000_NS6detail17trampoline_kernelINS0_14default_configENS1_38merge_sort_block_merge_config_selectorIiiEEZZNS1_27merge_sort_block_merge_implIS3_N6thrust23THRUST_200600_302600_NS6detail15normal_iteratorINS8_10device_ptrIiEEEESD_jNS1_19radix_merge_compareILb1ELb0EiNS0_19identity_decomposerEEEEE10hipError_tT0_T1_T2_jT3_P12ihipStream_tbPNSt15iterator_traitsISI_E10value_typeEPNSO_ISJ_E10value_typeEPSK_NS1_7vsmem_tEENKUlT_SI_SJ_SK_E_clIPiSD_S10_SD_EESH_SX_SI_SJ_SK_EUlSX_E1_NS1_11comp_targetILNS1_3genE10ELNS1_11target_archE1201ELNS1_3gpuE5ELNS1_3repE0EEENS1_36merge_oddeven_config_static_selectorELNS0_4arch9wavefront6targetE0EEEvSJ_,"axG",@progbits,_ZN7rocprim17ROCPRIM_400000_NS6detail17trampoline_kernelINS0_14default_configENS1_38merge_sort_block_merge_config_selectorIiiEEZZNS1_27merge_sort_block_merge_implIS3_N6thrust23THRUST_200600_302600_NS6detail15normal_iteratorINS8_10device_ptrIiEEEESD_jNS1_19radix_merge_compareILb1ELb0EiNS0_19identity_decomposerEEEEE10hipError_tT0_T1_T2_jT3_P12ihipStream_tbPNSt15iterator_traitsISI_E10value_typeEPNSO_ISJ_E10value_typeEPSK_NS1_7vsmem_tEENKUlT_SI_SJ_SK_E_clIPiSD_S10_SD_EESH_SX_SI_SJ_SK_EUlSX_E1_NS1_11comp_targetILNS1_3genE10ELNS1_11target_archE1201ELNS1_3gpuE5ELNS1_3repE0EEENS1_36merge_oddeven_config_static_selectorELNS0_4arch9wavefront6targetE0EEEvSJ_,comdat
.Lfunc_end902:
	.size	_ZN7rocprim17ROCPRIM_400000_NS6detail17trampoline_kernelINS0_14default_configENS1_38merge_sort_block_merge_config_selectorIiiEEZZNS1_27merge_sort_block_merge_implIS3_N6thrust23THRUST_200600_302600_NS6detail15normal_iteratorINS8_10device_ptrIiEEEESD_jNS1_19radix_merge_compareILb1ELb0EiNS0_19identity_decomposerEEEEE10hipError_tT0_T1_T2_jT3_P12ihipStream_tbPNSt15iterator_traitsISI_E10value_typeEPNSO_ISJ_E10value_typeEPSK_NS1_7vsmem_tEENKUlT_SI_SJ_SK_E_clIPiSD_S10_SD_EESH_SX_SI_SJ_SK_EUlSX_E1_NS1_11comp_targetILNS1_3genE10ELNS1_11target_archE1201ELNS1_3gpuE5ELNS1_3repE0EEENS1_36merge_oddeven_config_static_selectorELNS0_4arch9wavefront6targetE0EEEvSJ_, .Lfunc_end902-_ZN7rocprim17ROCPRIM_400000_NS6detail17trampoline_kernelINS0_14default_configENS1_38merge_sort_block_merge_config_selectorIiiEEZZNS1_27merge_sort_block_merge_implIS3_N6thrust23THRUST_200600_302600_NS6detail15normal_iteratorINS8_10device_ptrIiEEEESD_jNS1_19radix_merge_compareILb1ELb0EiNS0_19identity_decomposerEEEEE10hipError_tT0_T1_T2_jT3_P12ihipStream_tbPNSt15iterator_traitsISI_E10value_typeEPNSO_ISJ_E10value_typeEPSK_NS1_7vsmem_tEENKUlT_SI_SJ_SK_E_clIPiSD_S10_SD_EESH_SX_SI_SJ_SK_EUlSX_E1_NS1_11comp_targetILNS1_3genE10ELNS1_11target_archE1201ELNS1_3gpuE5ELNS1_3repE0EEENS1_36merge_oddeven_config_static_selectorELNS0_4arch9wavefront6targetE0EEEvSJ_
                                        ; -- End function
	.set _ZN7rocprim17ROCPRIM_400000_NS6detail17trampoline_kernelINS0_14default_configENS1_38merge_sort_block_merge_config_selectorIiiEEZZNS1_27merge_sort_block_merge_implIS3_N6thrust23THRUST_200600_302600_NS6detail15normal_iteratorINS8_10device_ptrIiEEEESD_jNS1_19radix_merge_compareILb1ELb0EiNS0_19identity_decomposerEEEEE10hipError_tT0_T1_T2_jT3_P12ihipStream_tbPNSt15iterator_traitsISI_E10value_typeEPNSO_ISJ_E10value_typeEPSK_NS1_7vsmem_tEENKUlT_SI_SJ_SK_E_clIPiSD_S10_SD_EESH_SX_SI_SJ_SK_EUlSX_E1_NS1_11comp_targetILNS1_3genE10ELNS1_11target_archE1201ELNS1_3gpuE5ELNS1_3repE0EEENS1_36merge_oddeven_config_static_selectorELNS0_4arch9wavefront6targetE0EEEvSJ_.num_vgpr, 0
	.set _ZN7rocprim17ROCPRIM_400000_NS6detail17trampoline_kernelINS0_14default_configENS1_38merge_sort_block_merge_config_selectorIiiEEZZNS1_27merge_sort_block_merge_implIS3_N6thrust23THRUST_200600_302600_NS6detail15normal_iteratorINS8_10device_ptrIiEEEESD_jNS1_19radix_merge_compareILb1ELb0EiNS0_19identity_decomposerEEEEE10hipError_tT0_T1_T2_jT3_P12ihipStream_tbPNSt15iterator_traitsISI_E10value_typeEPNSO_ISJ_E10value_typeEPSK_NS1_7vsmem_tEENKUlT_SI_SJ_SK_E_clIPiSD_S10_SD_EESH_SX_SI_SJ_SK_EUlSX_E1_NS1_11comp_targetILNS1_3genE10ELNS1_11target_archE1201ELNS1_3gpuE5ELNS1_3repE0EEENS1_36merge_oddeven_config_static_selectorELNS0_4arch9wavefront6targetE0EEEvSJ_.num_agpr, 0
	.set _ZN7rocprim17ROCPRIM_400000_NS6detail17trampoline_kernelINS0_14default_configENS1_38merge_sort_block_merge_config_selectorIiiEEZZNS1_27merge_sort_block_merge_implIS3_N6thrust23THRUST_200600_302600_NS6detail15normal_iteratorINS8_10device_ptrIiEEEESD_jNS1_19radix_merge_compareILb1ELb0EiNS0_19identity_decomposerEEEEE10hipError_tT0_T1_T2_jT3_P12ihipStream_tbPNSt15iterator_traitsISI_E10value_typeEPNSO_ISJ_E10value_typeEPSK_NS1_7vsmem_tEENKUlT_SI_SJ_SK_E_clIPiSD_S10_SD_EESH_SX_SI_SJ_SK_EUlSX_E1_NS1_11comp_targetILNS1_3genE10ELNS1_11target_archE1201ELNS1_3gpuE5ELNS1_3repE0EEENS1_36merge_oddeven_config_static_selectorELNS0_4arch9wavefront6targetE0EEEvSJ_.numbered_sgpr, 0
	.set _ZN7rocprim17ROCPRIM_400000_NS6detail17trampoline_kernelINS0_14default_configENS1_38merge_sort_block_merge_config_selectorIiiEEZZNS1_27merge_sort_block_merge_implIS3_N6thrust23THRUST_200600_302600_NS6detail15normal_iteratorINS8_10device_ptrIiEEEESD_jNS1_19radix_merge_compareILb1ELb0EiNS0_19identity_decomposerEEEEE10hipError_tT0_T1_T2_jT3_P12ihipStream_tbPNSt15iterator_traitsISI_E10value_typeEPNSO_ISJ_E10value_typeEPSK_NS1_7vsmem_tEENKUlT_SI_SJ_SK_E_clIPiSD_S10_SD_EESH_SX_SI_SJ_SK_EUlSX_E1_NS1_11comp_targetILNS1_3genE10ELNS1_11target_archE1201ELNS1_3gpuE5ELNS1_3repE0EEENS1_36merge_oddeven_config_static_selectorELNS0_4arch9wavefront6targetE0EEEvSJ_.num_named_barrier, 0
	.set _ZN7rocprim17ROCPRIM_400000_NS6detail17trampoline_kernelINS0_14default_configENS1_38merge_sort_block_merge_config_selectorIiiEEZZNS1_27merge_sort_block_merge_implIS3_N6thrust23THRUST_200600_302600_NS6detail15normal_iteratorINS8_10device_ptrIiEEEESD_jNS1_19radix_merge_compareILb1ELb0EiNS0_19identity_decomposerEEEEE10hipError_tT0_T1_T2_jT3_P12ihipStream_tbPNSt15iterator_traitsISI_E10value_typeEPNSO_ISJ_E10value_typeEPSK_NS1_7vsmem_tEENKUlT_SI_SJ_SK_E_clIPiSD_S10_SD_EESH_SX_SI_SJ_SK_EUlSX_E1_NS1_11comp_targetILNS1_3genE10ELNS1_11target_archE1201ELNS1_3gpuE5ELNS1_3repE0EEENS1_36merge_oddeven_config_static_selectorELNS0_4arch9wavefront6targetE0EEEvSJ_.private_seg_size, 0
	.set _ZN7rocprim17ROCPRIM_400000_NS6detail17trampoline_kernelINS0_14default_configENS1_38merge_sort_block_merge_config_selectorIiiEEZZNS1_27merge_sort_block_merge_implIS3_N6thrust23THRUST_200600_302600_NS6detail15normal_iteratorINS8_10device_ptrIiEEEESD_jNS1_19radix_merge_compareILb1ELb0EiNS0_19identity_decomposerEEEEE10hipError_tT0_T1_T2_jT3_P12ihipStream_tbPNSt15iterator_traitsISI_E10value_typeEPNSO_ISJ_E10value_typeEPSK_NS1_7vsmem_tEENKUlT_SI_SJ_SK_E_clIPiSD_S10_SD_EESH_SX_SI_SJ_SK_EUlSX_E1_NS1_11comp_targetILNS1_3genE10ELNS1_11target_archE1201ELNS1_3gpuE5ELNS1_3repE0EEENS1_36merge_oddeven_config_static_selectorELNS0_4arch9wavefront6targetE0EEEvSJ_.uses_vcc, 0
	.set _ZN7rocprim17ROCPRIM_400000_NS6detail17trampoline_kernelINS0_14default_configENS1_38merge_sort_block_merge_config_selectorIiiEEZZNS1_27merge_sort_block_merge_implIS3_N6thrust23THRUST_200600_302600_NS6detail15normal_iteratorINS8_10device_ptrIiEEEESD_jNS1_19radix_merge_compareILb1ELb0EiNS0_19identity_decomposerEEEEE10hipError_tT0_T1_T2_jT3_P12ihipStream_tbPNSt15iterator_traitsISI_E10value_typeEPNSO_ISJ_E10value_typeEPSK_NS1_7vsmem_tEENKUlT_SI_SJ_SK_E_clIPiSD_S10_SD_EESH_SX_SI_SJ_SK_EUlSX_E1_NS1_11comp_targetILNS1_3genE10ELNS1_11target_archE1201ELNS1_3gpuE5ELNS1_3repE0EEENS1_36merge_oddeven_config_static_selectorELNS0_4arch9wavefront6targetE0EEEvSJ_.uses_flat_scratch, 0
	.set _ZN7rocprim17ROCPRIM_400000_NS6detail17trampoline_kernelINS0_14default_configENS1_38merge_sort_block_merge_config_selectorIiiEEZZNS1_27merge_sort_block_merge_implIS3_N6thrust23THRUST_200600_302600_NS6detail15normal_iteratorINS8_10device_ptrIiEEEESD_jNS1_19radix_merge_compareILb1ELb0EiNS0_19identity_decomposerEEEEE10hipError_tT0_T1_T2_jT3_P12ihipStream_tbPNSt15iterator_traitsISI_E10value_typeEPNSO_ISJ_E10value_typeEPSK_NS1_7vsmem_tEENKUlT_SI_SJ_SK_E_clIPiSD_S10_SD_EESH_SX_SI_SJ_SK_EUlSX_E1_NS1_11comp_targetILNS1_3genE10ELNS1_11target_archE1201ELNS1_3gpuE5ELNS1_3repE0EEENS1_36merge_oddeven_config_static_selectorELNS0_4arch9wavefront6targetE0EEEvSJ_.has_dyn_sized_stack, 0
	.set _ZN7rocprim17ROCPRIM_400000_NS6detail17trampoline_kernelINS0_14default_configENS1_38merge_sort_block_merge_config_selectorIiiEEZZNS1_27merge_sort_block_merge_implIS3_N6thrust23THRUST_200600_302600_NS6detail15normal_iteratorINS8_10device_ptrIiEEEESD_jNS1_19radix_merge_compareILb1ELb0EiNS0_19identity_decomposerEEEEE10hipError_tT0_T1_T2_jT3_P12ihipStream_tbPNSt15iterator_traitsISI_E10value_typeEPNSO_ISJ_E10value_typeEPSK_NS1_7vsmem_tEENKUlT_SI_SJ_SK_E_clIPiSD_S10_SD_EESH_SX_SI_SJ_SK_EUlSX_E1_NS1_11comp_targetILNS1_3genE10ELNS1_11target_archE1201ELNS1_3gpuE5ELNS1_3repE0EEENS1_36merge_oddeven_config_static_selectorELNS0_4arch9wavefront6targetE0EEEvSJ_.has_recursion, 0
	.set _ZN7rocprim17ROCPRIM_400000_NS6detail17trampoline_kernelINS0_14default_configENS1_38merge_sort_block_merge_config_selectorIiiEEZZNS1_27merge_sort_block_merge_implIS3_N6thrust23THRUST_200600_302600_NS6detail15normal_iteratorINS8_10device_ptrIiEEEESD_jNS1_19radix_merge_compareILb1ELb0EiNS0_19identity_decomposerEEEEE10hipError_tT0_T1_T2_jT3_P12ihipStream_tbPNSt15iterator_traitsISI_E10value_typeEPNSO_ISJ_E10value_typeEPSK_NS1_7vsmem_tEENKUlT_SI_SJ_SK_E_clIPiSD_S10_SD_EESH_SX_SI_SJ_SK_EUlSX_E1_NS1_11comp_targetILNS1_3genE10ELNS1_11target_archE1201ELNS1_3gpuE5ELNS1_3repE0EEENS1_36merge_oddeven_config_static_selectorELNS0_4arch9wavefront6targetE0EEEvSJ_.has_indirect_call, 0
	.section	.AMDGPU.csdata,"",@progbits
; Kernel info:
; codeLenInByte = 0
; TotalNumSgprs: 0
; NumVgprs: 0
; ScratchSize: 0
; MemoryBound: 0
; FloatMode: 240
; IeeeMode: 1
; LDSByteSize: 0 bytes/workgroup (compile time only)
; SGPRBlocks: 0
; VGPRBlocks: 0
; NumSGPRsForWavesPerEU: 1
; NumVGPRsForWavesPerEU: 1
; Occupancy: 16
; WaveLimiterHint : 0
; COMPUTE_PGM_RSRC2:SCRATCH_EN: 0
; COMPUTE_PGM_RSRC2:USER_SGPR: 6
; COMPUTE_PGM_RSRC2:TRAP_HANDLER: 0
; COMPUTE_PGM_RSRC2:TGID_X_EN: 1
; COMPUTE_PGM_RSRC2:TGID_Y_EN: 0
; COMPUTE_PGM_RSRC2:TGID_Z_EN: 0
; COMPUTE_PGM_RSRC2:TIDIG_COMP_CNT: 0
	.section	.text._ZN7rocprim17ROCPRIM_400000_NS6detail17trampoline_kernelINS0_14default_configENS1_38merge_sort_block_merge_config_selectorIiiEEZZNS1_27merge_sort_block_merge_implIS3_N6thrust23THRUST_200600_302600_NS6detail15normal_iteratorINS8_10device_ptrIiEEEESD_jNS1_19radix_merge_compareILb1ELb0EiNS0_19identity_decomposerEEEEE10hipError_tT0_T1_T2_jT3_P12ihipStream_tbPNSt15iterator_traitsISI_E10value_typeEPNSO_ISJ_E10value_typeEPSK_NS1_7vsmem_tEENKUlT_SI_SJ_SK_E_clIPiSD_S10_SD_EESH_SX_SI_SJ_SK_EUlSX_E1_NS1_11comp_targetILNS1_3genE5ELNS1_11target_archE942ELNS1_3gpuE9ELNS1_3repE0EEENS1_36merge_oddeven_config_static_selectorELNS0_4arch9wavefront6targetE0EEEvSJ_,"axG",@progbits,_ZN7rocprim17ROCPRIM_400000_NS6detail17trampoline_kernelINS0_14default_configENS1_38merge_sort_block_merge_config_selectorIiiEEZZNS1_27merge_sort_block_merge_implIS3_N6thrust23THRUST_200600_302600_NS6detail15normal_iteratorINS8_10device_ptrIiEEEESD_jNS1_19radix_merge_compareILb1ELb0EiNS0_19identity_decomposerEEEEE10hipError_tT0_T1_T2_jT3_P12ihipStream_tbPNSt15iterator_traitsISI_E10value_typeEPNSO_ISJ_E10value_typeEPSK_NS1_7vsmem_tEENKUlT_SI_SJ_SK_E_clIPiSD_S10_SD_EESH_SX_SI_SJ_SK_EUlSX_E1_NS1_11comp_targetILNS1_3genE5ELNS1_11target_archE942ELNS1_3gpuE9ELNS1_3repE0EEENS1_36merge_oddeven_config_static_selectorELNS0_4arch9wavefront6targetE0EEEvSJ_,comdat
	.protected	_ZN7rocprim17ROCPRIM_400000_NS6detail17trampoline_kernelINS0_14default_configENS1_38merge_sort_block_merge_config_selectorIiiEEZZNS1_27merge_sort_block_merge_implIS3_N6thrust23THRUST_200600_302600_NS6detail15normal_iteratorINS8_10device_ptrIiEEEESD_jNS1_19radix_merge_compareILb1ELb0EiNS0_19identity_decomposerEEEEE10hipError_tT0_T1_T2_jT3_P12ihipStream_tbPNSt15iterator_traitsISI_E10value_typeEPNSO_ISJ_E10value_typeEPSK_NS1_7vsmem_tEENKUlT_SI_SJ_SK_E_clIPiSD_S10_SD_EESH_SX_SI_SJ_SK_EUlSX_E1_NS1_11comp_targetILNS1_3genE5ELNS1_11target_archE942ELNS1_3gpuE9ELNS1_3repE0EEENS1_36merge_oddeven_config_static_selectorELNS0_4arch9wavefront6targetE0EEEvSJ_ ; -- Begin function _ZN7rocprim17ROCPRIM_400000_NS6detail17trampoline_kernelINS0_14default_configENS1_38merge_sort_block_merge_config_selectorIiiEEZZNS1_27merge_sort_block_merge_implIS3_N6thrust23THRUST_200600_302600_NS6detail15normal_iteratorINS8_10device_ptrIiEEEESD_jNS1_19radix_merge_compareILb1ELb0EiNS0_19identity_decomposerEEEEE10hipError_tT0_T1_T2_jT3_P12ihipStream_tbPNSt15iterator_traitsISI_E10value_typeEPNSO_ISJ_E10value_typeEPSK_NS1_7vsmem_tEENKUlT_SI_SJ_SK_E_clIPiSD_S10_SD_EESH_SX_SI_SJ_SK_EUlSX_E1_NS1_11comp_targetILNS1_3genE5ELNS1_11target_archE942ELNS1_3gpuE9ELNS1_3repE0EEENS1_36merge_oddeven_config_static_selectorELNS0_4arch9wavefront6targetE0EEEvSJ_
	.globl	_ZN7rocprim17ROCPRIM_400000_NS6detail17trampoline_kernelINS0_14default_configENS1_38merge_sort_block_merge_config_selectorIiiEEZZNS1_27merge_sort_block_merge_implIS3_N6thrust23THRUST_200600_302600_NS6detail15normal_iteratorINS8_10device_ptrIiEEEESD_jNS1_19radix_merge_compareILb1ELb0EiNS0_19identity_decomposerEEEEE10hipError_tT0_T1_T2_jT3_P12ihipStream_tbPNSt15iterator_traitsISI_E10value_typeEPNSO_ISJ_E10value_typeEPSK_NS1_7vsmem_tEENKUlT_SI_SJ_SK_E_clIPiSD_S10_SD_EESH_SX_SI_SJ_SK_EUlSX_E1_NS1_11comp_targetILNS1_3genE5ELNS1_11target_archE942ELNS1_3gpuE9ELNS1_3repE0EEENS1_36merge_oddeven_config_static_selectorELNS0_4arch9wavefront6targetE0EEEvSJ_
	.p2align	8
	.type	_ZN7rocprim17ROCPRIM_400000_NS6detail17trampoline_kernelINS0_14default_configENS1_38merge_sort_block_merge_config_selectorIiiEEZZNS1_27merge_sort_block_merge_implIS3_N6thrust23THRUST_200600_302600_NS6detail15normal_iteratorINS8_10device_ptrIiEEEESD_jNS1_19radix_merge_compareILb1ELb0EiNS0_19identity_decomposerEEEEE10hipError_tT0_T1_T2_jT3_P12ihipStream_tbPNSt15iterator_traitsISI_E10value_typeEPNSO_ISJ_E10value_typeEPSK_NS1_7vsmem_tEENKUlT_SI_SJ_SK_E_clIPiSD_S10_SD_EESH_SX_SI_SJ_SK_EUlSX_E1_NS1_11comp_targetILNS1_3genE5ELNS1_11target_archE942ELNS1_3gpuE9ELNS1_3repE0EEENS1_36merge_oddeven_config_static_selectorELNS0_4arch9wavefront6targetE0EEEvSJ_,@function
_ZN7rocprim17ROCPRIM_400000_NS6detail17trampoline_kernelINS0_14default_configENS1_38merge_sort_block_merge_config_selectorIiiEEZZNS1_27merge_sort_block_merge_implIS3_N6thrust23THRUST_200600_302600_NS6detail15normal_iteratorINS8_10device_ptrIiEEEESD_jNS1_19radix_merge_compareILb1ELb0EiNS0_19identity_decomposerEEEEE10hipError_tT0_T1_T2_jT3_P12ihipStream_tbPNSt15iterator_traitsISI_E10value_typeEPNSO_ISJ_E10value_typeEPSK_NS1_7vsmem_tEENKUlT_SI_SJ_SK_E_clIPiSD_S10_SD_EESH_SX_SI_SJ_SK_EUlSX_E1_NS1_11comp_targetILNS1_3genE5ELNS1_11target_archE942ELNS1_3gpuE9ELNS1_3repE0EEENS1_36merge_oddeven_config_static_selectorELNS0_4arch9wavefront6targetE0EEEvSJ_: ; @_ZN7rocprim17ROCPRIM_400000_NS6detail17trampoline_kernelINS0_14default_configENS1_38merge_sort_block_merge_config_selectorIiiEEZZNS1_27merge_sort_block_merge_implIS3_N6thrust23THRUST_200600_302600_NS6detail15normal_iteratorINS8_10device_ptrIiEEEESD_jNS1_19radix_merge_compareILb1ELb0EiNS0_19identity_decomposerEEEEE10hipError_tT0_T1_T2_jT3_P12ihipStream_tbPNSt15iterator_traitsISI_E10value_typeEPNSO_ISJ_E10value_typeEPSK_NS1_7vsmem_tEENKUlT_SI_SJ_SK_E_clIPiSD_S10_SD_EESH_SX_SI_SJ_SK_EUlSX_E1_NS1_11comp_targetILNS1_3genE5ELNS1_11target_archE942ELNS1_3gpuE9ELNS1_3repE0EEENS1_36merge_oddeven_config_static_selectorELNS0_4arch9wavefront6targetE0EEEvSJ_
; %bb.0:
	.section	.rodata,"a",@progbits
	.p2align	6, 0x0
	.amdhsa_kernel _ZN7rocprim17ROCPRIM_400000_NS6detail17trampoline_kernelINS0_14default_configENS1_38merge_sort_block_merge_config_selectorIiiEEZZNS1_27merge_sort_block_merge_implIS3_N6thrust23THRUST_200600_302600_NS6detail15normal_iteratorINS8_10device_ptrIiEEEESD_jNS1_19radix_merge_compareILb1ELb0EiNS0_19identity_decomposerEEEEE10hipError_tT0_T1_T2_jT3_P12ihipStream_tbPNSt15iterator_traitsISI_E10value_typeEPNSO_ISJ_E10value_typeEPSK_NS1_7vsmem_tEENKUlT_SI_SJ_SK_E_clIPiSD_S10_SD_EESH_SX_SI_SJ_SK_EUlSX_E1_NS1_11comp_targetILNS1_3genE5ELNS1_11target_archE942ELNS1_3gpuE9ELNS1_3repE0EEENS1_36merge_oddeven_config_static_selectorELNS0_4arch9wavefront6targetE0EEEvSJ_
		.amdhsa_group_segment_fixed_size 0
		.amdhsa_private_segment_fixed_size 0
		.amdhsa_kernarg_size 48
		.amdhsa_user_sgpr_count 6
		.amdhsa_user_sgpr_private_segment_buffer 1
		.amdhsa_user_sgpr_dispatch_ptr 0
		.amdhsa_user_sgpr_queue_ptr 0
		.amdhsa_user_sgpr_kernarg_segment_ptr 1
		.amdhsa_user_sgpr_dispatch_id 0
		.amdhsa_user_sgpr_flat_scratch_init 0
		.amdhsa_user_sgpr_private_segment_size 0
		.amdhsa_wavefront_size32 1
		.amdhsa_uses_dynamic_stack 0
		.amdhsa_system_sgpr_private_segment_wavefront_offset 0
		.amdhsa_system_sgpr_workgroup_id_x 1
		.amdhsa_system_sgpr_workgroup_id_y 0
		.amdhsa_system_sgpr_workgroup_id_z 0
		.amdhsa_system_sgpr_workgroup_info 0
		.amdhsa_system_vgpr_workitem_id 0
		.amdhsa_next_free_vgpr 1
		.amdhsa_next_free_sgpr 1
		.amdhsa_reserve_vcc 0
		.amdhsa_reserve_flat_scratch 0
		.amdhsa_float_round_mode_32 0
		.amdhsa_float_round_mode_16_64 0
		.amdhsa_float_denorm_mode_32 3
		.amdhsa_float_denorm_mode_16_64 3
		.amdhsa_dx10_clamp 1
		.amdhsa_ieee_mode 1
		.amdhsa_fp16_overflow 0
		.amdhsa_workgroup_processor_mode 1
		.amdhsa_memory_ordered 1
		.amdhsa_forward_progress 1
		.amdhsa_shared_vgpr_count 0
		.amdhsa_exception_fp_ieee_invalid_op 0
		.amdhsa_exception_fp_denorm_src 0
		.amdhsa_exception_fp_ieee_div_zero 0
		.amdhsa_exception_fp_ieee_overflow 0
		.amdhsa_exception_fp_ieee_underflow 0
		.amdhsa_exception_fp_ieee_inexact 0
		.amdhsa_exception_int_div_zero 0
	.end_amdhsa_kernel
	.section	.text._ZN7rocprim17ROCPRIM_400000_NS6detail17trampoline_kernelINS0_14default_configENS1_38merge_sort_block_merge_config_selectorIiiEEZZNS1_27merge_sort_block_merge_implIS3_N6thrust23THRUST_200600_302600_NS6detail15normal_iteratorINS8_10device_ptrIiEEEESD_jNS1_19radix_merge_compareILb1ELb0EiNS0_19identity_decomposerEEEEE10hipError_tT0_T1_T2_jT3_P12ihipStream_tbPNSt15iterator_traitsISI_E10value_typeEPNSO_ISJ_E10value_typeEPSK_NS1_7vsmem_tEENKUlT_SI_SJ_SK_E_clIPiSD_S10_SD_EESH_SX_SI_SJ_SK_EUlSX_E1_NS1_11comp_targetILNS1_3genE5ELNS1_11target_archE942ELNS1_3gpuE9ELNS1_3repE0EEENS1_36merge_oddeven_config_static_selectorELNS0_4arch9wavefront6targetE0EEEvSJ_,"axG",@progbits,_ZN7rocprim17ROCPRIM_400000_NS6detail17trampoline_kernelINS0_14default_configENS1_38merge_sort_block_merge_config_selectorIiiEEZZNS1_27merge_sort_block_merge_implIS3_N6thrust23THRUST_200600_302600_NS6detail15normal_iteratorINS8_10device_ptrIiEEEESD_jNS1_19radix_merge_compareILb1ELb0EiNS0_19identity_decomposerEEEEE10hipError_tT0_T1_T2_jT3_P12ihipStream_tbPNSt15iterator_traitsISI_E10value_typeEPNSO_ISJ_E10value_typeEPSK_NS1_7vsmem_tEENKUlT_SI_SJ_SK_E_clIPiSD_S10_SD_EESH_SX_SI_SJ_SK_EUlSX_E1_NS1_11comp_targetILNS1_3genE5ELNS1_11target_archE942ELNS1_3gpuE9ELNS1_3repE0EEENS1_36merge_oddeven_config_static_selectorELNS0_4arch9wavefront6targetE0EEEvSJ_,comdat
.Lfunc_end903:
	.size	_ZN7rocprim17ROCPRIM_400000_NS6detail17trampoline_kernelINS0_14default_configENS1_38merge_sort_block_merge_config_selectorIiiEEZZNS1_27merge_sort_block_merge_implIS3_N6thrust23THRUST_200600_302600_NS6detail15normal_iteratorINS8_10device_ptrIiEEEESD_jNS1_19radix_merge_compareILb1ELb0EiNS0_19identity_decomposerEEEEE10hipError_tT0_T1_T2_jT3_P12ihipStream_tbPNSt15iterator_traitsISI_E10value_typeEPNSO_ISJ_E10value_typeEPSK_NS1_7vsmem_tEENKUlT_SI_SJ_SK_E_clIPiSD_S10_SD_EESH_SX_SI_SJ_SK_EUlSX_E1_NS1_11comp_targetILNS1_3genE5ELNS1_11target_archE942ELNS1_3gpuE9ELNS1_3repE0EEENS1_36merge_oddeven_config_static_selectorELNS0_4arch9wavefront6targetE0EEEvSJ_, .Lfunc_end903-_ZN7rocprim17ROCPRIM_400000_NS6detail17trampoline_kernelINS0_14default_configENS1_38merge_sort_block_merge_config_selectorIiiEEZZNS1_27merge_sort_block_merge_implIS3_N6thrust23THRUST_200600_302600_NS6detail15normal_iteratorINS8_10device_ptrIiEEEESD_jNS1_19radix_merge_compareILb1ELb0EiNS0_19identity_decomposerEEEEE10hipError_tT0_T1_T2_jT3_P12ihipStream_tbPNSt15iterator_traitsISI_E10value_typeEPNSO_ISJ_E10value_typeEPSK_NS1_7vsmem_tEENKUlT_SI_SJ_SK_E_clIPiSD_S10_SD_EESH_SX_SI_SJ_SK_EUlSX_E1_NS1_11comp_targetILNS1_3genE5ELNS1_11target_archE942ELNS1_3gpuE9ELNS1_3repE0EEENS1_36merge_oddeven_config_static_selectorELNS0_4arch9wavefront6targetE0EEEvSJ_
                                        ; -- End function
	.set _ZN7rocprim17ROCPRIM_400000_NS6detail17trampoline_kernelINS0_14default_configENS1_38merge_sort_block_merge_config_selectorIiiEEZZNS1_27merge_sort_block_merge_implIS3_N6thrust23THRUST_200600_302600_NS6detail15normal_iteratorINS8_10device_ptrIiEEEESD_jNS1_19radix_merge_compareILb1ELb0EiNS0_19identity_decomposerEEEEE10hipError_tT0_T1_T2_jT3_P12ihipStream_tbPNSt15iterator_traitsISI_E10value_typeEPNSO_ISJ_E10value_typeEPSK_NS1_7vsmem_tEENKUlT_SI_SJ_SK_E_clIPiSD_S10_SD_EESH_SX_SI_SJ_SK_EUlSX_E1_NS1_11comp_targetILNS1_3genE5ELNS1_11target_archE942ELNS1_3gpuE9ELNS1_3repE0EEENS1_36merge_oddeven_config_static_selectorELNS0_4arch9wavefront6targetE0EEEvSJ_.num_vgpr, 0
	.set _ZN7rocprim17ROCPRIM_400000_NS6detail17trampoline_kernelINS0_14default_configENS1_38merge_sort_block_merge_config_selectorIiiEEZZNS1_27merge_sort_block_merge_implIS3_N6thrust23THRUST_200600_302600_NS6detail15normal_iteratorINS8_10device_ptrIiEEEESD_jNS1_19radix_merge_compareILb1ELb0EiNS0_19identity_decomposerEEEEE10hipError_tT0_T1_T2_jT3_P12ihipStream_tbPNSt15iterator_traitsISI_E10value_typeEPNSO_ISJ_E10value_typeEPSK_NS1_7vsmem_tEENKUlT_SI_SJ_SK_E_clIPiSD_S10_SD_EESH_SX_SI_SJ_SK_EUlSX_E1_NS1_11comp_targetILNS1_3genE5ELNS1_11target_archE942ELNS1_3gpuE9ELNS1_3repE0EEENS1_36merge_oddeven_config_static_selectorELNS0_4arch9wavefront6targetE0EEEvSJ_.num_agpr, 0
	.set _ZN7rocprim17ROCPRIM_400000_NS6detail17trampoline_kernelINS0_14default_configENS1_38merge_sort_block_merge_config_selectorIiiEEZZNS1_27merge_sort_block_merge_implIS3_N6thrust23THRUST_200600_302600_NS6detail15normal_iteratorINS8_10device_ptrIiEEEESD_jNS1_19radix_merge_compareILb1ELb0EiNS0_19identity_decomposerEEEEE10hipError_tT0_T1_T2_jT3_P12ihipStream_tbPNSt15iterator_traitsISI_E10value_typeEPNSO_ISJ_E10value_typeEPSK_NS1_7vsmem_tEENKUlT_SI_SJ_SK_E_clIPiSD_S10_SD_EESH_SX_SI_SJ_SK_EUlSX_E1_NS1_11comp_targetILNS1_3genE5ELNS1_11target_archE942ELNS1_3gpuE9ELNS1_3repE0EEENS1_36merge_oddeven_config_static_selectorELNS0_4arch9wavefront6targetE0EEEvSJ_.numbered_sgpr, 0
	.set _ZN7rocprim17ROCPRIM_400000_NS6detail17trampoline_kernelINS0_14default_configENS1_38merge_sort_block_merge_config_selectorIiiEEZZNS1_27merge_sort_block_merge_implIS3_N6thrust23THRUST_200600_302600_NS6detail15normal_iteratorINS8_10device_ptrIiEEEESD_jNS1_19radix_merge_compareILb1ELb0EiNS0_19identity_decomposerEEEEE10hipError_tT0_T1_T2_jT3_P12ihipStream_tbPNSt15iterator_traitsISI_E10value_typeEPNSO_ISJ_E10value_typeEPSK_NS1_7vsmem_tEENKUlT_SI_SJ_SK_E_clIPiSD_S10_SD_EESH_SX_SI_SJ_SK_EUlSX_E1_NS1_11comp_targetILNS1_3genE5ELNS1_11target_archE942ELNS1_3gpuE9ELNS1_3repE0EEENS1_36merge_oddeven_config_static_selectorELNS0_4arch9wavefront6targetE0EEEvSJ_.num_named_barrier, 0
	.set _ZN7rocprim17ROCPRIM_400000_NS6detail17trampoline_kernelINS0_14default_configENS1_38merge_sort_block_merge_config_selectorIiiEEZZNS1_27merge_sort_block_merge_implIS3_N6thrust23THRUST_200600_302600_NS6detail15normal_iteratorINS8_10device_ptrIiEEEESD_jNS1_19radix_merge_compareILb1ELb0EiNS0_19identity_decomposerEEEEE10hipError_tT0_T1_T2_jT3_P12ihipStream_tbPNSt15iterator_traitsISI_E10value_typeEPNSO_ISJ_E10value_typeEPSK_NS1_7vsmem_tEENKUlT_SI_SJ_SK_E_clIPiSD_S10_SD_EESH_SX_SI_SJ_SK_EUlSX_E1_NS1_11comp_targetILNS1_3genE5ELNS1_11target_archE942ELNS1_3gpuE9ELNS1_3repE0EEENS1_36merge_oddeven_config_static_selectorELNS0_4arch9wavefront6targetE0EEEvSJ_.private_seg_size, 0
	.set _ZN7rocprim17ROCPRIM_400000_NS6detail17trampoline_kernelINS0_14default_configENS1_38merge_sort_block_merge_config_selectorIiiEEZZNS1_27merge_sort_block_merge_implIS3_N6thrust23THRUST_200600_302600_NS6detail15normal_iteratorINS8_10device_ptrIiEEEESD_jNS1_19radix_merge_compareILb1ELb0EiNS0_19identity_decomposerEEEEE10hipError_tT0_T1_T2_jT3_P12ihipStream_tbPNSt15iterator_traitsISI_E10value_typeEPNSO_ISJ_E10value_typeEPSK_NS1_7vsmem_tEENKUlT_SI_SJ_SK_E_clIPiSD_S10_SD_EESH_SX_SI_SJ_SK_EUlSX_E1_NS1_11comp_targetILNS1_3genE5ELNS1_11target_archE942ELNS1_3gpuE9ELNS1_3repE0EEENS1_36merge_oddeven_config_static_selectorELNS0_4arch9wavefront6targetE0EEEvSJ_.uses_vcc, 0
	.set _ZN7rocprim17ROCPRIM_400000_NS6detail17trampoline_kernelINS0_14default_configENS1_38merge_sort_block_merge_config_selectorIiiEEZZNS1_27merge_sort_block_merge_implIS3_N6thrust23THRUST_200600_302600_NS6detail15normal_iteratorINS8_10device_ptrIiEEEESD_jNS1_19radix_merge_compareILb1ELb0EiNS0_19identity_decomposerEEEEE10hipError_tT0_T1_T2_jT3_P12ihipStream_tbPNSt15iterator_traitsISI_E10value_typeEPNSO_ISJ_E10value_typeEPSK_NS1_7vsmem_tEENKUlT_SI_SJ_SK_E_clIPiSD_S10_SD_EESH_SX_SI_SJ_SK_EUlSX_E1_NS1_11comp_targetILNS1_3genE5ELNS1_11target_archE942ELNS1_3gpuE9ELNS1_3repE0EEENS1_36merge_oddeven_config_static_selectorELNS0_4arch9wavefront6targetE0EEEvSJ_.uses_flat_scratch, 0
	.set _ZN7rocprim17ROCPRIM_400000_NS6detail17trampoline_kernelINS0_14default_configENS1_38merge_sort_block_merge_config_selectorIiiEEZZNS1_27merge_sort_block_merge_implIS3_N6thrust23THRUST_200600_302600_NS6detail15normal_iteratorINS8_10device_ptrIiEEEESD_jNS1_19radix_merge_compareILb1ELb0EiNS0_19identity_decomposerEEEEE10hipError_tT0_T1_T2_jT3_P12ihipStream_tbPNSt15iterator_traitsISI_E10value_typeEPNSO_ISJ_E10value_typeEPSK_NS1_7vsmem_tEENKUlT_SI_SJ_SK_E_clIPiSD_S10_SD_EESH_SX_SI_SJ_SK_EUlSX_E1_NS1_11comp_targetILNS1_3genE5ELNS1_11target_archE942ELNS1_3gpuE9ELNS1_3repE0EEENS1_36merge_oddeven_config_static_selectorELNS0_4arch9wavefront6targetE0EEEvSJ_.has_dyn_sized_stack, 0
	.set _ZN7rocprim17ROCPRIM_400000_NS6detail17trampoline_kernelINS0_14default_configENS1_38merge_sort_block_merge_config_selectorIiiEEZZNS1_27merge_sort_block_merge_implIS3_N6thrust23THRUST_200600_302600_NS6detail15normal_iteratorINS8_10device_ptrIiEEEESD_jNS1_19radix_merge_compareILb1ELb0EiNS0_19identity_decomposerEEEEE10hipError_tT0_T1_T2_jT3_P12ihipStream_tbPNSt15iterator_traitsISI_E10value_typeEPNSO_ISJ_E10value_typeEPSK_NS1_7vsmem_tEENKUlT_SI_SJ_SK_E_clIPiSD_S10_SD_EESH_SX_SI_SJ_SK_EUlSX_E1_NS1_11comp_targetILNS1_3genE5ELNS1_11target_archE942ELNS1_3gpuE9ELNS1_3repE0EEENS1_36merge_oddeven_config_static_selectorELNS0_4arch9wavefront6targetE0EEEvSJ_.has_recursion, 0
	.set _ZN7rocprim17ROCPRIM_400000_NS6detail17trampoline_kernelINS0_14default_configENS1_38merge_sort_block_merge_config_selectorIiiEEZZNS1_27merge_sort_block_merge_implIS3_N6thrust23THRUST_200600_302600_NS6detail15normal_iteratorINS8_10device_ptrIiEEEESD_jNS1_19radix_merge_compareILb1ELb0EiNS0_19identity_decomposerEEEEE10hipError_tT0_T1_T2_jT3_P12ihipStream_tbPNSt15iterator_traitsISI_E10value_typeEPNSO_ISJ_E10value_typeEPSK_NS1_7vsmem_tEENKUlT_SI_SJ_SK_E_clIPiSD_S10_SD_EESH_SX_SI_SJ_SK_EUlSX_E1_NS1_11comp_targetILNS1_3genE5ELNS1_11target_archE942ELNS1_3gpuE9ELNS1_3repE0EEENS1_36merge_oddeven_config_static_selectorELNS0_4arch9wavefront6targetE0EEEvSJ_.has_indirect_call, 0
	.section	.AMDGPU.csdata,"",@progbits
; Kernel info:
; codeLenInByte = 0
; TotalNumSgprs: 0
; NumVgprs: 0
; ScratchSize: 0
; MemoryBound: 0
; FloatMode: 240
; IeeeMode: 1
; LDSByteSize: 0 bytes/workgroup (compile time only)
; SGPRBlocks: 0
; VGPRBlocks: 0
; NumSGPRsForWavesPerEU: 1
; NumVGPRsForWavesPerEU: 1
; Occupancy: 16
; WaveLimiterHint : 0
; COMPUTE_PGM_RSRC2:SCRATCH_EN: 0
; COMPUTE_PGM_RSRC2:USER_SGPR: 6
; COMPUTE_PGM_RSRC2:TRAP_HANDLER: 0
; COMPUTE_PGM_RSRC2:TGID_X_EN: 1
; COMPUTE_PGM_RSRC2:TGID_Y_EN: 0
; COMPUTE_PGM_RSRC2:TGID_Z_EN: 0
; COMPUTE_PGM_RSRC2:TIDIG_COMP_CNT: 0
	.section	.text._ZN7rocprim17ROCPRIM_400000_NS6detail17trampoline_kernelINS0_14default_configENS1_38merge_sort_block_merge_config_selectorIiiEEZZNS1_27merge_sort_block_merge_implIS3_N6thrust23THRUST_200600_302600_NS6detail15normal_iteratorINS8_10device_ptrIiEEEESD_jNS1_19radix_merge_compareILb1ELb0EiNS0_19identity_decomposerEEEEE10hipError_tT0_T1_T2_jT3_P12ihipStream_tbPNSt15iterator_traitsISI_E10value_typeEPNSO_ISJ_E10value_typeEPSK_NS1_7vsmem_tEENKUlT_SI_SJ_SK_E_clIPiSD_S10_SD_EESH_SX_SI_SJ_SK_EUlSX_E1_NS1_11comp_targetILNS1_3genE4ELNS1_11target_archE910ELNS1_3gpuE8ELNS1_3repE0EEENS1_36merge_oddeven_config_static_selectorELNS0_4arch9wavefront6targetE0EEEvSJ_,"axG",@progbits,_ZN7rocprim17ROCPRIM_400000_NS6detail17trampoline_kernelINS0_14default_configENS1_38merge_sort_block_merge_config_selectorIiiEEZZNS1_27merge_sort_block_merge_implIS3_N6thrust23THRUST_200600_302600_NS6detail15normal_iteratorINS8_10device_ptrIiEEEESD_jNS1_19radix_merge_compareILb1ELb0EiNS0_19identity_decomposerEEEEE10hipError_tT0_T1_T2_jT3_P12ihipStream_tbPNSt15iterator_traitsISI_E10value_typeEPNSO_ISJ_E10value_typeEPSK_NS1_7vsmem_tEENKUlT_SI_SJ_SK_E_clIPiSD_S10_SD_EESH_SX_SI_SJ_SK_EUlSX_E1_NS1_11comp_targetILNS1_3genE4ELNS1_11target_archE910ELNS1_3gpuE8ELNS1_3repE0EEENS1_36merge_oddeven_config_static_selectorELNS0_4arch9wavefront6targetE0EEEvSJ_,comdat
	.protected	_ZN7rocprim17ROCPRIM_400000_NS6detail17trampoline_kernelINS0_14default_configENS1_38merge_sort_block_merge_config_selectorIiiEEZZNS1_27merge_sort_block_merge_implIS3_N6thrust23THRUST_200600_302600_NS6detail15normal_iteratorINS8_10device_ptrIiEEEESD_jNS1_19radix_merge_compareILb1ELb0EiNS0_19identity_decomposerEEEEE10hipError_tT0_T1_T2_jT3_P12ihipStream_tbPNSt15iterator_traitsISI_E10value_typeEPNSO_ISJ_E10value_typeEPSK_NS1_7vsmem_tEENKUlT_SI_SJ_SK_E_clIPiSD_S10_SD_EESH_SX_SI_SJ_SK_EUlSX_E1_NS1_11comp_targetILNS1_3genE4ELNS1_11target_archE910ELNS1_3gpuE8ELNS1_3repE0EEENS1_36merge_oddeven_config_static_selectorELNS0_4arch9wavefront6targetE0EEEvSJ_ ; -- Begin function _ZN7rocprim17ROCPRIM_400000_NS6detail17trampoline_kernelINS0_14default_configENS1_38merge_sort_block_merge_config_selectorIiiEEZZNS1_27merge_sort_block_merge_implIS3_N6thrust23THRUST_200600_302600_NS6detail15normal_iteratorINS8_10device_ptrIiEEEESD_jNS1_19radix_merge_compareILb1ELb0EiNS0_19identity_decomposerEEEEE10hipError_tT0_T1_T2_jT3_P12ihipStream_tbPNSt15iterator_traitsISI_E10value_typeEPNSO_ISJ_E10value_typeEPSK_NS1_7vsmem_tEENKUlT_SI_SJ_SK_E_clIPiSD_S10_SD_EESH_SX_SI_SJ_SK_EUlSX_E1_NS1_11comp_targetILNS1_3genE4ELNS1_11target_archE910ELNS1_3gpuE8ELNS1_3repE0EEENS1_36merge_oddeven_config_static_selectorELNS0_4arch9wavefront6targetE0EEEvSJ_
	.globl	_ZN7rocprim17ROCPRIM_400000_NS6detail17trampoline_kernelINS0_14default_configENS1_38merge_sort_block_merge_config_selectorIiiEEZZNS1_27merge_sort_block_merge_implIS3_N6thrust23THRUST_200600_302600_NS6detail15normal_iteratorINS8_10device_ptrIiEEEESD_jNS1_19radix_merge_compareILb1ELb0EiNS0_19identity_decomposerEEEEE10hipError_tT0_T1_T2_jT3_P12ihipStream_tbPNSt15iterator_traitsISI_E10value_typeEPNSO_ISJ_E10value_typeEPSK_NS1_7vsmem_tEENKUlT_SI_SJ_SK_E_clIPiSD_S10_SD_EESH_SX_SI_SJ_SK_EUlSX_E1_NS1_11comp_targetILNS1_3genE4ELNS1_11target_archE910ELNS1_3gpuE8ELNS1_3repE0EEENS1_36merge_oddeven_config_static_selectorELNS0_4arch9wavefront6targetE0EEEvSJ_
	.p2align	8
	.type	_ZN7rocprim17ROCPRIM_400000_NS6detail17trampoline_kernelINS0_14default_configENS1_38merge_sort_block_merge_config_selectorIiiEEZZNS1_27merge_sort_block_merge_implIS3_N6thrust23THRUST_200600_302600_NS6detail15normal_iteratorINS8_10device_ptrIiEEEESD_jNS1_19radix_merge_compareILb1ELb0EiNS0_19identity_decomposerEEEEE10hipError_tT0_T1_T2_jT3_P12ihipStream_tbPNSt15iterator_traitsISI_E10value_typeEPNSO_ISJ_E10value_typeEPSK_NS1_7vsmem_tEENKUlT_SI_SJ_SK_E_clIPiSD_S10_SD_EESH_SX_SI_SJ_SK_EUlSX_E1_NS1_11comp_targetILNS1_3genE4ELNS1_11target_archE910ELNS1_3gpuE8ELNS1_3repE0EEENS1_36merge_oddeven_config_static_selectorELNS0_4arch9wavefront6targetE0EEEvSJ_,@function
_ZN7rocprim17ROCPRIM_400000_NS6detail17trampoline_kernelINS0_14default_configENS1_38merge_sort_block_merge_config_selectorIiiEEZZNS1_27merge_sort_block_merge_implIS3_N6thrust23THRUST_200600_302600_NS6detail15normal_iteratorINS8_10device_ptrIiEEEESD_jNS1_19radix_merge_compareILb1ELb0EiNS0_19identity_decomposerEEEEE10hipError_tT0_T1_T2_jT3_P12ihipStream_tbPNSt15iterator_traitsISI_E10value_typeEPNSO_ISJ_E10value_typeEPSK_NS1_7vsmem_tEENKUlT_SI_SJ_SK_E_clIPiSD_S10_SD_EESH_SX_SI_SJ_SK_EUlSX_E1_NS1_11comp_targetILNS1_3genE4ELNS1_11target_archE910ELNS1_3gpuE8ELNS1_3repE0EEENS1_36merge_oddeven_config_static_selectorELNS0_4arch9wavefront6targetE0EEEvSJ_: ; @_ZN7rocprim17ROCPRIM_400000_NS6detail17trampoline_kernelINS0_14default_configENS1_38merge_sort_block_merge_config_selectorIiiEEZZNS1_27merge_sort_block_merge_implIS3_N6thrust23THRUST_200600_302600_NS6detail15normal_iteratorINS8_10device_ptrIiEEEESD_jNS1_19radix_merge_compareILb1ELb0EiNS0_19identity_decomposerEEEEE10hipError_tT0_T1_T2_jT3_P12ihipStream_tbPNSt15iterator_traitsISI_E10value_typeEPNSO_ISJ_E10value_typeEPSK_NS1_7vsmem_tEENKUlT_SI_SJ_SK_E_clIPiSD_S10_SD_EESH_SX_SI_SJ_SK_EUlSX_E1_NS1_11comp_targetILNS1_3genE4ELNS1_11target_archE910ELNS1_3gpuE8ELNS1_3repE0EEENS1_36merge_oddeven_config_static_selectorELNS0_4arch9wavefront6targetE0EEEvSJ_
; %bb.0:
	.section	.rodata,"a",@progbits
	.p2align	6, 0x0
	.amdhsa_kernel _ZN7rocprim17ROCPRIM_400000_NS6detail17trampoline_kernelINS0_14default_configENS1_38merge_sort_block_merge_config_selectorIiiEEZZNS1_27merge_sort_block_merge_implIS3_N6thrust23THRUST_200600_302600_NS6detail15normal_iteratorINS8_10device_ptrIiEEEESD_jNS1_19radix_merge_compareILb1ELb0EiNS0_19identity_decomposerEEEEE10hipError_tT0_T1_T2_jT3_P12ihipStream_tbPNSt15iterator_traitsISI_E10value_typeEPNSO_ISJ_E10value_typeEPSK_NS1_7vsmem_tEENKUlT_SI_SJ_SK_E_clIPiSD_S10_SD_EESH_SX_SI_SJ_SK_EUlSX_E1_NS1_11comp_targetILNS1_3genE4ELNS1_11target_archE910ELNS1_3gpuE8ELNS1_3repE0EEENS1_36merge_oddeven_config_static_selectorELNS0_4arch9wavefront6targetE0EEEvSJ_
		.amdhsa_group_segment_fixed_size 0
		.amdhsa_private_segment_fixed_size 0
		.amdhsa_kernarg_size 48
		.amdhsa_user_sgpr_count 6
		.amdhsa_user_sgpr_private_segment_buffer 1
		.amdhsa_user_sgpr_dispatch_ptr 0
		.amdhsa_user_sgpr_queue_ptr 0
		.amdhsa_user_sgpr_kernarg_segment_ptr 1
		.amdhsa_user_sgpr_dispatch_id 0
		.amdhsa_user_sgpr_flat_scratch_init 0
		.amdhsa_user_sgpr_private_segment_size 0
		.amdhsa_wavefront_size32 1
		.amdhsa_uses_dynamic_stack 0
		.amdhsa_system_sgpr_private_segment_wavefront_offset 0
		.amdhsa_system_sgpr_workgroup_id_x 1
		.amdhsa_system_sgpr_workgroup_id_y 0
		.amdhsa_system_sgpr_workgroup_id_z 0
		.amdhsa_system_sgpr_workgroup_info 0
		.amdhsa_system_vgpr_workitem_id 0
		.amdhsa_next_free_vgpr 1
		.amdhsa_next_free_sgpr 1
		.amdhsa_reserve_vcc 0
		.amdhsa_reserve_flat_scratch 0
		.amdhsa_float_round_mode_32 0
		.amdhsa_float_round_mode_16_64 0
		.amdhsa_float_denorm_mode_32 3
		.amdhsa_float_denorm_mode_16_64 3
		.amdhsa_dx10_clamp 1
		.amdhsa_ieee_mode 1
		.amdhsa_fp16_overflow 0
		.amdhsa_workgroup_processor_mode 1
		.amdhsa_memory_ordered 1
		.amdhsa_forward_progress 1
		.amdhsa_shared_vgpr_count 0
		.amdhsa_exception_fp_ieee_invalid_op 0
		.amdhsa_exception_fp_denorm_src 0
		.amdhsa_exception_fp_ieee_div_zero 0
		.amdhsa_exception_fp_ieee_overflow 0
		.amdhsa_exception_fp_ieee_underflow 0
		.amdhsa_exception_fp_ieee_inexact 0
		.amdhsa_exception_int_div_zero 0
	.end_amdhsa_kernel
	.section	.text._ZN7rocprim17ROCPRIM_400000_NS6detail17trampoline_kernelINS0_14default_configENS1_38merge_sort_block_merge_config_selectorIiiEEZZNS1_27merge_sort_block_merge_implIS3_N6thrust23THRUST_200600_302600_NS6detail15normal_iteratorINS8_10device_ptrIiEEEESD_jNS1_19radix_merge_compareILb1ELb0EiNS0_19identity_decomposerEEEEE10hipError_tT0_T1_T2_jT3_P12ihipStream_tbPNSt15iterator_traitsISI_E10value_typeEPNSO_ISJ_E10value_typeEPSK_NS1_7vsmem_tEENKUlT_SI_SJ_SK_E_clIPiSD_S10_SD_EESH_SX_SI_SJ_SK_EUlSX_E1_NS1_11comp_targetILNS1_3genE4ELNS1_11target_archE910ELNS1_3gpuE8ELNS1_3repE0EEENS1_36merge_oddeven_config_static_selectorELNS0_4arch9wavefront6targetE0EEEvSJ_,"axG",@progbits,_ZN7rocprim17ROCPRIM_400000_NS6detail17trampoline_kernelINS0_14default_configENS1_38merge_sort_block_merge_config_selectorIiiEEZZNS1_27merge_sort_block_merge_implIS3_N6thrust23THRUST_200600_302600_NS6detail15normal_iteratorINS8_10device_ptrIiEEEESD_jNS1_19radix_merge_compareILb1ELb0EiNS0_19identity_decomposerEEEEE10hipError_tT0_T1_T2_jT3_P12ihipStream_tbPNSt15iterator_traitsISI_E10value_typeEPNSO_ISJ_E10value_typeEPSK_NS1_7vsmem_tEENKUlT_SI_SJ_SK_E_clIPiSD_S10_SD_EESH_SX_SI_SJ_SK_EUlSX_E1_NS1_11comp_targetILNS1_3genE4ELNS1_11target_archE910ELNS1_3gpuE8ELNS1_3repE0EEENS1_36merge_oddeven_config_static_selectorELNS0_4arch9wavefront6targetE0EEEvSJ_,comdat
.Lfunc_end904:
	.size	_ZN7rocprim17ROCPRIM_400000_NS6detail17trampoline_kernelINS0_14default_configENS1_38merge_sort_block_merge_config_selectorIiiEEZZNS1_27merge_sort_block_merge_implIS3_N6thrust23THRUST_200600_302600_NS6detail15normal_iteratorINS8_10device_ptrIiEEEESD_jNS1_19radix_merge_compareILb1ELb0EiNS0_19identity_decomposerEEEEE10hipError_tT0_T1_T2_jT3_P12ihipStream_tbPNSt15iterator_traitsISI_E10value_typeEPNSO_ISJ_E10value_typeEPSK_NS1_7vsmem_tEENKUlT_SI_SJ_SK_E_clIPiSD_S10_SD_EESH_SX_SI_SJ_SK_EUlSX_E1_NS1_11comp_targetILNS1_3genE4ELNS1_11target_archE910ELNS1_3gpuE8ELNS1_3repE0EEENS1_36merge_oddeven_config_static_selectorELNS0_4arch9wavefront6targetE0EEEvSJ_, .Lfunc_end904-_ZN7rocprim17ROCPRIM_400000_NS6detail17trampoline_kernelINS0_14default_configENS1_38merge_sort_block_merge_config_selectorIiiEEZZNS1_27merge_sort_block_merge_implIS3_N6thrust23THRUST_200600_302600_NS6detail15normal_iteratorINS8_10device_ptrIiEEEESD_jNS1_19radix_merge_compareILb1ELb0EiNS0_19identity_decomposerEEEEE10hipError_tT0_T1_T2_jT3_P12ihipStream_tbPNSt15iterator_traitsISI_E10value_typeEPNSO_ISJ_E10value_typeEPSK_NS1_7vsmem_tEENKUlT_SI_SJ_SK_E_clIPiSD_S10_SD_EESH_SX_SI_SJ_SK_EUlSX_E1_NS1_11comp_targetILNS1_3genE4ELNS1_11target_archE910ELNS1_3gpuE8ELNS1_3repE0EEENS1_36merge_oddeven_config_static_selectorELNS0_4arch9wavefront6targetE0EEEvSJ_
                                        ; -- End function
	.set _ZN7rocprim17ROCPRIM_400000_NS6detail17trampoline_kernelINS0_14default_configENS1_38merge_sort_block_merge_config_selectorIiiEEZZNS1_27merge_sort_block_merge_implIS3_N6thrust23THRUST_200600_302600_NS6detail15normal_iteratorINS8_10device_ptrIiEEEESD_jNS1_19radix_merge_compareILb1ELb0EiNS0_19identity_decomposerEEEEE10hipError_tT0_T1_T2_jT3_P12ihipStream_tbPNSt15iterator_traitsISI_E10value_typeEPNSO_ISJ_E10value_typeEPSK_NS1_7vsmem_tEENKUlT_SI_SJ_SK_E_clIPiSD_S10_SD_EESH_SX_SI_SJ_SK_EUlSX_E1_NS1_11comp_targetILNS1_3genE4ELNS1_11target_archE910ELNS1_3gpuE8ELNS1_3repE0EEENS1_36merge_oddeven_config_static_selectorELNS0_4arch9wavefront6targetE0EEEvSJ_.num_vgpr, 0
	.set _ZN7rocprim17ROCPRIM_400000_NS6detail17trampoline_kernelINS0_14default_configENS1_38merge_sort_block_merge_config_selectorIiiEEZZNS1_27merge_sort_block_merge_implIS3_N6thrust23THRUST_200600_302600_NS6detail15normal_iteratorINS8_10device_ptrIiEEEESD_jNS1_19radix_merge_compareILb1ELb0EiNS0_19identity_decomposerEEEEE10hipError_tT0_T1_T2_jT3_P12ihipStream_tbPNSt15iterator_traitsISI_E10value_typeEPNSO_ISJ_E10value_typeEPSK_NS1_7vsmem_tEENKUlT_SI_SJ_SK_E_clIPiSD_S10_SD_EESH_SX_SI_SJ_SK_EUlSX_E1_NS1_11comp_targetILNS1_3genE4ELNS1_11target_archE910ELNS1_3gpuE8ELNS1_3repE0EEENS1_36merge_oddeven_config_static_selectorELNS0_4arch9wavefront6targetE0EEEvSJ_.num_agpr, 0
	.set _ZN7rocprim17ROCPRIM_400000_NS6detail17trampoline_kernelINS0_14default_configENS1_38merge_sort_block_merge_config_selectorIiiEEZZNS1_27merge_sort_block_merge_implIS3_N6thrust23THRUST_200600_302600_NS6detail15normal_iteratorINS8_10device_ptrIiEEEESD_jNS1_19radix_merge_compareILb1ELb0EiNS0_19identity_decomposerEEEEE10hipError_tT0_T1_T2_jT3_P12ihipStream_tbPNSt15iterator_traitsISI_E10value_typeEPNSO_ISJ_E10value_typeEPSK_NS1_7vsmem_tEENKUlT_SI_SJ_SK_E_clIPiSD_S10_SD_EESH_SX_SI_SJ_SK_EUlSX_E1_NS1_11comp_targetILNS1_3genE4ELNS1_11target_archE910ELNS1_3gpuE8ELNS1_3repE0EEENS1_36merge_oddeven_config_static_selectorELNS0_4arch9wavefront6targetE0EEEvSJ_.numbered_sgpr, 0
	.set _ZN7rocprim17ROCPRIM_400000_NS6detail17trampoline_kernelINS0_14default_configENS1_38merge_sort_block_merge_config_selectorIiiEEZZNS1_27merge_sort_block_merge_implIS3_N6thrust23THRUST_200600_302600_NS6detail15normal_iteratorINS8_10device_ptrIiEEEESD_jNS1_19radix_merge_compareILb1ELb0EiNS0_19identity_decomposerEEEEE10hipError_tT0_T1_T2_jT3_P12ihipStream_tbPNSt15iterator_traitsISI_E10value_typeEPNSO_ISJ_E10value_typeEPSK_NS1_7vsmem_tEENKUlT_SI_SJ_SK_E_clIPiSD_S10_SD_EESH_SX_SI_SJ_SK_EUlSX_E1_NS1_11comp_targetILNS1_3genE4ELNS1_11target_archE910ELNS1_3gpuE8ELNS1_3repE0EEENS1_36merge_oddeven_config_static_selectorELNS0_4arch9wavefront6targetE0EEEvSJ_.num_named_barrier, 0
	.set _ZN7rocprim17ROCPRIM_400000_NS6detail17trampoline_kernelINS0_14default_configENS1_38merge_sort_block_merge_config_selectorIiiEEZZNS1_27merge_sort_block_merge_implIS3_N6thrust23THRUST_200600_302600_NS6detail15normal_iteratorINS8_10device_ptrIiEEEESD_jNS1_19radix_merge_compareILb1ELb0EiNS0_19identity_decomposerEEEEE10hipError_tT0_T1_T2_jT3_P12ihipStream_tbPNSt15iterator_traitsISI_E10value_typeEPNSO_ISJ_E10value_typeEPSK_NS1_7vsmem_tEENKUlT_SI_SJ_SK_E_clIPiSD_S10_SD_EESH_SX_SI_SJ_SK_EUlSX_E1_NS1_11comp_targetILNS1_3genE4ELNS1_11target_archE910ELNS1_3gpuE8ELNS1_3repE0EEENS1_36merge_oddeven_config_static_selectorELNS0_4arch9wavefront6targetE0EEEvSJ_.private_seg_size, 0
	.set _ZN7rocprim17ROCPRIM_400000_NS6detail17trampoline_kernelINS0_14default_configENS1_38merge_sort_block_merge_config_selectorIiiEEZZNS1_27merge_sort_block_merge_implIS3_N6thrust23THRUST_200600_302600_NS6detail15normal_iteratorINS8_10device_ptrIiEEEESD_jNS1_19radix_merge_compareILb1ELb0EiNS0_19identity_decomposerEEEEE10hipError_tT0_T1_T2_jT3_P12ihipStream_tbPNSt15iterator_traitsISI_E10value_typeEPNSO_ISJ_E10value_typeEPSK_NS1_7vsmem_tEENKUlT_SI_SJ_SK_E_clIPiSD_S10_SD_EESH_SX_SI_SJ_SK_EUlSX_E1_NS1_11comp_targetILNS1_3genE4ELNS1_11target_archE910ELNS1_3gpuE8ELNS1_3repE0EEENS1_36merge_oddeven_config_static_selectorELNS0_4arch9wavefront6targetE0EEEvSJ_.uses_vcc, 0
	.set _ZN7rocprim17ROCPRIM_400000_NS6detail17trampoline_kernelINS0_14default_configENS1_38merge_sort_block_merge_config_selectorIiiEEZZNS1_27merge_sort_block_merge_implIS3_N6thrust23THRUST_200600_302600_NS6detail15normal_iteratorINS8_10device_ptrIiEEEESD_jNS1_19radix_merge_compareILb1ELb0EiNS0_19identity_decomposerEEEEE10hipError_tT0_T1_T2_jT3_P12ihipStream_tbPNSt15iterator_traitsISI_E10value_typeEPNSO_ISJ_E10value_typeEPSK_NS1_7vsmem_tEENKUlT_SI_SJ_SK_E_clIPiSD_S10_SD_EESH_SX_SI_SJ_SK_EUlSX_E1_NS1_11comp_targetILNS1_3genE4ELNS1_11target_archE910ELNS1_3gpuE8ELNS1_3repE0EEENS1_36merge_oddeven_config_static_selectorELNS0_4arch9wavefront6targetE0EEEvSJ_.uses_flat_scratch, 0
	.set _ZN7rocprim17ROCPRIM_400000_NS6detail17trampoline_kernelINS0_14default_configENS1_38merge_sort_block_merge_config_selectorIiiEEZZNS1_27merge_sort_block_merge_implIS3_N6thrust23THRUST_200600_302600_NS6detail15normal_iteratorINS8_10device_ptrIiEEEESD_jNS1_19radix_merge_compareILb1ELb0EiNS0_19identity_decomposerEEEEE10hipError_tT0_T1_T2_jT3_P12ihipStream_tbPNSt15iterator_traitsISI_E10value_typeEPNSO_ISJ_E10value_typeEPSK_NS1_7vsmem_tEENKUlT_SI_SJ_SK_E_clIPiSD_S10_SD_EESH_SX_SI_SJ_SK_EUlSX_E1_NS1_11comp_targetILNS1_3genE4ELNS1_11target_archE910ELNS1_3gpuE8ELNS1_3repE0EEENS1_36merge_oddeven_config_static_selectorELNS0_4arch9wavefront6targetE0EEEvSJ_.has_dyn_sized_stack, 0
	.set _ZN7rocprim17ROCPRIM_400000_NS6detail17trampoline_kernelINS0_14default_configENS1_38merge_sort_block_merge_config_selectorIiiEEZZNS1_27merge_sort_block_merge_implIS3_N6thrust23THRUST_200600_302600_NS6detail15normal_iteratorINS8_10device_ptrIiEEEESD_jNS1_19radix_merge_compareILb1ELb0EiNS0_19identity_decomposerEEEEE10hipError_tT0_T1_T2_jT3_P12ihipStream_tbPNSt15iterator_traitsISI_E10value_typeEPNSO_ISJ_E10value_typeEPSK_NS1_7vsmem_tEENKUlT_SI_SJ_SK_E_clIPiSD_S10_SD_EESH_SX_SI_SJ_SK_EUlSX_E1_NS1_11comp_targetILNS1_3genE4ELNS1_11target_archE910ELNS1_3gpuE8ELNS1_3repE0EEENS1_36merge_oddeven_config_static_selectorELNS0_4arch9wavefront6targetE0EEEvSJ_.has_recursion, 0
	.set _ZN7rocprim17ROCPRIM_400000_NS6detail17trampoline_kernelINS0_14default_configENS1_38merge_sort_block_merge_config_selectorIiiEEZZNS1_27merge_sort_block_merge_implIS3_N6thrust23THRUST_200600_302600_NS6detail15normal_iteratorINS8_10device_ptrIiEEEESD_jNS1_19radix_merge_compareILb1ELb0EiNS0_19identity_decomposerEEEEE10hipError_tT0_T1_T2_jT3_P12ihipStream_tbPNSt15iterator_traitsISI_E10value_typeEPNSO_ISJ_E10value_typeEPSK_NS1_7vsmem_tEENKUlT_SI_SJ_SK_E_clIPiSD_S10_SD_EESH_SX_SI_SJ_SK_EUlSX_E1_NS1_11comp_targetILNS1_3genE4ELNS1_11target_archE910ELNS1_3gpuE8ELNS1_3repE0EEENS1_36merge_oddeven_config_static_selectorELNS0_4arch9wavefront6targetE0EEEvSJ_.has_indirect_call, 0
	.section	.AMDGPU.csdata,"",@progbits
; Kernel info:
; codeLenInByte = 0
; TotalNumSgprs: 0
; NumVgprs: 0
; ScratchSize: 0
; MemoryBound: 0
; FloatMode: 240
; IeeeMode: 1
; LDSByteSize: 0 bytes/workgroup (compile time only)
; SGPRBlocks: 0
; VGPRBlocks: 0
; NumSGPRsForWavesPerEU: 1
; NumVGPRsForWavesPerEU: 1
; Occupancy: 16
; WaveLimiterHint : 0
; COMPUTE_PGM_RSRC2:SCRATCH_EN: 0
; COMPUTE_PGM_RSRC2:USER_SGPR: 6
; COMPUTE_PGM_RSRC2:TRAP_HANDLER: 0
; COMPUTE_PGM_RSRC2:TGID_X_EN: 1
; COMPUTE_PGM_RSRC2:TGID_Y_EN: 0
; COMPUTE_PGM_RSRC2:TGID_Z_EN: 0
; COMPUTE_PGM_RSRC2:TIDIG_COMP_CNT: 0
	.section	.text._ZN7rocprim17ROCPRIM_400000_NS6detail17trampoline_kernelINS0_14default_configENS1_38merge_sort_block_merge_config_selectorIiiEEZZNS1_27merge_sort_block_merge_implIS3_N6thrust23THRUST_200600_302600_NS6detail15normal_iteratorINS8_10device_ptrIiEEEESD_jNS1_19radix_merge_compareILb1ELb0EiNS0_19identity_decomposerEEEEE10hipError_tT0_T1_T2_jT3_P12ihipStream_tbPNSt15iterator_traitsISI_E10value_typeEPNSO_ISJ_E10value_typeEPSK_NS1_7vsmem_tEENKUlT_SI_SJ_SK_E_clIPiSD_S10_SD_EESH_SX_SI_SJ_SK_EUlSX_E1_NS1_11comp_targetILNS1_3genE3ELNS1_11target_archE908ELNS1_3gpuE7ELNS1_3repE0EEENS1_36merge_oddeven_config_static_selectorELNS0_4arch9wavefront6targetE0EEEvSJ_,"axG",@progbits,_ZN7rocprim17ROCPRIM_400000_NS6detail17trampoline_kernelINS0_14default_configENS1_38merge_sort_block_merge_config_selectorIiiEEZZNS1_27merge_sort_block_merge_implIS3_N6thrust23THRUST_200600_302600_NS6detail15normal_iteratorINS8_10device_ptrIiEEEESD_jNS1_19radix_merge_compareILb1ELb0EiNS0_19identity_decomposerEEEEE10hipError_tT0_T1_T2_jT3_P12ihipStream_tbPNSt15iterator_traitsISI_E10value_typeEPNSO_ISJ_E10value_typeEPSK_NS1_7vsmem_tEENKUlT_SI_SJ_SK_E_clIPiSD_S10_SD_EESH_SX_SI_SJ_SK_EUlSX_E1_NS1_11comp_targetILNS1_3genE3ELNS1_11target_archE908ELNS1_3gpuE7ELNS1_3repE0EEENS1_36merge_oddeven_config_static_selectorELNS0_4arch9wavefront6targetE0EEEvSJ_,comdat
	.protected	_ZN7rocprim17ROCPRIM_400000_NS6detail17trampoline_kernelINS0_14default_configENS1_38merge_sort_block_merge_config_selectorIiiEEZZNS1_27merge_sort_block_merge_implIS3_N6thrust23THRUST_200600_302600_NS6detail15normal_iteratorINS8_10device_ptrIiEEEESD_jNS1_19radix_merge_compareILb1ELb0EiNS0_19identity_decomposerEEEEE10hipError_tT0_T1_T2_jT3_P12ihipStream_tbPNSt15iterator_traitsISI_E10value_typeEPNSO_ISJ_E10value_typeEPSK_NS1_7vsmem_tEENKUlT_SI_SJ_SK_E_clIPiSD_S10_SD_EESH_SX_SI_SJ_SK_EUlSX_E1_NS1_11comp_targetILNS1_3genE3ELNS1_11target_archE908ELNS1_3gpuE7ELNS1_3repE0EEENS1_36merge_oddeven_config_static_selectorELNS0_4arch9wavefront6targetE0EEEvSJ_ ; -- Begin function _ZN7rocprim17ROCPRIM_400000_NS6detail17trampoline_kernelINS0_14default_configENS1_38merge_sort_block_merge_config_selectorIiiEEZZNS1_27merge_sort_block_merge_implIS3_N6thrust23THRUST_200600_302600_NS6detail15normal_iteratorINS8_10device_ptrIiEEEESD_jNS1_19radix_merge_compareILb1ELb0EiNS0_19identity_decomposerEEEEE10hipError_tT0_T1_T2_jT3_P12ihipStream_tbPNSt15iterator_traitsISI_E10value_typeEPNSO_ISJ_E10value_typeEPSK_NS1_7vsmem_tEENKUlT_SI_SJ_SK_E_clIPiSD_S10_SD_EESH_SX_SI_SJ_SK_EUlSX_E1_NS1_11comp_targetILNS1_3genE3ELNS1_11target_archE908ELNS1_3gpuE7ELNS1_3repE0EEENS1_36merge_oddeven_config_static_selectorELNS0_4arch9wavefront6targetE0EEEvSJ_
	.globl	_ZN7rocprim17ROCPRIM_400000_NS6detail17trampoline_kernelINS0_14default_configENS1_38merge_sort_block_merge_config_selectorIiiEEZZNS1_27merge_sort_block_merge_implIS3_N6thrust23THRUST_200600_302600_NS6detail15normal_iteratorINS8_10device_ptrIiEEEESD_jNS1_19radix_merge_compareILb1ELb0EiNS0_19identity_decomposerEEEEE10hipError_tT0_T1_T2_jT3_P12ihipStream_tbPNSt15iterator_traitsISI_E10value_typeEPNSO_ISJ_E10value_typeEPSK_NS1_7vsmem_tEENKUlT_SI_SJ_SK_E_clIPiSD_S10_SD_EESH_SX_SI_SJ_SK_EUlSX_E1_NS1_11comp_targetILNS1_3genE3ELNS1_11target_archE908ELNS1_3gpuE7ELNS1_3repE0EEENS1_36merge_oddeven_config_static_selectorELNS0_4arch9wavefront6targetE0EEEvSJ_
	.p2align	8
	.type	_ZN7rocprim17ROCPRIM_400000_NS6detail17trampoline_kernelINS0_14default_configENS1_38merge_sort_block_merge_config_selectorIiiEEZZNS1_27merge_sort_block_merge_implIS3_N6thrust23THRUST_200600_302600_NS6detail15normal_iteratorINS8_10device_ptrIiEEEESD_jNS1_19radix_merge_compareILb1ELb0EiNS0_19identity_decomposerEEEEE10hipError_tT0_T1_T2_jT3_P12ihipStream_tbPNSt15iterator_traitsISI_E10value_typeEPNSO_ISJ_E10value_typeEPSK_NS1_7vsmem_tEENKUlT_SI_SJ_SK_E_clIPiSD_S10_SD_EESH_SX_SI_SJ_SK_EUlSX_E1_NS1_11comp_targetILNS1_3genE3ELNS1_11target_archE908ELNS1_3gpuE7ELNS1_3repE0EEENS1_36merge_oddeven_config_static_selectorELNS0_4arch9wavefront6targetE0EEEvSJ_,@function
_ZN7rocprim17ROCPRIM_400000_NS6detail17trampoline_kernelINS0_14default_configENS1_38merge_sort_block_merge_config_selectorIiiEEZZNS1_27merge_sort_block_merge_implIS3_N6thrust23THRUST_200600_302600_NS6detail15normal_iteratorINS8_10device_ptrIiEEEESD_jNS1_19radix_merge_compareILb1ELb0EiNS0_19identity_decomposerEEEEE10hipError_tT0_T1_T2_jT3_P12ihipStream_tbPNSt15iterator_traitsISI_E10value_typeEPNSO_ISJ_E10value_typeEPSK_NS1_7vsmem_tEENKUlT_SI_SJ_SK_E_clIPiSD_S10_SD_EESH_SX_SI_SJ_SK_EUlSX_E1_NS1_11comp_targetILNS1_3genE3ELNS1_11target_archE908ELNS1_3gpuE7ELNS1_3repE0EEENS1_36merge_oddeven_config_static_selectorELNS0_4arch9wavefront6targetE0EEEvSJ_: ; @_ZN7rocprim17ROCPRIM_400000_NS6detail17trampoline_kernelINS0_14default_configENS1_38merge_sort_block_merge_config_selectorIiiEEZZNS1_27merge_sort_block_merge_implIS3_N6thrust23THRUST_200600_302600_NS6detail15normal_iteratorINS8_10device_ptrIiEEEESD_jNS1_19radix_merge_compareILb1ELb0EiNS0_19identity_decomposerEEEEE10hipError_tT0_T1_T2_jT3_P12ihipStream_tbPNSt15iterator_traitsISI_E10value_typeEPNSO_ISJ_E10value_typeEPSK_NS1_7vsmem_tEENKUlT_SI_SJ_SK_E_clIPiSD_S10_SD_EESH_SX_SI_SJ_SK_EUlSX_E1_NS1_11comp_targetILNS1_3genE3ELNS1_11target_archE908ELNS1_3gpuE7ELNS1_3repE0EEENS1_36merge_oddeven_config_static_selectorELNS0_4arch9wavefront6targetE0EEEvSJ_
; %bb.0:
	.section	.rodata,"a",@progbits
	.p2align	6, 0x0
	.amdhsa_kernel _ZN7rocprim17ROCPRIM_400000_NS6detail17trampoline_kernelINS0_14default_configENS1_38merge_sort_block_merge_config_selectorIiiEEZZNS1_27merge_sort_block_merge_implIS3_N6thrust23THRUST_200600_302600_NS6detail15normal_iteratorINS8_10device_ptrIiEEEESD_jNS1_19radix_merge_compareILb1ELb0EiNS0_19identity_decomposerEEEEE10hipError_tT0_T1_T2_jT3_P12ihipStream_tbPNSt15iterator_traitsISI_E10value_typeEPNSO_ISJ_E10value_typeEPSK_NS1_7vsmem_tEENKUlT_SI_SJ_SK_E_clIPiSD_S10_SD_EESH_SX_SI_SJ_SK_EUlSX_E1_NS1_11comp_targetILNS1_3genE3ELNS1_11target_archE908ELNS1_3gpuE7ELNS1_3repE0EEENS1_36merge_oddeven_config_static_selectorELNS0_4arch9wavefront6targetE0EEEvSJ_
		.amdhsa_group_segment_fixed_size 0
		.amdhsa_private_segment_fixed_size 0
		.amdhsa_kernarg_size 48
		.amdhsa_user_sgpr_count 6
		.amdhsa_user_sgpr_private_segment_buffer 1
		.amdhsa_user_sgpr_dispatch_ptr 0
		.amdhsa_user_sgpr_queue_ptr 0
		.amdhsa_user_sgpr_kernarg_segment_ptr 1
		.amdhsa_user_sgpr_dispatch_id 0
		.amdhsa_user_sgpr_flat_scratch_init 0
		.amdhsa_user_sgpr_private_segment_size 0
		.amdhsa_wavefront_size32 1
		.amdhsa_uses_dynamic_stack 0
		.amdhsa_system_sgpr_private_segment_wavefront_offset 0
		.amdhsa_system_sgpr_workgroup_id_x 1
		.amdhsa_system_sgpr_workgroup_id_y 0
		.amdhsa_system_sgpr_workgroup_id_z 0
		.amdhsa_system_sgpr_workgroup_info 0
		.amdhsa_system_vgpr_workitem_id 0
		.amdhsa_next_free_vgpr 1
		.amdhsa_next_free_sgpr 1
		.amdhsa_reserve_vcc 0
		.amdhsa_reserve_flat_scratch 0
		.amdhsa_float_round_mode_32 0
		.amdhsa_float_round_mode_16_64 0
		.amdhsa_float_denorm_mode_32 3
		.amdhsa_float_denorm_mode_16_64 3
		.amdhsa_dx10_clamp 1
		.amdhsa_ieee_mode 1
		.amdhsa_fp16_overflow 0
		.amdhsa_workgroup_processor_mode 1
		.amdhsa_memory_ordered 1
		.amdhsa_forward_progress 1
		.amdhsa_shared_vgpr_count 0
		.amdhsa_exception_fp_ieee_invalid_op 0
		.amdhsa_exception_fp_denorm_src 0
		.amdhsa_exception_fp_ieee_div_zero 0
		.amdhsa_exception_fp_ieee_overflow 0
		.amdhsa_exception_fp_ieee_underflow 0
		.amdhsa_exception_fp_ieee_inexact 0
		.amdhsa_exception_int_div_zero 0
	.end_amdhsa_kernel
	.section	.text._ZN7rocprim17ROCPRIM_400000_NS6detail17trampoline_kernelINS0_14default_configENS1_38merge_sort_block_merge_config_selectorIiiEEZZNS1_27merge_sort_block_merge_implIS3_N6thrust23THRUST_200600_302600_NS6detail15normal_iteratorINS8_10device_ptrIiEEEESD_jNS1_19radix_merge_compareILb1ELb0EiNS0_19identity_decomposerEEEEE10hipError_tT0_T1_T2_jT3_P12ihipStream_tbPNSt15iterator_traitsISI_E10value_typeEPNSO_ISJ_E10value_typeEPSK_NS1_7vsmem_tEENKUlT_SI_SJ_SK_E_clIPiSD_S10_SD_EESH_SX_SI_SJ_SK_EUlSX_E1_NS1_11comp_targetILNS1_3genE3ELNS1_11target_archE908ELNS1_3gpuE7ELNS1_3repE0EEENS1_36merge_oddeven_config_static_selectorELNS0_4arch9wavefront6targetE0EEEvSJ_,"axG",@progbits,_ZN7rocprim17ROCPRIM_400000_NS6detail17trampoline_kernelINS0_14default_configENS1_38merge_sort_block_merge_config_selectorIiiEEZZNS1_27merge_sort_block_merge_implIS3_N6thrust23THRUST_200600_302600_NS6detail15normal_iteratorINS8_10device_ptrIiEEEESD_jNS1_19radix_merge_compareILb1ELb0EiNS0_19identity_decomposerEEEEE10hipError_tT0_T1_T2_jT3_P12ihipStream_tbPNSt15iterator_traitsISI_E10value_typeEPNSO_ISJ_E10value_typeEPSK_NS1_7vsmem_tEENKUlT_SI_SJ_SK_E_clIPiSD_S10_SD_EESH_SX_SI_SJ_SK_EUlSX_E1_NS1_11comp_targetILNS1_3genE3ELNS1_11target_archE908ELNS1_3gpuE7ELNS1_3repE0EEENS1_36merge_oddeven_config_static_selectorELNS0_4arch9wavefront6targetE0EEEvSJ_,comdat
.Lfunc_end905:
	.size	_ZN7rocprim17ROCPRIM_400000_NS6detail17trampoline_kernelINS0_14default_configENS1_38merge_sort_block_merge_config_selectorIiiEEZZNS1_27merge_sort_block_merge_implIS3_N6thrust23THRUST_200600_302600_NS6detail15normal_iteratorINS8_10device_ptrIiEEEESD_jNS1_19radix_merge_compareILb1ELb0EiNS0_19identity_decomposerEEEEE10hipError_tT0_T1_T2_jT3_P12ihipStream_tbPNSt15iterator_traitsISI_E10value_typeEPNSO_ISJ_E10value_typeEPSK_NS1_7vsmem_tEENKUlT_SI_SJ_SK_E_clIPiSD_S10_SD_EESH_SX_SI_SJ_SK_EUlSX_E1_NS1_11comp_targetILNS1_3genE3ELNS1_11target_archE908ELNS1_3gpuE7ELNS1_3repE0EEENS1_36merge_oddeven_config_static_selectorELNS0_4arch9wavefront6targetE0EEEvSJ_, .Lfunc_end905-_ZN7rocprim17ROCPRIM_400000_NS6detail17trampoline_kernelINS0_14default_configENS1_38merge_sort_block_merge_config_selectorIiiEEZZNS1_27merge_sort_block_merge_implIS3_N6thrust23THRUST_200600_302600_NS6detail15normal_iteratorINS8_10device_ptrIiEEEESD_jNS1_19radix_merge_compareILb1ELb0EiNS0_19identity_decomposerEEEEE10hipError_tT0_T1_T2_jT3_P12ihipStream_tbPNSt15iterator_traitsISI_E10value_typeEPNSO_ISJ_E10value_typeEPSK_NS1_7vsmem_tEENKUlT_SI_SJ_SK_E_clIPiSD_S10_SD_EESH_SX_SI_SJ_SK_EUlSX_E1_NS1_11comp_targetILNS1_3genE3ELNS1_11target_archE908ELNS1_3gpuE7ELNS1_3repE0EEENS1_36merge_oddeven_config_static_selectorELNS0_4arch9wavefront6targetE0EEEvSJ_
                                        ; -- End function
	.set _ZN7rocprim17ROCPRIM_400000_NS6detail17trampoline_kernelINS0_14default_configENS1_38merge_sort_block_merge_config_selectorIiiEEZZNS1_27merge_sort_block_merge_implIS3_N6thrust23THRUST_200600_302600_NS6detail15normal_iteratorINS8_10device_ptrIiEEEESD_jNS1_19radix_merge_compareILb1ELb0EiNS0_19identity_decomposerEEEEE10hipError_tT0_T1_T2_jT3_P12ihipStream_tbPNSt15iterator_traitsISI_E10value_typeEPNSO_ISJ_E10value_typeEPSK_NS1_7vsmem_tEENKUlT_SI_SJ_SK_E_clIPiSD_S10_SD_EESH_SX_SI_SJ_SK_EUlSX_E1_NS1_11comp_targetILNS1_3genE3ELNS1_11target_archE908ELNS1_3gpuE7ELNS1_3repE0EEENS1_36merge_oddeven_config_static_selectorELNS0_4arch9wavefront6targetE0EEEvSJ_.num_vgpr, 0
	.set _ZN7rocprim17ROCPRIM_400000_NS6detail17trampoline_kernelINS0_14default_configENS1_38merge_sort_block_merge_config_selectorIiiEEZZNS1_27merge_sort_block_merge_implIS3_N6thrust23THRUST_200600_302600_NS6detail15normal_iteratorINS8_10device_ptrIiEEEESD_jNS1_19radix_merge_compareILb1ELb0EiNS0_19identity_decomposerEEEEE10hipError_tT0_T1_T2_jT3_P12ihipStream_tbPNSt15iterator_traitsISI_E10value_typeEPNSO_ISJ_E10value_typeEPSK_NS1_7vsmem_tEENKUlT_SI_SJ_SK_E_clIPiSD_S10_SD_EESH_SX_SI_SJ_SK_EUlSX_E1_NS1_11comp_targetILNS1_3genE3ELNS1_11target_archE908ELNS1_3gpuE7ELNS1_3repE0EEENS1_36merge_oddeven_config_static_selectorELNS0_4arch9wavefront6targetE0EEEvSJ_.num_agpr, 0
	.set _ZN7rocprim17ROCPRIM_400000_NS6detail17trampoline_kernelINS0_14default_configENS1_38merge_sort_block_merge_config_selectorIiiEEZZNS1_27merge_sort_block_merge_implIS3_N6thrust23THRUST_200600_302600_NS6detail15normal_iteratorINS8_10device_ptrIiEEEESD_jNS1_19radix_merge_compareILb1ELb0EiNS0_19identity_decomposerEEEEE10hipError_tT0_T1_T2_jT3_P12ihipStream_tbPNSt15iterator_traitsISI_E10value_typeEPNSO_ISJ_E10value_typeEPSK_NS1_7vsmem_tEENKUlT_SI_SJ_SK_E_clIPiSD_S10_SD_EESH_SX_SI_SJ_SK_EUlSX_E1_NS1_11comp_targetILNS1_3genE3ELNS1_11target_archE908ELNS1_3gpuE7ELNS1_3repE0EEENS1_36merge_oddeven_config_static_selectorELNS0_4arch9wavefront6targetE0EEEvSJ_.numbered_sgpr, 0
	.set _ZN7rocprim17ROCPRIM_400000_NS6detail17trampoline_kernelINS0_14default_configENS1_38merge_sort_block_merge_config_selectorIiiEEZZNS1_27merge_sort_block_merge_implIS3_N6thrust23THRUST_200600_302600_NS6detail15normal_iteratorINS8_10device_ptrIiEEEESD_jNS1_19radix_merge_compareILb1ELb0EiNS0_19identity_decomposerEEEEE10hipError_tT0_T1_T2_jT3_P12ihipStream_tbPNSt15iterator_traitsISI_E10value_typeEPNSO_ISJ_E10value_typeEPSK_NS1_7vsmem_tEENKUlT_SI_SJ_SK_E_clIPiSD_S10_SD_EESH_SX_SI_SJ_SK_EUlSX_E1_NS1_11comp_targetILNS1_3genE3ELNS1_11target_archE908ELNS1_3gpuE7ELNS1_3repE0EEENS1_36merge_oddeven_config_static_selectorELNS0_4arch9wavefront6targetE0EEEvSJ_.num_named_barrier, 0
	.set _ZN7rocprim17ROCPRIM_400000_NS6detail17trampoline_kernelINS0_14default_configENS1_38merge_sort_block_merge_config_selectorIiiEEZZNS1_27merge_sort_block_merge_implIS3_N6thrust23THRUST_200600_302600_NS6detail15normal_iteratorINS8_10device_ptrIiEEEESD_jNS1_19radix_merge_compareILb1ELb0EiNS0_19identity_decomposerEEEEE10hipError_tT0_T1_T2_jT3_P12ihipStream_tbPNSt15iterator_traitsISI_E10value_typeEPNSO_ISJ_E10value_typeEPSK_NS1_7vsmem_tEENKUlT_SI_SJ_SK_E_clIPiSD_S10_SD_EESH_SX_SI_SJ_SK_EUlSX_E1_NS1_11comp_targetILNS1_3genE3ELNS1_11target_archE908ELNS1_3gpuE7ELNS1_3repE0EEENS1_36merge_oddeven_config_static_selectorELNS0_4arch9wavefront6targetE0EEEvSJ_.private_seg_size, 0
	.set _ZN7rocprim17ROCPRIM_400000_NS6detail17trampoline_kernelINS0_14default_configENS1_38merge_sort_block_merge_config_selectorIiiEEZZNS1_27merge_sort_block_merge_implIS3_N6thrust23THRUST_200600_302600_NS6detail15normal_iteratorINS8_10device_ptrIiEEEESD_jNS1_19radix_merge_compareILb1ELb0EiNS0_19identity_decomposerEEEEE10hipError_tT0_T1_T2_jT3_P12ihipStream_tbPNSt15iterator_traitsISI_E10value_typeEPNSO_ISJ_E10value_typeEPSK_NS1_7vsmem_tEENKUlT_SI_SJ_SK_E_clIPiSD_S10_SD_EESH_SX_SI_SJ_SK_EUlSX_E1_NS1_11comp_targetILNS1_3genE3ELNS1_11target_archE908ELNS1_3gpuE7ELNS1_3repE0EEENS1_36merge_oddeven_config_static_selectorELNS0_4arch9wavefront6targetE0EEEvSJ_.uses_vcc, 0
	.set _ZN7rocprim17ROCPRIM_400000_NS6detail17trampoline_kernelINS0_14default_configENS1_38merge_sort_block_merge_config_selectorIiiEEZZNS1_27merge_sort_block_merge_implIS3_N6thrust23THRUST_200600_302600_NS6detail15normal_iteratorINS8_10device_ptrIiEEEESD_jNS1_19radix_merge_compareILb1ELb0EiNS0_19identity_decomposerEEEEE10hipError_tT0_T1_T2_jT3_P12ihipStream_tbPNSt15iterator_traitsISI_E10value_typeEPNSO_ISJ_E10value_typeEPSK_NS1_7vsmem_tEENKUlT_SI_SJ_SK_E_clIPiSD_S10_SD_EESH_SX_SI_SJ_SK_EUlSX_E1_NS1_11comp_targetILNS1_3genE3ELNS1_11target_archE908ELNS1_3gpuE7ELNS1_3repE0EEENS1_36merge_oddeven_config_static_selectorELNS0_4arch9wavefront6targetE0EEEvSJ_.uses_flat_scratch, 0
	.set _ZN7rocprim17ROCPRIM_400000_NS6detail17trampoline_kernelINS0_14default_configENS1_38merge_sort_block_merge_config_selectorIiiEEZZNS1_27merge_sort_block_merge_implIS3_N6thrust23THRUST_200600_302600_NS6detail15normal_iteratorINS8_10device_ptrIiEEEESD_jNS1_19radix_merge_compareILb1ELb0EiNS0_19identity_decomposerEEEEE10hipError_tT0_T1_T2_jT3_P12ihipStream_tbPNSt15iterator_traitsISI_E10value_typeEPNSO_ISJ_E10value_typeEPSK_NS1_7vsmem_tEENKUlT_SI_SJ_SK_E_clIPiSD_S10_SD_EESH_SX_SI_SJ_SK_EUlSX_E1_NS1_11comp_targetILNS1_3genE3ELNS1_11target_archE908ELNS1_3gpuE7ELNS1_3repE0EEENS1_36merge_oddeven_config_static_selectorELNS0_4arch9wavefront6targetE0EEEvSJ_.has_dyn_sized_stack, 0
	.set _ZN7rocprim17ROCPRIM_400000_NS6detail17trampoline_kernelINS0_14default_configENS1_38merge_sort_block_merge_config_selectorIiiEEZZNS1_27merge_sort_block_merge_implIS3_N6thrust23THRUST_200600_302600_NS6detail15normal_iteratorINS8_10device_ptrIiEEEESD_jNS1_19radix_merge_compareILb1ELb0EiNS0_19identity_decomposerEEEEE10hipError_tT0_T1_T2_jT3_P12ihipStream_tbPNSt15iterator_traitsISI_E10value_typeEPNSO_ISJ_E10value_typeEPSK_NS1_7vsmem_tEENKUlT_SI_SJ_SK_E_clIPiSD_S10_SD_EESH_SX_SI_SJ_SK_EUlSX_E1_NS1_11comp_targetILNS1_3genE3ELNS1_11target_archE908ELNS1_3gpuE7ELNS1_3repE0EEENS1_36merge_oddeven_config_static_selectorELNS0_4arch9wavefront6targetE0EEEvSJ_.has_recursion, 0
	.set _ZN7rocprim17ROCPRIM_400000_NS6detail17trampoline_kernelINS0_14default_configENS1_38merge_sort_block_merge_config_selectorIiiEEZZNS1_27merge_sort_block_merge_implIS3_N6thrust23THRUST_200600_302600_NS6detail15normal_iteratorINS8_10device_ptrIiEEEESD_jNS1_19radix_merge_compareILb1ELb0EiNS0_19identity_decomposerEEEEE10hipError_tT0_T1_T2_jT3_P12ihipStream_tbPNSt15iterator_traitsISI_E10value_typeEPNSO_ISJ_E10value_typeEPSK_NS1_7vsmem_tEENKUlT_SI_SJ_SK_E_clIPiSD_S10_SD_EESH_SX_SI_SJ_SK_EUlSX_E1_NS1_11comp_targetILNS1_3genE3ELNS1_11target_archE908ELNS1_3gpuE7ELNS1_3repE0EEENS1_36merge_oddeven_config_static_selectorELNS0_4arch9wavefront6targetE0EEEvSJ_.has_indirect_call, 0
	.section	.AMDGPU.csdata,"",@progbits
; Kernel info:
; codeLenInByte = 0
; TotalNumSgprs: 0
; NumVgprs: 0
; ScratchSize: 0
; MemoryBound: 0
; FloatMode: 240
; IeeeMode: 1
; LDSByteSize: 0 bytes/workgroup (compile time only)
; SGPRBlocks: 0
; VGPRBlocks: 0
; NumSGPRsForWavesPerEU: 1
; NumVGPRsForWavesPerEU: 1
; Occupancy: 16
; WaveLimiterHint : 0
; COMPUTE_PGM_RSRC2:SCRATCH_EN: 0
; COMPUTE_PGM_RSRC2:USER_SGPR: 6
; COMPUTE_PGM_RSRC2:TRAP_HANDLER: 0
; COMPUTE_PGM_RSRC2:TGID_X_EN: 1
; COMPUTE_PGM_RSRC2:TGID_Y_EN: 0
; COMPUTE_PGM_RSRC2:TGID_Z_EN: 0
; COMPUTE_PGM_RSRC2:TIDIG_COMP_CNT: 0
	.section	.text._ZN7rocprim17ROCPRIM_400000_NS6detail17trampoline_kernelINS0_14default_configENS1_38merge_sort_block_merge_config_selectorIiiEEZZNS1_27merge_sort_block_merge_implIS3_N6thrust23THRUST_200600_302600_NS6detail15normal_iteratorINS8_10device_ptrIiEEEESD_jNS1_19radix_merge_compareILb1ELb0EiNS0_19identity_decomposerEEEEE10hipError_tT0_T1_T2_jT3_P12ihipStream_tbPNSt15iterator_traitsISI_E10value_typeEPNSO_ISJ_E10value_typeEPSK_NS1_7vsmem_tEENKUlT_SI_SJ_SK_E_clIPiSD_S10_SD_EESH_SX_SI_SJ_SK_EUlSX_E1_NS1_11comp_targetILNS1_3genE2ELNS1_11target_archE906ELNS1_3gpuE6ELNS1_3repE0EEENS1_36merge_oddeven_config_static_selectorELNS0_4arch9wavefront6targetE0EEEvSJ_,"axG",@progbits,_ZN7rocprim17ROCPRIM_400000_NS6detail17trampoline_kernelINS0_14default_configENS1_38merge_sort_block_merge_config_selectorIiiEEZZNS1_27merge_sort_block_merge_implIS3_N6thrust23THRUST_200600_302600_NS6detail15normal_iteratorINS8_10device_ptrIiEEEESD_jNS1_19radix_merge_compareILb1ELb0EiNS0_19identity_decomposerEEEEE10hipError_tT0_T1_T2_jT3_P12ihipStream_tbPNSt15iterator_traitsISI_E10value_typeEPNSO_ISJ_E10value_typeEPSK_NS1_7vsmem_tEENKUlT_SI_SJ_SK_E_clIPiSD_S10_SD_EESH_SX_SI_SJ_SK_EUlSX_E1_NS1_11comp_targetILNS1_3genE2ELNS1_11target_archE906ELNS1_3gpuE6ELNS1_3repE0EEENS1_36merge_oddeven_config_static_selectorELNS0_4arch9wavefront6targetE0EEEvSJ_,comdat
	.protected	_ZN7rocprim17ROCPRIM_400000_NS6detail17trampoline_kernelINS0_14default_configENS1_38merge_sort_block_merge_config_selectorIiiEEZZNS1_27merge_sort_block_merge_implIS3_N6thrust23THRUST_200600_302600_NS6detail15normal_iteratorINS8_10device_ptrIiEEEESD_jNS1_19radix_merge_compareILb1ELb0EiNS0_19identity_decomposerEEEEE10hipError_tT0_T1_T2_jT3_P12ihipStream_tbPNSt15iterator_traitsISI_E10value_typeEPNSO_ISJ_E10value_typeEPSK_NS1_7vsmem_tEENKUlT_SI_SJ_SK_E_clIPiSD_S10_SD_EESH_SX_SI_SJ_SK_EUlSX_E1_NS1_11comp_targetILNS1_3genE2ELNS1_11target_archE906ELNS1_3gpuE6ELNS1_3repE0EEENS1_36merge_oddeven_config_static_selectorELNS0_4arch9wavefront6targetE0EEEvSJ_ ; -- Begin function _ZN7rocprim17ROCPRIM_400000_NS6detail17trampoline_kernelINS0_14default_configENS1_38merge_sort_block_merge_config_selectorIiiEEZZNS1_27merge_sort_block_merge_implIS3_N6thrust23THRUST_200600_302600_NS6detail15normal_iteratorINS8_10device_ptrIiEEEESD_jNS1_19radix_merge_compareILb1ELb0EiNS0_19identity_decomposerEEEEE10hipError_tT0_T1_T2_jT3_P12ihipStream_tbPNSt15iterator_traitsISI_E10value_typeEPNSO_ISJ_E10value_typeEPSK_NS1_7vsmem_tEENKUlT_SI_SJ_SK_E_clIPiSD_S10_SD_EESH_SX_SI_SJ_SK_EUlSX_E1_NS1_11comp_targetILNS1_3genE2ELNS1_11target_archE906ELNS1_3gpuE6ELNS1_3repE0EEENS1_36merge_oddeven_config_static_selectorELNS0_4arch9wavefront6targetE0EEEvSJ_
	.globl	_ZN7rocprim17ROCPRIM_400000_NS6detail17trampoline_kernelINS0_14default_configENS1_38merge_sort_block_merge_config_selectorIiiEEZZNS1_27merge_sort_block_merge_implIS3_N6thrust23THRUST_200600_302600_NS6detail15normal_iteratorINS8_10device_ptrIiEEEESD_jNS1_19radix_merge_compareILb1ELb0EiNS0_19identity_decomposerEEEEE10hipError_tT0_T1_T2_jT3_P12ihipStream_tbPNSt15iterator_traitsISI_E10value_typeEPNSO_ISJ_E10value_typeEPSK_NS1_7vsmem_tEENKUlT_SI_SJ_SK_E_clIPiSD_S10_SD_EESH_SX_SI_SJ_SK_EUlSX_E1_NS1_11comp_targetILNS1_3genE2ELNS1_11target_archE906ELNS1_3gpuE6ELNS1_3repE0EEENS1_36merge_oddeven_config_static_selectorELNS0_4arch9wavefront6targetE0EEEvSJ_
	.p2align	8
	.type	_ZN7rocprim17ROCPRIM_400000_NS6detail17trampoline_kernelINS0_14default_configENS1_38merge_sort_block_merge_config_selectorIiiEEZZNS1_27merge_sort_block_merge_implIS3_N6thrust23THRUST_200600_302600_NS6detail15normal_iteratorINS8_10device_ptrIiEEEESD_jNS1_19radix_merge_compareILb1ELb0EiNS0_19identity_decomposerEEEEE10hipError_tT0_T1_T2_jT3_P12ihipStream_tbPNSt15iterator_traitsISI_E10value_typeEPNSO_ISJ_E10value_typeEPSK_NS1_7vsmem_tEENKUlT_SI_SJ_SK_E_clIPiSD_S10_SD_EESH_SX_SI_SJ_SK_EUlSX_E1_NS1_11comp_targetILNS1_3genE2ELNS1_11target_archE906ELNS1_3gpuE6ELNS1_3repE0EEENS1_36merge_oddeven_config_static_selectorELNS0_4arch9wavefront6targetE0EEEvSJ_,@function
_ZN7rocprim17ROCPRIM_400000_NS6detail17trampoline_kernelINS0_14default_configENS1_38merge_sort_block_merge_config_selectorIiiEEZZNS1_27merge_sort_block_merge_implIS3_N6thrust23THRUST_200600_302600_NS6detail15normal_iteratorINS8_10device_ptrIiEEEESD_jNS1_19radix_merge_compareILb1ELb0EiNS0_19identity_decomposerEEEEE10hipError_tT0_T1_T2_jT3_P12ihipStream_tbPNSt15iterator_traitsISI_E10value_typeEPNSO_ISJ_E10value_typeEPSK_NS1_7vsmem_tEENKUlT_SI_SJ_SK_E_clIPiSD_S10_SD_EESH_SX_SI_SJ_SK_EUlSX_E1_NS1_11comp_targetILNS1_3genE2ELNS1_11target_archE906ELNS1_3gpuE6ELNS1_3repE0EEENS1_36merge_oddeven_config_static_selectorELNS0_4arch9wavefront6targetE0EEEvSJ_: ; @_ZN7rocprim17ROCPRIM_400000_NS6detail17trampoline_kernelINS0_14default_configENS1_38merge_sort_block_merge_config_selectorIiiEEZZNS1_27merge_sort_block_merge_implIS3_N6thrust23THRUST_200600_302600_NS6detail15normal_iteratorINS8_10device_ptrIiEEEESD_jNS1_19radix_merge_compareILb1ELb0EiNS0_19identity_decomposerEEEEE10hipError_tT0_T1_T2_jT3_P12ihipStream_tbPNSt15iterator_traitsISI_E10value_typeEPNSO_ISJ_E10value_typeEPSK_NS1_7vsmem_tEENKUlT_SI_SJ_SK_E_clIPiSD_S10_SD_EESH_SX_SI_SJ_SK_EUlSX_E1_NS1_11comp_targetILNS1_3genE2ELNS1_11target_archE906ELNS1_3gpuE6ELNS1_3repE0EEENS1_36merge_oddeven_config_static_selectorELNS0_4arch9wavefront6targetE0EEEvSJ_
; %bb.0:
	.section	.rodata,"a",@progbits
	.p2align	6, 0x0
	.amdhsa_kernel _ZN7rocprim17ROCPRIM_400000_NS6detail17trampoline_kernelINS0_14default_configENS1_38merge_sort_block_merge_config_selectorIiiEEZZNS1_27merge_sort_block_merge_implIS3_N6thrust23THRUST_200600_302600_NS6detail15normal_iteratorINS8_10device_ptrIiEEEESD_jNS1_19radix_merge_compareILb1ELb0EiNS0_19identity_decomposerEEEEE10hipError_tT0_T1_T2_jT3_P12ihipStream_tbPNSt15iterator_traitsISI_E10value_typeEPNSO_ISJ_E10value_typeEPSK_NS1_7vsmem_tEENKUlT_SI_SJ_SK_E_clIPiSD_S10_SD_EESH_SX_SI_SJ_SK_EUlSX_E1_NS1_11comp_targetILNS1_3genE2ELNS1_11target_archE906ELNS1_3gpuE6ELNS1_3repE0EEENS1_36merge_oddeven_config_static_selectorELNS0_4arch9wavefront6targetE0EEEvSJ_
		.amdhsa_group_segment_fixed_size 0
		.amdhsa_private_segment_fixed_size 0
		.amdhsa_kernarg_size 48
		.amdhsa_user_sgpr_count 6
		.amdhsa_user_sgpr_private_segment_buffer 1
		.amdhsa_user_sgpr_dispatch_ptr 0
		.amdhsa_user_sgpr_queue_ptr 0
		.amdhsa_user_sgpr_kernarg_segment_ptr 1
		.amdhsa_user_sgpr_dispatch_id 0
		.amdhsa_user_sgpr_flat_scratch_init 0
		.amdhsa_user_sgpr_private_segment_size 0
		.amdhsa_wavefront_size32 1
		.amdhsa_uses_dynamic_stack 0
		.amdhsa_system_sgpr_private_segment_wavefront_offset 0
		.amdhsa_system_sgpr_workgroup_id_x 1
		.amdhsa_system_sgpr_workgroup_id_y 0
		.amdhsa_system_sgpr_workgroup_id_z 0
		.amdhsa_system_sgpr_workgroup_info 0
		.amdhsa_system_vgpr_workitem_id 0
		.amdhsa_next_free_vgpr 1
		.amdhsa_next_free_sgpr 1
		.amdhsa_reserve_vcc 0
		.amdhsa_reserve_flat_scratch 0
		.amdhsa_float_round_mode_32 0
		.amdhsa_float_round_mode_16_64 0
		.amdhsa_float_denorm_mode_32 3
		.amdhsa_float_denorm_mode_16_64 3
		.amdhsa_dx10_clamp 1
		.amdhsa_ieee_mode 1
		.amdhsa_fp16_overflow 0
		.amdhsa_workgroup_processor_mode 1
		.amdhsa_memory_ordered 1
		.amdhsa_forward_progress 1
		.amdhsa_shared_vgpr_count 0
		.amdhsa_exception_fp_ieee_invalid_op 0
		.amdhsa_exception_fp_denorm_src 0
		.amdhsa_exception_fp_ieee_div_zero 0
		.amdhsa_exception_fp_ieee_overflow 0
		.amdhsa_exception_fp_ieee_underflow 0
		.amdhsa_exception_fp_ieee_inexact 0
		.amdhsa_exception_int_div_zero 0
	.end_amdhsa_kernel
	.section	.text._ZN7rocprim17ROCPRIM_400000_NS6detail17trampoline_kernelINS0_14default_configENS1_38merge_sort_block_merge_config_selectorIiiEEZZNS1_27merge_sort_block_merge_implIS3_N6thrust23THRUST_200600_302600_NS6detail15normal_iteratorINS8_10device_ptrIiEEEESD_jNS1_19radix_merge_compareILb1ELb0EiNS0_19identity_decomposerEEEEE10hipError_tT0_T1_T2_jT3_P12ihipStream_tbPNSt15iterator_traitsISI_E10value_typeEPNSO_ISJ_E10value_typeEPSK_NS1_7vsmem_tEENKUlT_SI_SJ_SK_E_clIPiSD_S10_SD_EESH_SX_SI_SJ_SK_EUlSX_E1_NS1_11comp_targetILNS1_3genE2ELNS1_11target_archE906ELNS1_3gpuE6ELNS1_3repE0EEENS1_36merge_oddeven_config_static_selectorELNS0_4arch9wavefront6targetE0EEEvSJ_,"axG",@progbits,_ZN7rocprim17ROCPRIM_400000_NS6detail17trampoline_kernelINS0_14default_configENS1_38merge_sort_block_merge_config_selectorIiiEEZZNS1_27merge_sort_block_merge_implIS3_N6thrust23THRUST_200600_302600_NS6detail15normal_iteratorINS8_10device_ptrIiEEEESD_jNS1_19radix_merge_compareILb1ELb0EiNS0_19identity_decomposerEEEEE10hipError_tT0_T1_T2_jT3_P12ihipStream_tbPNSt15iterator_traitsISI_E10value_typeEPNSO_ISJ_E10value_typeEPSK_NS1_7vsmem_tEENKUlT_SI_SJ_SK_E_clIPiSD_S10_SD_EESH_SX_SI_SJ_SK_EUlSX_E1_NS1_11comp_targetILNS1_3genE2ELNS1_11target_archE906ELNS1_3gpuE6ELNS1_3repE0EEENS1_36merge_oddeven_config_static_selectorELNS0_4arch9wavefront6targetE0EEEvSJ_,comdat
.Lfunc_end906:
	.size	_ZN7rocprim17ROCPRIM_400000_NS6detail17trampoline_kernelINS0_14default_configENS1_38merge_sort_block_merge_config_selectorIiiEEZZNS1_27merge_sort_block_merge_implIS3_N6thrust23THRUST_200600_302600_NS6detail15normal_iteratorINS8_10device_ptrIiEEEESD_jNS1_19radix_merge_compareILb1ELb0EiNS0_19identity_decomposerEEEEE10hipError_tT0_T1_T2_jT3_P12ihipStream_tbPNSt15iterator_traitsISI_E10value_typeEPNSO_ISJ_E10value_typeEPSK_NS1_7vsmem_tEENKUlT_SI_SJ_SK_E_clIPiSD_S10_SD_EESH_SX_SI_SJ_SK_EUlSX_E1_NS1_11comp_targetILNS1_3genE2ELNS1_11target_archE906ELNS1_3gpuE6ELNS1_3repE0EEENS1_36merge_oddeven_config_static_selectorELNS0_4arch9wavefront6targetE0EEEvSJ_, .Lfunc_end906-_ZN7rocprim17ROCPRIM_400000_NS6detail17trampoline_kernelINS0_14default_configENS1_38merge_sort_block_merge_config_selectorIiiEEZZNS1_27merge_sort_block_merge_implIS3_N6thrust23THRUST_200600_302600_NS6detail15normal_iteratorINS8_10device_ptrIiEEEESD_jNS1_19radix_merge_compareILb1ELb0EiNS0_19identity_decomposerEEEEE10hipError_tT0_T1_T2_jT3_P12ihipStream_tbPNSt15iterator_traitsISI_E10value_typeEPNSO_ISJ_E10value_typeEPSK_NS1_7vsmem_tEENKUlT_SI_SJ_SK_E_clIPiSD_S10_SD_EESH_SX_SI_SJ_SK_EUlSX_E1_NS1_11comp_targetILNS1_3genE2ELNS1_11target_archE906ELNS1_3gpuE6ELNS1_3repE0EEENS1_36merge_oddeven_config_static_selectorELNS0_4arch9wavefront6targetE0EEEvSJ_
                                        ; -- End function
	.set _ZN7rocprim17ROCPRIM_400000_NS6detail17trampoline_kernelINS0_14default_configENS1_38merge_sort_block_merge_config_selectorIiiEEZZNS1_27merge_sort_block_merge_implIS3_N6thrust23THRUST_200600_302600_NS6detail15normal_iteratorINS8_10device_ptrIiEEEESD_jNS1_19radix_merge_compareILb1ELb0EiNS0_19identity_decomposerEEEEE10hipError_tT0_T1_T2_jT3_P12ihipStream_tbPNSt15iterator_traitsISI_E10value_typeEPNSO_ISJ_E10value_typeEPSK_NS1_7vsmem_tEENKUlT_SI_SJ_SK_E_clIPiSD_S10_SD_EESH_SX_SI_SJ_SK_EUlSX_E1_NS1_11comp_targetILNS1_3genE2ELNS1_11target_archE906ELNS1_3gpuE6ELNS1_3repE0EEENS1_36merge_oddeven_config_static_selectorELNS0_4arch9wavefront6targetE0EEEvSJ_.num_vgpr, 0
	.set _ZN7rocprim17ROCPRIM_400000_NS6detail17trampoline_kernelINS0_14default_configENS1_38merge_sort_block_merge_config_selectorIiiEEZZNS1_27merge_sort_block_merge_implIS3_N6thrust23THRUST_200600_302600_NS6detail15normal_iteratorINS8_10device_ptrIiEEEESD_jNS1_19radix_merge_compareILb1ELb0EiNS0_19identity_decomposerEEEEE10hipError_tT0_T1_T2_jT3_P12ihipStream_tbPNSt15iterator_traitsISI_E10value_typeEPNSO_ISJ_E10value_typeEPSK_NS1_7vsmem_tEENKUlT_SI_SJ_SK_E_clIPiSD_S10_SD_EESH_SX_SI_SJ_SK_EUlSX_E1_NS1_11comp_targetILNS1_3genE2ELNS1_11target_archE906ELNS1_3gpuE6ELNS1_3repE0EEENS1_36merge_oddeven_config_static_selectorELNS0_4arch9wavefront6targetE0EEEvSJ_.num_agpr, 0
	.set _ZN7rocprim17ROCPRIM_400000_NS6detail17trampoline_kernelINS0_14default_configENS1_38merge_sort_block_merge_config_selectorIiiEEZZNS1_27merge_sort_block_merge_implIS3_N6thrust23THRUST_200600_302600_NS6detail15normal_iteratorINS8_10device_ptrIiEEEESD_jNS1_19radix_merge_compareILb1ELb0EiNS0_19identity_decomposerEEEEE10hipError_tT0_T1_T2_jT3_P12ihipStream_tbPNSt15iterator_traitsISI_E10value_typeEPNSO_ISJ_E10value_typeEPSK_NS1_7vsmem_tEENKUlT_SI_SJ_SK_E_clIPiSD_S10_SD_EESH_SX_SI_SJ_SK_EUlSX_E1_NS1_11comp_targetILNS1_3genE2ELNS1_11target_archE906ELNS1_3gpuE6ELNS1_3repE0EEENS1_36merge_oddeven_config_static_selectorELNS0_4arch9wavefront6targetE0EEEvSJ_.numbered_sgpr, 0
	.set _ZN7rocprim17ROCPRIM_400000_NS6detail17trampoline_kernelINS0_14default_configENS1_38merge_sort_block_merge_config_selectorIiiEEZZNS1_27merge_sort_block_merge_implIS3_N6thrust23THRUST_200600_302600_NS6detail15normal_iteratorINS8_10device_ptrIiEEEESD_jNS1_19radix_merge_compareILb1ELb0EiNS0_19identity_decomposerEEEEE10hipError_tT0_T1_T2_jT3_P12ihipStream_tbPNSt15iterator_traitsISI_E10value_typeEPNSO_ISJ_E10value_typeEPSK_NS1_7vsmem_tEENKUlT_SI_SJ_SK_E_clIPiSD_S10_SD_EESH_SX_SI_SJ_SK_EUlSX_E1_NS1_11comp_targetILNS1_3genE2ELNS1_11target_archE906ELNS1_3gpuE6ELNS1_3repE0EEENS1_36merge_oddeven_config_static_selectorELNS0_4arch9wavefront6targetE0EEEvSJ_.num_named_barrier, 0
	.set _ZN7rocprim17ROCPRIM_400000_NS6detail17trampoline_kernelINS0_14default_configENS1_38merge_sort_block_merge_config_selectorIiiEEZZNS1_27merge_sort_block_merge_implIS3_N6thrust23THRUST_200600_302600_NS6detail15normal_iteratorINS8_10device_ptrIiEEEESD_jNS1_19radix_merge_compareILb1ELb0EiNS0_19identity_decomposerEEEEE10hipError_tT0_T1_T2_jT3_P12ihipStream_tbPNSt15iterator_traitsISI_E10value_typeEPNSO_ISJ_E10value_typeEPSK_NS1_7vsmem_tEENKUlT_SI_SJ_SK_E_clIPiSD_S10_SD_EESH_SX_SI_SJ_SK_EUlSX_E1_NS1_11comp_targetILNS1_3genE2ELNS1_11target_archE906ELNS1_3gpuE6ELNS1_3repE0EEENS1_36merge_oddeven_config_static_selectorELNS0_4arch9wavefront6targetE0EEEvSJ_.private_seg_size, 0
	.set _ZN7rocprim17ROCPRIM_400000_NS6detail17trampoline_kernelINS0_14default_configENS1_38merge_sort_block_merge_config_selectorIiiEEZZNS1_27merge_sort_block_merge_implIS3_N6thrust23THRUST_200600_302600_NS6detail15normal_iteratorINS8_10device_ptrIiEEEESD_jNS1_19radix_merge_compareILb1ELb0EiNS0_19identity_decomposerEEEEE10hipError_tT0_T1_T2_jT3_P12ihipStream_tbPNSt15iterator_traitsISI_E10value_typeEPNSO_ISJ_E10value_typeEPSK_NS1_7vsmem_tEENKUlT_SI_SJ_SK_E_clIPiSD_S10_SD_EESH_SX_SI_SJ_SK_EUlSX_E1_NS1_11comp_targetILNS1_3genE2ELNS1_11target_archE906ELNS1_3gpuE6ELNS1_3repE0EEENS1_36merge_oddeven_config_static_selectorELNS0_4arch9wavefront6targetE0EEEvSJ_.uses_vcc, 0
	.set _ZN7rocprim17ROCPRIM_400000_NS6detail17trampoline_kernelINS0_14default_configENS1_38merge_sort_block_merge_config_selectorIiiEEZZNS1_27merge_sort_block_merge_implIS3_N6thrust23THRUST_200600_302600_NS6detail15normal_iteratorINS8_10device_ptrIiEEEESD_jNS1_19radix_merge_compareILb1ELb0EiNS0_19identity_decomposerEEEEE10hipError_tT0_T1_T2_jT3_P12ihipStream_tbPNSt15iterator_traitsISI_E10value_typeEPNSO_ISJ_E10value_typeEPSK_NS1_7vsmem_tEENKUlT_SI_SJ_SK_E_clIPiSD_S10_SD_EESH_SX_SI_SJ_SK_EUlSX_E1_NS1_11comp_targetILNS1_3genE2ELNS1_11target_archE906ELNS1_3gpuE6ELNS1_3repE0EEENS1_36merge_oddeven_config_static_selectorELNS0_4arch9wavefront6targetE0EEEvSJ_.uses_flat_scratch, 0
	.set _ZN7rocprim17ROCPRIM_400000_NS6detail17trampoline_kernelINS0_14default_configENS1_38merge_sort_block_merge_config_selectorIiiEEZZNS1_27merge_sort_block_merge_implIS3_N6thrust23THRUST_200600_302600_NS6detail15normal_iteratorINS8_10device_ptrIiEEEESD_jNS1_19radix_merge_compareILb1ELb0EiNS0_19identity_decomposerEEEEE10hipError_tT0_T1_T2_jT3_P12ihipStream_tbPNSt15iterator_traitsISI_E10value_typeEPNSO_ISJ_E10value_typeEPSK_NS1_7vsmem_tEENKUlT_SI_SJ_SK_E_clIPiSD_S10_SD_EESH_SX_SI_SJ_SK_EUlSX_E1_NS1_11comp_targetILNS1_3genE2ELNS1_11target_archE906ELNS1_3gpuE6ELNS1_3repE0EEENS1_36merge_oddeven_config_static_selectorELNS0_4arch9wavefront6targetE0EEEvSJ_.has_dyn_sized_stack, 0
	.set _ZN7rocprim17ROCPRIM_400000_NS6detail17trampoline_kernelINS0_14default_configENS1_38merge_sort_block_merge_config_selectorIiiEEZZNS1_27merge_sort_block_merge_implIS3_N6thrust23THRUST_200600_302600_NS6detail15normal_iteratorINS8_10device_ptrIiEEEESD_jNS1_19radix_merge_compareILb1ELb0EiNS0_19identity_decomposerEEEEE10hipError_tT0_T1_T2_jT3_P12ihipStream_tbPNSt15iterator_traitsISI_E10value_typeEPNSO_ISJ_E10value_typeEPSK_NS1_7vsmem_tEENKUlT_SI_SJ_SK_E_clIPiSD_S10_SD_EESH_SX_SI_SJ_SK_EUlSX_E1_NS1_11comp_targetILNS1_3genE2ELNS1_11target_archE906ELNS1_3gpuE6ELNS1_3repE0EEENS1_36merge_oddeven_config_static_selectorELNS0_4arch9wavefront6targetE0EEEvSJ_.has_recursion, 0
	.set _ZN7rocprim17ROCPRIM_400000_NS6detail17trampoline_kernelINS0_14default_configENS1_38merge_sort_block_merge_config_selectorIiiEEZZNS1_27merge_sort_block_merge_implIS3_N6thrust23THRUST_200600_302600_NS6detail15normal_iteratorINS8_10device_ptrIiEEEESD_jNS1_19radix_merge_compareILb1ELb0EiNS0_19identity_decomposerEEEEE10hipError_tT0_T1_T2_jT3_P12ihipStream_tbPNSt15iterator_traitsISI_E10value_typeEPNSO_ISJ_E10value_typeEPSK_NS1_7vsmem_tEENKUlT_SI_SJ_SK_E_clIPiSD_S10_SD_EESH_SX_SI_SJ_SK_EUlSX_E1_NS1_11comp_targetILNS1_3genE2ELNS1_11target_archE906ELNS1_3gpuE6ELNS1_3repE0EEENS1_36merge_oddeven_config_static_selectorELNS0_4arch9wavefront6targetE0EEEvSJ_.has_indirect_call, 0
	.section	.AMDGPU.csdata,"",@progbits
; Kernel info:
; codeLenInByte = 0
; TotalNumSgprs: 0
; NumVgprs: 0
; ScratchSize: 0
; MemoryBound: 0
; FloatMode: 240
; IeeeMode: 1
; LDSByteSize: 0 bytes/workgroup (compile time only)
; SGPRBlocks: 0
; VGPRBlocks: 0
; NumSGPRsForWavesPerEU: 1
; NumVGPRsForWavesPerEU: 1
; Occupancy: 16
; WaveLimiterHint : 0
; COMPUTE_PGM_RSRC2:SCRATCH_EN: 0
; COMPUTE_PGM_RSRC2:USER_SGPR: 6
; COMPUTE_PGM_RSRC2:TRAP_HANDLER: 0
; COMPUTE_PGM_RSRC2:TGID_X_EN: 1
; COMPUTE_PGM_RSRC2:TGID_Y_EN: 0
; COMPUTE_PGM_RSRC2:TGID_Z_EN: 0
; COMPUTE_PGM_RSRC2:TIDIG_COMP_CNT: 0
	.section	.text._ZN7rocprim17ROCPRIM_400000_NS6detail17trampoline_kernelINS0_14default_configENS1_38merge_sort_block_merge_config_selectorIiiEEZZNS1_27merge_sort_block_merge_implIS3_N6thrust23THRUST_200600_302600_NS6detail15normal_iteratorINS8_10device_ptrIiEEEESD_jNS1_19radix_merge_compareILb1ELb0EiNS0_19identity_decomposerEEEEE10hipError_tT0_T1_T2_jT3_P12ihipStream_tbPNSt15iterator_traitsISI_E10value_typeEPNSO_ISJ_E10value_typeEPSK_NS1_7vsmem_tEENKUlT_SI_SJ_SK_E_clIPiSD_S10_SD_EESH_SX_SI_SJ_SK_EUlSX_E1_NS1_11comp_targetILNS1_3genE9ELNS1_11target_archE1100ELNS1_3gpuE3ELNS1_3repE0EEENS1_36merge_oddeven_config_static_selectorELNS0_4arch9wavefront6targetE0EEEvSJ_,"axG",@progbits,_ZN7rocprim17ROCPRIM_400000_NS6detail17trampoline_kernelINS0_14default_configENS1_38merge_sort_block_merge_config_selectorIiiEEZZNS1_27merge_sort_block_merge_implIS3_N6thrust23THRUST_200600_302600_NS6detail15normal_iteratorINS8_10device_ptrIiEEEESD_jNS1_19radix_merge_compareILb1ELb0EiNS0_19identity_decomposerEEEEE10hipError_tT0_T1_T2_jT3_P12ihipStream_tbPNSt15iterator_traitsISI_E10value_typeEPNSO_ISJ_E10value_typeEPSK_NS1_7vsmem_tEENKUlT_SI_SJ_SK_E_clIPiSD_S10_SD_EESH_SX_SI_SJ_SK_EUlSX_E1_NS1_11comp_targetILNS1_3genE9ELNS1_11target_archE1100ELNS1_3gpuE3ELNS1_3repE0EEENS1_36merge_oddeven_config_static_selectorELNS0_4arch9wavefront6targetE0EEEvSJ_,comdat
	.protected	_ZN7rocprim17ROCPRIM_400000_NS6detail17trampoline_kernelINS0_14default_configENS1_38merge_sort_block_merge_config_selectorIiiEEZZNS1_27merge_sort_block_merge_implIS3_N6thrust23THRUST_200600_302600_NS6detail15normal_iteratorINS8_10device_ptrIiEEEESD_jNS1_19radix_merge_compareILb1ELb0EiNS0_19identity_decomposerEEEEE10hipError_tT0_T1_T2_jT3_P12ihipStream_tbPNSt15iterator_traitsISI_E10value_typeEPNSO_ISJ_E10value_typeEPSK_NS1_7vsmem_tEENKUlT_SI_SJ_SK_E_clIPiSD_S10_SD_EESH_SX_SI_SJ_SK_EUlSX_E1_NS1_11comp_targetILNS1_3genE9ELNS1_11target_archE1100ELNS1_3gpuE3ELNS1_3repE0EEENS1_36merge_oddeven_config_static_selectorELNS0_4arch9wavefront6targetE0EEEvSJ_ ; -- Begin function _ZN7rocprim17ROCPRIM_400000_NS6detail17trampoline_kernelINS0_14default_configENS1_38merge_sort_block_merge_config_selectorIiiEEZZNS1_27merge_sort_block_merge_implIS3_N6thrust23THRUST_200600_302600_NS6detail15normal_iteratorINS8_10device_ptrIiEEEESD_jNS1_19radix_merge_compareILb1ELb0EiNS0_19identity_decomposerEEEEE10hipError_tT0_T1_T2_jT3_P12ihipStream_tbPNSt15iterator_traitsISI_E10value_typeEPNSO_ISJ_E10value_typeEPSK_NS1_7vsmem_tEENKUlT_SI_SJ_SK_E_clIPiSD_S10_SD_EESH_SX_SI_SJ_SK_EUlSX_E1_NS1_11comp_targetILNS1_3genE9ELNS1_11target_archE1100ELNS1_3gpuE3ELNS1_3repE0EEENS1_36merge_oddeven_config_static_selectorELNS0_4arch9wavefront6targetE0EEEvSJ_
	.globl	_ZN7rocprim17ROCPRIM_400000_NS6detail17trampoline_kernelINS0_14default_configENS1_38merge_sort_block_merge_config_selectorIiiEEZZNS1_27merge_sort_block_merge_implIS3_N6thrust23THRUST_200600_302600_NS6detail15normal_iteratorINS8_10device_ptrIiEEEESD_jNS1_19radix_merge_compareILb1ELb0EiNS0_19identity_decomposerEEEEE10hipError_tT0_T1_T2_jT3_P12ihipStream_tbPNSt15iterator_traitsISI_E10value_typeEPNSO_ISJ_E10value_typeEPSK_NS1_7vsmem_tEENKUlT_SI_SJ_SK_E_clIPiSD_S10_SD_EESH_SX_SI_SJ_SK_EUlSX_E1_NS1_11comp_targetILNS1_3genE9ELNS1_11target_archE1100ELNS1_3gpuE3ELNS1_3repE0EEENS1_36merge_oddeven_config_static_selectorELNS0_4arch9wavefront6targetE0EEEvSJ_
	.p2align	8
	.type	_ZN7rocprim17ROCPRIM_400000_NS6detail17trampoline_kernelINS0_14default_configENS1_38merge_sort_block_merge_config_selectorIiiEEZZNS1_27merge_sort_block_merge_implIS3_N6thrust23THRUST_200600_302600_NS6detail15normal_iteratorINS8_10device_ptrIiEEEESD_jNS1_19radix_merge_compareILb1ELb0EiNS0_19identity_decomposerEEEEE10hipError_tT0_T1_T2_jT3_P12ihipStream_tbPNSt15iterator_traitsISI_E10value_typeEPNSO_ISJ_E10value_typeEPSK_NS1_7vsmem_tEENKUlT_SI_SJ_SK_E_clIPiSD_S10_SD_EESH_SX_SI_SJ_SK_EUlSX_E1_NS1_11comp_targetILNS1_3genE9ELNS1_11target_archE1100ELNS1_3gpuE3ELNS1_3repE0EEENS1_36merge_oddeven_config_static_selectorELNS0_4arch9wavefront6targetE0EEEvSJ_,@function
_ZN7rocprim17ROCPRIM_400000_NS6detail17trampoline_kernelINS0_14default_configENS1_38merge_sort_block_merge_config_selectorIiiEEZZNS1_27merge_sort_block_merge_implIS3_N6thrust23THRUST_200600_302600_NS6detail15normal_iteratorINS8_10device_ptrIiEEEESD_jNS1_19radix_merge_compareILb1ELb0EiNS0_19identity_decomposerEEEEE10hipError_tT0_T1_T2_jT3_P12ihipStream_tbPNSt15iterator_traitsISI_E10value_typeEPNSO_ISJ_E10value_typeEPSK_NS1_7vsmem_tEENKUlT_SI_SJ_SK_E_clIPiSD_S10_SD_EESH_SX_SI_SJ_SK_EUlSX_E1_NS1_11comp_targetILNS1_3genE9ELNS1_11target_archE1100ELNS1_3gpuE3ELNS1_3repE0EEENS1_36merge_oddeven_config_static_selectorELNS0_4arch9wavefront6targetE0EEEvSJ_: ; @_ZN7rocprim17ROCPRIM_400000_NS6detail17trampoline_kernelINS0_14default_configENS1_38merge_sort_block_merge_config_selectorIiiEEZZNS1_27merge_sort_block_merge_implIS3_N6thrust23THRUST_200600_302600_NS6detail15normal_iteratorINS8_10device_ptrIiEEEESD_jNS1_19radix_merge_compareILb1ELb0EiNS0_19identity_decomposerEEEEE10hipError_tT0_T1_T2_jT3_P12ihipStream_tbPNSt15iterator_traitsISI_E10value_typeEPNSO_ISJ_E10value_typeEPSK_NS1_7vsmem_tEENKUlT_SI_SJ_SK_E_clIPiSD_S10_SD_EESH_SX_SI_SJ_SK_EUlSX_E1_NS1_11comp_targetILNS1_3genE9ELNS1_11target_archE1100ELNS1_3gpuE3ELNS1_3repE0EEENS1_36merge_oddeven_config_static_selectorELNS0_4arch9wavefront6targetE0EEEvSJ_
; %bb.0:
	.section	.rodata,"a",@progbits
	.p2align	6, 0x0
	.amdhsa_kernel _ZN7rocprim17ROCPRIM_400000_NS6detail17trampoline_kernelINS0_14default_configENS1_38merge_sort_block_merge_config_selectorIiiEEZZNS1_27merge_sort_block_merge_implIS3_N6thrust23THRUST_200600_302600_NS6detail15normal_iteratorINS8_10device_ptrIiEEEESD_jNS1_19radix_merge_compareILb1ELb0EiNS0_19identity_decomposerEEEEE10hipError_tT0_T1_T2_jT3_P12ihipStream_tbPNSt15iterator_traitsISI_E10value_typeEPNSO_ISJ_E10value_typeEPSK_NS1_7vsmem_tEENKUlT_SI_SJ_SK_E_clIPiSD_S10_SD_EESH_SX_SI_SJ_SK_EUlSX_E1_NS1_11comp_targetILNS1_3genE9ELNS1_11target_archE1100ELNS1_3gpuE3ELNS1_3repE0EEENS1_36merge_oddeven_config_static_selectorELNS0_4arch9wavefront6targetE0EEEvSJ_
		.amdhsa_group_segment_fixed_size 0
		.amdhsa_private_segment_fixed_size 0
		.amdhsa_kernarg_size 48
		.amdhsa_user_sgpr_count 6
		.amdhsa_user_sgpr_private_segment_buffer 1
		.amdhsa_user_sgpr_dispatch_ptr 0
		.amdhsa_user_sgpr_queue_ptr 0
		.amdhsa_user_sgpr_kernarg_segment_ptr 1
		.amdhsa_user_sgpr_dispatch_id 0
		.amdhsa_user_sgpr_flat_scratch_init 0
		.amdhsa_user_sgpr_private_segment_size 0
		.amdhsa_wavefront_size32 1
		.amdhsa_uses_dynamic_stack 0
		.amdhsa_system_sgpr_private_segment_wavefront_offset 0
		.amdhsa_system_sgpr_workgroup_id_x 1
		.amdhsa_system_sgpr_workgroup_id_y 0
		.amdhsa_system_sgpr_workgroup_id_z 0
		.amdhsa_system_sgpr_workgroup_info 0
		.amdhsa_system_vgpr_workitem_id 0
		.amdhsa_next_free_vgpr 1
		.amdhsa_next_free_sgpr 1
		.amdhsa_reserve_vcc 0
		.amdhsa_reserve_flat_scratch 0
		.amdhsa_float_round_mode_32 0
		.amdhsa_float_round_mode_16_64 0
		.amdhsa_float_denorm_mode_32 3
		.amdhsa_float_denorm_mode_16_64 3
		.amdhsa_dx10_clamp 1
		.amdhsa_ieee_mode 1
		.amdhsa_fp16_overflow 0
		.amdhsa_workgroup_processor_mode 1
		.amdhsa_memory_ordered 1
		.amdhsa_forward_progress 1
		.amdhsa_shared_vgpr_count 0
		.amdhsa_exception_fp_ieee_invalid_op 0
		.amdhsa_exception_fp_denorm_src 0
		.amdhsa_exception_fp_ieee_div_zero 0
		.amdhsa_exception_fp_ieee_overflow 0
		.amdhsa_exception_fp_ieee_underflow 0
		.amdhsa_exception_fp_ieee_inexact 0
		.amdhsa_exception_int_div_zero 0
	.end_amdhsa_kernel
	.section	.text._ZN7rocprim17ROCPRIM_400000_NS6detail17trampoline_kernelINS0_14default_configENS1_38merge_sort_block_merge_config_selectorIiiEEZZNS1_27merge_sort_block_merge_implIS3_N6thrust23THRUST_200600_302600_NS6detail15normal_iteratorINS8_10device_ptrIiEEEESD_jNS1_19radix_merge_compareILb1ELb0EiNS0_19identity_decomposerEEEEE10hipError_tT0_T1_T2_jT3_P12ihipStream_tbPNSt15iterator_traitsISI_E10value_typeEPNSO_ISJ_E10value_typeEPSK_NS1_7vsmem_tEENKUlT_SI_SJ_SK_E_clIPiSD_S10_SD_EESH_SX_SI_SJ_SK_EUlSX_E1_NS1_11comp_targetILNS1_3genE9ELNS1_11target_archE1100ELNS1_3gpuE3ELNS1_3repE0EEENS1_36merge_oddeven_config_static_selectorELNS0_4arch9wavefront6targetE0EEEvSJ_,"axG",@progbits,_ZN7rocprim17ROCPRIM_400000_NS6detail17trampoline_kernelINS0_14default_configENS1_38merge_sort_block_merge_config_selectorIiiEEZZNS1_27merge_sort_block_merge_implIS3_N6thrust23THRUST_200600_302600_NS6detail15normal_iteratorINS8_10device_ptrIiEEEESD_jNS1_19radix_merge_compareILb1ELb0EiNS0_19identity_decomposerEEEEE10hipError_tT0_T1_T2_jT3_P12ihipStream_tbPNSt15iterator_traitsISI_E10value_typeEPNSO_ISJ_E10value_typeEPSK_NS1_7vsmem_tEENKUlT_SI_SJ_SK_E_clIPiSD_S10_SD_EESH_SX_SI_SJ_SK_EUlSX_E1_NS1_11comp_targetILNS1_3genE9ELNS1_11target_archE1100ELNS1_3gpuE3ELNS1_3repE0EEENS1_36merge_oddeven_config_static_selectorELNS0_4arch9wavefront6targetE0EEEvSJ_,comdat
.Lfunc_end907:
	.size	_ZN7rocprim17ROCPRIM_400000_NS6detail17trampoline_kernelINS0_14default_configENS1_38merge_sort_block_merge_config_selectorIiiEEZZNS1_27merge_sort_block_merge_implIS3_N6thrust23THRUST_200600_302600_NS6detail15normal_iteratorINS8_10device_ptrIiEEEESD_jNS1_19radix_merge_compareILb1ELb0EiNS0_19identity_decomposerEEEEE10hipError_tT0_T1_T2_jT3_P12ihipStream_tbPNSt15iterator_traitsISI_E10value_typeEPNSO_ISJ_E10value_typeEPSK_NS1_7vsmem_tEENKUlT_SI_SJ_SK_E_clIPiSD_S10_SD_EESH_SX_SI_SJ_SK_EUlSX_E1_NS1_11comp_targetILNS1_3genE9ELNS1_11target_archE1100ELNS1_3gpuE3ELNS1_3repE0EEENS1_36merge_oddeven_config_static_selectorELNS0_4arch9wavefront6targetE0EEEvSJ_, .Lfunc_end907-_ZN7rocprim17ROCPRIM_400000_NS6detail17trampoline_kernelINS0_14default_configENS1_38merge_sort_block_merge_config_selectorIiiEEZZNS1_27merge_sort_block_merge_implIS3_N6thrust23THRUST_200600_302600_NS6detail15normal_iteratorINS8_10device_ptrIiEEEESD_jNS1_19radix_merge_compareILb1ELb0EiNS0_19identity_decomposerEEEEE10hipError_tT0_T1_T2_jT3_P12ihipStream_tbPNSt15iterator_traitsISI_E10value_typeEPNSO_ISJ_E10value_typeEPSK_NS1_7vsmem_tEENKUlT_SI_SJ_SK_E_clIPiSD_S10_SD_EESH_SX_SI_SJ_SK_EUlSX_E1_NS1_11comp_targetILNS1_3genE9ELNS1_11target_archE1100ELNS1_3gpuE3ELNS1_3repE0EEENS1_36merge_oddeven_config_static_selectorELNS0_4arch9wavefront6targetE0EEEvSJ_
                                        ; -- End function
	.set _ZN7rocprim17ROCPRIM_400000_NS6detail17trampoline_kernelINS0_14default_configENS1_38merge_sort_block_merge_config_selectorIiiEEZZNS1_27merge_sort_block_merge_implIS3_N6thrust23THRUST_200600_302600_NS6detail15normal_iteratorINS8_10device_ptrIiEEEESD_jNS1_19radix_merge_compareILb1ELb0EiNS0_19identity_decomposerEEEEE10hipError_tT0_T1_T2_jT3_P12ihipStream_tbPNSt15iterator_traitsISI_E10value_typeEPNSO_ISJ_E10value_typeEPSK_NS1_7vsmem_tEENKUlT_SI_SJ_SK_E_clIPiSD_S10_SD_EESH_SX_SI_SJ_SK_EUlSX_E1_NS1_11comp_targetILNS1_3genE9ELNS1_11target_archE1100ELNS1_3gpuE3ELNS1_3repE0EEENS1_36merge_oddeven_config_static_selectorELNS0_4arch9wavefront6targetE0EEEvSJ_.num_vgpr, 0
	.set _ZN7rocprim17ROCPRIM_400000_NS6detail17trampoline_kernelINS0_14default_configENS1_38merge_sort_block_merge_config_selectorIiiEEZZNS1_27merge_sort_block_merge_implIS3_N6thrust23THRUST_200600_302600_NS6detail15normal_iteratorINS8_10device_ptrIiEEEESD_jNS1_19radix_merge_compareILb1ELb0EiNS0_19identity_decomposerEEEEE10hipError_tT0_T1_T2_jT3_P12ihipStream_tbPNSt15iterator_traitsISI_E10value_typeEPNSO_ISJ_E10value_typeEPSK_NS1_7vsmem_tEENKUlT_SI_SJ_SK_E_clIPiSD_S10_SD_EESH_SX_SI_SJ_SK_EUlSX_E1_NS1_11comp_targetILNS1_3genE9ELNS1_11target_archE1100ELNS1_3gpuE3ELNS1_3repE0EEENS1_36merge_oddeven_config_static_selectorELNS0_4arch9wavefront6targetE0EEEvSJ_.num_agpr, 0
	.set _ZN7rocprim17ROCPRIM_400000_NS6detail17trampoline_kernelINS0_14default_configENS1_38merge_sort_block_merge_config_selectorIiiEEZZNS1_27merge_sort_block_merge_implIS3_N6thrust23THRUST_200600_302600_NS6detail15normal_iteratorINS8_10device_ptrIiEEEESD_jNS1_19radix_merge_compareILb1ELb0EiNS0_19identity_decomposerEEEEE10hipError_tT0_T1_T2_jT3_P12ihipStream_tbPNSt15iterator_traitsISI_E10value_typeEPNSO_ISJ_E10value_typeEPSK_NS1_7vsmem_tEENKUlT_SI_SJ_SK_E_clIPiSD_S10_SD_EESH_SX_SI_SJ_SK_EUlSX_E1_NS1_11comp_targetILNS1_3genE9ELNS1_11target_archE1100ELNS1_3gpuE3ELNS1_3repE0EEENS1_36merge_oddeven_config_static_selectorELNS0_4arch9wavefront6targetE0EEEvSJ_.numbered_sgpr, 0
	.set _ZN7rocprim17ROCPRIM_400000_NS6detail17trampoline_kernelINS0_14default_configENS1_38merge_sort_block_merge_config_selectorIiiEEZZNS1_27merge_sort_block_merge_implIS3_N6thrust23THRUST_200600_302600_NS6detail15normal_iteratorINS8_10device_ptrIiEEEESD_jNS1_19radix_merge_compareILb1ELb0EiNS0_19identity_decomposerEEEEE10hipError_tT0_T1_T2_jT3_P12ihipStream_tbPNSt15iterator_traitsISI_E10value_typeEPNSO_ISJ_E10value_typeEPSK_NS1_7vsmem_tEENKUlT_SI_SJ_SK_E_clIPiSD_S10_SD_EESH_SX_SI_SJ_SK_EUlSX_E1_NS1_11comp_targetILNS1_3genE9ELNS1_11target_archE1100ELNS1_3gpuE3ELNS1_3repE0EEENS1_36merge_oddeven_config_static_selectorELNS0_4arch9wavefront6targetE0EEEvSJ_.num_named_barrier, 0
	.set _ZN7rocprim17ROCPRIM_400000_NS6detail17trampoline_kernelINS0_14default_configENS1_38merge_sort_block_merge_config_selectorIiiEEZZNS1_27merge_sort_block_merge_implIS3_N6thrust23THRUST_200600_302600_NS6detail15normal_iteratorINS8_10device_ptrIiEEEESD_jNS1_19radix_merge_compareILb1ELb0EiNS0_19identity_decomposerEEEEE10hipError_tT0_T1_T2_jT3_P12ihipStream_tbPNSt15iterator_traitsISI_E10value_typeEPNSO_ISJ_E10value_typeEPSK_NS1_7vsmem_tEENKUlT_SI_SJ_SK_E_clIPiSD_S10_SD_EESH_SX_SI_SJ_SK_EUlSX_E1_NS1_11comp_targetILNS1_3genE9ELNS1_11target_archE1100ELNS1_3gpuE3ELNS1_3repE0EEENS1_36merge_oddeven_config_static_selectorELNS0_4arch9wavefront6targetE0EEEvSJ_.private_seg_size, 0
	.set _ZN7rocprim17ROCPRIM_400000_NS6detail17trampoline_kernelINS0_14default_configENS1_38merge_sort_block_merge_config_selectorIiiEEZZNS1_27merge_sort_block_merge_implIS3_N6thrust23THRUST_200600_302600_NS6detail15normal_iteratorINS8_10device_ptrIiEEEESD_jNS1_19radix_merge_compareILb1ELb0EiNS0_19identity_decomposerEEEEE10hipError_tT0_T1_T2_jT3_P12ihipStream_tbPNSt15iterator_traitsISI_E10value_typeEPNSO_ISJ_E10value_typeEPSK_NS1_7vsmem_tEENKUlT_SI_SJ_SK_E_clIPiSD_S10_SD_EESH_SX_SI_SJ_SK_EUlSX_E1_NS1_11comp_targetILNS1_3genE9ELNS1_11target_archE1100ELNS1_3gpuE3ELNS1_3repE0EEENS1_36merge_oddeven_config_static_selectorELNS0_4arch9wavefront6targetE0EEEvSJ_.uses_vcc, 0
	.set _ZN7rocprim17ROCPRIM_400000_NS6detail17trampoline_kernelINS0_14default_configENS1_38merge_sort_block_merge_config_selectorIiiEEZZNS1_27merge_sort_block_merge_implIS3_N6thrust23THRUST_200600_302600_NS6detail15normal_iteratorINS8_10device_ptrIiEEEESD_jNS1_19radix_merge_compareILb1ELb0EiNS0_19identity_decomposerEEEEE10hipError_tT0_T1_T2_jT3_P12ihipStream_tbPNSt15iterator_traitsISI_E10value_typeEPNSO_ISJ_E10value_typeEPSK_NS1_7vsmem_tEENKUlT_SI_SJ_SK_E_clIPiSD_S10_SD_EESH_SX_SI_SJ_SK_EUlSX_E1_NS1_11comp_targetILNS1_3genE9ELNS1_11target_archE1100ELNS1_3gpuE3ELNS1_3repE0EEENS1_36merge_oddeven_config_static_selectorELNS0_4arch9wavefront6targetE0EEEvSJ_.uses_flat_scratch, 0
	.set _ZN7rocprim17ROCPRIM_400000_NS6detail17trampoline_kernelINS0_14default_configENS1_38merge_sort_block_merge_config_selectorIiiEEZZNS1_27merge_sort_block_merge_implIS3_N6thrust23THRUST_200600_302600_NS6detail15normal_iteratorINS8_10device_ptrIiEEEESD_jNS1_19radix_merge_compareILb1ELb0EiNS0_19identity_decomposerEEEEE10hipError_tT0_T1_T2_jT3_P12ihipStream_tbPNSt15iterator_traitsISI_E10value_typeEPNSO_ISJ_E10value_typeEPSK_NS1_7vsmem_tEENKUlT_SI_SJ_SK_E_clIPiSD_S10_SD_EESH_SX_SI_SJ_SK_EUlSX_E1_NS1_11comp_targetILNS1_3genE9ELNS1_11target_archE1100ELNS1_3gpuE3ELNS1_3repE0EEENS1_36merge_oddeven_config_static_selectorELNS0_4arch9wavefront6targetE0EEEvSJ_.has_dyn_sized_stack, 0
	.set _ZN7rocprim17ROCPRIM_400000_NS6detail17trampoline_kernelINS0_14default_configENS1_38merge_sort_block_merge_config_selectorIiiEEZZNS1_27merge_sort_block_merge_implIS3_N6thrust23THRUST_200600_302600_NS6detail15normal_iteratorINS8_10device_ptrIiEEEESD_jNS1_19radix_merge_compareILb1ELb0EiNS0_19identity_decomposerEEEEE10hipError_tT0_T1_T2_jT3_P12ihipStream_tbPNSt15iterator_traitsISI_E10value_typeEPNSO_ISJ_E10value_typeEPSK_NS1_7vsmem_tEENKUlT_SI_SJ_SK_E_clIPiSD_S10_SD_EESH_SX_SI_SJ_SK_EUlSX_E1_NS1_11comp_targetILNS1_3genE9ELNS1_11target_archE1100ELNS1_3gpuE3ELNS1_3repE0EEENS1_36merge_oddeven_config_static_selectorELNS0_4arch9wavefront6targetE0EEEvSJ_.has_recursion, 0
	.set _ZN7rocprim17ROCPRIM_400000_NS6detail17trampoline_kernelINS0_14default_configENS1_38merge_sort_block_merge_config_selectorIiiEEZZNS1_27merge_sort_block_merge_implIS3_N6thrust23THRUST_200600_302600_NS6detail15normal_iteratorINS8_10device_ptrIiEEEESD_jNS1_19radix_merge_compareILb1ELb0EiNS0_19identity_decomposerEEEEE10hipError_tT0_T1_T2_jT3_P12ihipStream_tbPNSt15iterator_traitsISI_E10value_typeEPNSO_ISJ_E10value_typeEPSK_NS1_7vsmem_tEENKUlT_SI_SJ_SK_E_clIPiSD_S10_SD_EESH_SX_SI_SJ_SK_EUlSX_E1_NS1_11comp_targetILNS1_3genE9ELNS1_11target_archE1100ELNS1_3gpuE3ELNS1_3repE0EEENS1_36merge_oddeven_config_static_selectorELNS0_4arch9wavefront6targetE0EEEvSJ_.has_indirect_call, 0
	.section	.AMDGPU.csdata,"",@progbits
; Kernel info:
; codeLenInByte = 0
; TotalNumSgprs: 0
; NumVgprs: 0
; ScratchSize: 0
; MemoryBound: 0
; FloatMode: 240
; IeeeMode: 1
; LDSByteSize: 0 bytes/workgroup (compile time only)
; SGPRBlocks: 0
; VGPRBlocks: 0
; NumSGPRsForWavesPerEU: 1
; NumVGPRsForWavesPerEU: 1
; Occupancy: 16
; WaveLimiterHint : 0
; COMPUTE_PGM_RSRC2:SCRATCH_EN: 0
; COMPUTE_PGM_RSRC2:USER_SGPR: 6
; COMPUTE_PGM_RSRC2:TRAP_HANDLER: 0
; COMPUTE_PGM_RSRC2:TGID_X_EN: 1
; COMPUTE_PGM_RSRC2:TGID_Y_EN: 0
; COMPUTE_PGM_RSRC2:TGID_Z_EN: 0
; COMPUTE_PGM_RSRC2:TIDIG_COMP_CNT: 0
	.section	.text._ZN7rocprim17ROCPRIM_400000_NS6detail17trampoline_kernelINS0_14default_configENS1_38merge_sort_block_merge_config_selectorIiiEEZZNS1_27merge_sort_block_merge_implIS3_N6thrust23THRUST_200600_302600_NS6detail15normal_iteratorINS8_10device_ptrIiEEEESD_jNS1_19radix_merge_compareILb1ELb0EiNS0_19identity_decomposerEEEEE10hipError_tT0_T1_T2_jT3_P12ihipStream_tbPNSt15iterator_traitsISI_E10value_typeEPNSO_ISJ_E10value_typeEPSK_NS1_7vsmem_tEENKUlT_SI_SJ_SK_E_clIPiSD_S10_SD_EESH_SX_SI_SJ_SK_EUlSX_E1_NS1_11comp_targetILNS1_3genE8ELNS1_11target_archE1030ELNS1_3gpuE2ELNS1_3repE0EEENS1_36merge_oddeven_config_static_selectorELNS0_4arch9wavefront6targetE0EEEvSJ_,"axG",@progbits,_ZN7rocprim17ROCPRIM_400000_NS6detail17trampoline_kernelINS0_14default_configENS1_38merge_sort_block_merge_config_selectorIiiEEZZNS1_27merge_sort_block_merge_implIS3_N6thrust23THRUST_200600_302600_NS6detail15normal_iteratorINS8_10device_ptrIiEEEESD_jNS1_19radix_merge_compareILb1ELb0EiNS0_19identity_decomposerEEEEE10hipError_tT0_T1_T2_jT3_P12ihipStream_tbPNSt15iterator_traitsISI_E10value_typeEPNSO_ISJ_E10value_typeEPSK_NS1_7vsmem_tEENKUlT_SI_SJ_SK_E_clIPiSD_S10_SD_EESH_SX_SI_SJ_SK_EUlSX_E1_NS1_11comp_targetILNS1_3genE8ELNS1_11target_archE1030ELNS1_3gpuE2ELNS1_3repE0EEENS1_36merge_oddeven_config_static_selectorELNS0_4arch9wavefront6targetE0EEEvSJ_,comdat
	.protected	_ZN7rocprim17ROCPRIM_400000_NS6detail17trampoline_kernelINS0_14default_configENS1_38merge_sort_block_merge_config_selectorIiiEEZZNS1_27merge_sort_block_merge_implIS3_N6thrust23THRUST_200600_302600_NS6detail15normal_iteratorINS8_10device_ptrIiEEEESD_jNS1_19radix_merge_compareILb1ELb0EiNS0_19identity_decomposerEEEEE10hipError_tT0_T1_T2_jT3_P12ihipStream_tbPNSt15iterator_traitsISI_E10value_typeEPNSO_ISJ_E10value_typeEPSK_NS1_7vsmem_tEENKUlT_SI_SJ_SK_E_clIPiSD_S10_SD_EESH_SX_SI_SJ_SK_EUlSX_E1_NS1_11comp_targetILNS1_3genE8ELNS1_11target_archE1030ELNS1_3gpuE2ELNS1_3repE0EEENS1_36merge_oddeven_config_static_selectorELNS0_4arch9wavefront6targetE0EEEvSJ_ ; -- Begin function _ZN7rocprim17ROCPRIM_400000_NS6detail17trampoline_kernelINS0_14default_configENS1_38merge_sort_block_merge_config_selectorIiiEEZZNS1_27merge_sort_block_merge_implIS3_N6thrust23THRUST_200600_302600_NS6detail15normal_iteratorINS8_10device_ptrIiEEEESD_jNS1_19radix_merge_compareILb1ELb0EiNS0_19identity_decomposerEEEEE10hipError_tT0_T1_T2_jT3_P12ihipStream_tbPNSt15iterator_traitsISI_E10value_typeEPNSO_ISJ_E10value_typeEPSK_NS1_7vsmem_tEENKUlT_SI_SJ_SK_E_clIPiSD_S10_SD_EESH_SX_SI_SJ_SK_EUlSX_E1_NS1_11comp_targetILNS1_3genE8ELNS1_11target_archE1030ELNS1_3gpuE2ELNS1_3repE0EEENS1_36merge_oddeven_config_static_selectorELNS0_4arch9wavefront6targetE0EEEvSJ_
	.globl	_ZN7rocprim17ROCPRIM_400000_NS6detail17trampoline_kernelINS0_14default_configENS1_38merge_sort_block_merge_config_selectorIiiEEZZNS1_27merge_sort_block_merge_implIS3_N6thrust23THRUST_200600_302600_NS6detail15normal_iteratorINS8_10device_ptrIiEEEESD_jNS1_19radix_merge_compareILb1ELb0EiNS0_19identity_decomposerEEEEE10hipError_tT0_T1_T2_jT3_P12ihipStream_tbPNSt15iterator_traitsISI_E10value_typeEPNSO_ISJ_E10value_typeEPSK_NS1_7vsmem_tEENKUlT_SI_SJ_SK_E_clIPiSD_S10_SD_EESH_SX_SI_SJ_SK_EUlSX_E1_NS1_11comp_targetILNS1_3genE8ELNS1_11target_archE1030ELNS1_3gpuE2ELNS1_3repE0EEENS1_36merge_oddeven_config_static_selectorELNS0_4arch9wavefront6targetE0EEEvSJ_
	.p2align	8
	.type	_ZN7rocprim17ROCPRIM_400000_NS6detail17trampoline_kernelINS0_14default_configENS1_38merge_sort_block_merge_config_selectorIiiEEZZNS1_27merge_sort_block_merge_implIS3_N6thrust23THRUST_200600_302600_NS6detail15normal_iteratorINS8_10device_ptrIiEEEESD_jNS1_19radix_merge_compareILb1ELb0EiNS0_19identity_decomposerEEEEE10hipError_tT0_T1_T2_jT3_P12ihipStream_tbPNSt15iterator_traitsISI_E10value_typeEPNSO_ISJ_E10value_typeEPSK_NS1_7vsmem_tEENKUlT_SI_SJ_SK_E_clIPiSD_S10_SD_EESH_SX_SI_SJ_SK_EUlSX_E1_NS1_11comp_targetILNS1_3genE8ELNS1_11target_archE1030ELNS1_3gpuE2ELNS1_3repE0EEENS1_36merge_oddeven_config_static_selectorELNS0_4arch9wavefront6targetE0EEEvSJ_,@function
_ZN7rocprim17ROCPRIM_400000_NS6detail17trampoline_kernelINS0_14default_configENS1_38merge_sort_block_merge_config_selectorIiiEEZZNS1_27merge_sort_block_merge_implIS3_N6thrust23THRUST_200600_302600_NS6detail15normal_iteratorINS8_10device_ptrIiEEEESD_jNS1_19radix_merge_compareILb1ELb0EiNS0_19identity_decomposerEEEEE10hipError_tT0_T1_T2_jT3_P12ihipStream_tbPNSt15iterator_traitsISI_E10value_typeEPNSO_ISJ_E10value_typeEPSK_NS1_7vsmem_tEENKUlT_SI_SJ_SK_E_clIPiSD_S10_SD_EESH_SX_SI_SJ_SK_EUlSX_E1_NS1_11comp_targetILNS1_3genE8ELNS1_11target_archE1030ELNS1_3gpuE2ELNS1_3repE0EEENS1_36merge_oddeven_config_static_selectorELNS0_4arch9wavefront6targetE0EEEvSJ_: ; @_ZN7rocprim17ROCPRIM_400000_NS6detail17trampoline_kernelINS0_14default_configENS1_38merge_sort_block_merge_config_selectorIiiEEZZNS1_27merge_sort_block_merge_implIS3_N6thrust23THRUST_200600_302600_NS6detail15normal_iteratorINS8_10device_ptrIiEEEESD_jNS1_19radix_merge_compareILb1ELb0EiNS0_19identity_decomposerEEEEE10hipError_tT0_T1_T2_jT3_P12ihipStream_tbPNSt15iterator_traitsISI_E10value_typeEPNSO_ISJ_E10value_typeEPSK_NS1_7vsmem_tEENKUlT_SI_SJ_SK_E_clIPiSD_S10_SD_EESH_SX_SI_SJ_SK_EUlSX_E1_NS1_11comp_targetILNS1_3genE8ELNS1_11target_archE1030ELNS1_3gpuE2ELNS1_3repE0EEENS1_36merge_oddeven_config_static_selectorELNS0_4arch9wavefront6targetE0EEEvSJ_
; %bb.0:
	s_load_dword s7, s[4:5], 0x20
	s_waitcnt lgkmcnt(0)
	s_lshr_b32 s0, s7, 8
	s_cmp_eq_u32 s6, s0
	s_cselect_b32 s16, -1, 0
	s_cmp_lg_u32 s6, s0
	s_cselect_b32 s0, -1, 0
	s_lshl_b32 s2, s6, 8
	s_sub_i32 s1, s7, s2
	v_cmp_gt_u32_e64 s1, s1, v0
	s_or_b32 s0, s0, s1
	s_and_saveexec_b32 s3, s0
	s_cbranch_execz .LBB908_24
; %bb.1:
	s_load_dwordx8 s[8:15], s[4:5], 0x0
	s_mov_b32 s3, 0
	v_lshlrev_b32_e32 v1, 2, v0
	s_lshl_b64 s[18:19], s[2:3], 2
	s_load_dword s4, s[4:5], 0x24
	v_add_nc_u32_e32 v0, s2, v0
	s_mov_b32 s2, -1
	s_waitcnt lgkmcnt(0)
	s_add_u32 s20, s8, s18
	s_addc_u32 s21, s9, s19
	s_add_u32 s12, s12, s18
	s_addc_u32 s13, s13, s19
	s_lshr_b32 s0, s4, 8
	s_clause 0x1
	global_load_dword v2, v1, s[12:13]
	global_load_dword v3, v1, s[20:21]
	s_sub_i32 s3, 0, s0
	s_and_b32 s3, s6, s3
	s_and_b32 s0, s3, s0
	s_lshl_b32 s5, s3, 8
	s_sub_i32 s3, 0, s4
	s_cmp_eq_u32 s0, 0
	s_cselect_b32 s0, -1, 0
	s_and_b32 s6, s0, exec_lo
	s_cselect_b32 s3, s4, s3
	s_add_i32 s3, s3, s5
	s_cmp_gt_u32 s7, s3
	s_cbranch_scc1 .LBB908_9
; %bb.2:
	s_and_b32 vcc_lo, exec_lo, s16
	s_cbranch_vccz .LBB908_6
; %bb.3:
	s_mov_b32 s2, exec_lo
	v_cmpx_gt_u32_e64 s7, v0
	s_cbranch_execz .LBB908_5
; %bb.4:
	v_mov_b32_e32 v1, 0
	v_lshlrev_b64 v[4:5], 2, v[0:1]
	v_add_co_u32 v6, vcc_lo, s10, v4
	v_add_co_ci_u32_e64 v7, null, s11, v5, vcc_lo
	v_add_co_u32 v4, vcc_lo, s14, v4
	v_add_co_ci_u32_e64 v5, null, s15, v5, vcc_lo
	s_waitcnt vmcnt(0)
	global_store_dword v[6:7], v3, off
	global_store_dword v[4:5], v2, off
.LBB908_5:
	s_or_b32 exec_lo, exec_lo, s2
	s_mov_b32 s2, 0
.LBB908_6:
	s_andn2_b32 vcc_lo, exec_lo, s2
	s_cbranch_vccnz .LBB908_8
; %bb.7:
	v_mov_b32_e32 v1, 0
	v_lshlrev_b64 v[4:5], 2, v[0:1]
	v_add_co_u32 v6, vcc_lo, s10, v4
	v_add_co_ci_u32_e64 v7, null, s11, v5, vcc_lo
	v_add_co_u32 v4, vcc_lo, s14, v4
	v_add_co_ci_u32_e64 v5, null, s15, v5, vcc_lo
	s_waitcnt vmcnt(0)
	global_store_dword v[6:7], v3, off
	global_store_dword v[4:5], v2, off
.LBB908_8:
	s_mov_b32 s2, 0
.LBB908_9:
	s_andn2_b32 vcc_lo, exec_lo, s2
	s_cbranch_vccnz .LBB908_24
; %bb.10:
	s_min_u32 s2, s3, s7
	s_andn2_b32 vcc_lo, exec_lo, s16
	s_add_i32 s6, s5, s2
	s_min_u32 s5, s5, s2
	v_subrev_nc_u32_e32 v0, s6, v0
	s_add_i32 s4, s2, s4
	s_min_u32 s4, s4, s7
	v_add_nc_u32_e32 v4, s5, v0
	s_mov_b32 s5, -1
	s_cbranch_vccnz .LBB908_18
; %bb.11:
	s_and_saveexec_b32 s5, s1
	s_cbranch_execz .LBB908_17
; %bb.12:
	v_mov_b32_e32 v5, s2
	s_cmp_ge_u32 s3, s4
	s_cbranch_scc1 .LBB908_16
; %bb.13:
	v_mov_b32_e32 v6, s4
	v_mov_b32_e32 v5, s2
	;; [unrolled: 1-line block ×3, first 2 shown]
	s_mov_b32 s1, 0
	.p2align	6
.LBB908_14:                             ; =>This Inner Loop Header: Depth=1
	v_add_nc_u32_e32 v0, v5, v6
	v_lshrrev_b32_e32 v0, 1, v0
	v_lshlrev_b64 v[7:8], 2, v[0:1]
	v_add_co_u32 v7, vcc_lo, s8, v7
	v_add_co_ci_u32_e64 v8, null, s9, v8, vcc_lo
	global_load_dword v7, v[7:8], off
	s_waitcnt vmcnt(0)
	v_cmp_gt_i32_e32 vcc_lo, v7, v3
	v_cndmask_b32_e64 v8, 0, 1, vcc_lo
	v_cmp_le_i32_e32 vcc_lo, v3, v7
	v_cndmask_b32_e64 v7, 0, 1, vcc_lo
	v_cndmask_b32_e64 v7, v7, v8, s0
	v_add_nc_u32_e32 v8, 1, v0
	v_and_b32_e32 v7, 1, v7
	v_cmp_eq_u32_e32 vcc_lo, 1, v7
	v_cndmask_b32_e32 v6, v0, v6, vcc_lo
	v_cndmask_b32_e32 v5, v5, v8, vcc_lo
	v_cmp_ge_u32_e32 vcc_lo, v5, v6
	s_or_b32 s1, vcc_lo, s1
	s_andn2_b32 exec_lo, exec_lo, s1
	s_cbranch_execnz .LBB908_14
; %bb.15:
	s_or_b32 exec_lo, exec_lo, s1
.LBB908_16:
	v_add_nc_u32_e32 v0, v5, v4
	v_mov_b32_e32 v1, 0
	v_lshlrev_b64 v[0:1], 2, v[0:1]
	v_add_co_u32 v5, vcc_lo, s10, v0
	v_add_co_ci_u32_e64 v6, null, s11, v1, vcc_lo
	v_add_co_u32 v0, vcc_lo, s14, v0
	v_add_co_ci_u32_e64 v1, null, s15, v1, vcc_lo
	s_waitcnt vmcnt(0)
	global_store_dword v[5:6], v3, off
	global_store_dword v[0:1], v2, off
.LBB908_17:
	s_or_b32 exec_lo, exec_lo, s5
	s_mov_b32 s5, 0
.LBB908_18:
	s_andn2_b32 vcc_lo, exec_lo, s5
	s_cbranch_vccnz .LBB908_24
; %bb.19:
	v_mov_b32_e32 v5, s2
	s_cmp_ge_u32 s3, s4
	s_cbranch_scc1 .LBB908_23
; %bb.20:
	v_mov_b32_e32 v6, s4
	v_mov_b32_e32 v5, s2
	;; [unrolled: 1-line block ×3, first 2 shown]
	s_mov_b32 s1, 0
	.p2align	6
.LBB908_21:                             ; =>This Inner Loop Header: Depth=1
	v_add_nc_u32_e32 v0, v5, v6
	v_lshrrev_b32_e32 v0, 1, v0
	v_lshlrev_b64 v[7:8], 2, v[0:1]
	v_add_co_u32 v7, vcc_lo, s8, v7
	v_add_co_ci_u32_e64 v8, null, s9, v8, vcc_lo
	global_load_dword v7, v[7:8], off
	s_waitcnt vmcnt(0)
	v_cmp_gt_i32_e32 vcc_lo, v7, v3
	v_cndmask_b32_e64 v8, 0, 1, vcc_lo
	v_cmp_le_i32_e32 vcc_lo, v3, v7
	v_cndmask_b32_e64 v7, 0, 1, vcc_lo
	v_cndmask_b32_e64 v7, v7, v8, s0
	v_add_nc_u32_e32 v8, 1, v0
	v_and_b32_e32 v7, 1, v7
	v_cmp_eq_u32_e32 vcc_lo, 1, v7
	v_cndmask_b32_e32 v6, v0, v6, vcc_lo
	v_cndmask_b32_e32 v5, v5, v8, vcc_lo
	v_cmp_ge_u32_e32 vcc_lo, v5, v6
	s_or_b32 s1, vcc_lo, s1
	s_andn2_b32 exec_lo, exec_lo, s1
	s_cbranch_execnz .LBB908_21
; %bb.22:
	s_or_b32 exec_lo, exec_lo, s1
.LBB908_23:
	v_add_nc_u32_e32 v0, v5, v4
	v_mov_b32_e32 v1, 0
	v_lshlrev_b64 v[0:1], 2, v[0:1]
	v_add_co_u32 v4, vcc_lo, s10, v0
	v_add_co_ci_u32_e64 v5, null, s11, v1, vcc_lo
	v_add_co_u32 v0, vcc_lo, s14, v0
	v_add_co_ci_u32_e64 v1, null, s15, v1, vcc_lo
	s_waitcnt vmcnt(0)
	global_store_dword v[4:5], v3, off
	global_store_dword v[0:1], v2, off
.LBB908_24:
	s_endpgm
	.section	.rodata,"a",@progbits
	.p2align	6, 0x0
	.amdhsa_kernel _ZN7rocprim17ROCPRIM_400000_NS6detail17trampoline_kernelINS0_14default_configENS1_38merge_sort_block_merge_config_selectorIiiEEZZNS1_27merge_sort_block_merge_implIS3_N6thrust23THRUST_200600_302600_NS6detail15normal_iteratorINS8_10device_ptrIiEEEESD_jNS1_19radix_merge_compareILb1ELb0EiNS0_19identity_decomposerEEEEE10hipError_tT0_T1_T2_jT3_P12ihipStream_tbPNSt15iterator_traitsISI_E10value_typeEPNSO_ISJ_E10value_typeEPSK_NS1_7vsmem_tEENKUlT_SI_SJ_SK_E_clIPiSD_S10_SD_EESH_SX_SI_SJ_SK_EUlSX_E1_NS1_11comp_targetILNS1_3genE8ELNS1_11target_archE1030ELNS1_3gpuE2ELNS1_3repE0EEENS1_36merge_oddeven_config_static_selectorELNS0_4arch9wavefront6targetE0EEEvSJ_
		.amdhsa_group_segment_fixed_size 0
		.amdhsa_private_segment_fixed_size 0
		.amdhsa_kernarg_size 48
		.amdhsa_user_sgpr_count 6
		.amdhsa_user_sgpr_private_segment_buffer 1
		.amdhsa_user_sgpr_dispatch_ptr 0
		.amdhsa_user_sgpr_queue_ptr 0
		.amdhsa_user_sgpr_kernarg_segment_ptr 1
		.amdhsa_user_sgpr_dispatch_id 0
		.amdhsa_user_sgpr_flat_scratch_init 0
		.amdhsa_user_sgpr_private_segment_size 0
		.amdhsa_wavefront_size32 1
		.amdhsa_uses_dynamic_stack 0
		.amdhsa_system_sgpr_private_segment_wavefront_offset 0
		.amdhsa_system_sgpr_workgroup_id_x 1
		.amdhsa_system_sgpr_workgroup_id_y 0
		.amdhsa_system_sgpr_workgroup_id_z 0
		.amdhsa_system_sgpr_workgroup_info 0
		.amdhsa_system_vgpr_workitem_id 0
		.amdhsa_next_free_vgpr 9
		.amdhsa_next_free_sgpr 22
		.amdhsa_reserve_vcc 1
		.amdhsa_reserve_flat_scratch 0
		.amdhsa_float_round_mode_32 0
		.amdhsa_float_round_mode_16_64 0
		.amdhsa_float_denorm_mode_32 3
		.amdhsa_float_denorm_mode_16_64 3
		.amdhsa_dx10_clamp 1
		.amdhsa_ieee_mode 1
		.amdhsa_fp16_overflow 0
		.amdhsa_workgroup_processor_mode 1
		.amdhsa_memory_ordered 1
		.amdhsa_forward_progress 1
		.amdhsa_shared_vgpr_count 0
		.amdhsa_exception_fp_ieee_invalid_op 0
		.amdhsa_exception_fp_denorm_src 0
		.amdhsa_exception_fp_ieee_div_zero 0
		.amdhsa_exception_fp_ieee_overflow 0
		.amdhsa_exception_fp_ieee_underflow 0
		.amdhsa_exception_fp_ieee_inexact 0
		.amdhsa_exception_int_div_zero 0
	.end_amdhsa_kernel
	.section	.text._ZN7rocprim17ROCPRIM_400000_NS6detail17trampoline_kernelINS0_14default_configENS1_38merge_sort_block_merge_config_selectorIiiEEZZNS1_27merge_sort_block_merge_implIS3_N6thrust23THRUST_200600_302600_NS6detail15normal_iteratorINS8_10device_ptrIiEEEESD_jNS1_19radix_merge_compareILb1ELb0EiNS0_19identity_decomposerEEEEE10hipError_tT0_T1_T2_jT3_P12ihipStream_tbPNSt15iterator_traitsISI_E10value_typeEPNSO_ISJ_E10value_typeEPSK_NS1_7vsmem_tEENKUlT_SI_SJ_SK_E_clIPiSD_S10_SD_EESH_SX_SI_SJ_SK_EUlSX_E1_NS1_11comp_targetILNS1_3genE8ELNS1_11target_archE1030ELNS1_3gpuE2ELNS1_3repE0EEENS1_36merge_oddeven_config_static_selectorELNS0_4arch9wavefront6targetE0EEEvSJ_,"axG",@progbits,_ZN7rocprim17ROCPRIM_400000_NS6detail17trampoline_kernelINS0_14default_configENS1_38merge_sort_block_merge_config_selectorIiiEEZZNS1_27merge_sort_block_merge_implIS3_N6thrust23THRUST_200600_302600_NS6detail15normal_iteratorINS8_10device_ptrIiEEEESD_jNS1_19radix_merge_compareILb1ELb0EiNS0_19identity_decomposerEEEEE10hipError_tT0_T1_T2_jT3_P12ihipStream_tbPNSt15iterator_traitsISI_E10value_typeEPNSO_ISJ_E10value_typeEPSK_NS1_7vsmem_tEENKUlT_SI_SJ_SK_E_clIPiSD_S10_SD_EESH_SX_SI_SJ_SK_EUlSX_E1_NS1_11comp_targetILNS1_3genE8ELNS1_11target_archE1030ELNS1_3gpuE2ELNS1_3repE0EEENS1_36merge_oddeven_config_static_selectorELNS0_4arch9wavefront6targetE0EEEvSJ_,comdat
.Lfunc_end908:
	.size	_ZN7rocprim17ROCPRIM_400000_NS6detail17trampoline_kernelINS0_14default_configENS1_38merge_sort_block_merge_config_selectorIiiEEZZNS1_27merge_sort_block_merge_implIS3_N6thrust23THRUST_200600_302600_NS6detail15normal_iteratorINS8_10device_ptrIiEEEESD_jNS1_19radix_merge_compareILb1ELb0EiNS0_19identity_decomposerEEEEE10hipError_tT0_T1_T2_jT3_P12ihipStream_tbPNSt15iterator_traitsISI_E10value_typeEPNSO_ISJ_E10value_typeEPSK_NS1_7vsmem_tEENKUlT_SI_SJ_SK_E_clIPiSD_S10_SD_EESH_SX_SI_SJ_SK_EUlSX_E1_NS1_11comp_targetILNS1_3genE8ELNS1_11target_archE1030ELNS1_3gpuE2ELNS1_3repE0EEENS1_36merge_oddeven_config_static_selectorELNS0_4arch9wavefront6targetE0EEEvSJ_, .Lfunc_end908-_ZN7rocprim17ROCPRIM_400000_NS6detail17trampoline_kernelINS0_14default_configENS1_38merge_sort_block_merge_config_selectorIiiEEZZNS1_27merge_sort_block_merge_implIS3_N6thrust23THRUST_200600_302600_NS6detail15normal_iteratorINS8_10device_ptrIiEEEESD_jNS1_19radix_merge_compareILb1ELb0EiNS0_19identity_decomposerEEEEE10hipError_tT0_T1_T2_jT3_P12ihipStream_tbPNSt15iterator_traitsISI_E10value_typeEPNSO_ISJ_E10value_typeEPSK_NS1_7vsmem_tEENKUlT_SI_SJ_SK_E_clIPiSD_S10_SD_EESH_SX_SI_SJ_SK_EUlSX_E1_NS1_11comp_targetILNS1_3genE8ELNS1_11target_archE1030ELNS1_3gpuE2ELNS1_3repE0EEENS1_36merge_oddeven_config_static_selectorELNS0_4arch9wavefront6targetE0EEEvSJ_
                                        ; -- End function
	.set _ZN7rocprim17ROCPRIM_400000_NS6detail17trampoline_kernelINS0_14default_configENS1_38merge_sort_block_merge_config_selectorIiiEEZZNS1_27merge_sort_block_merge_implIS3_N6thrust23THRUST_200600_302600_NS6detail15normal_iteratorINS8_10device_ptrIiEEEESD_jNS1_19radix_merge_compareILb1ELb0EiNS0_19identity_decomposerEEEEE10hipError_tT0_T1_T2_jT3_P12ihipStream_tbPNSt15iterator_traitsISI_E10value_typeEPNSO_ISJ_E10value_typeEPSK_NS1_7vsmem_tEENKUlT_SI_SJ_SK_E_clIPiSD_S10_SD_EESH_SX_SI_SJ_SK_EUlSX_E1_NS1_11comp_targetILNS1_3genE8ELNS1_11target_archE1030ELNS1_3gpuE2ELNS1_3repE0EEENS1_36merge_oddeven_config_static_selectorELNS0_4arch9wavefront6targetE0EEEvSJ_.num_vgpr, 9
	.set _ZN7rocprim17ROCPRIM_400000_NS6detail17trampoline_kernelINS0_14default_configENS1_38merge_sort_block_merge_config_selectorIiiEEZZNS1_27merge_sort_block_merge_implIS3_N6thrust23THRUST_200600_302600_NS6detail15normal_iteratorINS8_10device_ptrIiEEEESD_jNS1_19radix_merge_compareILb1ELb0EiNS0_19identity_decomposerEEEEE10hipError_tT0_T1_T2_jT3_P12ihipStream_tbPNSt15iterator_traitsISI_E10value_typeEPNSO_ISJ_E10value_typeEPSK_NS1_7vsmem_tEENKUlT_SI_SJ_SK_E_clIPiSD_S10_SD_EESH_SX_SI_SJ_SK_EUlSX_E1_NS1_11comp_targetILNS1_3genE8ELNS1_11target_archE1030ELNS1_3gpuE2ELNS1_3repE0EEENS1_36merge_oddeven_config_static_selectorELNS0_4arch9wavefront6targetE0EEEvSJ_.num_agpr, 0
	.set _ZN7rocprim17ROCPRIM_400000_NS6detail17trampoline_kernelINS0_14default_configENS1_38merge_sort_block_merge_config_selectorIiiEEZZNS1_27merge_sort_block_merge_implIS3_N6thrust23THRUST_200600_302600_NS6detail15normal_iteratorINS8_10device_ptrIiEEEESD_jNS1_19radix_merge_compareILb1ELb0EiNS0_19identity_decomposerEEEEE10hipError_tT0_T1_T2_jT3_P12ihipStream_tbPNSt15iterator_traitsISI_E10value_typeEPNSO_ISJ_E10value_typeEPSK_NS1_7vsmem_tEENKUlT_SI_SJ_SK_E_clIPiSD_S10_SD_EESH_SX_SI_SJ_SK_EUlSX_E1_NS1_11comp_targetILNS1_3genE8ELNS1_11target_archE1030ELNS1_3gpuE2ELNS1_3repE0EEENS1_36merge_oddeven_config_static_selectorELNS0_4arch9wavefront6targetE0EEEvSJ_.numbered_sgpr, 22
	.set _ZN7rocprim17ROCPRIM_400000_NS6detail17trampoline_kernelINS0_14default_configENS1_38merge_sort_block_merge_config_selectorIiiEEZZNS1_27merge_sort_block_merge_implIS3_N6thrust23THRUST_200600_302600_NS6detail15normal_iteratorINS8_10device_ptrIiEEEESD_jNS1_19radix_merge_compareILb1ELb0EiNS0_19identity_decomposerEEEEE10hipError_tT0_T1_T2_jT3_P12ihipStream_tbPNSt15iterator_traitsISI_E10value_typeEPNSO_ISJ_E10value_typeEPSK_NS1_7vsmem_tEENKUlT_SI_SJ_SK_E_clIPiSD_S10_SD_EESH_SX_SI_SJ_SK_EUlSX_E1_NS1_11comp_targetILNS1_3genE8ELNS1_11target_archE1030ELNS1_3gpuE2ELNS1_3repE0EEENS1_36merge_oddeven_config_static_selectorELNS0_4arch9wavefront6targetE0EEEvSJ_.num_named_barrier, 0
	.set _ZN7rocprim17ROCPRIM_400000_NS6detail17trampoline_kernelINS0_14default_configENS1_38merge_sort_block_merge_config_selectorIiiEEZZNS1_27merge_sort_block_merge_implIS3_N6thrust23THRUST_200600_302600_NS6detail15normal_iteratorINS8_10device_ptrIiEEEESD_jNS1_19radix_merge_compareILb1ELb0EiNS0_19identity_decomposerEEEEE10hipError_tT0_T1_T2_jT3_P12ihipStream_tbPNSt15iterator_traitsISI_E10value_typeEPNSO_ISJ_E10value_typeEPSK_NS1_7vsmem_tEENKUlT_SI_SJ_SK_E_clIPiSD_S10_SD_EESH_SX_SI_SJ_SK_EUlSX_E1_NS1_11comp_targetILNS1_3genE8ELNS1_11target_archE1030ELNS1_3gpuE2ELNS1_3repE0EEENS1_36merge_oddeven_config_static_selectorELNS0_4arch9wavefront6targetE0EEEvSJ_.private_seg_size, 0
	.set _ZN7rocprim17ROCPRIM_400000_NS6detail17trampoline_kernelINS0_14default_configENS1_38merge_sort_block_merge_config_selectorIiiEEZZNS1_27merge_sort_block_merge_implIS3_N6thrust23THRUST_200600_302600_NS6detail15normal_iteratorINS8_10device_ptrIiEEEESD_jNS1_19radix_merge_compareILb1ELb0EiNS0_19identity_decomposerEEEEE10hipError_tT0_T1_T2_jT3_P12ihipStream_tbPNSt15iterator_traitsISI_E10value_typeEPNSO_ISJ_E10value_typeEPSK_NS1_7vsmem_tEENKUlT_SI_SJ_SK_E_clIPiSD_S10_SD_EESH_SX_SI_SJ_SK_EUlSX_E1_NS1_11comp_targetILNS1_3genE8ELNS1_11target_archE1030ELNS1_3gpuE2ELNS1_3repE0EEENS1_36merge_oddeven_config_static_selectorELNS0_4arch9wavefront6targetE0EEEvSJ_.uses_vcc, 1
	.set _ZN7rocprim17ROCPRIM_400000_NS6detail17trampoline_kernelINS0_14default_configENS1_38merge_sort_block_merge_config_selectorIiiEEZZNS1_27merge_sort_block_merge_implIS3_N6thrust23THRUST_200600_302600_NS6detail15normal_iteratorINS8_10device_ptrIiEEEESD_jNS1_19radix_merge_compareILb1ELb0EiNS0_19identity_decomposerEEEEE10hipError_tT0_T1_T2_jT3_P12ihipStream_tbPNSt15iterator_traitsISI_E10value_typeEPNSO_ISJ_E10value_typeEPSK_NS1_7vsmem_tEENKUlT_SI_SJ_SK_E_clIPiSD_S10_SD_EESH_SX_SI_SJ_SK_EUlSX_E1_NS1_11comp_targetILNS1_3genE8ELNS1_11target_archE1030ELNS1_3gpuE2ELNS1_3repE0EEENS1_36merge_oddeven_config_static_selectorELNS0_4arch9wavefront6targetE0EEEvSJ_.uses_flat_scratch, 0
	.set _ZN7rocprim17ROCPRIM_400000_NS6detail17trampoline_kernelINS0_14default_configENS1_38merge_sort_block_merge_config_selectorIiiEEZZNS1_27merge_sort_block_merge_implIS3_N6thrust23THRUST_200600_302600_NS6detail15normal_iteratorINS8_10device_ptrIiEEEESD_jNS1_19radix_merge_compareILb1ELb0EiNS0_19identity_decomposerEEEEE10hipError_tT0_T1_T2_jT3_P12ihipStream_tbPNSt15iterator_traitsISI_E10value_typeEPNSO_ISJ_E10value_typeEPSK_NS1_7vsmem_tEENKUlT_SI_SJ_SK_E_clIPiSD_S10_SD_EESH_SX_SI_SJ_SK_EUlSX_E1_NS1_11comp_targetILNS1_3genE8ELNS1_11target_archE1030ELNS1_3gpuE2ELNS1_3repE0EEENS1_36merge_oddeven_config_static_selectorELNS0_4arch9wavefront6targetE0EEEvSJ_.has_dyn_sized_stack, 0
	.set _ZN7rocprim17ROCPRIM_400000_NS6detail17trampoline_kernelINS0_14default_configENS1_38merge_sort_block_merge_config_selectorIiiEEZZNS1_27merge_sort_block_merge_implIS3_N6thrust23THRUST_200600_302600_NS6detail15normal_iteratorINS8_10device_ptrIiEEEESD_jNS1_19radix_merge_compareILb1ELb0EiNS0_19identity_decomposerEEEEE10hipError_tT0_T1_T2_jT3_P12ihipStream_tbPNSt15iterator_traitsISI_E10value_typeEPNSO_ISJ_E10value_typeEPSK_NS1_7vsmem_tEENKUlT_SI_SJ_SK_E_clIPiSD_S10_SD_EESH_SX_SI_SJ_SK_EUlSX_E1_NS1_11comp_targetILNS1_3genE8ELNS1_11target_archE1030ELNS1_3gpuE2ELNS1_3repE0EEENS1_36merge_oddeven_config_static_selectorELNS0_4arch9wavefront6targetE0EEEvSJ_.has_recursion, 0
	.set _ZN7rocprim17ROCPRIM_400000_NS6detail17trampoline_kernelINS0_14default_configENS1_38merge_sort_block_merge_config_selectorIiiEEZZNS1_27merge_sort_block_merge_implIS3_N6thrust23THRUST_200600_302600_NS6detail15normal_iteratorINS8_10device_ptrIiEEEESD_jNS1_19radix_merge_compareILb1ELb0EiNS0_19identity_decomposerEEEEE10hipError_tT0_T1_T2_jT3_P12ihipStream_tbPNSt15iterator_traitsISI_E10value_typeEPNSO_ISJ_E10value_typeEPSK_NS1_7vsmem_tEENKUlT_SI_SJ_SK_E_clIPiSD_S10_SD_EESH_SX_SI_SJ_SK_EUlSX_E1_NS1_11comp_targetILNS1_3genE8ELNS1_11target_archE1030ELNS1_3gpuE2ELNS1_3repE0EEENS1_36merge_oddeven_config_static_selectorELNS0_4arch9wavefront6targetE0EEEvSJ_.has_indirect_call, 0
	.section	.AMDGPU.csdata,"",@progbits
; Kernel info:
; codeLenInByte = 892
; TotalNumSgprs: 24
; NumVgprs: 9
; ScratchSize: 0
; MemoryBound: 0
; FloatMode: 240
; IeeeMode: 1
; LDSByteSize: 0 bytes/workgroup (compile time only)
; SGPRBlocks: 0
; VGPRBlocks: 1
; NumSGPRsForWavesPerEU: 24
; NumVGPRsForWavesPerEU: 9
; Occupancy: 16
; WaveLimiterHint : 0
; COMPUTE_PGM_RSRC2:SCRATCH_EN: 0
; COMPUTE_PGM_RSRC2:USER_SGPR: 6
; COMPUTE_PGM_RSRC2:TRAP_HANDLER: 0
; COMPUTE_PGM_RSRC2:TGID_X_EN: 1
; COMPUTE_PGM_RSRC2:TGID_Y_EN: 0
; COMPUTE_PGM_RSRC2:TGID_Z_EN: 0
; COMPUTE_PGM_RSRC2:TIDIG_COMP_CNT: 0
	.section	.text._ZN7rocprim17ROCPRIM_400000_NS6detail17trampoline_kernelINS0_14default_configENS1_38merge_sort_block_merge_config_selectorIiiEEZZNS1_27merge_sort_block_merge_implIS3_N6thrust23THRUST_200600_302600_NS6detail15normal_iteratorINS8_10device_ptrIiEEEESD_jNS1_19radix_merge_compareILb1ELb0EiNS0_19identity_decomposerEEEEE10hipError_tT0_T1_T2_jT3_P12ihipStream_tbPNSt15iterator_traitsISI_E10value_typeEPNSO_ISJ_E10value_typeEPSK_NS1_7vsmem_tEENKUlT_SI_SJ_SK_E_clISD_PiSD_S10_EESH_SX_SI_SJ_SK_EUlSX_E_NS1_11comp_targetILNS1_3genE0ELNS1_11target_archE4294967295ELNS1_3gpuE0ELNS1_3repE0EEENS1_48merge_mergepath_partition_config_static_selectorELNS0_4arch9wavefront6targetE0EEEvSJ_,"axG",@progbits,_ZN7rocprim17ROCPRIM_400000_NS6detail17trampoline_kernelINS0_14default_configENS1_38merge_sort_block_merge_config_selectorIiiEEZZNS1_27merge_sort_block_merge_implIS3_N6thrust23THRUST_200600_302600_NS6detail15normal_iteratorINS8_10device_ptrIiEEEESD_jNS1_19radix_merge_compareILb1ELb0EiNS0_19identity_decomposerEEEEE10hipError_tT0_T1_T2_jT3_P12ihipStream_tbPNSt15iterator_traitsISI_E10value_typeEPNSO_ISJ_E10value_typeEPSK_NS1_7vsmem_tEENKUlT_SI_SJ_SK_E_clISD_PiSD_S10_EESH_SX_SI_SJ_SK_EUlSX_E_NS1_11comp_targetILNS1_3genE0ELNS1_11target_archE4294967295ELNS1_3gpuE0ELNS1_3repE0EEENS1_48merge_mergepath_partition_config_static_selectorELNS0_4arch9wavefront6targetE0EEEvSJ_,comdat
	.protected	_ZN7rocprim17ROCPRIM_400000_NS6detail17trampoline_kernelINS0_14default_configENS1_38merge_sort_block_merge_config_selectorIiiEEZZNS1_27merge_sort_block_merge_implIS3_N6thrust23THRUST_200600_302600_NS6detail15normal_iteratorINS8_10device_ptrIiEEEESD_jNS1_19radix_merge_compareILb1ELb0EiNS0_19identity_decomposerEEEEE10hipError_tT0_T1_T2_jT3_P12ihipStream_tbPNSt15iterator_traitsISI_E10value_typeEPNSO_ISJ_E10value_typeEPSK_NS1_7vsmem_tEENKUlT_SI_SJ_SK_E_clISD_PiSD_S10_EESH_SX_SI_SJ_SK_EUlSX_E_NS1_11comp_targetILNS1_3genE0ELNS1_11target_archE4294967295ELNS1_3gpuE0ELNS1_3repE0EEENS1_48merge_mergepath_partition_config_static_selectorELNS0_4arch9wavefront6targetE0EEEvSJ_ ; -- Begin function _ZN7rocprim17ROCPRIM_400000_NS6detail17trampoline_kernelINS0_14default_configENS1_38merge_sort_block_merge_config_selectorIiiEEZZNS1_27merge_sort_block_merge_implIS3_N6thrust23THRUST_200600_302600_NS6detail15normal_iteratorINS8_10device_ptrIiEEEESD_jNS1_19radix_merge_compareILb1ELb0EiNS0_19identity_decomposerEEEEE10hipError_tT0_T1_T2_jT3_P12ihipStream_tbPNSt15iterator_traitsISI_E10value_typeEPNSO_ISJ_E10value_typeEPSK_NS1_7vsmem_tEENKUlT_SI_SJ_SK_E_clISD_PiSD_S10_EESH_SX_SI_SJ_SK_EUlSX_E_NS1_11comp_targetILNS1_3genE0ELNS1_11target_archE4294967295ELNS1_3gpuE0ELNS1_3repE0EEENS1_48merge_mergepath_partition_config_static_selectorELNS0_4arch9wavefront6targetE0EEEvSJ_
	.globl	_ZN7rocprim17ROCPRIM_400000_NS6detail17trampoline_kernelINS0_14default_configENS1_38merge_sort_block_merge_config_selectorIiiEEZZNS1_27merge_sort_block_merge_implIS3_N6thrust23THRUST_200600_302600_NS6detail15normal_iteratorINS8_10device_ptrIiEEEESD_jNS1_19radix_merge_compareILb1ELb0EiNS0_19identity_decomposerEEEEE10hipError_tT0_T1_T2_jT3_P12ihipStream_tbPNSt15iterator_traitsISI_E10value_typeEPNSO_ISJ_E10value_typeEPSK_NS1_7vsmem_tEENKUlT_SI_SJ_SK_E_clISD_PiSD_S10_EESH_SX_SI_SJ_SK_EUlSX_E_NS1_11comp_targetILNS1_3genE0ELNS1_11target_archE4294967295ELNS1_3gpuE0ELNS1_3repE0EEENS1_48merge_mergepath_partition_config_static_selectorELNS0_4arch9wavefront6targetE0EEEvSJ_
	.p2align	8
	.type	_ZN7rocprim17ROCPRIM_400000_NS6detail17trampoline_kernelINS0_14default_configENS1_38merge_sort_block_merge_config_selectorIiiEEZZNS1_27merge_sort_block_merge_implIS3_N6thrust23THRUST_200600_302600_NS6detail15normal_iteratorINS8_10device_ptrIiEEEESD_jNS1_19radix_merge_compareILb1ELb0EiNS0_19identity_decomposerEEEEE10hipError_tT0_T1_T2_jT3_P12ihipStream_tbPNSt15iterator_traitsISI_E10value_typeEPNSO_ISJ_E10value_typeEPSK_NS1_7vsmem_tEENKUlT_SI_SJ_SK_E_clISD_PiSD_S10_EESH_SX_SI_SJ_SK_EUlSX_E_NS1_11comp_targetILNS1_3genE0ELNS1_11target_archE4294967295ELNS1_3gpuE0ELNS1_3repE0EEENS1_48merge_mergepath_partition_config_static_selectorELNS0_4arch9wavefront6targetE0EEEvSJ_,@function
_ZN7rocprim17ROCPRIM_400000_NS6detail17trampoline_kernelINS0_14default_configENS1_38merge_sort_block_merge_config_selectorIiiEEZZNS1_27merge_sort_block_merge_implIS3_N6thrust23THRUST_200600_302600_NS6detail15normal_iteratorINS8_10device_ptrIiEEEESD_jNS1_19radix_merge_compareILb1ELb0EiNS0_19identity_decomposerEEEEE10hipError_tT0_T1_T2_jT3_P12ihipStream_tbPNSt15iterator_traitsISI_E10value_typeEPNSO_ISJ_E10value_typeEPSK_NS1_7vsmem_tEENKUlT_SI_SJ_SK_E_clISD_PiSD_S10_EESH_SX_SI_SJ_SK_EUlSX_E_NS1_11comp_targetILNS1_3genE0ELNS1_11target_archE4294967295ELNS1_3gpuE0ELNS1_3repE0EEENS1_48merge_mergepath_partition_config_static_selectorELNS0_4arch9wavefront6targetE0EEEvSJ_: ; @_ZN7rocprim17ROCPRIM_400000_NS6detail17trampoline_kernelINS0_14default_configENS1_38merge_sort_block_merge_config_selectorIiiEEZZNS1_27merge_sort_block_merge_implIS3_N6thrust23THRUST_200600_302600_NS6detail15normal_iteratorINS8_10device_ptrIiEEEESD_jNS1_19radix_merge_compareILb1ELb0EiNS0_19identity_decomposerEEEEE10hipError_tT0_T1_T2_jT3_P12ihipStream_tbPNSt15iterator_traitsISI_E10value_typeEPNSO_ISJ_E10value_typeEPSK_NS1_7vsmem_tEENKUlT_SI_SJ_SK_E_clISD_PiSD_S10_EESH_SX_SI_SJ_SK_EUlSX_E_NS1_11comp_targetILNS1_3genE0ELNS1_11target_archE4294967295ELNS1_3gpuE0ELNS1_3repE0EEENS1_48merge_mergepath_partition_config_static_selectorELNS0_4arch9wavefront6targetE0EEEvSJ_
; %bb.0:
	.section	.rodata,"a",@progbits
	.p2align	6, 0x0
	.amdhsa_kernel _ZN7rocprim17ROCPRIM_400000_NS6detail17trampoline_kernelINS0_14default_configENS1_38merge_sort_block_merge_config_selectorIiiEEZZNS1_27merge_sort_block_merge_implIS3_N6thrust23THRUST_200600_302600_NS6detail15normal_iteratorINS8_10device_ptrIiEEEESD_jNS1_19radix_merge_compareILb1ELb0EiNS0_19identity_decomposerEEEEE10hipError_tT0_T1_T2_jT3_P12ihipStream_tbPNSt15iterator_traitsISI_E10value_typeEPNSO_ISJ_E10value_typeEPSK_NS1_7vsmem_tEENKUlT_SI_SJ_SK_E_clISD_PiSD_S10_EESH_SX_SI_SJ_SK_EUlSX_E_NS1_11comp_targetILNS1_3genE0ELNS1_11target_archE4294967295ELNS1_3gpuE0ELNS1_3repE0EEENS1_48merge_mergepath_partition_config_static_selectorELNS0_4arch9wavefront6targetE0EEEvSJ_
		.amdhsa_group_segment_fixed_size 0
		.amdhsa_private_segment_fixed_size 0
		.amdhsa_kernarg_size 40
		.amdhsa_user_sgpr_count 6
		.amdhsa_user_sgpr_private_segment_buffer 1
		.amdhsa_user_sgpr_dispatch_ptr 0
		.amdhsa_user_sgpr_queue_ptr 0
		.amdhsa_user_sgpr_kernarg_segment_ptr 1
		.amdhsa_user_sgpr_dispatch_id 0
		.amdhsa_user_sgpr_flat_scratch_init 0
		.amdhsa_user_sgpr_private_segment_size 0
		.amdhsa_wavefront_size32 1
		.amdhsa_uses_dynamic_stack 0
		.amdhsa_system_sgpr_private_segment_wavefront_offset 0
		.amdhsa_system_sgpr_workgroup_id_x 1
		.amdhsa_system_sgpr_workgroup_id_y 0
		.amdhsa_system_sgpr_workgroup_id_z 0
		.amdhsa_system_sgpr_workgroup_info 0
		.amdhsa_system_vgpr_workitem_id 0
		.amdhsa_next_free_vgpr 1
		.amdhsa_next_free_sgpr 1
		.amdhsa_reserve_vcc 0
		.amdhsa_reserve_flat_scratch 0
		.amdhsa_float_round_mode_32 0
		.amdhsa_float_round_mode_16_64 0
		.amdhsa_float_denorm_mode_32 3
		.amdhsa_float_denorm_mode_16_64 3
		.amdhsa_dx10_clamp 1
		.amdhsa_ieee_mode 1
		.amdhsa_fp16_overflow 0
		.amdhsa_workgroup_processor_mode 1
		.amdhsa_memory_ordered 1
		.amdhsa_forward_progress 1
		.amdhsa_shared_vgpr_count 0
		.amdhsa_exception_fp_ieee_invalid_op 0
		.amdhsa_exception_fp_denorm_src 0
		.amdhsa_exception_fp_ieee_div_zero 0
		.amdhsa_exception_fp_ieee_overflow 0
		.amdhsa_exception_fp_ieee_underflow 0
		.amdhsa_exception_fp_ieee_inexact 0
		.amdhsa_exception_int_div_zero 0
	.end_amdhsa_kernel
	.section	.text._ZN7rocprim17ROCPRIM_400000_NS6detail17trampoline_kernelINS0_14default_configENS1_38merge_sort_block_merge_config_selectorIiiEEZZNS1_27merge_sort_block_merge_implIS3_N6thrust23THRUST_200600_302600_NS6detail15normal_iteratorINS8_10device_ptrIiEEEESD_jNS1_19radix_merge_compareILb1ELb0EiNS0_19identity_decomposerEEEEE10hipError_tT0_T1_T2_jT3_P12ihipStream_tbPNSt15iterator_traitsISI_E10value_typeEPNSO_ISJ_E10value_typeEPSK_NS1_7vsmem_tEENKUlT_SI_SJ_SK_E_clISD_PiSD_S10_EESH_SX_SI_SJ_SK_EUlSX_E_NS1_11comp_targetILNS1_3genE0ELNS1_11target_archE4294967295ELNS1_3gpuE0ELNS1_3repE0EEENS1_48merge_mergepath_partition_config_static_selectorELNS0_4arch9wavefront6targetE0EEEvSJ_,"axG",@progbits,_ZN7rocprim17ROCPRIM_400000_NS6detail17trampoline_kernelINS0_14default_configENS1_38merge_sort_block_merge_config_selectorIiiEEZZNS1_27merge_sort_block_merge_implIS3_N6thrust23THRUST_200600_302600_NS6detail15normal_iteratorINS8_10device_ptrIiEEEESD_jNS1_19radix_merge_compareILb1ELb0EiNS0_19identity_decomposerEEEEE10hipError_tT0_T1_T2_jT3_P12ihipStream_tbPNSt15iterator_traitsISI_E10value_typeEPNSO_ISJ_E10value_typeEPSK_NS1_7vsmem_tEENKUlT_SI_SJ_SK_E_clISD_PiSD_S10_EESH_SX_SI_SJ_SK_EUlSX_E_NS1_11comp_targetILNS1_3genE0ELNS1_11target_archE4294967295ELNS1_3gpuE0ELNS1_3repE0EEENS1_48merge_mergepath_partition_config_static_selectorELNS0_4arch9wavefront6targetE0EEEvSJ_,comdat
.Lfunc_end909:
	.size	_ZN7rocprim17ROCPRIM_400000_NS6detail17trampoline_kernelINS0_14default_configENS1_38merge_sort_block_merge_config_selectorIiiEEZZNS1_27merge_sort_block_merge_implIS3_N6thrust23THRUST_200600_302600_NS6detail15normal_iteratorINS8_10device_ptrIiEEEESD_jNS1_19radix_merge_compareILb1ELb0EiNS0_19identity_decomposerEEEEE10hipError_tT0_T1_T2_jT3_P12ihipStream_tbPNSt15iterator_traitsISI_E10value_typeEPNSO_ISJ_E10value_typeEPSK_NS1_7vsmem_tEENKUlT_SI_SJ_SK_E_clISD_PiSD_S10_EESH_SX_SI_SJ_SK_EUlSX_E_NS1_11comp_targetILNS1_3genE0ELNS1_11target_archE4294967295ELNS1_3gpuE0ELNS1_3repE0EEENS1_48merge_mergepath_partition_config_static_selectorELNS0_4arch9wavefront6targetE0EEEvSJ_, .Lfunc_end909-_ZN7rocprim17ROCPRIM_400000_NS6detail17trampoline_kernelINS0_14default_configENS1_38merge_sort_block_merge_config_selectorIiiEEZZNS1_27merge_sort_block_merge_implIS3_N6thrust23THRUST_200600_302600_NS6detail15normal_iteratorINS8_10device_ptrIiEEEESD_jNS1_19radix_merge_compareILb1ELb0EiNS0_19identity_decomposerEEEEE10hipError_tT0_T1_T2_jT3_P12ihipStream_tbPNSt15iterator_traitsISI_E10value_typeEPNSO_ISJ_E10value_typeEPSK_NS1_7vsmem_tEENKUlT_SI_SJ_SK_E_clISD_PiSD_S10_EESH_SX_SI_SJ_SK_EUlSX_E_NS1_11comp_targetILNS1_3genE0ELNS1_11target_archE4294967295ELNS1_3gpuE0ELNS1_3repE0EEENS1_48merge_mergepath_partition_config_static_selectorELNS0_4arch9wavefront6targetE0EEEvSJ_
                                        ; -- End function
	.set _ZN7rocprim17ROCPRIM_400000_NS6detail17trampoline_kernelINS0_14default_configENS1_38merge_sort_block_merge_config_selectorIiiEEZZNS1_27merge_sort_block_merge_implIS3_N6thrust23THRUST_200600_302600_NS6detail15normal_iteratorINS8_10device_ptrIiEEEESD_jNS1_19radix_merge_compareILb1ELb0EiNS0_19identity_decomposerEEEEE10hipError_tT0_T1_T2_jT3_P12ihipStream_tbPNSt15iterator_traitsISI_E10value_typeEPNSO_ISJ_E10value_typeEPSK_NS1_7vsmem_tEENKUlT_SI_SJ_SK_E_clISD_PiSD_S10_EESH_SX_SI_SJ_SK_EUlSX_E_NS1_11comp_targetILNS1_3genE0ELNS1_11target_archE4294967295ELNS1_3gpuE0ELNS1_3repE0EEENS1_48merge_mergepath_partition_config_static_selectorELNS0_4arch9wavefront6targetE0EEEvSJ_.num_vgpr, 0
	.set _ZN7rocprim17ROCPRIM_400000_NS6detail17trampoline_kernelINS0_14default_configENS1_38merge_sort_block_merge_config_selectorIiiEEZZNS1_27merge_sort_block_merge_implIS3_N6thrust23THRUST_200600_302600_NS6detail15normal_iteratorINS8_10device_ptrIiEEEESD_jNS1_19radix_merge_compareILb1ELb0EiNS0_19identity_decomposerEEEEE10hipError_tT0_T1_T2_jT3_P12ihipStream_tbPNSt15iterator_traitsISI_E10value_typeEPNSO_ISJ_E10value_typeEPSK_NS1_7vsmem_tEENKUlT_SI_SJ_SK_E_clISD_PiSD_S10_EESH_SX_SI_SJ_SK_EUlSX_E_NS1_11comp_targetILNS1_3genE0ELNS1_11target_archE4294967295ELNS1_3gpuE0ELNS1_3repE0EEENS1_48merge_mergepath_partition_config_static_selectorELNS0_4arch9wavefront6targetE0EEEvSJ_.num_agpr, 0
	.set _ZN7rocprim17ROCPRIM_400000_NS6detail17trampoline_kernelINS0_14default_configENS1_38merge_sort_block_merge_config_selectorIiiEEZZNS1_27merge_sort_block_merge_implIS3_N6thrust23THRUST_200600_302600_NS6detail15normal_iteratorINS8_10device_ptrIiEEEESD_jNS1_19radix_merge_compareILb1ELb0EiNS0_19identity_decomposerEEEEE10hipError_tT0_T1_T2_jT3_P12ihipStream_tbPNSt15iterator_traitsISI_E10value_typeEPNSO_ISJ_E10value_typeEPSK_NS1_7vsmem_tEENKUlT_SI_SJ_SK_E_clISD_PiSD_S10_EESH_SX_SI_SJ_SK_EUlSX_E_NS1_11comp_targetILNS1_3genE0ELNS1_11target_archE4294967295ELNS1_3gpuE0ELNS1_3repE0EEENS1_48merge_mergepath_partition_config_static_selectorELNS0_4arch9wavefront6targetE0EEEvSJ_.numbered_sgpr, 0
	.set _ZN7rocprim17ROCPRIM_400000_NS6detail17trampoline_kernelINS0_14default_configENS1_38merge_sort_block_merge_config_selectorIiiEEZZNS1_27merge_sort_block_merge_implIS3_N6thrust23THRUST_200600_302600_NS6detail15normal_iteratorINS8_10device_ptrIiEEEESD_jNS1_19radix_merge_compareILb1ELb0EiNS0_19identity_decomposerEEEEE10hipError_tT0_T1_T2_jT3_P12ihipStream_tbPNSt15iterator_traitsISI_E10value_typeEPNSO_ISJ_E10value_typeEPSK_NS1_7vsmem_tEENKUlT_SI_SJ_SK_E_clISD_PiSD_S10_EESH_SX_SI_SJ_SK_EUlSX_E_NS1_11comp_targetILNS1_3genE0ELNS1_11target_archE4294967295ELNS1_3gpuE0ELNS1_3repE0EEENS1_48merge_mergepath_partition_config_static_selectorELNS0_4arch9wavefront6targetE0EEEvSJ_.num_named_barrier, 0
	.set _ZN7rocprim17ROCPRIM_400000_NS6detail17trampoline_kernelINS0_14default_configENS1_38merge_sort_block_merge_config_selectorIiiEEZZNS1_27merge_sort_block_merge_implIS3_N6thrust23THRUST_200600_302600_NS6detail15normal_iteratorINS8_10device_ptrIiEEEESD_jNS1_19radix_merge_compareILb1ELb0EiNS0_19identity_decomposerEEEEE10hipError_tT0_T1_T2_jT3_P12ihipStream_tbPNSt15iterator_traitsISI_E10value_typeEPNSO_ISJ_E10value_typeEPSK_NS1_7vsmem_tEENKUlT_SI_SJ_SK_E_clISD_PiSD_S10_EESH_SX_SI_SJ_SK_EUlSX_E_NS1_11comp_targetILNS1_3genE0ELNS1_11target_archE4294967295ELNS1_3gpuE0ELNS1_3repE0EEENS1_48merge_mergepath_partition_config_static_selectorELNS0_4arch9wavefront6targetE0EEEvSJ_.private_seg_size, 0
	.set _ZN7rocprim17ROCPRIM_400000_NS6detail17trampoline_kernelINS0_14default_configENS1_38merge_sort_block_merge_config_selectorIiiEEZZNS1_27merge_sort_block_merge_implIS3_N6thrust23THRUST_200600_302600_NS6detail15normal_iteratorINS8_10device_ptrIiEEEESD_jNS1_19radix_merge_compareILb1ELb0EiNS0_19identity_decomposerEEEEE10hipError_tT0_T1_T2_jT3_P12ihipStream_tbPNSt15iterator_traitsISI_E10value_typeEPNSO_ISJ_E10value_typeEPSK_NS1_7vsmem_tEENKUlT_SI_SJ_SK_E_clISD_PiSD_S10_EESH_SX_SI_SJ_SK_EUlSX_E_NS1_11comp_targetILNS1_3genE0ELNS1_11target_archE4294967295ELNS1_3gpuE0ELNS1_3repE0EEENS1_48merge_mergepath_partition_config_static_selectorELNS0_4arch9wavefront6targetE0EEEvSJ_.uses_vcc, 0
	.set _ZN7rocprim17ROCPRIM_400000_NS6detail17trampoline_kernelINS0_14default_configENS1_38merge_sort_block_merge_config_selectorIiiEEZZNS1_27merge_sort_block_merge_implIS3_N6thrust23THRUST_200600_302600_NS6detail15normal_iteratorINS8_10device_ptrIiEEEESD_jNS1_19radix_merge_compareILb1ELb0EiNS0_19identity_decomposerEEEEE10hipError_tT0_T1_T2_jT3_P12ihipStream_tbPNSt15iterator_traitsISI_E10value_typeEPNSO_ISJ_E10value_typeEPSK_NS1_7vsmem_tEENKUlT_SI_SJ_SK_E_clISD_PiSD_S10_EESH_SX_SI_SJ_SK_EUlSX_E_NS1_11comp_targetILNS1_3genE0ELNS1_11target_archE4294967295ELNS1_3gpuE0ELNS1_3repE0EEENS1_48merge_mergepath_partition_config_static_selectorELNS0_4arch9wavefront6targetE0EEEvSJ_.uses_flat_scratch, 0
	.set _ZN7rocprim17ROCPRIM_400000_NS6detail17trampoline_kernelINS0_14default_configENS1_38merge_sort_block_merge_config_selectorIiiEEZZNS1_27merge_sort_block_merge_implIS3_N6thrust23THRUST_200600_302600_NS6detail15normal_iteratorINS8_10device_ptrIiEEEESD_jNS1_19radix_merge_compareILb1ELb0EiNS0_19identity_decomposerEEEEE10hipError_tT0_T1_T2_jT3_P12ihipStream_tbPNSt15iterator_traitsISI_E10value_typeEPNSO_ISJ_E10value_typeEPSK_NS1_7vsmem_tEENKUlT_SI_SJ_SK_E_clISD_PiSD_S10_EESH_SX_SI_SJ_SK_EUlSX_E_NS1_11comp_targetILNS1_3genE0ELNS1_11target_archE4294967295ELNS1_3gpuE0ELNS1_3repE0EEENS1_48merge_mergepath_partition_config_static_selectorELNS0_4arch9wavefront6targetE0EEEvSJ_.has_dyn_sized_stack, 0
	.set _ZN7rocprim17ROCPRIM_400000_NS6detail17trampoline_kernelINS0_14default_configENS1_38merge_sort_block_merge_config_selectorIiiEEZZNS1_27merge_sort_block_merge_implIS3_N6thrust23THRUST_200600_302600_NS6detail15normal_iteratorINS8_10device_ptrIiEEEESD_jNS1_19radix_merge_compareILb1ELb0EiNS0_19identity_decomposerEEEEE10hipError_tT0_T1_T2_jT3_P12ihipStream_tbPNSt15iterator_traitsISI_E10value_typeEPNSO_ISJ_E10value_typeEPSK_NS1_7vsmem_tEENKUlT_SI_SJ_SK_E_clISD_PiSD_S10_EESH_SX_SI_SJ_SK_EUlSX_E_NS1_11comp_targetILNS1_3genE0ELNS1_11target_archE4294967295ELNS1_3gpuE0ELNS1_3repE0EEENS1_48merge_mergepath_partition_config_static_selectorELNS0_4arch9wavefront6targetE0EEEvSJ_.has_recursion, 0
	.set _ZN7rocprim17ROCPRIM_400000_NS6detail17trampoline_kernelINS0_14default_configENS1_38merge_sort_block_merge_config_selectorIiiEEZZNS1_27merge_sort_block_merge_implIS3_N6thrust23THRUST_200600_302600_NS6detail15normal_iteratorINS8_10device_ptrIiEEEESD_jNS1_19radix_merge_compareILb1ELb0EiNS0_19identity_decomposerEEEEE10hipError_tT0_T1_T2_jT3_P12ihipStream_tbPNSt15iterator_traitsISI_E10value_typeEPNSO_ISJ_E10value_typeEPSK_NS1_7vsmem_tEENKUlT_SI_SJ_SK_E_clISD_PiSD_S10_EESH_SX_SI_SJ_SK_EUlSX_E_NS1_11comp_targetILNS1_3genE0ELNS1_11target_archE4294967295ELNS1_3gpuE0ELNS1_3repE0EEENS1_48merge_mergepath_partition_config_static_selectorELNS0_4arch9wavefront6targetE0EEEvSJ_.has_indirect_call, 0
	.section	.AMDGPU.csdata,"",@progbits
; Kernel info:
; codeLenInByte = 0
; TotalNumSgprs: 0
; NumVgprs: 0
; ScratchSize: 0
; MemoryBound: 0
; FloatMode: 240
; IeeeMode: 1
; LDSByteSize: 0 bytes/workgroup (compile time only)
; SGPRBlocks: 0
; VGPRBlocks: 0
; NumSGPRsForWavesPerEU: 1
; NumVGPRsForWavesPerEU: 1
; Occupancy: 16
; WaveLimiterHint : 0
; COMPUTE_PGM_RSRC2:SCRATCH_EN: 0
; COMPUTE_PGM_RSRC2:USER_SGPR: 6
; COMPUTE_PGM_RSRC2:TRAP_HANDLER: 0
; COMPUTE_PGM_RSRC2:TGID_X_EN: 1
; COMPUTE_PGM_RSRC2:TGID_Y_EN: 0
; COMPUTE_PGM_RSRC2:TGID_Z_EN: 0
; COMPUTE_PGM_RSRC2:TIDIG_COMP_CNT: 0
	.section	.text._ZN7rocprim17ROCPRIM_400000_NS6detail17trampoline_kernelINS0_14default_configENS1_38merge_sort_block_merge_config_selectorIiiEEZZNS1_27merge_sort_block_merge_implIS3_N6thrust23THRUST_200600_302600_NS6detail15normal_iteratorINS8_10device_ptrIiEEEESD_jNS1_19radix_merge_compareILb1ELb0EiNS0_19identity_decomposerEEEEE10hipError_tT0_T1_T2_jT3_P12ihipStream_tbPNSt15iterator_traitsISI_E10value_typeEPNSO_ISJ_E10value_typeEPSK_NS1_7vsmem_tEENKUlT_SI_SJ_SK_E_clISD_PiSD_S10_EESH_SX_SI_SJ_SK_EUlSX_E_NS1_11comp_targetILNS1_3genE10ELNS1_11target_archE1201ELNS1_3gpuE5ELNS1_3repE0EEENS1_48merge_mergepath_partition_config_static_selectorELNS0_4arch9wavefront6targetE0EEEvSJ_,"axG",@progbits,_ZN7rocprim17ROCPRIM_400000_NS6detail17trampoline_kernelINS0_14default_configENS1_38merge_sort_block_merge_config_selectorIiiEEZZNS1_27merge_sort_block_merge_implIS3_N6thrust23THRUST_200600_302600_NS6detail15normal_iteratorINS8_10device_ptrIiEEEESD_jNS1_19radix_merge_compareILb1ELb0EiNS0_19identity_decomposerEEEEE10hipError_tT0_T1_T2_jT3_P12ihipStream_tbPNSt15iterator_traitsISI_E10value_typeEPNSO_ISJ_E10value_typeEPSK_NS1_7vsmem_tEENKUlT_SI_SJ_SK_E_clISD_PiSD_S10_EESH_SX_SI_SJ_SK_EUlSX_E_NS1_11comp_targetILNS1_3genE10ELNS1_11target_archE1201ELNS1_3gpuE5ELNS1_3repE0EEENS1_48merge_mergepath_partition_config_static_selectorELNS0_4arch9wavefront6targetE0EEEvSJ_,comdat
	.protected	_ZN7rocprim17ROCPRIM_400000_NS6detail17trampoline_kernelINS0_14default_configENS1_38merge_sort_block_merge_config_selectorIiiEEZZNS1_27merge_sort_block_merge_implIS3_N6thrust23THRUST_200600_302600_NS6detail15normal_iteratorINS8_10device_ptrIiEEEESD_jNS1_19radix_merge_compareILb1ELb0EiNS0_19identity_decomposerEEEEE10hipError_tT0_T1_T2_jT3_P12ihipStream_tbPNSt15iterator_traitsISI_E10value_typeEPNSO_ISJ_E10value_typeEPSK_NS1_7vsmem_tEENKUlT_SI_SJ_SK_E_clISD_PiSD_S10_EESH_SX_SI_SJ_SK_EUlSX_E_NS1_11comp_targetILNS1_3genE10ELNS1_11target_archE1201ELNS1_3gpuE5ELNS1_3repE0EEENS1_48merge_mergepath_partition_config_static_selectorELNS0_4arch9wavefront6targetE0EEEvSJ_ ; -- Begin function _ZN7rocprim17ROCPRIM_400000_NS6detail17trampoline_kernelINS0_14default_configENS1_38merge_sort_block_merge_config_selectorIiiEEZZNS1_27merge_sort_block_merge_implIS3_N6thrust23THRUST_200600_302600_NS6detail15normal_iteratorINS8_10device_ptrIiEEEESD_jNS1_19radix_merge_compareILb1ELb0EiNS0_19identity_decomposerEEEEE10hipError_tT0_T1_T2_jT3_P12ihipStream_tbPNSt15iterator_traitsISI_E10value_typeEPNSO_ISJ_E10value_typeEPSK_NS1_7vsmem_tEENKUlT_SI_SJ_SK_E_clISD_PiSD_S10_EESH_SX_SI_SJ_SK_EUlSX_E_NS1_11comp_targetILNS1_3genE10ELNS1_11target_archE1201ELNS1_3gpuE5ELNS1_3repE0EEENS1_48merge_mergepath_partition_config_static_selectorELNS0_4arch9wavefront6targetE0EEEvSJ_
	.globl	_ZN7rocprim17ROCPRIM_400000_NS6detail17trampoline_kernelINS0_14default_configENS1_38merge_sort_block_merge_config_selectorIiiEEZZNS1_27merge_sort_block_merge_implIS3_N6thrust23THRUST_200600_302600_NS6detail15normal_iteratorINS8_10device_ptrIiEEEESD_jNS1_19radix_merge_compareILb1ELb0EiNS0_19identity_decomposerEEEEE10hipError_tT0_T1_T2_jT3_P12ihipStream_tbPNSt15iterator_traitsISI_E10value_typeEPNSO_ISJ_E10value_typeEPSK_NS1_7vsmem_tEENKUlT_SI_SJ_SK_E_clISD_PiSD_S10_EESH_SX_SI_SJ_SK_EUlSX_E_NS1_11comp_targetILNS1_3genE10ELNS1_11target_archE1201ELNS1_3gpuE5ELNS1_3repE0EEENS1_48merge_mergepath_partition_config_static_selectorELNS0_4arch9wavefront6targetE0EEEvSJ_
	.p2align	8
	.type	_ZN7rocprim17ROCPRIM_400000_NS6detail17trampoline_kernelINS0_14default_configENS1_38merge_sort_block_merge_config_selectorIiiEEZZNS1_27merge_sort_block_merge_implIS3_N6thrust23THRUST_200600_302600_NS6detail15normal_iteratorINS8_10device_ptrIiEEEESD_jNS1_19radix_merge_compareILb1ELb0EiNS0_19identity_decomposerEEEEE10hipError_tT0_T1_T2_jT3_P12ihipStream_tbPNSt15iterator_traitsISI_E10value_typeEPNSO_ISJ_E10value_typeEPSK_NS1_7vsmem_tEENKUlT_SI_SJ_SK_E_clISD_PiSD_S10_EESH_SX_SI_SJ_SK_EUlSX_E_NS1_11comp_targetILNS1_3genE10ELNS1_11target_archE1201ELNS1_3gpuE5ELNS1_3repE0EEENS1_48merge_mergepath_partition_config_static_selectorELNS0_4arch9wavefront6targetE0EEEvSJ_,@function
_ZN7rocprim17ROCPRIM_400000_NS6detail17trampoline_kernelINS0_14default_configENS1_38merge_sort_block_merge_config_selectorIiiEEZZNS1_27merge_sort_block_merge_implIS3_N6thrust23THRUST_200600_302600_NS6detail15normal_iteratorINS8_10device_ptrIiEEEESD_jNS1_19radix_merge_compareILb1ELb0EiNS0_19identity_decomposerEEEEE10hipError_tT0_T1_T2_jT3_P12ihipStream_tbPNSt15iterator_traitsISI_E10value_typeEPNSO_ISJ_E10value_typeEPSK_NS1_7vsmem_tEENKUlT_SI_SJ_SK_E_clISD_PiSD_S10_EESH_SX_SI_SJ_SK_EUlSX_E_NS1_11comp_targetILNS1_3genE10ELNS1_11target_archE1201ELNS1_3gpuE5ELNS1_3repE0EEENS1_48merge_mergepath_partition_config_static_selectorELNS0_4arch9wavefront6targetE0EEEvSJ_: ; @_ZN7rocprim17ROCPRIM_400000_NS6detail17trampoline_kernelINS0_14default_configENS1_38merge_sort_block_merge_config_selectorIiiEEZZNS1_27merge_sort_block_merge_implIS3_N6thrust23THRUST_200600_302600_NS6detail15normal_iteratorINS8_10device_ptrIiEEEESD_jNS1_19radix_merge_compareILb1ELb0EiNS0_19identity_decomposerEEEEE10hipError_tT0_T1_T2_jT3_P12ihipStream_tbPNSt15iterator_traitsISI_E10value_typeEPNSO_ISJ_E10value_typeEPSK_NS1_7vsmem_tEENKUlT_SI_SJ_SK_E_clISD_PiSD_S10_EESH_SX_SI_SJ_SK_EUlSX_E_NS1_11comp_targetILNS1_3genE10ELNS1_11target_archE1201ELNS1_3gpuE5ELNS1_3repE0EEENS1_48merge_mergepath_partition_config_static_selectorELNS0_4arch9wavefront6targetE0EEEvSJ_
; %bb.0:
	.section	.rodata,"a",@progbits
	.p2align	6, 0x0
	.amdhsa_kernel _ZN7rocprim17ROCPRIM_400000_NS6detail17trampoline_kernelINS0_14default_configENS1_38merge_sort_block_merge_config_selectorIiiEEZZNS1_27merge_sort_block_merge_implIS3_N6thrust23THRUST_200600_302600_NS6detail15normal_iteratorINS8_10device_ptrIiEEEESD_jNS1_19radix_merge_compareILb1ELb0EiNS0_19identity_decomposerEEEEE10hipError_tT0_T1_T2_jT3_P12ihipStream_tbPNSt15iterator_traitsISI_E10value_typeEPNSO_ISJ_E10value_typeEPSK_NS1_7vsmem_tEENKUlT_SI_SJ_SK_E_clISD_PiSD_S10_EESH_SX_SI_SJ_SK_EUlSX_E_NS1_11comp_targetILNS1_3genE10ELNS1_11target_archE1201ELNS1_3gpuE5ELNS1_3repE0EEENS1_48merge_mergepath_partition_config_static_selectorELNS0_4arch9wavefront6targetE0EEEvSJ_
		.amdhsa_group_segment_fixed_size 0
		.amdhsa_private_segment_fixed_size 0
		.amdhsa_kernarg_size 40
		.amdhsa_user_sgpr_count 6
		.amdhsa_user_sgpr_private_segment_buffer 1
		.amdhsa_user_sgpr_dispatch_ptr 0
		.amdhsa_user_sgpr_queue_ptr 0
		.amdhsa_user_sgpr_kernarg_segment_ptr 1
		.amdhsa_user_sgpr_dispatch_id 0
		.amdhsa_user_sgpr_flat_scratch_init 0
		.amdhsa_user_sgpr_private_segment_size 0
		.amdhsa_wavefront_size32 1
		.amdhsa_uses_dynamic_stack 0
		.amdhsa_system_sgpr_private_segment_wavefront_offset 0
		.amdhsa_system_sgpr_workgroup_id_x 1
		.amdhsa_system_sgpr_workgroup_id_y 0
		.amdhsa_system_sgpr_workgroup_id_z 0
		.amdhsa_system_sgpr_workgroup_info 0
		.amdhsa_system_vgpr_workitem_id 0
		.amdhsa_next_free_vgpr 1
		.amdhsa_next_free_sgpr 1
		.amdhsa_reserve_vcc 0
		.amdhsa_reserve_flat_scratch 0
		.amdhsa_float_round_mode_32 0
		.amdhsa_float_round_mode_16_64 0
		.amdhsa_float_denorm_mode_32 3
		.amdhsa_float_denorm_mode_16_64 3
		.amdhsa_dx10_clamp 1
		.amdhsa_ieee_mode 1
		.amdhsa_fp16_overflow 0
		.amdhsa_workgroup_processor_mode 1
		.amdhsa_memory_ordered 1
		.amdhsa_forward_progress 1
		.amdhsa_shared_vgpr_count 0
		.amdhsa_exception_fp_ieee_invalid_op 0
		.amdhsa_exception_fp_denorm_src 0
		.amdhsa_exception_fp_ieee_div_zero 0
		.amdhsa_exception_fp_ieee_overflow 0
		.amdhsa_exception_fp_ieee_underflow 0
		.amdhsa_exception_fp_ieee_inexact 0
		.amdhsa_exception_int_div_zero 0
	.end_amdhsa_kernel
	.section	.text._ZN7rocprim17ROCPRIM_400000_NS6detail17trampoline_kernelINS0_14default_configENS1_38merge_sort_block_merge_config_selectorIiiEEZZNS1_27merge_sort_block_merge_implIS3_N6thrust23THRUST_200600_302600_NS6detail15normal_iteratorINS8_10device_ptrIiEEEESD_jNS1_19radix_merge_compareILb1ELb0EiNS0_19identity_decomposerEEEEE10hipError_tT0_T1_T2_jT3_P12ihipStream_tbPNSt15iterator_traitsISI_E10value_typeEPNSO_ISJ_E10value_typeEPSK_NS1_7vsmem_tEENKUlT_SI_SJ_SK_E_clISD_PiSD_S10_EESH_SX_SI_SJ_SK_EUlSX_E_NS1_11comp_targetILNS1_3genE10ELNS1_11target_archE1201ELNS1_3gpuE5ELNS1_3repE0EEENS1_48merge_mergepath_partition_config_static_selectorELNS0_4arch9wavefront6targetE0EEEvSJ_,"axG",@progbits,_ZN7rocprim17ROCPRIM_400000_NS6detail17trampoline_kernelINS0_14default_configENS1_38merge_sort_block_merge_config_selectorIiiEEZZNS1_27merge_sort_block_merge_implIS3_N6thrust23THRUST_200600_302600_NS6detail15normal_iteratorINS8_10device_ptrIiEEEESD_jNS1_19radix_merge_compareILb1ELb0EiNS0_19identity_decomposerEEEEE10hipError_tT0_T1_T2_jT3_P12ihipStream_tbPNSt15iterator_traitsISI_E10value_typeEPNSO_ISJ_E10value_typeEPSK_NS1_7vsmem_tEENKUlT_SI_SJ_SK_E_clISD_PiSD_S10_EESH_SX_SI_SJ_SK_EUlSX_E_NS1_11comp_targetILNS1_3genE10ELNS1_11target_archE1201ELNS1_3gpuE5ELNS1_3repE0EEENS1_48merge_mergepath_partition_config_static_selectorELNS0_4arch9wavefront6targetE0EEEvSJ_,comdat
.Lfunc_end910:
	.size	_ZN7rocprim17ROCPRIM_400000_NS6detail17trampoline_kernelINS0_14default_configENS1_38merge_sort_block_merge_config_selectorIiiEEZZNS1_27merge_sort_block_merge_implIS3_N6thrust23THRUST_200600_302600_NS6detail15normal_iteratorINS8_10device_ptrIiEEEESD_jNS1_19radix_merge_compareILb1ELb0EiNS0_19identity_decomposerEEEEE10hipError_tT0_T1_T2_jT3_P12ihipStream_tbPNSt15iterator_traitsISI_E10value_typeEPNSO_ISJ_E10value_typeEPSK_NS1_7vsmem_tEENKUlT_SI_SJ_SK_E_clISD_PiSD_S10_EESH_SX_SI_SJ_SK_EUlSX_E_NS1_11comp_targetILNS1_3genE10ELNS1_11target_archE1201ELNS1_3gpuE5ELNS1_3repE0EEENS1_48merge_mergepath_partition_config_static_selectorELNS0_4arch9wavefront6targetE0EEEvSJ_, .Lfunc_end910-_ZN7rocprim17ROCPRIM_400000_NS6detail17trampoline_kernelINS0_14default_configENS1_38merge_sort_block_merge_config_selectorIiiEEZZNS1_27merge_sort_block_merge_implIS3_N6thrust23THRUST_200600_302600_NS6detail15normal_iteratorINS8_10device_ptrIiEEEESD_jNS1_19radix_merge_compareILb1ELb0EiNS0_19identity_decomposerEEEEE10hipError_tT0_T1_T2_jT3_P12ihipStream_tbPNSt15iterator_traitsISI_E10value_typeEPNSO_ISJ_E10value_typeEPSK_NS1_7vsmem_tEENKUlT_SI_SJ_SK_E_clISD_PiSD_S10_EESH_SX_SI_SJ_SK_EUlSX_E_NS1_11comp_targetILNS1_3genE10ELNS1_11target_archE1201ELNS1_3gpuE5ELNS1_3repE0EEENS1_48merge_mergepath_partition_config_static_selectorELNS0_4arch9wavefront6targetE0EEEvSJ_
                                        ; -- End function
	.set _ZN7rocprim17ROCPRIM_400000_NS6detail17trampoline_kernelINS0_14default_configENS1_38merge_sort_block_merge_config_selectorIiiEEZZNS1_27merge_sort_block_merge_implIS3_N6thrust23THRUST_200600_302600_NS6detail15normal_iteratorINS8_10device_ptrIiEEEESD_jNS1_19radix_merge_compareILb1ELb0EiNS0_19identity_decomposerEEEEE10hipError_tT0_T1_T2_jT3_P12ihipStream_tbPNSt15iterator_traitsISI_E10value_typeEPNSO_ISJ_E10value_typeEPSK_NS1_7vsmem_tEENKUlT_SI_SJ_SK_E_clISD_PiSD_S10_EESH_SX_SI_SJ_SK_EUlSX_E_NS1_11comp_targetILNS1_3genE10ELNS1_11target_archE1201ELNS1_3gpuE5ELNS1_3repE0EEENS1_48merge_mergepath_partition_config_static_selectorELNS0_4arch9wavefront6targetE0EEEvSJ_.num_vgpr, 0
	.set _ZN7rocprim17ROCPRIM_400000_NS6detail17trampoline_kernelINS0_14default_configENS1_38merge_sort_block_merge_config_selectorIiiEEZZNS1_27merge_sort_block_merge_implIS3_N6thrust23THRUST_200600_302600_NS6detail15normal_iteratorINS8_10device_ptrIiEEEESD_jNS1_19radix_merge_compareILb1ELb0EiNS0_19identity_decomposerEEEEE10hipError_tT0_T1_T2_jT3_P12ihipStream_tbPNSt15iterator_traitsISI_E10value_typeEPNSO_ISJ_E10value_typeEPSK_NS1_7vsmem_tEENKUlT_SI_SJ_SK_E_clISD_PiSD_S10_EESH_SX_SI_SJ_SK_EUlSX_E_NS1_11comp_targetILNS1_3genE10ELNS1_11target_archE1201ELNS1_3gpuE5ELNS1_3repE0EEENS1_48merge_mergepath_partition_config_static_selectorELNS0_4arch9wavefront6targetE0EEEvSJ_.num_agpr, 0
	.set _ZN7rocprim17ROCPRIM_400000_NS6detail17trampoline_kernelINS0_14default_configENS1_38merge_sort_block_merge_config_selectorIiiEEZZNS1_27merge_sort_block_merge_implIS3_N6thrust23THRUST_200600_302600_NS6detail15normal_iteratorINS8_10device_ptrIiEEEESD_jNS1_19radix_merge_compareILb1ELb0EiNS0_19identity_decomposerEEEEE10hipError_tT0_T1_T2_jT3_P12ihipStream_tbPNSt15iterator_traitsISI_E10value_typeEPNSO_ISJ_E10value_typeEPSK_NS1_7vsmem_tEENKUlT_SI_SJ_SK_E_clISD_PiSD_S10_EESH_SX_SI_SJ_SK_EUlSX_E_NS1_11comp_targetILNS1_3genE10ELNS1_11target_archE1201ELNS1_3gpuE5ELNS1_3repE0EEENS1_48merge_mergepath_partition_config_static_selectorELNS0_4arch9wavefront6targetE0EEEvSJ_.numbered_sgpr, 0
	.set _ZN7rocprim17ROCPRIM_400000_NS6detail17trampoline_kernelINS0_14default_configENS1_38merge_sort_block_merge_config_selectorIiiEEZZNS1_27merge_sort_block_merge_implIS3_N6thrust23THRUST_200600_302600_NS6detail15normal_iteratorINS8_10device_ptrIiEEEESD_jNS1_19radix_merge_compareILb1ELb0EiNS0_19identity_decomposerEEEEE10hipError_tT0_T1_T2_jT3_P12ihipStream_tbPNSt15iterator_traitsISI_E10value_typeEPNSO_ISJ_E10value_typeEPSK_NS1_7vsmem_tEENKUlT_SI_SJ_SK_E_clISD_PiSD_S10_EESH_SX_SI_SJ_SK_EUlSX_E_NS1_11comp_targetILNS1_3genE10ELNS1_11target_archE1201ELNS1_3gpuE5ELNS1_3repE0EEENS1_48merge_mergepath_partition_config_static_selectorELNS0_4arch9wavefront6targetE0EEEvSJ_.num_named_barrier, 0
	.set _ZN7rocprim17ROCPRIM_400000_NS6detail17trampoline_kernelINS0_14default_configENS1_38merge_sort_block_merge_config_selectorIiiEEZZNS1_27merge_sort_block_merge_implIS3_N6thrust23THRUST_200600_302600_NS6detail15normal_iteratorINS8_10device_ptrIiEEEESD_jNS1_19radix_merge_compareILb1ELb0EiNS0_19identity_decomposerEEEEE10hipError_tT0_T1_T2_jT3_P12ihipStream_tbPNSt15iterator_traitsISI_E10value_typeEPNSO_ISJ_E10value_typeEPSK_NS1_7vsmem_tEENKUlT_SI_SJ_SK_E_clISD_PiSD_S10_EESH_SX_SI_SJ_SK_EUlSX_E_NS1_11comp_targetILNS1_3genE10ELNS1_11target_archE1201ELNS1_3gpuE5ELNS1_3repE0EEENS1_48merge_mergepath_partition_config_static_selectorELNS0_4arch9wavefront6targetE0EEEvSJ_.private_seg_size, 0
	.set _ZN7rocprim17ROCPRIM_400000_NS6detail17trampoline_kernelINS0_14default_configENS1_38merge_sort_block_merge_config_selectorIiiEEZZNS1_27merge_sort_block_merge_implIS3_N6thrust23THRUST_200600_302600_NS6detail15normal_iteratorINS8_10device_ptrIiEEEESD_jNS1_19radix_merge_compareILb1ELb0EiNS0_19identity_decomposerEEEEE10hipError_tT0_T1_T2_jT3_P12ihipStream_tbPNSt15iterator_traitsISI_E10value_typeEPNSO_ISJ_E10value_typeEPSK_NS1_7vsmem_tEENKUlT_SI_SJ_SK_E_clISD_PiSD_S10_EESH_SX_SI_SJ_SK_EUlSX_E_NS1_11comp_targetILNS1_3genE10ELNS1_11target_archE1201ELNS1_3gpuE5ELNS1_3repE0EEENS1_48merge_mergepath_partition_config_static_selectorELNS0_4arch9wavefront6targetE0EEEvSJ_.uses_vcc, 0
	.set _ZN7rocprim17ROCPRIM_400000_NS6detail17trampoline_kernelINS0_14default_configENS1_38merge_sort_block_merge_config_selectorIiiEEZZNS1_27merge_sort_block_merge_implIS3_N6thrust23THRUST_200600_302600_NS6detail15normal_iteratorINS8_10device_ptrIiEEEESD_jNS1_19radix_merge_compareILb1ELb0EiNS0_19identity_decomposerEEEEE10hipError_tT0_T1_T2_jT3_P12ihipStream_tbPNSt15iterator_traitsISI_E10value_typeEPNSO_ISJ_E10value_typeEPSK_NS1_7vsmem_tEENKUlT_SI_SJ_SK_E_clISD_PiSD_S10_EESH_SX_SI_SJ_SK_EUlSX_E_NS1_11comp_targetILNS1_3genE10ELNS1_11target_archE1201ELNS1_3gpuE5ELNS1_3repE0EEENS1_48merge_mergepath_partition_config_static_selectorELNS0_4arch9wavefront6targetE0EEEvSJ_.uses_flat_scratch, 0
	.set _ZN7rocprim17ROCPRIM_400000_NS6detail17trampoline_kernelINS0_14default_configENS1_38merge_sort_block_merge_config_selectorIiiEEZZNS1_27merge_sort_block_merge_implIS3_N6thrust23THRUST_200600_302600_NS6detail15normal_iteratorINS8_10device_ptrIiEEEESD_jNS1_19radix_merge_compareILb1ELb0EiNS0_19identity_decomposerEEEEE10hipError_tT0_T1_T2_jT3_P12ihipStream_tbPNSt15iterator_traitsISI_E10value_typeEPNSO_ISJ_E10value_typeEPSK_NS1_7vsmem_tEENKUlT_SI_SJ_SK_E_clISD_PiSD_S10_EESH_SX_SI_SJ_SK_EUlSX_E_NS1_11comp_targetILNS1_3genE10ELNS1_11target_archE1201ELNS1_3gpuE5ELNS1_3repE0EEENS1_48merge_mergepath_partition_config_static_selectorELNS0_4arch9wavefront6targetE0EEEvSJ_.has_dyn_sized_stack, 0
	.set _ZN7rocprim17ROCPRIM_400000_NS6detail17trampoline_kernelINS0_14default_configENS1_38merge_sort_block_merge_config_selectorIiiEEZZNS1_27merge_sort_block_merge_implIS3_N6thrust23THRUST_200600_302600_NS6detail15normal_iteratorINS8_10device_ptrIiEEEESD_jNS1_19radix_merge_compareILb1ELb0EiNS0_19identity_decomposerEEEEE10hipError_tT0_T1_T2_jT3_P12ihipStream_tbPNSt15iterator_traitsISI_E10value_typeEPNSO_ISJ_E10value_typeEPSK_NS1_7vsmem_tEENKUlT_SI_SJ_SK_E_clISD_PiSD_S10_EESH_SX_SI_SJ_SK_EUlSX_E_NS1_11comp_targetILNS1_3genE10ELNS1_11target_archE1201ELNS1_3gpuE5ELNS1_3repE0EEENS1_48merge_mergepath_partition_config_static_selectorELNS0_4arch9wavefront6targetE0EEEvSJ_.has_recursion, 0
	.set _ZN7rocprim17ROCPRIM_400000_NS6detail17trampoline_kernelINS0_14default_configENS1_38merge_sort_block_merge_config_selectorIiiEEZZNS1_27merge_sort_block_merge_implIS3_N6thrust23THRUST_200600_302600_NS6detail15normal_iteratorINS8_10device_ptrIiEEEESD_jNS1_19radix_merge_compareILb1ELb0EiNS0_19identity_decomposerEEEEE10hipError_tT0_T1_T2_jT3_P12ihipStream_tbPNSt15iterator_traitsISI_E10value_typeEPNSO_ISJ_E10value_typeEPSK_NS1_7vsmem_tEENKUlT_SI_SJ_SK_E_clISD_PiSD_S10_EESH_SX_SI_SJ_SK_EUlSX_E_NS1_11comp_targetILNS1_3genE10ELNS1_11target_archE1201ELNS1_3gpuE5ELNS1_3repE0EEENS1_48merge_mergepath_partition_config_static_selectorELNS0_4arch9wavefront6targetE0EEEvSJ_.has_indirect_call, 0
	.section	.AMDGPU.csdata,"",@progbits
; Kernel info:
; codeLenInByte = 0
; TotalNumSgprs: 0
; NumVgprs: 0
; ScratchSize: 0
; MemoryBound: 0
; FloatMode: 240
; IeeeMode: 1
; LDSByteSize: 0 bytes/workgroup (compile time only)
; SGPRBlocks: 0
; VGPRBlocks: 0
; NumSGPRsForWavesPerEU: 1
; NumVGPRsForWavesPerEU: 1
; Occupancy: 16
; WaveLimiterHint : 0
; COMPUTE_PGM_RSRC2:SCRATCH_EN: 0
; COMPUTE_PGM_RSRC2:USER_SGPR: 6
; COMPUTE_PGM_RSRC2:TRAP_HANDLER: 0
; COMPUTE_PGM_RSRC2:TGID_X_EN: 1
; COMPUTE_PGM_RSRC2:TGID_Y_EN: 0
; COMPUTE_PGM_RSRC2:TGID_Z_EN: 0
; COMPUTE_PGM_RSRC2:TIDIG_COMP_CNT: 0
	.section	.text._ZN7rocprim17ROCPRIM_400000_NS6detail17trampoline_kernelINS0_14default_configENS1_38merge_sort_block_merge_config_selectorIiiEEZZNS1_27merge_sort_block_merge_implIS3_N6thrust23THRUST_200600_302600_NS6detail15normal_iteratorINS8_10device_ptrIiEEEESD_jNS1_19radix_merge_compareILb1ELb0EiNS0_19identity_decomposerEEEEE10hipError_tT0_T1_T2_jT3_P12ihipStream_tbPNSt15iterator_traitsISI_E10value_typeEPNSO_ISJ_E10value_typeEPSK_NS1_7vsmem_tEENKUlT_SI_SJ_SK_E_clISD_PiSD_S10_EESH_SX_SI_SJ_SK_EUlSX_E_NS1_11comp_targetILNS1_3genE5ELNS1_11target_archE942ELNS1_3gpuE9ELNS1_3repE0EEENS1_48merge_mergepath_partition_config_static_selectorELNS0_4arch9wavefront6targetE0EEEvSJ_,"axG",@progbits,_ZN7rocprim17ROCPRIM_400000_NS6detail17trampoline_kernelINS0_14default_configENS1_38merge_sort_block_merge_config_selectorIiiEEZZNS1_27merge_sort_block_merge_implIS3_N6thrust23THRUST_200600_302600_NS6detail15normal_iteratorINS8_10device_ptrIiEEEESD_jNS1_19radix_merge_compareILb1ELb0EiNS0_19identity_decomposerEEEEE10hipError_tT0_T1_T2_jT3_P12ihipStream_tbPNSt15iterator_traitsISI_E10value_typeEPNSO_ISJ_E10value_typeEPSK_NS1_7vsmem_tEENKUlT_SI_SJ_SK_E_clISD_PiSD_S10_EESH_SX_SI_SJ_SK_EUlSX_E_NS1_11comp_targetILNS1_3genE5ELNS1_11target_archE942ELNS1_3gpuE9ELNS1_3repE0EEENS1_48merge_mergepath_partition_config_static_selectorELNS0_4arch9wavefront6targetE0EEEvSJ_,comdat
	.protected	_ZN7rocprim17ROCPRIM_400000_NS6detail17trampoline_kernelINS0_14default_configENS1_38merge_sort_block_merge_config_selectorIiiEEZZNS1_27merge_sort_block_merge_implIS3_N6thrust23THRUST_200600_302600_NS6detail15normal_iteratorINS8_10device_ptrIiEEEESD_jNS1_19radix_merge_compareILb1ELb0EiNS0_19identity_decomposerEEEEE10hipError_tT0_T1_T2_jT3_P12ihipStream_tbPNSt15iterator_traitsISI_E10value_typeEPNSO_ISJ_E10value_typeEPSK_NS1_7vsmem_tEENKUlT_SI_SJ_SK_E_clISD_PiSD_S10_EESH_SX_SI_SJ_SK_EUlSX_E_NS1_11comp_targetILNS1_3genE5ELNS1_11target_archE942ELNS1_3gpuE9ELNS1_3repE0EEENS1_48merge_mergepath_partition_config_static_selectorELNS0_4arch9wavefront6targetE0EEEvSJ_ ; -- Begin function _ZN7rocprim17ROCPRIM_400000_NS6detail17trampoline_kernelINS0_14default_configENS1_38merge_sort_block_merge_config_selectorIiiEEZZNS1_27merge_sort_block_merge_implIS3_N6thrust23THRUST_200600_302600_NS6detail15normal_iteratorINS8_10device_ptrIiEEEESD_jNS1_19radix_merge_compareILb1ELb0EiNS0_19identity_decomposerEEEEE10hipError_tT0_T1_T2_jT3_P12ihipStream_tbPNSt15iterator_traitsISI_E10value_typeEPNSO_ISJ_E10value_typeEPSK_NS1_7vsmem_tEENKUlT_SI_SJ_SK_E_clISD_PiSD_S10_EESH_SX_SI_SJ_SK_EUlSX_E_NS1_11comp_targetILNS1_3genE5ELNS1_11target_archE942ELNS1_3gpuE9ELNS1_3repE0EEENS1_48merge_mergepath_partition_config_static_selectorELNS0_4arch9wavefront6targetE0EEEvSJ_
	.globl	_ZN7rocprim17ROCPRIM_400000_NS6detail17trampoline_kernelINS0_14default_configENS1_38merge_sort_block_merge_config_selectorIiiEEZZNS1_27merge_sort_block_merge_implIS3_N6thrust23THRUST_200600_302600_NS6detail15normal_iteratorINS8_10device_ptrIiEEEESD_jNS1_19radix_merge_compareILb1ELb0EiNS0_19identity_decomposerEEEEE10hipError_tT0_T1_T2_jT3_P12ihipStream_tbPNSt15iterator_traitsISI_E10value_typeEPNSO_ISJ_E10value_typeEPSK_NS1_7vsmem_tEENKUlT_SI_SJ_SK_E_clISD_PiSD_S10_EESH_SX_SI_SJ_SK_EUlSX_E_NS1_11comp_targetILNS1_3genE5ELNS1_11target_archE942ELNS1_3gpuE9ELNS1_3repE0EEENS1_48merge_mergepath_partition_config_static_selectorELNS0_4arch9wavefront6targetE0EEEvSJ_
	.p2align	8
	.type	_ZN7rocprim17ROCPRIM_400000_NS6detail17trampoline_kernelINS0_14default_configENS1_38merge_sort_block_merge_config_selectorIiiEEZZNS1_27merge_sort_block_merge_implIS3_N6thrust23THRUST_200600_302600_NS6detail15normal_iteratorINS8_10device_ptrIiEEEESD_jNS1_19radix_merge_compareILb1ELb0EiNS0_19identity_decomposerEEEEE10hipError_tT0_T1_T2_jT3_P12ihipStream_tbPNSt15iterator_traitsISI_E10value_typeEPNSO_ISJ_E10value_typeEPSK_NS1_7vsmem_tEENKUlT_SI_SJ_SK_E_clISD_PiSD_S10_EESH_SX_SI_SJ_SK_EUlSX_E_NS1_11comp_targetILNS1_3genE5ELNS1_11target_archE942ELNS1_3gpuE9ELNS1_3repE0EEENS1_48merge_mergepath_partition_config_static_selectorELNS0_4arch9wavefront6targetE0EEEvSJ_,@function
_ZN7rocprim17ROCPRIM_400000_NS6detail17trampoline_kernelINS0_14default_configENS1_38merge_sort_block_merge_config_selectorIiiEEZZNS1_27merge_sort_block_merge_implIS3_N6thrust23THRUST_200600_302600_NS6detail15normal_iteratorINS8_10device_ptrIiEEEESD_jNS1_19radix_merge_compareILb1ELb0EiNS0_19identity_decomposerEEEEE10hipError_tT0_T1_T2_jT3_P12ihipStream_tbPNSt15iterator_traitsISI_E10value_typeEPNSO_ISJ_E10value_typeEPSK_NS1_7vsmem_tEENKUlT_SI_SJ_SK_E_clISD_PiSD_S10_EESH_SX_SI_SJ_SK_EUlSX_E_NS1_11comp_targetILNS1_3genE5ELNS1_11target_archE942ELNS1_3gpuE9ELNS1_3repE0EEENS1_48merge_mergepath_partition_config_static_selectorELNS0_4arch9wavefront6targetE0EEEvSJ_: ; @_ZN7rocprim17ROCPRIM_400000_NS6detail17trampoline_kernelINS0_14default_configENS1_38merge_sort_block_merge_config_selectorIiiEEZZNS1_27merge_sort_block_merge_implIS3_N6thrust23THRUST_200600_302600_NS6detail15normal_iteratorINS8_10device_ptrIiEEEESD_jNS1_19radix_merge_compareILb1ELb0EiNS0_19identity_decomposerEEEEE10hipError_tT0_T1_T2_jT3_P12ihipStream_tbPNSt15iterator_traitsISI_E10value_typeEPNSO_ISJ_E10value_typeEPSK_NS1_7vsmem_tEENKUlT_SI_SJ_SK_E_clISD_PiSD_S10_EESH_SX_SI_SJ_SK_EUlSX_E_NS1_11comp_targetILNS1_3genE5ELNS1_11target_archE942ELNS1_3gpuE9ELNS1_3repE0EEENS1_48merge_mergepath_partition_config_static_selectorELNS0_4arch9wavefront6targetE0EEEvSJ_
; %bb.0:
	.section	.rodata,"a",@progbits
	.p2align	6, 0x0
	.amdhsa_kernel _ZN7rocprim17ROCPRIM_400000_NS6detail17trampoline_kernelINS0_14default_configENS1_38merge_sort_block_merge_config_selectorIiiEEZZNS1_27merge_sort_block_merge_implIS3_N6thrust23THRUST_200600_302600_NS6detail15normal_iteratorINS8_10device_ptrIiEEEESD_jNS1_19radix_merge_compareILb1ELb0EiNS0_19identity_decomposerEEEEE10hipError_tT0_T1_T2_jT3_P12ihipStream_tbPNSt15iterator_traitsISI_E10value_typeEPNSO_ISJ_E10value_typeEPSK_NS1_7vsmem_tEENKUlT_SI_SJ_SK_E_clISD_PiSD_S10_EESH_SX_SI_SJ_SK_EUlSX_E_NS1_11comp_targetILNS1_3genE5ELNS1_11target_archE942ELNS1_3gpuE9ELNS1_3repE0EEENS1_48merge_mergepath_partition_config_static_selectorELNS0_4arch9wavefront6targetE0EEEvSJ_
		.amdhsa_group_segment_fixed_size 0
		.amdhsa_private_segment_fixed_size 0
		.amdhsa_kernarg_size 40
		.amdhsa_user_sgpr_count 6
		.amdhsa_user_sgpr_private_segment_buffer 1
		.amdhsa_user_sgpr_dispatch_ptr 0
		.amdhsa_user_sgpr_queue_ptr 0
		.amdhsa_user_sgpr_kernarg_segment_ptr 1
		.amdhsa_user_sgpr_dispatch_id 0
		.amdhsa_user_sgpr_flat_scratch_init 0
		.amdhsa_user_sgpr_private_segment_size 0
		.amdhsa_wavefront_size32 1
		.amdhsa_uses_dynamic_stack 0
		.amdhsa_system_sgpr_private_segment_wavefront_offset 0
		.amdhsa_system_sgpr_workgroup_id_x 1
		.amdhsa_system_sgpr_workgroup_id_y 0
		.amdhsa_system_sgpr_workgroup_id_z 0
		.amdhsa_system_sgpr_workgroup_info 0
		.amdhsa_system_vgpr_workitem_id 0
		.amdhsa_next_free_vgpr 1
		.amdhsa_next_free_sgpr 1
		.amdhsa_reserve_vcc 0
		.amdhsa_reserve_flat_scratch 0
		.amdhsa_float_round_mode_32 0
		.amdhsa_float_round_mode_16_64 0
		.amdhsa_float_denorm_mode_32 3
		.amdhsa_float_denorm_mode_16_64 3
		.amdhsa_dx10_clamp 1
		.amdhsa_ieee_mode 1
		.amdhsa_fp16_overflow 0
		.amdhsa_workgroup_processor_mode 1
		.amdhsa_memory_ordered 1
		.amdhsa_forward_progress 1
		.amdhsa_shared_vgpr_count 0
		.amdhsa_exception_fp_ieee_invalid_op 0
		.amdhsa_exception_fp_denorm_src 0
		.amdhsa_exception_fp_ieee_div_zero 0
		.amdhsa_exception_fp_ieee_overflow 0
		.amdhsa_exception_fp_ieee_underflow 0
		.amdhsa_exception_fp_ieee_inexact 0
		.amdhsa_exception_int_div_zero 0
	.end_amdhsa_kernel
	.section	.text._ZN7rocprim17ROCPRIM_400000_NS6detail17trampoline_kernelINS0_14default_configENS1_38merge_sort_block_merge_config_selectorIiiEEZZNS1_27merge_sort_block_merge_implIS3_N6thrust23THRUST_200600_302600_NS6detail15normal_iteratorINS8_10device_ptrIiEEEESD_jNS1_19radix_merge_compareILb1ELb0EiNS0_19identity_decomposerEEEEE10hipError_tT0_T1_T2_jT3_P12ihipStream_tbPNSt15iterator_traitsISI_E10value_typeEPNSO_ISJ_E10value_typeEPSK_NS1_7vsmem_tEENKUlT_SI_SJ_SK_E_clISD_PiSD_S10_EESH_SX_SI_SJ_SK_EUlSX_E_NS1_11comp_targetILNS1_3genE5ELNS1_11target_archE942ELNS1_3gpuE9ELNS1_3repE0EEENS1_48merge_mergepath_partition_config_static_selectorELNS0_4arch9wavefront6targetE0EEEvSJ_,"axG",@progbits,_ZN7rocprim17ROCPRIM_400000_NS6detail17trampoline_kernelINS0_14default_configENS1_38merge_sort_block_merge_config_selectorIiiEEZZNS1_27merge_sort_block_merge_implIS3_N6thrust23THRUST_200600_302600_NS6detail15normal_iteratorINS8_10device_ptrIiEEEESD_jNS1_19radix_merge_compareILb1ELb0EiNS0_19identity_decomposerEEEEE10hipError_tT0_T1_T2_jT3_P12ihipStream_tbPNSt15iterator_traitsISI_E10value_typeEPNSO_ISJ_E10value_typeEPSK_NS1_7vsmem_tEENKUlT_SI_SJ_SK_E_clISD_PiSD_S10_EESH_SX_SI_SJ_SK_EUlSX_E_NS1_11comp_targetILNS1_3genE5ELNS1_11target_archE942ELNS1_3gpuE9ELNS1_3repE0EEENS1_48merge_mergepath_partition_config_static_selectorELNS0_4arch9wavefront6targetE0EEEvSJ_,comdat
.Lfunc_end911:
	.size	_ZN7rocprim17ROCPRIM_400000_NS6detail17trampoline_kernelINS0_14default_configENS1_38merge_sort_block_merge_config_selectorIiiEEZZNS1_27merge_sort_block_merge_implIS3_N6thrust23THRUST_200600_302600_NS6detail15normal_iteratorINS8_10device_ptrIiEEEESD_jNS1_19radix_merge_compareILb1ELb0EiNS0_19identity_decomposerEEEEE10hipError_tT0_T1_T2_jT3_P12ihipStream_tbPNSt15iterator_traitsISI_E10value_typeEPNSO_ISJ_E10value_typeEPSK_NS1_7vsmem_tEENKUlT_SI_SJ_SK_E_clISD_PiSD_S10_EESH_SX_SI_SJ_SK_EUlSX_E_NS1_11comp_targetILNS1_3genE5ELNS1_11target_archE942ELNS1_3gpuE9ELNS1_3repE0EEENS1_48merge_mergepath_partition_config_static_selectorELNS0_4arch9wavefront6targetE0EEEvSJ_, .Lfunc_end911-_ZN7rocprim17ROCPRIM_400000_NS6detail17trampoline_kernelINS0_14default_configENS1_38merge_sort_block_merge_config_selectorIiiEEZZNS1_27merge_sort_block_merge_implIS3_N6thrust23THRUST_200600_302600_NS6detail15normal_iteratorINS8_10device_ptrIiEEEESD_jNS1_19radix_merge_compareILb1ELb0EiNS0_19identity_decomposerEEEEE10hipError_tT0_T1_T2_jT3_P12ihipStream_tbPNSt15iterator_traitsISI_E10value_typeEPNSO_ISJ_E10value_typeEPSK_NS1_7vsmem_tEENKUlT_SI_SJ_SK_E_clISD_PiSD_S10_EESH_SX_SI_SJ_SK_EUlSX_E_NS1_11comp_targetILNS1_3genE5ELNS1_11target_archE942ELNS1_3gpuE9ELNS1_3repE0EEENS1_48merge_mergepath_partition_config_static_selectorELNS0_4arch9wavefront6targetE0EEEvSJ_
                                        ; -- End function
	.set _ZN7rocprim17ROCPRIM_400000_NS6detail17trampoline_kernelINS0_14default_configENS1_38merge_sort_block_merge_config_selectorIiiEEZZNS1_27merge_sort_block_merge_implIS3_N6thrust23THRUST_200600_302600_NS6detail15normal_iteratorINS8_10device_ptrIiEEEESD_jNS1_19radix_merge_compareILb1ELb0EiNS0_19identity_decomposerEEEEE10hipError_tT0_T1_T2_jT3_P12ihipStream_tbPNSt15iterator_traitsISI_E10value_typeEPNSO_ISJ_E10value_typeEPSK_NS1_7vsmem_tEENKUlT_SI_SJ_SK_E_clISD_PiSD_S10_EESH_SX_SI_SJ_SK_EUlSX_E_NS1_11comp_targetILNS1_3genE5ELNS1_11target_archE942ELNS1_3gpuE9ELNS1_3repE0EEENS1_48merge_mergepath_partition_config_static_selectorELNS0_4arch9wavefront6targetE0EEEvSJ_.num_vgpr, 0
	.set _ZN7rocprim17ROCPRIM_400000_NS6detail17trampoline_kernelINS0_14default_configENS1_38merge_sort_block_merge_config_selectorIiiEEZZNS1_27merge_sort_block_merge_implIS3_N6thrust23THRUST_200600_302600_NS6detail15normal_iteratorINS8_10device_ptrIiEEEESD_jNS1_19radix_merge_compareILb1ELb0EiNS0_19identity_decomposerEEEEE10hipError_tT0_T1_T2_jT3_P12ihipStream_tbPNSt15iterator_traitsISI_E10value_typeEPNSO_ISJ_E10value_typeEPSK_NS1_7vsmem_tEENKUlT_SI_SJ_SK_E_clISD_PiSD_S10_EESH_SX_SI_SJ_SK_EUlSX_E_NS1_11comp_targetILNS1_3genE5ELNS1_11target_archE942ELNS1_3gpuE9ELNS1_3repE0EEENS1_48merge_mergepath_partition_config_static_selectorELNS0_4arch9wavefront6targetE0EEEvSJ_.num_agpr, 0
	.set _ZN7rocprim17ROCPRIM_400000_NS6detail17trampoline_kernelINS0_14default_configENS1_38merge_sort_block_merge_config_selectorIiiEEZZNS1_27merge_sort_block_merge_implIS3_N6thrust23THRUST_200600_302600_NS6detail15normal_iteratorINS8_10device_ptrIiEEEESD_jNS1_19radix_merge_compareILb1ELb0EiNS0_19identity_decomposerEEEEE10hipError_tT0_T1_T2_jT3_P12ihipStream_tbPNSt15iterator_traitsISI_E10value_typeEPNSO_ISJ_E10value_typeEPSK_NS1_7vsmem_tEENKUlT_SI_SJ_SK_E_clISD_PiSD_S10_EESH_SX_SI_SJ_SK_EUlSX_E_NS1_11comp_targetILNS1_3genE5ELNS1_11target_archE942ELNS1_3gpuE9ELNS1_3repE0EEENS1_48merge_mergepath_partition_config_static_selectorELNS0_4arch9wavefront6targetE0EEEvSJ_.numbered_sgpr, 0
	.set _ZN7rocprim17ROCPRIM_400000_NS6detail17trampoline_kernelINS0_14default_configENS1_38merge_sort_block_merge_config_selectorIiiEEZZNS1_27merge_sort_block_merge_implIS3_N6thrust23THRUST_200600_302600_NS6detail15normal_iteratorINS8_10device_ptrIiEEEESD_jNS1_19radix_merge_compareILb1ELb0EiNS0_19identity_decomposerEEEEE10hipError_tT0_T1_T2_jT3_P12ihipStream_tbPNSt15iterator_traitsISI_E10value_typeEPNSO_ISJ_E10value_typeEPSK_NS1_7vsmem_tEENKUlT_SI_SJ_SK_E_clISD_PiSD_S10_EESH_SX_SI_SJ_SK_EUlSX_E_NS1_11comp_targetILNS1_3genE5ELNS1_11target_archE942ELNS1_3gpuE9ELNS1_3repE0EEENS1_48merge_mergepath_partition_config_static_selectorELNS0_4arch9wavefront6targetE0EEEvSJ_.num_named_barrier, 0
	.set _ZN7rocprim17ROCPRIM_400000_NS6detail17trampoline_kernelINS0_14default_configENS1_38merge_sort_block_merge_config_selectorIiiEEZZNS1_27merge_sort_block_merge_implIS3_N6thrust23THRUST_200600_302600_NS6detail15normal_iteratorINS8_10device_ptrIiEEEESD_jNS1_19radix_merge_compareILb1ELb0EiNS0_19identity_decomposerEEEEE10hipError_tT0_T1_T2_jT3_P12ihipStream_tbPNSt15iterator_traitsISI_E10value_typeEPNSO_ISJ_E10value_typeEPSK_NS1_7vsmem_tEENKUlT_SI_SJ_SK_E_clISD_PiSD_S10_EESH_SX_SI_SJ_SK_EUlSX_E_NS1_11comp_targetILNS1_3genE5ELNS1_11target_archE942ELNS1_3gpuE9ELNS1_3repE0EEENS1_48merge_mergepath_partition_config_static_selectorELNS0_4arch9wavefront6targetE0EEEvSJ_.private_seg_size, 0
	.set _ZN7rocprim17ROCPRIM_400000_NS6detail17trampoline_kernelINS0_14default_configENS1_38merge_sort_block_merge_config_selectorIiiEEZZNS1_27merge_sort_block_merge_implIS3_N6thrust23THRUST_200600_302600_NS6detail15normal_iteratorINS8_10device_ptrIiEEEESD_jNS1_19radix_merge_compareILb1ELb0EiNS0_19identity_decomposerEEEEE10hipError_tT0_T1_T2_jT3_P12ihipStream_tbPNSt15iterator_traitsISI_E10value_typeEPNSO_ISJ_E10value_typeEPSK_NS1_7vsmem_tEENKUlT_SI_SJ_SK_E_clISD_PiSD_S10_EESH_SX_SI_SJ_SK_EUlSX_E_NS1_11comp_targetILNS1_3genE5ELNS1_11target_archE942ELNS1_3gpuE9ELNS1_3repE0EEENS1_48merge_mergepath_partition_config_static_selectorELNS0_4arch9wavefront6targetE0EEEvSJ_.uses_vcc, 0
	.set _ZN7rocprim17ROCPRIM_400000_NS6detail17trampoline_kernelINS0_14default_configENS1_38merge_sort_block_merge_config_selectorIiiEEZZNS1_27merge_sort_block_merge_implIS3_N6thrust23THRUST_200600_302600_NS6detail15normal_iteratorINS8_10device_ptrIiEEEESD_jNS1_19radix_merge_compareILb1ELb0EiNS0_19identity_decomposerEEEEE10hipError_tT0_T1_T2_jT3_P12ihipStream_tbPNSt15iterator_traitsISI_E10value_typeEPNSO_ISJ_E10value_typeEPSK_NS1_7vsmem_tEENKUlT_SI_SJ_SK_E_clISD_PiSD_S10_EESH_SX_SI_SJ_SK_EUlSX_E_NS1_11comp_targetILNS1_3genE5ELNS1_11target_archE942ELNS1_3gpuE9ELNS1_3repE0EEENS1_48merge_mergepath_partition_config_static_selectorELNS0_4arch9wavefront6targetE0EEEvSJ_.uses_flat_scratch, 0
	.set _ZN7rocprim17ROCPRIM_400000_NS6detail17trampoline_kernelINS0_14default_configENS1_38merge_sort_block_merge_config_selectorIiiEEZZNS1_27merge_sort_block_merge_implIS3_N6thrust23THRUST_200600_302600_NS6detail15normal_iteratorINS8_10device_ptrIiEEEESD_jNS1_19radix_merge_compareILb1ELb0EiNS0_19identity_decomposerEEEEE10hipError_tT0_T1_T2_jT3_P12ihipStream_tbPNSt15iterator_traitsISI_E10value_typeEPNSO_ISJ_E10value_typeEPSK_NS1_7vsmem_tEENKUlT_SI_SJ_SK_E_clISD_PiSD_S10_EESH_SX_SI_SJ_SK_EUlSX_E_NS1_11comp_targetILNS1_3genE5ELNS1_11target_archE942ELNS1_3gpuE9ELNS1_3repE0EEENS1_48merge_mergepath_partition_config_static_selectorELNS0_4arch9wavefront6targetE0EEEvSJ_.has_dyn_sized_stack, 0
	.set _ZN7rocprim17ROCPRIM_400000_NS6detail17trampoline_kernelINS0_14default_configENS1_38merge_sort_block_merge_config_selectorIiiEEZZNS1_27merge_sort_block_merge_implIS3_N6thrust23THRUST_200600_302600_NS6detail15normal_iteratorINS8_10device_ptrIiEEEESD_jNS1_19radix_merge_compareILb1ELb0EiNS0_19identity_decomposerEEEEE10hipError_tT0_T1_T2_jT3_P12ihipStream_tbPNSt15iterator_traitsISI_E10value_typeEPNSO_ISJ_E10value_typeEPSK_NS1_7vsmem_tEENKUlT_SI_SJ_SK_E_clISD_PiSD_S10_EESH_SX_SI_SJ_SK_EUlSX_E_NS1_11comp_targetILNS1_3genE5ELNS1_11target_archE942ELNS1_3gpuE9ELNS1_3repE0EEENS1_48merge_mergepath_partition_config_static_selectorELNS0_4arch9wavefront6targetE0EEEvSJ_.has_recursion, 0
	.set _ZN7rocprim17ROCPRIM_400000_NS6detail17trampoline_kernelINS0_14default_configENS1_38merge_sort_block_merge_config_selectorIiiEEZZNS1_27merge_sort_block_merge_implIS3_N6thrust23THRUST_200600_302600_NS6detail15normal_iteratorINS8_10device_ptrIiEEEESD_jNS1_19radix_merge_compareILb1ELb0EiNS0_19identity_decomposerEEEEE10hipError_tT0_T1_T2_jT3_P12ihipStream_tbPNSt15iterator_traitsISI_E10value_typeEPNSO_ISJ_E10value_typeEPSK_NS1_7vsmem_tEENKUlT_SI_SJ_SK_E_clISD_PiSD_S10_EESH_SX_SI_SJ_SK_EUlSX_E_NS1_11comp_targetILNS1_3genE5ELNS1_11target_archE942ELNS1_3gpuE9ELNS1_3repE0EEENS1_48merge_mergepath_partition_config_static_selectorELNS0_4arch9wavefront6targetE0EEEvSJ_.has_indirect_call, 0
	.section	.AMDGPU.csdata,"",@progbits
; Kernel info:
; codeLenInByte = 0
; TotalNumSgprs: 0
; NumVgprs: 0
; ScratchSize: 0
; MemoryBound: 0
; FloatMode: 240
; IeeeMode: 1
; LDSByteSize: 0 bytes/workgroup (compile time only)
; SGPRBlocks: 0
; VGPRBlocks: 0
; NumSGPRsForWavesPerEU: 1
; NumVGPRsForWavesPerEU: 1
; Occupancy: 16
; WaveLimiterHint : 0
; COMPUTE_PGM_RSRC2:SCRATCH_EN: 0
; COMPUTE_PGM_RSRC2:USER_SGPR: 6
; COMPUTE_PGM_RSRC2:TRAP_HANDLER: 0
; COMPUTE_PGM_RSRC2:TGID_X_EN: 1
; COMPUTE_PGM_RSRC2:TGID_Y_EN: 0
; COMPUTE_PGM_RSRC2:TGID_Z_EN: 0
; COMPUTE_PGM_RSRC2:TIDIG_COMP_CNT: 0
	.section	.text._ZN7rocprim17ROCPRIM_400000_NS6detail17trampoline_kernelINS0_14default_configENS1_38merge_sort_block_merge_config_selectorIiiEEZZNS1_27merge_sort_block_merge_implIS3_N6thrust23THRUST_200600_302600_NS6detail15normal_iteratorINS8_10device_ptrIiEEEESD_jNS1_19radix_merge_compareILb1ELb0EiNS0_19identity_decomposerEEEEE10hipError_tT0_T1_T2_jT3_P12ihipStream_tbPNSt15iterator_traitsISI_E10value_typeEPNSO_ISJ_E10value_typeEPSK_NS1_7vsmem_tEENKUlT_SI_SJ_SK_E_clISD_PiSD_S10_EESH_SX_SI_SJ_SK_EUlSX_E_NS1_11comp_targetILNS1_3genE4ELNS1_11target_archE910ELNS1_3gpuE8ELNS1_3repE0EEENS1_48merge_mergepath_partition_config_static_selectorELNS0_4arch9wavefront6targetE0EEEvSJ_,"axG",@progbits,_ZN7rocprim17ROCPRIM_400000_NS6detail17trampoline_kernelINS0_14default_configENS1_38merge_sort_block_merge_config_selectorIiiEEZZNS1_27merge_sort_block_merge_implIS3_N6thrust23THRUST_200600_302600_NS6detail15normal_iteratorINS8_10device_ptrIiEEEESD_jNS1_19radix_merge_compareILb1ELb0EiNS0_19identity_decomposerEEEEE10hipError_tT0_T1_T2_jT3_P12ihipStream_tbPNSt15iterator_traitsISI_E10value_typeEPNSO_ISJ_E10value_typeEPSK_NS1_7vsmem_tEENKUlT_SI_SJ_SK_E_clISD_PiSD_S10_EESH_SX_SI_SJ_SK_EUlSX_E_NS1_11comp_targetILNS1_3genE4ELNS1_11target_archE910ELNS1_3gpuE8ELNS1_3repE0EEENS1_48merge_mergepath_partition_config_static_selectorELNS0_4arch9wavefront6targetE0EEEvSJ_,comdat
	.protected	_ZN7rocprim17ROCPRIM_400000_NS6detail17trampoline_kernelINS0_14default_configENS1_38merge_sort_block_merge_config_selectorIiiEEZZNS1_27merge_sort_block_merge_implIS3_N6thrust23THRUST_200600_302600_NS6detail15normal_iteratorINS8_10device_ptrIiEEEESD_jNS1_19radix_merge_compareILb1ELb0EiNS0_19identity_decomposerEEEEE10hipError_tT0_T1_T2_jT3_P12ihipStream_tbPNSt15iterator_traitsISI_E10value_typeEPNSO_ISJ_E10value_typeEPSK_NS1_7vsmem_tEENKUlT_SI_SJ_SK_E_clISD_PiSD_S10_EESH_SX_SI_SJ_SK_EUlSX_E_NS1_11comp_targetILNS1_3genE4ELNS1_11target_archE910ELNS1_3gpuE8ELNS1_3repE0EEENS1_48merge_mergepath_partition_config_static_selectorELNS0_4arch9wavefront6targetE0EEEvSJ_ ; -- Begin function _ZN7rocprim17ROCPRIM_400000_NS6detail17trampoline_kernelINS0_14default_configENS1_38merge_sort_block_merge_config_selectorIiiEEZZNS1_27merge_sort_block_merge_implIS3_N6thrust23THRUST_200600_302600_NS6detail15normal_iteratorINS8_10device_ptrIiEEEESD_jNS1_19radix_merge_compareILb1ELb0EiNS0_19identity_decomposerEEEEE10hipError_tT0_T1_T2_jT3_P12ihipStream_tbPNSt15iterator_traitsISI_E10value_typeEPNSO_ISJ_E10value_typeEPSK_NS1_7vsmem_tEENKUlT_SI_SJ_SK_E_clISD_PiSD_S10_EESH_SX_SI_SJ_SK_EUlSX_E_NS1_11comp_targetILNS1_3genE4ELNS1_11target_archE910ELNS1_3gpuE8ELNS1_3repE0EEENS1_48merge_mergepath_partition_config_static_selectorELNS0_4arch9wavefront6targetE0EEEvSJ_
	.globl	_ZN7rocprim17ROCPRIM_400000_NS6detail17trampoline_kernelINS0_14default_configENS1_38merge_sort_block_merge_config_selectorIiiEEZZNS1_27merge_sort_block_merge_implIS3_N6thrust23THRUST_200600_302600_NS6detail15normal_iteratorINS8_10device_ptrIiEEEESD_jNS1_19radix_merge_compareILb1ELb0EiNS0_19identity_decomposerEEEEE10hipError_tT0_T1_T2_jT3_P12ihipStream_tbPNSt15iterator_traitsISI_E10value_typeEPNSO_ISJ_E10value_typeEPSK_NS1_7vsmem_tEENKUlT_SI_SJ_SK_E_clISD_PiSD_S10_EESH_SX_SI_SJ_SK_EUlSX_E_NS1_11comp_targetILNS1_3genE4ELNS1_11target_archE910ELNS1_3gpuE8ELNS1_3repE0EEENS1_48merge_mergepath_partition_config_static_selectorELNS0_4arch9wavefront6targetE0EEEvSJ_
	.p2align	8
	.type	_ZN7rocprim17ROCPRIM_400000_NS6detail17trampoline_kernelINS0_14default_configENS1_38merge_sort_block_merge_config_selectorIiiEEZZNS1_27merge_sort_block_merge_implIS3_N6thrust23THRUST_200600_302600_NS6detail15normal_iteratorINS8_10device_ptrIiEEEESD_jNS1_19radix_merge_compareILb1ELb0EiNS0_19identity_decomposerEEEEE10hipError_tT0_T1_T2_jT3_P12ihipStream_tbPNSt15iterator_traitsISI_E10value_typeEPNSO_ISJ_E10value_typeEPSK_NS1_7vsmem_tEENKUlT_SI_SJ_SK_E_clISD_PiSD_S10_EESH_SX_SI_SJ_SK_EUlSX_E_NS1_11comp_targetILNS1_3genE4ELNS1_11target_archE910ELNS1_3gpuE8ELNS1_3repE0EEENS1_48merge_mergepath_partition_config_static_selectorELNS0_4arch9wavefront6targetE0EEEvSJ_,@function
_ZN7rocprim17ROCPRIM_400000_NS6detail17trampoline_kernelINS0_14default_configENS1_38merge_sort_block_merge_config_selectorIiiEEZZNS1_27merge_sort_block_merge_implIS3_N6thrust23THRUST_200600_302600_NS6detail15normal_iteratorINS8_10device_ptrIiEEEESD_jNS1_19radix_merge_compareILb1ELb0EiNS0_19identity_decomposerEEEEE10hipError_tT0_T1_T2_jT3_P12ihipStream_tbPNSt15iterator_traitsISI_E10value_typeEPNSO_ISJ_E10value_typeEPSK_NS1_7vsmem_tEENKUlT_SI_SJ_SK_E_clISD_PiSD_S10_EESH_SX_SI_SJ_SK_EUlSX_E_NS1_11comp_targetILNS1_3genE4ELNS1_11target_archE910ELNS1_3gpuE8ELNS1_3repE0EEENS1_48merge_mergepath_partition_config_static_selectorELNS0_4arch9wavefront6targetE0EEEvSJ_: ; @_ZN7rocprim17ROCPRIM_400000_NS6detail17trampoline_kernelINS0_14default_configENS1_38merge_sort_block_merge_config_selectorIiiEEZZNS1_27merge_sort_block_merge_implIS3_N6thrust23THRUST_200600_302600_NS6detail15normal_iteratorINS8_10device_ptrIiEEEESD_jNS1_19radix_merge_compareILb1ELb0EiNS0_19identity_decomposerEEEEE10hipError_tT0_T1_T2_jT3_P12ihipStream_tbPNSt15iterator_traitsISI_E10value_typeEPNSO_ISJ_E10value_typeEPSK_NS1_7vsmem_tEENKUlT_SI_SJ_SK_E_clISD_PiSD_S10_EESH_SX_SI_SJ_SK_EUlSX_E_NS1_11comp_targetILNS1_3genE4ELNS1_11target_archE910ELNS1_3gpuE8ELNS1_3repE0EEENS1_48merge_mergepath_partition_config_static_selectorELNS0_4arch9wavefront6targetE0EEEvSJ_
; %bb.0:
	.section	.rodata,"a",@progbits
	.p2align	6, 0x0
	.amdhsa_kernel _ZN7rocprim17ROCPRIM_400000_NS6detail17trampoline_kernelINS0_14default_configENS1_38merge_sort_block_merge_config_selectorIiiEEZZNS1_27merge_sort_block_merge_implIS3_N6thrust23THRUST_200600_302600_NS6detail15normal_iteratorINS8_10device_ptrIiEEEESD_jNS1_19radix_merge_compareILb1ELb0EiNS0_19identity_decomposerEEEEE10hipError_tT0_T1_T2_jT3_P12ihipStream_tbPNSt15iterator_traitsISI_E10value_typeEPNSO_ISJ_E10value_typeEPSK_NS1_7vsmem_tEENKUlT_SI_SJ_SK_E_clISD_PiSD_S10_EESH_SX_SI_SJ_SK_EUlSX_E_NS1_11comp_targetILNS1_3genE4ELNS1_11target_archE910ELNS1_3gpuE8ELNS1_3repE0EEENS1_48merge_mergepath_partition_config_static_selectorELNS0_4arch9wavefront6targetE0EEEvSJ_
		.amdhsa_group_segment_fixed_size 0
		.amdhsa_private_segment_fixed_size 0
		.amdhsa_kernarg_size 40
		.amdhsa_user_sgpr_count 6
		.amdhsa_user_sgpr_private_segment_buffer 1
		.amdhsa_user_sgpr_dispatch_ptr 0
		.amdhsa_user_sgpr_queue_ptr 0
		.amdhsa_user_sgpr_kernarg_segment_ptr 1
		.amdhsa_user_sgpr_dispatch_id 0
		.amdhsa_user_sgpr_flat_scratch_init 0
		.amdhsa_user_sgpr_private_segment_size 0
		.amdhsa_wavefront_size32 1
		.amdhsa_uses_dynamic_stack 0
		.amdhsa_system_sgpr_private_segment_wavefront_offset 0
		.amdhsa_system_sgpr_workgroup_id_x 1
		.amdhsa_system_sgpr_workgroup_id_y 0
		.amdhsa_system_sgpr_workgroup_id_z 0
		.amdhsa_system_sgpr_workgroup_info 0
		.amdhsa_system_vgpr_workitem_id 0
		.amdhsa_next_free_vgpr 1
		.amdhsa_next_free_sgpr 1
		.amdhsa_reserve_vcc 0
		.amdhsa_reserve_flat_scratch 0
		.amdhsa_float_round_mode_32 0
		.amdhsa_float_round_mode_16_64 0
		.amdhsa_float_denorm_mode_32 3
		.amdhsa_float_denorm_mode_16_64 3
		.amdhsa_dx10_clamp 1
		.amdhsa_ieee_mode 1
		.amdhsa_fp16_overflow 0
		.amdhsa_workgroup_processor_mode 1
		.amdhsa_memory_ordered 1
		.amdhsa_forward_progress 1
		.amdhsa_shared_vgpr_count 0
		.amdhsa_exception_fp_ieee_invalid_op 0
		.amdhsa_exception_fp_denorm_src 0
		.amdhsa_exception_fp_ieee_div_zero 0
		.amdhsa_exception_fp_ieee_overflow 0
		.amdhsa_exception_fp_ieee_underflow 0
		.amdhsa_exception_fp_ieee_inexact 0
		.amdhsa_exception_int_div_zero 0
	.end_amdhsa_kernel
	.section	.text._ZN7rocprim17ROCPRIM_400000_NS6detail17trampoline_kernelINS0_14default_configENS1_38merge_sort_block_merge_config_selectorIiiEEZZNS1_27merge_sort_block_merge_implIS3_N6thrust23THRUST_200600_302600_NS6detail15normal_iteratorINS8_10device_ptrIiEEEESD_jNS1_19radix_merge_compareILb1ELb0EiNS0_19identity_decomposerEEEEE10hipError_tT0_T1_T2_jT3_P12ihipStream_tbPNSt15iterator_traitsISI_E10value_typeEPNSO_ISJ_E10value_typeEPSK_NS1_7vsmem_tEENKUlT_SI_SJ_SK_E_clISD_PiSD_S10_EESH_SX_SI_SJ_SK_EUlSX_E_NS1_11comp_targetILNS1_3genE4ELNS1_11target_archE910ELNS1_3gpuE8ELNS1_3repE0EEENS1_48merge_mergepath_partition_config_static_selectorELNS0_4arch9wavefront6targetE0EEEvSJ_,"axG",@progbits,_ZN7rocprim17ROCPRIM_400000_NS6detail17trampoline_kernelINS0_14default_configENS1_38merge_sort_block_merge_config_selectorIiiEEZZNS1_27merge_sort_block_merge_implIS3_N6thrust23THRUST_200600_302600_NS6detail15normal_iteratorINS8_10device_ptrIiEEEESD_jNS1_19radix_merge_compareILb1ELb0EiNS0_19identity_decomposerEEEEE10hipError_tT0_T1_T2_jT3_P12ihipStream_tbPNSt15iterator_traitsISI_E10value_typeEPNSO_ISJ_E10value_typeEPSK_NS1_7vsmem_tEENKUlT_SI_SJ_SK_E_clISD_PiSD_S10_EESH_SX_SI_SJ_SK_EUlSX_E_NS1_11comp_targetILNS1_3genE4ELNS1_11target_archE910ELNS1_3gpuE8ELNS1_3repE0EEENS1_48merge_mergepath_partition_config_static_selectorELNS0_4arch9wavefront6targetE0EEEvSJ_,comdat
.Lfunc_end912:
	.size	_ZN7rocprim17ROCPRIM_400000_NS6detail17trampoline_kernelINS0_14default_configENS1_38merge_sort_block_merge_config_selectorIiiEEZZNS1_27merge_sort_block_merge_implIS3_N6thrust23THRUST_200600_302600_NS6detail15normal_iteratorINS8_10device_ptrIiEEEESD_jNS1_19radix_merge_compareILb1ELb0EiNS0_19identity_decomposerEEEEE10hipError_tT0_T1_T2_jT3_P12ihipStream_tbPNSt15iterator_traitsISI_E10value_typeEPNSO_ISJ_E10value_typeEPSK_NS1_7vsmem_tEENKUlT_SI_SJ_SK_E_clISD_PiSD_S10_EESH_SX_SI_SJ_SK_EUlSX_E_NS1_11comp_targetILNS1_3genE4ELNS1_11target_archE910ELNS1_3gpuE8ELNS1_3repE0EEENS1_48merge_mergepath_partition_config_static_selectorELNS0_4arch9wavefront6targetE0EEEvSJ_, .Lfunc_end912-_ZN7rocprim17ROCPRIM_400000_NS6detail17trampoline_kernelINS0_14default_configENS1_38merge_sort_block_merge_config_selectorIiiEEZZNS1_27merge_sort_block_merge_implIS3_N6thrust23THRUST_200600_302600_NS6detail15normal_iteratorINS8_10device_ptrIiEEEESD_jNS1_19radix_merge_compareILb1ELb0EiNS0_19identity_decomposerEEEEE10hipError_tT0_T1_T2_jT3_P12ihipStream_tbPNSt15iterator_traitsISI_E10value_typeEPNSO_ISJ_E10value_typeEPSK_NS1_7vsmem_tEENKUlT_SI_SJ_SK_E_clISD_PiSD_S10_EESH_SX_SI_SJ_SK_EUlSX_E_NS1_11comp_targetILNS1_3genE4ELNS1_11target_archE910ELNS1_3gpuE8ELNS1_3repE0EEENS1_48merge_mergepath_partition_config_static_selectorELNS0_4arch9wavefront6targetE0EEEvSJ_
                                        ; -- End function
	.set _ZN7rocprim17ROCPRIM_400000_NS6detail17trampoline_kernelINS0_14default_configENS1_38merge_sort_block_merge_config_selectorIiiEEZZNS1_27merge_sort_block_merge_implIS3_N6thrust23THRUST_200600_302600_NS6detail15normal_iteratorINS8_10device_ptrIiEEEESD_jNS1_19radix_merge_compareILb1ELb0EiNS0_19identity_decomposerEEEEE10hipError_tT0_T1_T2_jT3_P12ihipStream_tbPNSt15iterator_traitsISI_E10value_typeEPNSO_ISJ_E10value_typeEPSK_NS1_7vsmem_tEENKUlT_SI_SJ_SK_E_clISD_PiSD_S10_EESH_SX_SI_SJ_SK_EUlSX_E_NS1_11comp_targetILNS1_3genE4ELNS1_11target_archE910ELNS1_3gpuE8ELNS1_3repE0EEENS1_48merge_mergepath_partition_config_static_selectorELNS0_4arch9wavefront6targetE0EEEvSJ_.num_vgpr, 0
	.set _ZN7rocprim17ROCPRIM_400000_NS6detail17trampoline_kernelINS0_14default_configENS1_38merge_sort_block_merge_config_selectorIiiEEZZNS1_27merge_sort_block_merge_implIS3_N6thrust23THRUST_200600_302600_NS6detail15normal_iteratorINS8_10device_ptrIiEEEESD_jNS1_19radix_merge_compareILb1ELb0EiNS0_19identity_decomposerEEEEE10hipError_tT0_T1_T2_jT3_P12ihipStream_tbPNSt15iterator_traitsISI_E10value_typeEPNSO_ISJ_E10value_typeEPSK_NS1_7vsmem_tEENKUlT_SI_SJ_SK_E_clISD_PiSD_S10_EESH_SX_SI_SJ_SK_EUlSX_E_NS1_11comp_targetILNS1_3genE4ELNS1_11target_archE910ELNS1_3gpuE8ELNS1_3repE0EEENS1_48merge_mergepath_partition_config_static_selectorELNS0_4arch9wavefront6targetE0EEEvSJ_.num_agpr, 0
	.set _ZN7rocprim17ROCPRIM_400000_NS6detail17trampoline_kernelINS0_14default_configENS1_38merge_sort_block_merge_config_selectorIiiEEZZNS1_27merge_sort_block_merge_implIS3_N6thrust23THRUST_200600_302600_NS6detail15normal_iteratorINS8_10device_ptrIiEEEESD_jNS1_19radix_merge_compareILb1ELb0EiNS0_19identity_decomposerEEEEE10hipError_tT0_T1_T2_jT3_P12ihipStream_tbPNSt15iterator_traitsISI_E10value_typeEPNSO_ISJ_E10value_typeEPSK_NS1_7vsmem_tEENKUlT_SI_SJ_SK_E_clISD_PiSD_S10_EESH_SX_SI_SJ_SK_EUlSX_E_NS1_11comp_targetILNS1_3genE4ELNS1_11target_archE910ELNS1_3gpuE8ELNS1_3repE0EEENS1_48merge_mergepath_partition_config_static_selectorELNS0_4arch9wavefront6targetE0EEEvSJ_.numbered_sgpr, 0
	.set _ZN7rocprim17ROCPRIM_400000_NS6detail17trampoline_kernelINS0_14default_configENS1_38merge_sort_block_merge_config_selectorIiiEEZZNS1_27merge_sort_block_merge_implIS3_N6thrust23THRUST_200600_302600_NS6detail15normal_iteratorINS8_10device_ptrIiEEEESD_jNS1_19radix_merge_compareILb1ELb0EiNS0_19identity_decomposerEEEEE10hipError_tT0_T1_T2_jT3_P12ihipStream_tbPNSt15iterator_traitsISI_E10value_typeEPNSO_ISJ_E10value_typeEPSK_NS1_7vsmem_tEENKUlT_SI_SJ_SK_E_clISD_PiSD_S10_EESH_SX_SI_SJ_SK_EUlSX_E_NS1_11comp_targetILNS1_3genE4ELNS1_11target_archE910ELNS1_3gpuE8ELNS1_3repE0EEENS1_48merge_mergepath_partition_config_static_selectorELNS0_4arch9wavefront6targetE0EEEvSJ_.num_named_barrier, 0
	.set _ZN7rocprim17ROCPRIM_400000_NS6detail17trampoline_kernelINS0_14default_configENS1_38merge_sort_block_merge_config_selectorIiiEEZZNS1_27merge_sort_block_merge_implIS3_N6thrust23THRUST_200600_302600_NS6detail15normal_iteratorINS8_10device_ptrIiEEEESD_jNS1_19radix_merge_compareILb1ELb0EiNS0_19identity_decomposerEEEEE10hipError_tT0_T1_T2_jT3_P12ihipStream_tbPNSt15iterator_traitsISI_E10value_typeEPNSO_ISJ_E10value_typeEPSK_NS1_7vsmem_tEENKUlT_SI_SJ_SK_E_clISD_PiSD_S10_EESH_SX_SI_SJ_SK_EUlSX_E_NS1_11comp_targetILNS1_3genE4ELNS1_11target_archE910ELNS1_3gpuE8ELNS1_3repE0EEENS1_48merge_mergepath_partition_config_static_selectorELNS0_4arch9wavefront6targetE0EEEvSJ_.private_seg_size, 0
	.set _ZN7rocprim17ROCPRIM_400000_NS6detail17trampoline_kernelINS0_14default_configENS1_38merge_sort_block_merge_config_selectorIiiEEZZNS1_27merge_sort_block_merge_implIS3_N6thrust23THRUST_200600_302600_NS6detail15normal_iteratorINS8_10device_ptrIiEEEESD_jNS1_19radix_merge_compareILb1ELb0EiNS0_19identity_decomposerEEEEE10hipError_tT0_T1_T2_jT3_P12ihipStream_tbPNSt15iterator_traitsISI_E10value_typeEPNSO_ISJ_E10value_typeEPSK_NS1_7vsmem_tEENKUlT_SI_SJ_SK_E_clISD_PiSD_S10_EESH_SX_SI_SJ_SK_EUlSX_E_NS1_11comp_targetILNS1_3genE4ELNS1_11target_archE910ELNS1_3gpuE8ELNS1_3repE0EEENS1_48merge_mergepath_partition_config_static_selectorELNS0_4arch9wavefront6targetE0EEEvSJ_.uses_vcc, 0
	.set _ZN7rocprim17ROCPRIM_400000_NS6detail17trampoline_kernelINS0_14default_configENS1_38merge_sort_block_merge_config_selectorIiiEEZZNS1_27merge_sort_block_merge_implIS3_N6thrust23THRUST_200600_302600_NS6detail15normal_iteratorINS8_10device_ptrIiEEEESD_jNS1_19radix_merge_compareILb1ELb0EiNS0_19identity_decomposerEEEEE10hipError_tT0_T1_T2_jT3_P12ihipStream_tbPNSt15iterator_traitsISI_E10value_typeEPNSO_ISJ_E10value_typeEPSK_NS1_7vsmem_tEENKUlT_SI_SJ_SK_E_clISD_PiSD_S10_EESH_SX_SI_SJ_SK_EUlSX_E_NS1_11comp_targetILNS1_3genE4ELNS1_11target_archE910ELNS1_3gpuE8ELNS1_3repE0EEENS1_48merge_mergepath_partition_config_static_selectorELNS0_4arch9wavefront6targetE0EEEvSJ_.uses_flat_scratch, 0
	.set _ZN7rocprim17ROCPRIM_400000_NS6detail17trampoline_kernelINS0_14default_configENS1_38merge_sort_block_merge_config_selectorIiiEEZZNS1_27merge_sort_block_merge_implIS3_N6thrust23THRUST_200600_302600_NS6detail15normal_iteratorINS8_10device_ptrIiEEEESD_jNS1_19radix_merge_compareILb1ELb0EiNS0_19identity_decomposerEEEEE10hipError_tT0_T1_T2_jT3_P12ihipStream_tbPNSt15iterator_traitsISI_E10value_typeEPNSO_ISJ_E10value_typeEPSK_NS1_7vsmem_tEENKUlT_SI_SJ_SK_E_clISD_PiSD_S10_EESH_SX_SI_SJ_SK_EUlSX_E_NS1_11comp_targetILNS1_3genE4ELNS1_11target_archE910ELNS1_3gpuE8ELNS1_3repE0EEENS1_48merge_mergepath_partition_config_static_selectorELNS0_4arch9wavefront6targetE0EEEvSJ_.has_dyn_sized_stack, 0
	.set _ZN7rocprim17ROCPRIM_400000_NS6detail17trampoline_kernelINS0_14default_configENS1_38merge_sort_block_merge_config_selectorIiiEEZZNS1_27merge_sort_block_merge_implIS3_N6thrust23THRUST_200600_302600_NS6detail15normal_iteratorINS8_10device_ptrIiEEEESD_jNS1_19radix_merge_compareILb1ELb0EiNS0_19identity_decomposerEEEEE10hipError_tT0_T1_T2_jT3_P12ihipStream_tbPNSt15iterator_traitsISI_E10value_typeEPNSO_ISJ_E10value_typeEPSK_NS1_7vsmem_tEENKUlT_SI_SJ_SK_E_clISD_PiSD_S10_EESH_SX_SI_SJ_SK_EUlSX_E_NS1_11comp_targetILNS1_3genE4ELNS1_11target_archE910ELNS1_3gpuE8ELNS1_3repE0EEENS1_48merge_mergepath_partition_config_static_selectorELNS0_4arch9wavefront6targetE0EEEvSJ_.has_recursion, 0
	.set _ZN7rocprim17ROCPRIM_400000_NS6detail17trampoline_kernelINS0_14default_configENS1_38merge_sort_block_merge_config_selectorIiiEEZZNS1_27merge_sort_block_merge_implIS3_N6thrust23THRUST_200600_302600_NS6detail15normal_iteratorINS8_10device_ptrIiEEEESD_jNS1_19radix_merge_compareILb1ELb0EiNS0_19identity_decomposerEEEEE10hipError_tT0_T1_T2_jT3_P12ihipStream_tbPNSt15iterator_traitsISI_E10value_typeEPNSO_ISJ_E10value_typeEPSK_NS1_7vsmem_tEENKUlT_SI_SJ_SK_E_clISD_PiSD_S10_EESH_SX_SI_SJ_SK_EUlSX_E_NS1_11comp_targetILNS1_3genE4ELNS1_11target_archE910ELNS1_3gpuE8ELNS1_3repE0EEENS1_48merge_mergepath_partition_config_static_selectorELNS0_4arch9wavefront6targetE0EEEvSJ_.has_indirect_call, 0
	.section	.AMDGPU.csdata,"",@progbits
; Kernel info:
; codeLenInByte = 0
; TotalNumSgprs: 0
; NumVgprs: 0
; ScratchSize: 0
; MemoryBound: 0
; FloatMode: 240
; IeeeMode: 1
; LDSByteSize: 0 bytes/workgroup (compile time only)
; SGPRBlocks: 0
; VGPRBlocks: 0
; NumSGPRsForWavesPerEU: 1
; NumVGPRsForWavesPerEU: 1
; Occupancy: 16
; WaveLimiterHint : 0
; COMPUTE_PGM_RSRC2:SCRATCH_EN: 0
; COMPUTE_PGM_RSRC2:USER_SGPR: 6
; COMPUTE_PGM_RSRC2:TRAP_HANDLER: 0
; COMPUTE_PGM_RSRC2:TGID_X_EN: 1
; COMPUTE_PGM_RSRC2:TGID_Y_EN: 0
; COMPUTE_PGM_RSRC2:TGID_Z_EN: 0
; COMPUTE_PGM_RSRC2:TIDIG_COMP_CNT: 0
	.section	.text._ZN7rocprim17ROCPRIM_400000_NS6detail17trampoline_kernelINS0_14default_configENS1_38merge_sort_block_merge_config_selectorIiiEEZZNS1_27merge_sort_block_merge_implIS3_N6thrust23THRUST_200600_302600_NS6detail15normal_iteratorINS8_10device_ptrIiEEEESD_jNS1_19radix_merge_compareILb1ELb0EiNS0_19identity_decomposerEEEEE10hipError_tT0_T1_T2_jT3_P12ihipStream_tbPNSt15iterator_traitsISI_E10value_typeEPNSO_ISJ_E10value_typeEPSK_NS1_7vsmem_tEENKUlT_SI_SJ_SK_E_clISD_PiSD_S10_EESH_SX_SI_SJ_SK_EUlSX_E_NS1_11comp_targetILNS1_3genE3ELNS1_11target_archE908ELNS1_3gpuE7ELNS1_3repE0EEENS1_48merge_mergepath_partition_config_static_selectorELNS0_4arch9wavefront6targetE0EEEvSJ_,"axG",@progbits,_ZN7rocprim17ROCPRIM_400000_NS6detail17trampoline_kernelINS0_14default_configENS1_38merge_sort_block_merge_config_selectorIiiEEZZNS1_27merge_sort_block_merge_implIS3_N6thrust23THRUST_200600_302600_NS6detail15normal_iteratorINS8_10device_ptrIiEEEESD_jNS1_19radix_merge_compareILb1ELb0EiNS0_19identity_decomposerEEEEE10hipError_tT0_T1_T2_jT3_P12ihipStream_tbPNSt15iterator_traitsISI_E10value_typeEPNSO_ISJ_E10value_typeEPSK_NS1_7vsmem_tEENKUlT_SI_SJ_SK_E_clISD_PiSD_S10_EESH_SX_SI_SJ_SK_EUlSX_E_NS1_11comp_targetILNS1_3genE3ELNS1_11target_archE908ELNS1_3gpuE7ELNS1_3repE0EEENS1_48merge_mergepath_partition_config_static_selectorELNS0_4arch9wavefront6targetE0EEEvSJ_,comdat
	.protected	_ZN7rocprim17ROCPRIM_400000_NS6detail17trampoline_kernelINS0_14default_configENS1_38merge_sort_block_merge_config_selectorIiiEEZZNS1_27merge_sort_block_merge_implIS3_N6thrust23THRUST_200600_302600_NS6detail15normal_iteratorINS8_10device_ptrIiEEEESD_jNS1_19radix_merge_compareILb1ELb0EiNS0_19identity_decomposerEEEEE10hipError_tT0_T1_T2_jT3_P12ihipStream_tbPNSt15iterator_traitsISI_E10value_typeEPNSO_ISJ_E10value_typeEPSK_NS1_7vsmem_tEENKUlT_SI_SJ_SK_E_clISD_PiSD_S10_EESH_SX_SI_SJ_SK_EUlSX_E_NS1_11comp_targetILNS1_3genE3ELNS1_11target_archE908ELNS1_3gpuE7ELNS1_3repE0EEENS1_48merge_mergepath_partition_config_static_selectorELNS0_4arch9wavefront6targetE0EEEvSJ_ ; -- Begin function _ZN7rocprim17ROCPRIM_400000_NS6detail17trampoline_kernelINS0_14default_configENS1_38merge_sort_block_merge_config_selectorIiiEEZZNS1_27merge_sort_block_merge_implIS3_N6thrust23THRUST_200600_302600_NS6detail15normal_iteratorINS8_10device_ptrIiEEEESD_jNS1_19radix_merge_compareILb1ELb0EiNS0_19identity_decomposerEEEEE10hipError_tT0_T1_T2_jT3_P12ihipStream_tbPNSt15iterator_traitsISI_E10value_typeEPNSO_ISJ_E10value_typeEPSK_NS1_7vsmem_tEENKUlT_SI_SJ_SK_E_clISD_PiSD_S10_EESH_SX_SI_SJ_SK_EUlSX_E_NS1_11comp_targetILNS1_3genE3ELNS1_11target_archE908ELNS1_3gpuE7ELNS1_3repE0EEENS1_48merge_mergepath_partition_config_static_selectorELNS0_4arch9wavefront6targetE0EEEvSJ_
	.globl	_ZN7rocprim17ROCPRIM_400000_NS6detail17trampoline_kernelINS0_14default_configENS1_38merge_sort_block_merge_config_selectorIiiEEZZNS1_27merge_sort_block_merge_implIS3_N6thrust23THRUST_200600_302600_NS6detail15normal_iteratorINS8_10device_ptrIiEEEESD_jNS1_19radix_merge_compareILb1ELb0EiNS0_19identity_decomposerEEEEE10hipError_tT0_T1_T2_jT3_P12ihipStream_tbPNSt15iterator_traitsISI_E10value_typeEPNSO_ISJ_E10value_typeEPSK_NS1_7vsmem_tEENKUlT_SI_SJ_SK_E_clISD_PiSD_S10_EESH_SX_SI_SJ_SK_EUlSX_E_NS1_11comp_targetILNS1_3genE3ELNS1_11target_archE908ELNS1_3gpuE7ELNS1_3repE0EEENS1_48merge_mergepath_partition_config_static_selectorELNS0_4arch9wavefront6targetE0EEEvSJ_
	.p2align	8
	.type	_ZN7rocprim17ROCPRIM_400000_NS6detail17trampoline_kernelINS0_14default_configENS1_38merge_sort_block_merge_config_selectorIiiEEZZNS1_27merge_sort_block_merge_implIS3_N6thrust23THRUST_200600_302600_NS6detail15normal_iteratorINS8_10device_ptrIiEEEESD_jNS1_19radix_merge_compareILb1ELb0EiNS0_19identity_decomposerEEEEE10hipError_tT0_T1_T2_jT3_P12ihipStream_tbPNSt15iterator_traitsISI_E10value_typeEPNSO_ISJ_E10value_typeEPSK_NS1_7vsmem_tEENKUlT_SI_SJ_SK_E_clISD_PiSD_S10_EESH_SX_SI_SJ_SK_EUlSX_E_NS1_11comp_targetILNS1_3genE3ELNS1_11target_archE908ELNS1_3gpuE7ELNS1_3repE0EEENS1_48merge_mergepath_partition_config_static_selectorELNS0_4arch9wavefront6targetE0EEEvSJ_,@function
_ZN7rocprim17ROCPRIM_400000_NS6detail17trampoline_kernelINS0_14default_configENS1_38merge_sort_block_merge_config_selectorIiiEEZZNS1_27merge_sort_block_merge_implIS3_N6thrust23THRUST_200600_302600_NS6detail15normal_iteratorINS8_10device_ptrIiEEEESD_jNS1_19radix_merge_compareILb1ELb0EiNS0_19identity_decomposerEEEEE10hipError_tT0_T1_T2_jT3_P12ihipStream_tbPNSt15iterator_traitsISI_E10value_typeEPNSO_ISJ_E10value_typeEPSK_NS1_7vsmem_tEENKUlT_SI_SJ_SK_E_clISD_PiSD_S10_EESH_SX_SI_SJ_SK_EUlSX_E_NS1_11comp_targetILNS1_3genE3ELNS1_11target_archE908ELNS1_3gpuE7ELNS1_3repE0EEENS1_48merge_mergepath_partition_config_static_selectorELNS0_4arch9wavefront6targetE0EEEvSJ_: ; @_ZN7rocprim17ROCPRIM_400000_NS6detail17trampoline_kernelINS0_14default_configENS1_38merge_sort_block_merge_config_selectorIiiEEZZNS1_27merge_sort_block_merge_implIS3_N6thrust23THRUST_200600_302600_NS6detail15normal_iteratorINS8_10device_ptrIiEEEESD_jNS1_19radix_merge_compareILb1ELb0EiNS0_19identity_decomposerEEEEE10hipError_tT0_T1_T2_jT3_P12ihipStream_tbPNSt15iterator_traitsISI_E10value_typeEPNSO_ISJ_E10value_typeEPSK_NS1_7vsmem_tEENKUlT_SI_SJ_SK_E_clISD_PiSD_S10_EESH_SX_SI_SJ_SK_EUlSX_E_NS1_11comp_targetILNS1_3genE3ELNS1_11target_archE908ELNS1_3gpuE7ELNS1_3repE0EEENS1_48merge_mergepath_partition_config_static_selectorELNS0_4arch9wavefront6targetE0EEEvSJ_
; %bb.0:
	.section	.rodata,"a",@progbits
	.p2align	6, 0x0
	.amdhsa_kernel _ZN7rocprim17ROCPRIM_400000_NS6detail17trampoline_kernelINS0_14default_configENS1_38merge_sort_block_merge_config_selectorIiiEEZZNS1_27merge_sort_block_merge_implIS3_N6thrust23THRUST_200600_302600_NS6detail15normal_iteratorINS8_10device_ptrIiEEEESD_jNS1_19radix_merge_compareILb1ELb0EiNS0_19identity_decomposerEEEEE10hipError_tT0_T1_T2_jT3_P12ihipStream_tbPNSt15iterator_traitsISI_E10value_typeEPNSO_ISJ_E10value_typeEPSK_NS1_7vsmem_tEENKUlT_SI_SJ_SK_E_clISD_PiSD_S10_EESH_SX_SI_SJ_SK_EUlSX_E_NS1_11comp_targetILNS1_3genE3ELNS1_11target_archE908ELNS1_3gpuE7ELNS1_3repE0EEENS1_48merge_mergepath_partition_config_static_selectorELNS0_4arch9wavefront6targetE0EEEvSJ_
		.amdhsa_group_segment_fixed_size 0
		.amdhsa_private_segment_fixed_size 0
		.amdhsa_kernarg_size 40
		.amdhsa_user_sgpr_count 6
		.amdhsa_user_sgpr_private_segment_buffer 1
		.amdhsa_user_sgpr_dispatch_ptr 0
		.amdhsa_user_sgpr_queue_ptr 0
		.amdhsa_user_sgpr_kernarg_segment_ptr 1
		.amdhsa_user_sgpr_dispatch_id 0
		.amdhsa_user_sgpr_flat_scratch_init 0
		.amdhsa_user_sgpr_private_segment_size 0
		.amdhsa_wavefront_size32 1
		.amdhsa_uses_dynamic_stack 0
		.amdhsa_system_sgpr_private_segment_wavefront_offset 0
		.amdhsa_system_sgpr_workgroup_id_x 1
		.amdhsa_system_sgpr_workgroup_id_y 0
		.amdhsa_system_sgpr_workgroup_id_z 0
		.amdhsa_system_sgpr_workgroup_info 0
		.amdhsa_system_vgpr_workitem_id 0
		.amdhsa_next_free_vgpr 1
		.amdhsa_next_free_sgpr 1
		.amdhsa_reserve_vcc 0
		.amdhsa_reserve_flat_scratch 0
		.amdhsa_float_round_mode_32 0
		.amdhsa_float_round_mode_16_64 0
		.amdhsa_float_denorm_mode_32 3
		.amdhsa_float_denorm_mode_16_64 3
		.amdhsa_dx10_clamp 1
		.amdhsa_ieee_mode 1
		.amdhsa_fp16_overflow 0
		.amdhsa_workgroup_processor_mode 1
		.amdhsa_memory_ordered 1
		.amdhsa_forward_progress 1
		.amdhsa_shared_vgpr_count 0
		.amdhsa_exception_fp_ieee_invalid_op 0
		.amdhsa_exception_fp_denorm_src 0
		.amdhsa_exception_fp_ieee_div_zero 0
		.amdhsa_exception_fp_ieee_overflow 0
		.amdhsa_exception_fp_ieee_underflow 0
		.amdhsa_exception_fp_ieee_inexact 0
		.amdhsa_exception_int_div_zero 0
	.end_amdhsa_kernel
	.section	.text._ZN7rocprim17ROCPRIM_400000_NS6detail17trampoline_kernelINS0_14default_configENS1_38merge_sort_block_merge_config_selectorIiiEEZZNS1_27merge_sort_block_merge_implIS3_N6thrust23THRUST_200600_302600_NS6detail15normal_iteratorINS8_10device_ptrIiEEEESD_jNS1_19radix_merge_compareILb1ELb0EiNS0_19identity_decomposerEEEEE10hipError_tT0_T1_T2_jT3_P12ihipStream_tbPNSt15iterator_traitsISI_E10value_typeEPNSO_ISJ_E10value_typeEPSK_NS1_7vsmem_tEENKUlT_SI_SJ_SK_E_clISD_PiSD_S10_EESH_SX_SI_SJ_SK_EUlSX_E_NS1_11comp_targetILNS1_3genE3ELNS1_11target_archE908ELNS1_3gpuE7ELNS1_3repE0EEENS1_48merge_mergepath_partition_config_static_selectorELNS0_4arch9wavefront6targetE0EEEvSJ_,"axG",@progbits,_ZN7rocprim17ROCPRIM_400000_NS6detail17trampoline_kernelINS0_14default_configENS1_38merge_sort_block_merge_config_selectorIiiEEZZNS1_27merge_sort_block_merge_implIS3_N6thrust23THRUST_200600_302600_NS6detail15normal_iteratorINS8_10device_ptrIiEEEESD_jNS1_19radix_merge_compareILb1ELb0EiNS0_19identity_decomposerEEEEE10hipError_tT0_T1_T2_jT3_P12ihipStream_tbPNSt15iterator_traitsISI_E10value_typeEPNSO_ISJ_E10value_typeEPSK_NS1_7vsmem_tEENKUlT_SI_SJ_SK_E_clISD_PiSD_S10_EESH_SX_SI_SJ_SK_EUlSX_E_NS1_11comp_targetILNS1_3genE3ELNS1_11target_archE908ELNS1_3gpuE7ELNS1_3repE0EEENS1_48merge_mergepath_partition_config_static_selectorELNS0_4arch9wavefront6targetE0EEEvSJ_,comdat
.Lfunc_end913:
	.size	_ZN7rocprim17ROCPRIM_400000_NS6detail17trampoline_kernelINS0_14default_configENS1_38merge_sort_block_merge_config_selectorIiiEEZZNS1_27merge_sort_block_merge_implIS3_N6thrust23THRUST_200600_302600_NS6detail15normal_iteratorINS8_10device_ptrIiEEEESD_jNS1_19radix_merge_compareILb1ELb0EiNS0_19identity_decomposerEEEEE10hipError_tT0_T1_T2_jT3_P12ihipStream_tbPNSt15iterator_traitsISI_E10value_typeEPNSO_ISJ_E10value_typeEPSK_NS1_7vsmem_tEENKUlT_SI_SJ_SK_E_clISD_PiSD_S10_EESH_SX_SI_SJ_SK_EUlSX_E_NS1_11comp_targetILNS1_3genE3ELNS1_11target_archE908ELNS1_3gpuE7ELNS1_3repE0EEENS1_48merge_mergepath_partition_config_static_selectorELNS0_4arch9wavefront6targetE0EEEvSJ_, .Lfunc_end913-_ZN7rocprim17ROCPRIM_400000_NS6detail17trampoline_kernelINS0_14default_configENS1_38merge_sort_block_merge_config_selectorIiiEEZZNS1_27merge_sort_block_merge_implIS3_N6thrust23THRUST_200600_302600_NS6detail15normal_iteratorINS8_10device_ptrIiEEEESD_jNS1_19radix_merge_compareILb1ELb0EiNS0_19identity_decomposerEEEEE10hipError_tT0_T1_T2_jT3_P12ihipStream_tbPNSt15iterator_traitsISI_E10value_typeEPNSO_ISJ_E10value_typeEPSK_NS1_7vsmem_tEENKUlT_SI_SJ_SK_E_clISD_PiSD_S10_EESH_SX_SI_SJ_SK_EUlSX_E_NS1_11comp_targetILNS1_3genE3ELNS1_11target_archE908ELNS1_3gpuE7ELNS1_3repE0EEENS1_48merge_mergepath_partition_config_static_selectorELNS0_4arch9wavefront6targetE0EEEvSJ_
                                        ; -- End function
	.set _ZN7rocprim17ROCPRIM_400000_NS6detail17trampoline_kernelINS0_14default_configENS1_38merge_sort_block_merge_config_selectorIiiEEZZNS1_27merge_sort_block_merge_implIS3_N6thrust23THRUST_200600_302600_NS6detail15normal_iteratorINS8_10device_ptrIiEEEESD_jNS1_19radix_merge_compareILb1ELb0EiNS0_19identity_decomposerEEEEE10hipError_tT0_T1_T2_jT3_P12ihipStream_tbPNSt15iterator_traitsISI_E10value_typeEPNSO_ISJ_E10value_typeEPSK_NS1_7vsmem_tEENKUlT_SI_SJ_SK_E_clISD_PiSD_S10_EESH_SX_SI_SJ_SK_EUlSX_E_NS1_11comp_targetILNS1_3genE3ELNS1_11target_archE908ELNS1_3gpuE7ELNS1_3repE0EEENS1_48merge_mergepath_partition_config_static_selectorELNS0_4arch9wavefront6targetE0EEEvSJ_.num_vgpr, 0
	.set _ZN7rocprim17ROCPRIM_400000_NS6detail17trampoline_kernelINS0_14default_configENS1_38merge_sort_block_merge_config_selectorIiiEEZZNS1_27merge_sort_block_merge_implIS3_N6thrust23THRUST_200600_302600_NS6detail15normal_iteratorINS8_10device_ptrIiEEEESD_jNS1_19radix_merge_compareILb1ELb0EiNS0_19identity_decomposerEEEEE10hipError_tT0_T1_T2_jT3_P12ihipStream_tbPNSt15iterator_traitsISI_E10value_typeEPNSO_ISJ_E10value_typeEPSK_NS1_7vsmem_tEENKUlT_SI_SJ_SK_E_clISD_PiSD_S10_EESH_SX_SI_SJ_SK_EUlSX_E_NS1_11comp_targetILNS1_3genE3ELNS1_11target_archE908ELNS1_3gpuE7ELNS1_3repE0EEENS1_48merge_mergepath_partition_config_static_selectorELNS0_4arch9wavefront6targetE0EEEvSJ_.num_agpr, 0
	.set _ZN7rocprim17ROCPRIM_400000_NS6detail17trampoline_kernelINS0_14default_configENS1_38merge_sort_block_merge_config_selectorIiiEEZZNS1_27merge_sort_block_merge_implIS3_N6thrust23THRUST_200600_302600_NS6detail15normal_iteratorINS8_10device_ptrIiEEEESD_jNS1_19radix_merge_compareILb1ELb0EiNS0_19identity_decomposerEEEEE10hipError_tT0_T1_T2_jT3_P12ihipStream_tbPNSt15iterator_traitsISI_E10value_typeEPNSO_ISJ_E10value_typeEPSK_NS1_7vsmem_tEENKUlT_SI_SJ_SK_E_clISD_PiSD_S10_EESH_SX_SI_SJ_SK_EUlSX_E_NS1_11comp_targetILNS1_3genE3ELNS1_11target_archE908ELNS1_3gpuE7ELNS1_3repE0EEENS1_48merge_mergepath_partition_config_static_selectorELNS0_4arch9wavefront6targetE0EEEvSJ_.numbered_sgpr, 0
	.set _ZN7rocprim17ROCPRIM_400000_NS6detail17trampoline_kernelINS0_14default_configENS1_38merge_sort_block_merge_config_selectorIiiEEZZNS1_27merge_sort_block_merge_implIS3_N6thrust23THRUST_200600_302600_NS6detail15normal_iteratorINS8_10device_ptrIiEEEESD_jNS1_19radix_merge_compareILb1ELb0EiNS0_19identity_decomposerEEEEE10hipError_tT0_T1_T2_jT3_P12ihipStream_tbPNSt15iterator_traitsISI_E10value_typeEPNSO_ISJ_E10value_typeEPSK_NS1_7vsmem_tEENKUlT_SI_SJ_SK_E_clISD_PiSD_S10_EESH_SX_SI_SJ_SK_EUlSX_E_NS1_11comp_targetILNS1_3genE3ELNS1_11target_archE908ELNS1_3gpuE7ELNS1_3repE0EEENS1_48merge_mergepath_partition_config_static_selectorELNS0_4arch9wavefront6targetE0EEEvSJ_.num_named_barrier, 0
	.set _ZN7rocprim17ROCPRIM_400000_NS6detail17trampoline_kernelINS0_14default_configENS1_38merge_sort_block_merge_config_selectorIiiEEZZNS1_27merge_sort_block_merge_implIS3_N6thrust23THRUST_200600_302600_NS6detail15normal_iteratorINS8_10device_ptrIiEEEESD_jNS1_19radix_merge_compareILb1ELb0EiNS0_19identity_decomposerEEEEE10hipError_tT0_T1_T2_jT3_P12ihipStream_tbPNSt15iterator_traitsISI_E10value_typeEPNSO_ISJ_E10value_typeEPSK_NS1_7vsmem_tEENKUlT_SI_SJ_SK_E_clISD_PiSD_S10_EESH_SX_SI_SJ_SK_EUlSX_E_NS1_11comp_targetILNS1_3genE3ELNS1_11target_archE908ELNS1_3gpuE7ELNS1_3repE0EEENS1_48merge_mergepath_partition_config_static_selectorELNS0_4arch9wavefront6targetE0EEEvSJ_.private_seg_size, 0
	.set _ZN7rocprim17ROCPRIM_400000_NS6detail17trampoline_kernelINS0_14default_configENS1_38merge_sort_block_merge_config_selectorIiiEEZZNS1_27merge_sort_block_merge_implIS3_N6thrust23THRUST_200600_302600_NS6detail15normal_iteratorINS8_10device_ptrIiEEEESD_jNS1_19radix_merge_compareILb1ELb0EiNS0_19identity_decomposerEEEEE10hipError_tT0_T1_T2_jT3_P12ihipStream_tbPNSt15iterator_traitsISI_E10value_typeEPNSO_ISJ_E10value_typeEPSK_NS1_7vsmem_tEENKUlT_SI_SJ_SK_E_clISD_PiSD_S10_EESH_SX_SI_SJ_SK_EUlSX_E_NS1_11comp_targetILNS1_3genE3ELNS1_11target_archE908ELNS1_3gpuE7ELNS1_3repE0EEENS1_48merge_mergepath_partition_config_static_selectorELNS0_4arch9wavefront6targetE0EEEvSJ_.uses_vcc, 0
	.set _ZN7rocprim17ROCPRIM_400000_NS6detail17trampoline_kernelINS0_14default_configENS1_38merge_sort_block_merge_config_selectorIiiEEZZNS1_27merge_sort_block_merge_implIS3_N6thrust23THRUST_200600_302600_NS6detail15normal_iteratorINS8_10device_ptrIiEEEESD_jNS1_19radix_merge_compareILb1ELb0EiNS0_19identity_decomposerEEEEE10hipError_tT0_T1_T2_jT3_P12ihipStream_tbPNSt15iterator_traitsISI_E10value_typeEPNSO_ISJ_E10value_typeEPSK_NS1_7vsmem_tEENKUlT_SI_SJ_SK_E_clISD_PiSD_S10_EESH_SX_SI_SJ_SK_EUlSX_E_NS1_11comp_targetILNS1_3genE3ELNS1_11target_archE908ELNS1_3gpuE7ELNS1_3repE0EEENS1_48merge_mergepath_partition_config_static_selectorELNS0_4arch9wavefront6targetE0EEEvSJ_.uses_flat_scratch, 0
	.set _ZN7rocprim17ROCPRIM_400000_NS6detail17trampoline_kernelINS0_14default_configENS1_38merge_sort_block_merge_config_selectorIiiEEZZNS1_27merge_sort_block_merge_implIS3_N6thrust23THRUST_200600_302600_NS6detail15normal_iteratorINS8_10device_ptrIiEEEESD_jNS1_19radix_merge_compareILb1ELb0EiNS0_19identity_decomposerEEEEE10hipError_tT0_T1_T2_jT3_P12ihipStream_tbPNSt15iterator_traitsISI_E10value_typeEPNSO_ISJ_E10value_typeEPSK_NS1_7vsmem_tEENKUlT_SI_SJ_SK_E_clISD_PiSD_S10_EESH_SX_SI_SJ_SK_EUlSX_E_NS1_11comp_targetILNS1_3genE3ELNS1_11target_archE908ELNS1_3gpuE7ELNS1_3repE0EEENS1_48merge_mergepath_partition_config_static_selectorELNS0_4arch9wavefront6targetE0EEEvSJ_.has_dyn_sized_stack, 0
	.set _ZN7rocprim17ROCPRIM_400000_NS6detail17trampoline_kernelINS0_14default_configENS1_38merge_sort_block_merge_config_selectorIiiEEZZNS1_27merge_sort_block_merge_implIS3_N6thrust23THRUST_200600_302600_NS6detail15normal_iteratorINS8_10device_ptrIiEEEESD_jNS1_19radix_merge_compareILb1ELb0EiNS0_19identity_decomposerEEEEE10hipError_tT0_T1_T2_jT3_P12ihipStream_tbPNSt15iterator_traitsISI_E10value_typeEPNSO_ISJ_E10value_typeEPSK_NS1_7vsmem_tEENKUlT_SI_SJ_SK_E_clISD_PiSD_S10_EESH_SX_SI_SJ_SK_EUlSX_E_NS1_11comp_targetILNS1_3genE3ELNS1_11target_archE908ELNS1_3gpuE7ELNS1_3repE0EEENS1_48merge_mergepath_partition_config_static_selectorELNS0_4arch9wavefront6targetE0EEEvSJ_.has_recursion, 0
	.set _ZN7rocprim17ROCPRIM_400000_NS6detail17trampoline_kernelINS0_14default_configENS1_38merge_sort_block_merge_config_selectorIiiEEZZNS1_27merge_sort_block_merge_implIS3_N6thrust23THRUST_200600_302600_NS6detail15normal_iteratorINS8_10device_ptrIiEEEESD_jNS1_19radix_merge_compareILb1ELb0EiNS0_19identity_decomposerEEEEE10hipError_tT0_T1_T2_jT3_P12ihipStream_tbPNSt15iterator_traitsISI_E10value_typeEPNSO_ISJ_E10value_typeEPSK_NS1_7vsmem_tEENKUlT_SI_SJ_SK_E_clISD_PiSD_S10_EESH_SX_SI_SJ_SK_EUlSX_E_NS1_11comp_targetILNS1_3genE3ELNS1_11target_archE908ELNS1_3gpuE7ELNS1_3repE0EEENS1_48merge_mergepath_partition_config_static_selectorELNS0_4arch9wavefront6targetE0EEEvSJ_.has_indirect_call, 0
	.section	.AMDGPU.csdata,"",@progbits
; Kernel info:
; codeLenInByte = 0
; TotalNumSgprs: 0
; NumVgprs: 0
; ScratchSize: 0
; MemoryBound: 0
; FloatMode: 240
; IeeeMode: 1
; LDSByteSize: 0 bytes/workgroup (compile time only)
; SGPRBlocks: 0
; VGPRBlocks: 0
; NumSGPRsForWavesPerEU: 1
; NumVGPRsForWavesPerEU: 1
; Occupancy: 16
; WaveLimiterHint : 0
; COMPUTE_PGM_RSRC2:SCRATCH_EN: 0
; COMPUTE_PGM_RSRC2:USER_SGPR: 6
; COMPUTE_PGM_RSRC2:TRAP_HANDLER: 0
; COMPUTE_PGM_RSRC2:TGID_X_EN: 1
; COMPUTE_PGM_RSRC2:TGID_Y_EN: 0
; COMPUTE_PGM_RSRC2:TGID_Z_EN: 0
; COMPUTE_PGM_RSRC2:TIDIG_COMP_CNT: 0
	.section	.text._ZN7rocprim17ROCPRIM_400000_NS6detail17trampoline_kernelINS0_14default_configENS1_38merge_sort_block_merge_config_selectorIiiEEZZNS1_27merge_sort_block_merge_implIS3_N6thrust23THRUST_200600_302600_NS6detail15normal_iteratorINS8_10device_ptrIiEEEESD_jNS1_19radix_merge_compareILb1ELb0EiNS0_19identity_decomposerEEEEE10hipError_tT0_T1_T2_jT3_P12ihipStream_tbPNSt15iterator_traitsISI_E10value_typeEPNSO_ISJ_E10value_typeEPSK_NS1_7vsmem_tEENKUlT_SI_SJ_SK_E_clISD_PiSD_S10_EESH_SX_SI_SJ_SK_EUlSX_E_NS1_11comp_targetILNS1_3genE2ELNS1_11target_archE906ELNS1_3gpuE6ELNS1_3repE0EEENS1_48merge_mergepath_partition_config_static_selectorELNS0_4arch9wavefront6targetE0EEEvSJ_,"axG",@progbits,_ZN7rocprim17ROCPRIM_400000_NS6detail17trampoline_kernelINS0_14default_configENS1_38merge_sort_block_merge_config_selectorIiiEEZZNS1_27merge_sort_block_merge_implIS3_N6thrust23THRUST_200600_302600_NS6detail15normal_iteratorINS8_10device_ptrIiEEEESD_jNS1_19radix_merge_compareILb1ELb0EiNS0_19identity_decomposerEEEEE10hipError_tT0_T1_T2_jT3_P12ihipStream_tbPNSt15iterator_traitsISI_E10value_typeEPNSO_ISJ_E10value_typeEPSK_NS1_7vsmem_tEENKUlT_SI_SJ_SK_E_clISD_PiSD_S10_EESH_SX_SI_SJ_SK_EUlSX_E_NS1_11comp_targetILNS1_3genE2ELNS1_11target_archE906ELNS1_3gpuE6ELNS1_3repE0EEENS1_48merge_mergepath_partition_config_static_selectorELNS0_4arch9wavefront6targetE0EEEvSJ_,comdat
	.protected	_ZN7rocprim17ROCPRIM_400000_NS6detail17trampoline_kernelINS0_14default_configENS1_38merge_sort_block_merge_config_selectorIiiEEZZNS1_27merge_sort_block_merge_implIS3_N6thrust23THRUST_200600_302600_NS6detail15normal_iteratorINS8_10device_ptrIiEEEESD_jNS1_19radix_merge_compareILb1ELb0EiNS0_19identity_decomposerEEEEE10hipError_tT0_T1_T2_jT3_P12ihipStream_tbPNSt15iterator_traitsISI_E10value_typeEPNSO_ISJ_E10value_typeEPSK_NS1_7vsmem_tEENKUlT_SI_SJ_SK_E_clISD_PiSD_S10_EESH_SX_SI_SJ_SK_EUlSX_E_NS1_11comp_targetILNS1_3genE2ELNS1_11target_archE906ELNS1_3gpuE6ELNS1_3repE0EEENS1_48merge_mergepath_partition_config_static_selectorELNS0_4arch9wavefront6targetE0EEEvSJ_ ; -- Begin function _ZN7rocprim17ROCPRIM_400000_NS6detail17trampoline_kernelINS0_14default_configENS1_38merge_sort_block_merge_config_selectorIiiEEZZNS1_27merge_sort_block_merge_implIS3_N6thrust23THRUST_200600_302600_NS6detail15normal_iteratorINS8_10device_ptrIiEEEESD_jNS1_19radix_merge_compareILb1ELb0EiNS0_19identity_decomposerEEEEE10hipError_tT0_T1_T2_jT3_P12ihipStream_tbPNSt15iterator_traitsISI_E10value_typeEPNSO_ISJ_E10value_typeEPSK_NS1_7vsmem_tEENKUlT_SI_SJ_SK_E_clISD_PiSD_S10_EESH_SX_SI_SJ_SK_EUlSX_E_NS1_11comp_targetILNS1_3genE2ELNS1_11target_archE906ELNS1_3gpuE6ELNS1_3repE0EEENS1_48merge_mergepath_partition_config_static_selectorELNS0_4arch9wavefront6targetE0EEEvSJ_
	.globl	_ZN7rocprim17ROCPRIM_400000_NS6detail17trampoline_kernelINS0_14default_configENS1_38merge_sort_block_merge_config_selectorIiiEEZZNS1_27merge_sort_block_merge_implIS3_N6thrust23THRUST_200600_302600_NS6detail15normal_iteratorINS8_10device_ptrIiEEEESD_jNS1_19radix_merge_compareILb1ELb0EiNS0_19identity_decomposerEEEEE10hipError_tT0_T1_T2_jT3_P12ihipStream_tbPNSt15iterator_traitsISI_E10value_typeEPNSO_ISJ_E10value_typeEPSK_NS1_7vsmem_tEENKUlT_SI_SJ_SK_E_clISD_PiSD_S10_EESH_SX_SI_SJ_SK_EUlSX_E_NS1_11comp_targetILNS1_3genE2ELNS1_11target_archE906ELNS1_3gpuE6ELNS1_3repE0EEENS1_48merge_mergepath_partition_config_static_selectorELNS0_4arch9wavefront6targetE0EEEvSJ_
	.p2align	8
	.type	_ZN7rocprim17ROCPRIM_400000_NS6detail17trampoline_kernelINS0_14default_configENS1_38merge_sort_block_merge_config_selectorIiiEEZZNS1_27merge_sort_block_merge_implIS3_N6thrust23THRUST_200600_302600_NS6detail15normal_iteratorINS8_10device_ptrIiEEEESD_jNS1_19radix_merge_compareILb1ELb0EiNS0_19identity_decomposerEEEEE10hipError_tT0_T1_T2_jT3_P12ihipStream_tbPNSt15iterator_traitsISI_E10value_typeEPNSO_ISJ_E10value_typeEPSK_NS1_7vsmem_tEENKUlT_SI_SJ_SK_E_clISD_PiSD_S10_EESH_SX_SI_SJ_SK_EUlSX_E_NS1_11comp_targetILNS1_3genE2ELNS1_11target_archE906ELNS1_3gpuE6ELNS1_3repE0EEENS1_48merge_mergepath_partition_config_static_selectorELNS0_4arch9wavefront6targetE0EEEvSJ_,@function
_ZN7rocprim17ROCPRIM_400000_NS6detail17trampoline_kernelINS0_14default_configENS1_38merge_sort_block_merge_config_selectorIiiEEZZNS1_27merge_sort_block_merge_implIS3_N6thrust23THRUST_200600_302600_NS6detail15normal_iteratorINS8_10device_ptrIiEEEESD_jNS1_19radix_merge_compareILb1ELb0EiNS0_19identity_decomposerEEEEE10hipError_tT0_T1_T2_jT3_P12ihipStream_tbPNSt15iterator_traitsISI_E10value_typeEPNSO_ISJ_E10value_typeEPSK_NS1_7vsmem_tEENKUlT_SI_SJ_SK_E_clISD_PiSD_S10_EESH_SX_SI_SJ_SK_EUlSX_E_NS1_11comp_targetILNS1_3genE2ELNS1_11target_archE906ELNS1_3gpuE6ELNS1_3repE0EEENS1_48merge_mergepath_partition_config_static_selectorELNS0_4arch9wavefront6targetE0EEEvSJ_: ; @_ZN7rocprim17ROCPRIM_400000_NS6detail17trampoline_kernelINS0_14default_configENS1_38merge_sort_block_merge_config_selectorIiiEEZZNS1_27merge_sort_block_merge_implIS3_N6thrust23THRUST_200600_302600_NS6detail15normal_iteratorINS8_10device_ptrIiEEEESD_jNS1_19radix_merge_compareILb1ELb0EiNS0_19identity_decomposerEEEEE10hipError_tT0_T1_T2_jT3_P12ihipStream_tbPNSt15iterator_traitsISI_E10value_typeEPNSO_ISJ_E10value_typeEPSK_NS1_7vsmem_tEENKUlT_SI_SJ_SK_E_clISD_PiSD_S10_EESH_SX_SI_SJ_SK_EUlSX_E_NS1_11comp_targetILNS1_3genE2ELNS1_11target_archE906ELNS1_3gpuE6ELNS1_3repE0EEENS1_48merge_mergepath_partition_config_static_selectorELNS0_4arch9wavefront6targetE0EEEvSJ_
; %bb.0:
	.section	.rodata,"a",@progbits
	.p2align	6, 0x0
	.amdhsa_kernel _ZN7rocprim17ROCPRIM_400000_NS6detail17trampoline_kernelINS0_14default_configENS1_38merge_sort_block_merge_config_selectorIiiEEZZNS1_27merge_sort_block_merge_implIS3_N6thrust23THRUST_200600_302600_NS6detail15normal_iteratorINS8_10device_ptrIiEEEESD_jNS1_19radix_merge_compareILb1ELb0EiNS0_19identity_decomposerEEEEE10hipError_tT0_T1_T2_jT3_P12ihipStream_tbPNSt15iterator_traitsISI_E10value_typeEPNSO_ISJ_E10value_typeEPSK_NS1_7vsmem_tEENKUlT_SI_SJ_SK_E_clISD_PiSD_S10_EESH_SX_SI_SJ_SK_EUlSX_E_NS1_11comp_targetILNS1_3genE2ELNS1_11target_archE906ELNS1_3gpuE6ELNS1_3repE0EEENS1_48merge_mergepath_partition_config_static_selectorELNS0_4arch9wavefront6targetE0EEEvSJ_
		.amdhsa_group_segment_fixed_size 0
		.amdhsa_private_segment_fixed_size 0
		.amdhsa_kernarg_size 40
		.amdhsa_user_sgpr_count 6
		.amdhsa_user_sgpr_private_segment_buffer 1
		.amdhsa_user_sgpr_dispatch_ptr 0
		.amdhsa_user_sgpr_queue_ptr 0
		.amdhsa_user_sgpr_kernarg_segment_ptr 1
		.amdhsa_user_sgpr_dispatch_id 0
		.amdhsa_user_sgpr_flat_scratch_init 0
		.amdhsa_user_sgpr_private_segment_size 0
		.amdhsa_wavefront_size32 1
		.amdhsa_uses_dynamic_stack 0
		.amdhsa_system_sgpr_private_segment_wavefront_offset 0
		.amdhsa_system_sgpr_workgroup_id_x 1
		.amdhsa_system_sgpr_workgroup_id_y 0
		.amdhsa_system_sgpr_workgroup_id_z 0
		.amdhsa_system_sgpr_workgroup_info 0
		.amdhsa_system_vgpr_workitem_id 0
		.amdhsa_next_free_vgpr 1
		.amdhsa_next_free_sgpr 1
		.amdhsa_reserve_vcc 0
		.amdhsa_reserve_flat_scratch 0
		.amdhsa_float_round_mode_32 0
		.amdhsa_float_round_mode_16_64 0
		.amdhsa_float_denorm_mode_32 3
		.amdhsa_float_denorm_mode_16_64 3
		.amdhsa_dx10_clamp 1
		.amdhsa_ieee_mode 1
		.amdhsa_fp16_overflow 0
		.amdhsa_workgroup_processor_mode 1
		.amdhsa_memory_ordered 1
		.amdhsa_forward_progress 1
		.amdhsa_shared_vgpr_count 0
		.amdhsa_exception_fp_ieee_invalid_op 0
		.amdhsa_exception_fp_denorm_src 0
		.amdhsa_exception_fp_ieee_div_zero 0
		.amdhsa_exception_fp_ieee_overflow 0
		.amdhsa_exception_fp_ieee_underflow 0
		.amdhsa_exception_fp_ieee_inexact 0
		.amdhsa_exception_int_div_zero 0
	.end_amdhsa_kernel
	.section	.text._ZN7rocprim17ROCPRIM_400000_NS6detail17trampoline_kernelINS0_14default_configENS1_38merge_sort_block_merge_config_selectorIiiEEZZNS1_27merge_sort_block_merge_implIS3_N6thrust23THRUST_200600_302600_NS6detail15normal_iteratorINS8_10device_ptrIiEEEESD_jNS1_19radix_merge_compareILb1ELb0EiNS0_19identity_decomposerEEEEE10hipError_tT0_T1_T2_jT3_P12ihipStream_tbPNSt15iterator_traitsISI_E10value_typeEPNSO_ISJ_E10value_typeEPSK_NS1_7vsmem_tEENKUlT_SI_SJ_SK_E_clISD_PiSD_S10_EESH_SX_SI_SJ_SK_EUlSX_E_NS1_11comp_targetILNS1_3genE2ELNS1_11target_archE906ELNS1_3gpuE6ELNS1_3repE0EEENS1_48merge_mergepath_partition_config_static_selectorELNS0_4arch9wavefront6targetE0EEEvSJ_,"axG",@progbits,_ZN7rocprim17ROCPRIM_400000_NS6detail17trampoline_kernelINS0_14default_configENS1_38merge_sort_block_merge_config_selectorIiiEEZZNS1_27merge_sort_block_merge_implIS3_N6thrust23THRUST_200600_302600_NS6detail15normal_iteratorINS8_10device_ptrIiEEEESD_jNS1_19radix_merge_compareILb1ELb0EiNS0_19identity_decomposerEEEEE10hipError_tT0_T1_T2_jT3_P12ihipStream_tbPNSt15iterator_traitsISI_E10value_typeEPNSO_ISJ_E10value_typeEPSK_NS1_7vsmem_tEENKUlT_SI_SJ_SK_E_clISD_PiSD_S10_EESH_SX_SI_SJ_SK_EUlSX_E_NS1_11comp_targetILNS1_3genE2ELNS1_11target_archE906ELNS1_3gpuE6ELNS1_3repE0EEENS1_48merge_mergepath_partition_config_static_selectorELNS0_4arch9wavefront6targetE0EEEvSJ_,comdat
.Lfunc_end914:
	.size	_ZN7rocprim17ROCPRIM_400000_NS6detail17trampoline_kernelINS0_14default_configENS1_38merge_sort_block_merge_config_selectorIiiEEZZNS1_27merge_sort_block_merge_implIS3_N6thrust23THRUST_200600_302600_NS6detail15normal_iteratorINS8_10device_ptrIiEEEESD_jNS1_19radix_merge_compareILb1ELb0EiNS0_19identity_decomposerEEEEE10hipError_tT0_T1_T2_jT3_P12ihipStream_tbPNSt15iterator_traitsISI_E10value_typeEPNSO_ISJ_E10value_typeEPSK_NS1_7vsmem_tEENKUlT_SI_SJ_SK_E_clISD_PiSD_S10_EESH_SX_SI_SJ_SK_EUlSX_E_NS1_11comp_targetILNS1_3genE2ELNS1_11target_archE906ELNS1_3gpuE6ELNS1_3repE0EEENS1_48merge_mergepath_partition_config_static_selectorELNS0_4arch9wavefront6targetE0EEEvSJ_, .Lfunc_end914-_ZN7rocprim17ROCPRIM_400000_NS6detail17trampoline_kernelINS0_14default_configENS1_38merge_sort_block_merge_config_selectorIiiEEZZNS1_27merge_sort_block_merge_implIS3_N6thrust23THRUST_200600_302600_NS6detail15normal_iteratorINS8_10device_ptrIiEEEESD_jNS1_19radix_merge_compareILb1ELb0EiNS0_19identity_decomposerEEEEE10hipError_tT0_T1_T2_jT3_P12ihipStream_tbPNSt15iterator_traitsISI_E10value_typeEPNSO_ISJ_E10value_typeEPSK_NS1_7vsmem_tEENKUlT_SI_SJ_SK_E_clISD_PiSD_S10_EESH_SX_SI_SJ_SK_EUlSX_E_NS1_11comp_targetILNS1_3genE2ELNS1_11target_archE906ELNS1_3gpuE6ELNS1_3repE0EEENS1_48merge_mergepath_partition_config_static_selectorELNS0_4arch9wavefront6targetE0EEEvSJ_
                                        ; -- End function
	.set _ZN7rocprim17ROCPRIM_400000_NS6detail17trampoline_kernelINS0_14default_configENS1_38merge_sort_block_merge_config_selectorIiiEEZZNS1_27merge_sort_block_merge_implIS3_N6thrust23THRUST_200600_302600_NS6detail15normal_iteratorINS8_10device_ptrIiEEEESD_jNS1_19radix_merge_compareILb1ELb0EiNS0_19identity_decomposerEEEEE10hipError_tT0_T1_T2_jT3_P12ihipStream_tbPNSt15iterator_traitsISI_E10value_typeEPNSO_ISJ_E10value_typeEPSK_NS1_7vsmem_tEENKUlT_SI_SJ_SK_E_clISD_PiSD_S10_EESH_SX_SI_SJ_SK_EUlSX_E_NS1_11comp_targetILNS1_3genE2ELNS1_11target_archE906ELNS1_3gpuE6ELNS1_3repE0EEENS1_48merge_mergepath_partition_config_static_selectorELNS0_4arch9wavefront6targetE0EEEvSJ_.num_vgpr, 0
	.set _ZN7rocprim17ROCPRIM_400000_NS6detail17trampoline_kernelINS0_14default_configENS1_38merge_sort_block_merge_config_selectorIiiEEZZNS1_27merge_sort_block_merge_implIS3_N6thrust23THRUST_200600_302600_NS6detail15normal_iteratorINS8_10device_ptrIiEEEESD_jNS1_19radix_merge_compareILb1ELb0EiNS0_19identity_decomposerEEEEE10hipError_tT0_T1_T2_jT3_P12ihipStream_tbPNSt15iterator_traitsISI_E10value_typeEPNSO_ISJ_E10value_typeEPSK_NS1_7vsmem_tEENKUlT_SI_SJ_SK_E_clISD_PiSD_S10_EESH_SX_SI_SJ_SK_EUlSX_E_NS1_11comp_targetILNS1_3genE2ELNS1_11target_archE906ELNS1_3gpuE6ELNS1_3repE0EEENS1_48merge_mergepath_partition_config_static_selectorELNS0_4arch9wavefront6targetE0EEEvSJ_.num_agpr, 0
	.set _ZN7rocprim17ROCPRIM_400000_NS6detail17trampoline_kernelINS0_14default_configENS1_38merge_sort_block_merge_config_selectorIiiEEZZNS1_27merge_sort_block_merge_implIS3_N6thrust23THRUST_200600_302600_NS6detail15normal_iteratorINS8_10device_ptrIiEEEESD_jNS1_19radix_merge_compareILb1ELb0EiNS0_19identity_decomposerEEEEE10hipError_tT0_T1_T2_jT3_P12ihipStream_tbPNSt15iterator_traitsISI_E10value_typeEPNSO_ISJ_E10value_typeEPSK_NS1_7vsmem_tEENKUlT_SI_SJ_SK_E_clISD_PiSD_S10_EESH_SX_SI_SJ_SK_EUlSX_E_NS1_11comp_targetILNS1_3genE2ELNS1_11target_archE906ELNS1_3gpuE6ELNS1_3repE0EEENS1_48merge_mergepath_partition_config_static_selectorELNS0_4arch9wavefront6targetE0EEEvSJ_.numbered_sgpr, 0
	.set _ZN7rocprim17ROCPRIM_400000_NS6detail17trampoline_kernelINS0_14default_configENS1_38merge_sort_block_merge_config_selectorIiiEEZZNS1_27merge_sort_block_merge_implIS3_N6thrust23THRUST_200600_302600_NS6detail15normal_iteratorINS8_10device_ptrIiEEEESD_jNS1_19radix_merge_compareILb1ELb0EiNS0_19identity_decomposerEEEEE10hipError_tT0_T1_T2_jT3_P12ihipStream_tbPNSt15iterator_traitsISI_E10value_typeEPNSO_ISJ_E10value_typeEPSK_NS1_7vsmem_tEENKUlT_SI_SJ_SK_E_clISD_PiSD_S10_EESH_SX_SI_SJ_SK_EUlSX_E_NS1_11comp_targetILNS1_3genE2ELNS1_11target_archE906ELNS1_3gpuE6ELNS1_3repE0EEENS1_48merge_mergepath_partition_config_static_selectorELNS0_4arch9wavefront6targetE0EEEvSJ_.num_named_barrier, 0
	.set _ZN7rocprim17ROCPRIM_400000_NS6detail17trampoline_kernelINS0_14default_configENS1_38merge_sort_block_merge_config_selectorIiiEEZZNS1_27merge_sort_block_merge_implIS3_N6thrust23THRUST_200600_302600_NS6detail15normal_iteratorINS8_10device_ptrIiEEEESD_jNS1_19radix_merge_compareILb1ELb0EiNS0_19identity_decomposerEEEEE10hipError_tT0_T1_T2_jT3_P12ihipStream_tbPNSt15iterator_traitsISI_E10value_typeEPNSO_ISJ_E10value_typeEPSK_NS1_7vsmem_tEENKUlT_SI_SJ_SK_E_clISD_PiSD_S10_EESH_SX_SI_SJ_SK_EUlSX_E_NS1_11comp_targetILNS1_3genE2ELNS1_11target_archE906ELNS1_3gpuE6ELNS1_3repE0EEENS1_48merge_mergepath_partition_config_static_selectorELNS0_4arch9wavefront6targetE0EEEvSJ_.private_seg_size, 0
	.set _ZN7rocprim17ROCPRIM_400000_NS6detail17trampoline_kernelINS0_14default_configENS1_38merge_sort_block_merge_config_selectorIiiEEZZNS1_27merge_sort_block_merge_implIS3_N6thrust23THRUST_200600_302600_NS6detail15normal_iteratorINS8_10device_ptrIiEEEESD_jNS1_19radix_merge_compareILb1ELb0EiNS0_19identity_decomposerEEEEE10hipError_tT0_T1_T2_jT3_P12ihipStream_tbPNSt15iterator_traitsISI_E10value_typeEPNSO_ISJ_E10value_typeEPSK_NS1_7vsmem_tEENKUlT_SI_SJ_SK_E_clISD_PiSD_S10_EESH_SX_SI_SJ_SK_EUlSX_E_NS1_11comp_targetILNS1_3genE2ELNS1_11target_archE906ELNS1_3gpuE6ELNS1_3repE0EEENS1_48merge_mergepath_partition_config_static_selectorELNS0_4arch9wavefront6targetE0EEEvSJ_.uses_vcc, 0
	.set _ZN7rocprim17ROCPRIM_400000_NS6detail17trampoline_kernelINS0_14default_configENS1_38merge_sort_block_merge_config_selectorIiiEEZZNS1_27merge_sort_block_merge_implIS3_N6thrust23THRUST_200600_302600_NS6detail15normal_iteratorINS8_10device_ptrIiEEEESD_jNS1_19radix_merge_compareILb1ELb0EiNS0_19identity_decomposerEEEEE10hipError_tT0_T1_T2_jT3_P12ihipStream_tbPNSt15iterator_traitsISI_E10value_typeEPNSO_ISJ_E10value_typeEPSK_NS1_7vsmem_tEENKUlT_SI_SJ_SK_E_clISD_PiSD_S10_EESH_SX_SI_SJ_SK_EUlSX_E_NS1_11comp_targetILNS1_3genE2ELNS1_11target_archE906ELNS1_3gpuE6ELNS1_3repE0EEENS1_48merge_mergepath_partition_config_static_selectorELNS0_4arch9wavefront6targetE0EEEvSJ_.uses_flat_scratch, 0
	.set _ZN7rocprim17ROCPRIM_400000_NS6detail17trampoline_kernelINS0_14default_configENS1_38merge_sort_block_merge_config_selectorIiiEEZZNS1_27merge_sort_block_merge_implIS3_N6thrust23THRUST_200600_302600_NS6detail15normal_iteratorINS8_10device_ptrIiEEEESD_jNS1_19radix_merge_compareILb1ELb0EiNS0_19identity_decomposerEEEEE10hipError_tT0_T1_T2_jT3_P12ihipStream_tbPNSt15iterator_traitsISI_E10value_typeEPNSO_ISJ_E10value_typeEPSK_NS1_7vsmem_tEENKUlT_SI_SJ_SK_E_clISD_PiSD_S10_EESH_SX_SI_SJ_SK_EUlSX_E_NS1_11comp_targetILNS1_3genE2ELNS1_11target_archE906ELNS1_3gpuE6ELNS1_3repE0EEENS1_48merge_mergepath_partition_config_static_selectorELNS0_4arch9wavefront6targetE0EEEvSJ_.has_dyn_sized_stack, 0
	.set _ZN7rocprim17ROCPRIM_400000_NS6detail17trampoline_kernelINS0_14default_configENS1_38merge_sort_block_merge_config_selectorIiiEEZZNS1_27merge_sort_block_merge_implIS3_N6thrust23THRUST_200600_302600_NS6detail15normal_iteratorINS8_10device_ptrIiEEEESD_jNS1_19radix_merge_compareILb1ELb0EiNS0_19identity_decomposerEEEEE10hipError_tT0_T1_T2_jT3_P12ihipStream_tbPNSt15iterator_traitsISI_E10value_typeEPNSO_ISJ_E10value_typeEPSK_NS1_7vsmem_tEENKUlT_SI_SJ_SK_E_clISD_PiSD_S10_EESH_SX_SI_SJ_SK_EUlSX_E_NS1_11comp_targetILNS1_3genE2ELNS1_11target_archE906ELNS1_3gpuE6ELNS1_3repE0EEENS1_48merge_mergepath_partition_config_static_selectorELNS0_4arch9wavefront6targetE0EEEvSJ_.has_recursion, 0
	.set _ZN7rocprim17ROCPRIM_400000_NS6detail17trampoline_kernelINS0_14default_configENS1_38merge_sort_block_merge_config_selectorIiiEEZZNS1_27merge_sort_block_merge_implIS3_N6thrust23THRUST_200600_302600_NS6detail15normal_iteratorINS8_10device_ptrIiEEEESD_jNS1_19radix_merge_compareILb1ELb0EiNS0_19identity_decomposerEEEEE10hipError_tT0_T1_T2_jT3_P12ihipStream_tbPNSt15iterator_traitsISI_E10value_typeEPNSO_ISJ_E10value_typeEPSK_NS1_7vsmem_tEENKUlT_SI_SJ_SK_E_clISD_PiSD_S10_EESH_SX_SI_SJ_SK_EUlSX_E_NS1_11comp_targetILNS1_3genE2ELNS1_11target_archE906ELNS1_3gpuE6ELNS1_3repE0EEENS1_48merge_mergepath_partition_config_static_selectorELNS0_4arch9wavefront6targetE0EEEvSJ_.has_indirect_call, 0
	.section	.AMDGPU.csdata,"",@progbits
; Kernel info:
; codeLenInByte = 0
; TotalNumSgprs: 0
; NumVgprs: 0
; ScratchSize: 0
; MemoryBound: 0
; FloatMode: 240
; IeeeMode: 1
; LDSByteSize: 0 bytes/workgroup (compile time only)
; SGPRBlocks: 0
; VGPRBlocks: 0
; NumSGPRsForWavesPerEU: 1
; NumVGPRsForWavesPerEU: 1
; Occupancy: 16
; WaveLimiterHint : 0
; COMPUTE_PGM_RSRC2:SCRATCH_EN: 0
; COMPUTE_PGM_RSRC2:USER_SGPR: 6
; COMPUTE_PGM_RSRC2:TRAP_HANDLER: 0
; COMPUTE_PGM_RSRC2:TGID_X_EN: 1
; COMPUTE_PGM_RSRC2:TGID_Y_EN: 0
; COMPUTE_PGM_RSRC2:TGID_Z_EN: 0
; COMPUTE_PGM_RSRC2:TIDIG_COMP_CNT: 0
	.section	.text._ZN7rocprim17ROCPRIM_400000_NS6detail17trampoline_kernelINS0_14default_configENS1_38merge_sort_block_merge_config_selectorIiiEEZZNS1_27merge_sort_block_merge_implIS3_N6thrust23THRUST_200600_302600_NS6detail15normal_iteratorINS8_10device_ptrIiEEEESD_jNS1_19radix_merge_compareILb1ELb0EiNS0_19identity_decomposerEEEEE10hipError_tT0_T1_T2_jT3_P12ihipStream_tbPNSt15iterator_traitsISI_E10value_typeEPNSO_ISJ_E10value_typeEPSK_NS1_7vsmem_tEENKUlT_SI_SJ_SK_E_clISD_PiSD_S10_EESH_SX_SI_SJ_SK_EUlSX_E_NS1_11comp_targetILNS1_3genE9ELNS1_11target_archE1100ELNS1_3gpuE3ELNS1_3repE0EEENS1_48merge_mergepath_partition_config_static_selectorELNS0_4arch9wavefront6targetE0EEEvSJ_,"axG",@progbits,_ZN7rocprim17ROCPRIM_400000_NS6detail17trampoline_kernelINS0_14default_configENS1_38merge_sort_block_merge_config_selectorIiiEEZZNS1_27merge_sort_block_merge_implIS3_N6thrust23THRUST_200600_302600_NS6detail15normal_iteratorINS8_10device_ptrIiEEEESD_jNS1_19radix_merge_compareILb1ELb0EiNS0_19identity_decomposerEEEEE10hipError_tT0_T1_T2_jT3_P12ihipStream_tbPNSt15iterator_traitsISI_E10value_typeEPNSO_ISJ_E10value_typeEPSK_NS1_7vsmem_tEENKUlT_SI_SJ_SK_E_clISD_PiSD_S10_EESH_SX_SI_SJ_SK_EUlSX_E_NS1_11comp_targetILNS1_3genE9ELNS1_11target_archE1100ELNS1_3gpuE3ELNS1_3repE0EEENS1_48merge_mergepath_partition_config_static_selectorELNS0_4arch9wavefront6targetE0EEEvSJ_,comdat
	.protected	_ZN7rocprim17ROCPRIM_400000_NS6detail17trampoline_kernelINS0_14default_configENS1_38merge_sort_block_merge_config_selectorIiiEEZZNS1_27merge_sort_block_merge_implIS3_N6thrust23THRUST_200600_302600_NS6detail15normal_iteratorINS8_10device_ptrIiEEEESD_jNS1_19radix_merge_compareILb1ELb0EiNS0_19identity_decomposerEEEEE10hipError_tT0_T1_T2_jT3_P12ihipStream_tbPNSt15iterator_traitsISI_E10value_typeEPNSO_ISJ_E10value_typeEPSK_NS1_7vsmem_tEENKUlT_SI_SJ_SK_E_clISD_PiSD_S10_EESH_SX_SI_SJ_SK_EUlSX_E_NS1_11comp_targetILNS1_3genE9ELNS1_11target_archE1100ELNS1_3gpuE3ELNS1_3repE0EEENS1_48merge_mergepath_partition_config_static_selectorELNS0_4arch9wavefront6targetE0EEEvSJ_ ; -- Begin function _ZN7rocprim17ROCPRIM_400000_NS6detail17trampoline_kernelINS0_14default_configENS1_38merge_sort_block_merge_config_selectorIiiEEZZNS1_27merge_sort_block_merge_implIS3_N6thrust23THRUST_200600_302600_NS6detail15normal_iteratorINS8_10device_ptrIiEEEESD_jNS1_19radix_merge_compareILb1ELb0EiNS0_19identity_decomposerEEEEE10hipError_tT0_T1_T2_jT3_P12ihipStream_tbPNSt15iterator_traitsISI_E10value_typeEPNSO_ISJ_E10value_typeEPSK_NS1_7vsmem_tEENKUlT_SI_SJ_SK_E_clISD_PiSD_S10_EESH_SX_SI_SJ_SK_EUlSX_E_NS1_11comp_targetILNS1_3genE9ELNS1_11target_archE1100ELNS1_3gpuE3ELNS1_3repE0EEENS1_48merge_mergepath_partition_config_static_selectorELNS0_4arch9wavefront6targetE0EEEvSJ_
	.globl	_ZN7rocprim17ROCPRIM_400000_NS6detail17trampoline_kernelINS0_14default_configENS1_38merge_sort_block_merge_config_selectorIiiEEZZNS1_27merge_sort_block_merge_implIS3_N6thrust23THRUST_200600_302600_NS6detail15normal_iteratorINS8_10device_ptrIiEEEESD_jNS1_19radix_merge_compareILb1ELb0EiNS0_19identity_decomposerEEEEE10hipError_tT0_T1_T2_jT3_P12ihipStream_tbPNSt15iterator_traitsISI_E10value_typeEPNSO_ISJ_E10value_typeEPSK_NS1_7vsmem_tEENKUlT_SI_SJ_SK_E_clISD_PiSD_S10_EESH_SX_SI_SJ_SK_EUlSX_E_NS1_11comp_targetILNS1_3genE9ELNS1_11target_archE1100ELNS1_3gpuE3ELNS1_3repE0EEENS1_48merge_mergepath_partition_config_static_selectorELNS0_4arch9wavefront6targetE0EEEvSJ_
	.p2align	8
	.type	_ZN7rocprim17ROCPRIM_400000_NS6detail17trampoline_kernelINS0_14default_configENS1_38merge_sort_block_merge_config_selectorIiiEEZZNS1_27merge_sort_block_merge_implIS3_N6thrust23THRUST_200600_302600_NS6detail15normal_iteratorINS8_10device_ptrIiEEEESD_jNS1_19radix_merge_compareILb1ELb0EiNS0_19identity_decomposerEEEEE10hipError_tT0_T1_T2_jT3_P12ihipStream_tbPNSt15iterator_traitsISI_E10value_typeEPNSO_ISJ_E10value_typeEPSK_NS1_7vsmem_tEENKUlT_SI_SJ_SK_E_clISD_PiSD_S10_EESH_SX_SI_SJ_SK_EUlSX_E_NS1_11comp_targetILNS1_3genE9ELNS1_11target_archE1100ELNS1_3gpuE3ELNS1_3repE0EEENS1_48merge_mergepath_partition_config_static_selectorELNS0_4arch9wavefront6targetE0EEEvSJ_,@function
_ZN7rocprim17ROCPRIM_400000_NS6detail17trampoline_kernelINS0_14default_configENS1_38merge_sort_block_merge_config_selectorIiiEEZZNS1_27merge_sort_block_merge_implIS3_N6thrust23THRUST_200600_302600_NS6detail15normal_iteratorINS8_10device_ptrIiEEEESD_jNS1_19radix_merge_compareILb1ELb0EiNS0_19identity_decomposerEEEEE10hipError_tT0_T1_T2_jT3_P12ihipStream_tbPNSt15iterator_traitsISI_E10value_typeEPNSO_ISJ_E10value_typeEPSK_NS1_7vsmem_tEENKUlT_SI_SJ_SK_E_clISD_PiSD_S10_EESH_SX_SI_SJ_SK_EUlSX_E_NS1_11comp_targetILNS1_3genE9ELNS1_11target_archE1100ELNS1_3gpuE3ELNS1_3repE0EEENS1_48merge_mergepath_partition_config_static_selectorELNS0_4arch9wavefront6targetE0EEEvSJ_: ; @_ZN7rocprim17ROCPRIM_400000_NS6detail17trampoline_kernelINS0_14default_configENS1_38merge_sort_block_merge_config_selectorIiiEEZZNS1_27merge_sort_block_merge_implIS3_N6thrust23THRUST_200600_302600_NS6detail15normal_iteratorINS8_10device_ptrIiEEEESD_jNS1_19radix_merge_compareILb1ELb0EiNS0_19identity_decomposerEEEEE10hipError_tT0_T1_T2_jT3_P12ihipStream_tbPNSt15iterator_traitsISI_E10value_typeEPNSO_ISJ_E10value_typeEPSK_NS1_7vsmem_tEENKUlT_SI_SJ_SK_E_clISD_PiSD_S10_EESH_SX_SI_SJ_SK_EUlSX_E_NS1_11comp_targetILNS1_3genE9ELNS1_11target_archE1100ELNS1_3gpuE3ELNS1_3repE0EEENS1_48merge_mergepath_partition_config_static_selectorELNS0_4arch9wavefront6targetE0EEEvSJ_
; %bb.0:
	.section	.rodata,"a",@progbits
	.p2align	6, 0x0
	.amdhsa_kernel _ZN7rocprim17ROCPRIM_400000_NS6detail17trampoline_kernelINS0_14default_configENS1_38merge_sort_block_merge_config_selectorIiiEEZZNS1_27merge_sort_block_merge_implIS3_N6thrust23THRUST_200600_302600_NS6detail15normal_iteratorINS8_10device_ptrIiEEEESD_jNS1_19radix_merge_compareILb1ELb0EiNS0_19identity_decomposerEEEEE10hipError_tT0_T1_T2_jT3_P12ihipStream_tbPNSt15iterator_traitsISI_E10value_typeEPNSO_ISJ_E10value_typeEPSK_NS1_7vsmem_tEENKUlT_SI_SJ_SK_E_clISD_PiSD_S10_EESH_SX_SI_SJ_SK_EUlSX_E_NS1_11comp_targetILNS1_3genE9ELNS1_11target_archE1100ELNS1_3gpuE3ELNS1_3repE0EEENS1_48merge_mergepath_partition_config_static_selectorELNS0_4arch9wavefront6targetE0EEEvSJ_
		.amdhsa_group_segment_fixed_size 0
		.amdhsa_private_segment_fixed_size 0
		.amdhsa_kernarg_size 40
		.amdhsa_user_sgpr_count 6
		.amdhsa_user_sgpr_private_segment_buffer 1
		.amdhsa_user_sgpr_dispatch_ptr 0
		.amdhsa_user_sgpr_queue_ptr 0
		.amdhsa_user_sgpr_kernarg_segment_ptr 1
		.amdhsa_user_sgpr_dispatch_id 0
		.amdhsa_user_sgpr_flat_scratch_init 0
		.amdhsa_user_sgpr_private_segment_size 0
		.amdhsa_wavefront_size32 1
		.amdhsa_uses_dynamic_stack 0
		.amdhsa_system_sgpr_private_segment_wavefront_offset 0
		.amdhsa_system_sgpr_workgroup_id_x 1
		.amdhsa_system_sgpr_workgroup_id_y 0
		.amdhsa_system_sgpr_workgroup_id_z 0
		.amdhsa_system_sgpr_workgroup_info 0
		.amdhsa_system_vgpr_workitem_id 0
		.amdhsa_next_free_vgpr 1
		.amdhsa_next_free_sgpr 1
		.amdhsa_reserve_vcc 0
		.amdhsa_reserve_flat_scratch 0
		.amdhsa_float_round_mode_32 0
		.amdhsa_float_round_mode_16_64 0
		.amdhsa_float_denorm_mode_32 3
		.amdhsa_float_denorm_mode_16_64 3
		.amdhsa_dx10_clamp 1
		.amdhsa_ieee_mode 1
		.amdhsa_fp16_overflow 0
		.amdhsa_workgroup_processor_mode 1
		.amdhsa_memory_ordered 1
		.amdhsa_forward_progress 1
		.amdhsa_shared_vgpr_count 0
		.amdhsa_exception_fp_ieee_invalid_op 0
		.amdhsa_exception_fp_denorm_src 0
		.amdhsa_exception_fp_ieee_div_zero 0
		.amdhsa_exception_fp_ieee_overflow 0
		.amdhsa_exception_fp_ieee_underflow 0
		.amdhsa_exception_fp_ieee_inexact 0
		.amdhsa_exception_int_div_zero 0
	.end_amdhsa_kernel
	.section	.text._ZN7rocprim17ROCPRIM_400000_NS6detail17trampoline_kernelINS0_14default_configENS1_38merge_sort_block_merge_config_selectorIiiEEZZNS1_27merge_sort_block_merge_implIS3_N6thrust23THRUST_200600_302600_NS6detail15normal_iteratorINS8_10device_ptrIiEEEESD_jNS1_19radix_merge_compareILb1ELb0EiNS0_19identity_decomposerEEEEE10hipError_tT0_T1_T2_jT3_P12ihipStream_tbPNSt15iterator_traitsISI_E10value_typeEPNSO_ISJ_E10value_typeEPSK_NS1_7vsmem_tEENKUlT_SI_SJ_SK_E_clISD_PiSD_S10_EESH_SX_SI_SJ_SK_EUlSX_E_NS1_11comp_targetILNS1_3genE9ELNS1_11target_archE1100ELNS1_3gpuE3ELNS1_3repE0EEENS1_48merge_mergepath_partition_config_static_selectorELNS0_4arch9wavefront6targetE0EEEvSJ_,"axG",@progbits,_ZN7rocprim17ROCPRIM_400000_NS6detail17trampoline_kernelINS0_14default_configENS1_38merge_sort_block_merge_config_selectorIiiEEZZNS1_27merge_sort_block_merge_implIS3_N6thrust23THRUST_200600_302600_NS6detail15normal_iteratorINS8_10device_ptrIiEEEESD_jNS1_19radix_merge_compareILb1ELb0EiNS0_19identity_decomposerEEEEE10hipError_tT0_T1_T2_jT3_P12ihipStream_tbPNSt15iterator_traitsISI_E10value_typeEPNSO_ISJ_E10value_typeEPSK_NS1_7vsmem_tEENKUlT_SI_SJ_SK_E_clISD_PiSD_S10_EESH_SX_SI_SJ_SK_EUlSX_E_NS1_11comp_targetILNS1_3genE9ELNS1_11target_archE1100ELNS1_3gpuE3ELNS1_3repE0EEENS1_48merge_mergepath_partition_config_static_selectorELNS0_4arch9wavefront6targetE0EEEvSJ_,comdat
.Lfunc_end915:
	.size	_ZN7rocprim17ROCPRIM_400000_NS6detail17trampoline_kernelINS0_14default_configENS1_38merge_sort_block_merge_config_selectorIiiEEZZNS1_27merge_sort_block_merge_implIS3_N6thrust23THRUST_200600_302600_NS6detail15normal_iteratorINS8_10device_ptrIiEEEESD_jNS1_19radix_merge_compareILb1ELb0EiNS0_19identity_decomposerEEEEE10hipError_tT0_T1_T2_jT3_P12ihipStream_tbPNSt15iterator_traitsISI_E10value_typeEPNSO_ISJ_E10value_typeEPSK_NS1_7vsmem_tEENKUlT_SI_SJ_SK_E_clISD_PiSD_S10_EESH_SX_SI_SJ_SK_EUlSX_E_NS1_11comp_targetILNS1_3genE9ELNS1_11target_archE1100ELNS1_3gpuE3ELNS1_3repE0EEENS1_48merge_mergepath_partition_config_static_selectorELNS0_4arch9wavefront6targetE0EEEvSJ_, .Lfunc_end915-_ZN7rocprim17ROCPRIM_400000_NS6detail17trampoline_kernelINS0_14default_configENS1_38merge_sort_block_merge_config_selectorIiiEEZZNS1_27merge_sort_block_merge_implIS3_N6thrust23THRUST_200600_302600_NS6detail15normal_iteratorINS8_10device_ptrIiEEEESD_jNS1_19radix_merge_compareILb1ELb0EiNS0_19identity_decomposerEEEEE10hipError_tT0_T1_T2_jT3_P12ihipStream_tbPNSt15iterator_traitsISI_E10value_typeEPNSO_ISJ_E10value_typeEPSK_NS1_7vsmem_tEENKUlT_SI_SJ_SK_E_clISD_PiSD_S10_EESH_SX_SI_SJ_SK_EUlSX_E_NS1_11comp_targetILNS1_3genE9ELNS1_11target_archE1100ELNS1_3gpuE3ELNS1_3repE0EEENS1_48merge_mergepath_partition_config_static_selectorELNS0_4arch9wavefront6targetE0EEEvSJ_
                                        ; -- End function
	.set _ZN7rocprim17ROCPRIM_400000_NS6detail17trampoline_kernelINS0_14default_configENS1_38merge_sort_block_merge_config_selectorIiiEEZZNS1_27merge_sort_block_merge_implIS3_N6thrust23THRUST_200600_302600_NS6detail15normal_iteratorINS8_10device_ptrIiEEEESD_jNS1_19radix_merge_compareILb1ELb0EiNS0_19identity_decomposerEEEEE10hipError_tT0_T1_T2_jT3_P12ihipStream_tbPNSt15iterator_traitsISI_E10value_typeEPNSO_ISJ_E10value_typeEPSK_NS1_7vsmem_tEENKUlT_SI_SJ_SK_E_clISD_PiSD_S10_EESH_SX_SI_SJ_SK_EUlSX_E_NS1_11comp_targetILNS1_3genE9ELNS1_11target_archE1100ELNS1_3gpuE3ELNS1_3repE0EEENS1_48merge_mergepath_partition_config_static_selectorELNS0_4arch9wavefront6targetE0EEEvSJ_.num_vgpr, 0
	.set _ZN7rocprim17ROCPRIM_400000_NS6detail17trampoline_kernelINS0_14default_configENS1_38merge_sort_block_merge_config_selectorIiiEEZZNS1_27merge_sort_block_merge_implIS3_N6thrust23THRUST_200600_302600_NS6detail15normal_iteratorINS8_10device_ptrIiEEEESD_jNS1_19radix_merge_compareILb1ELb0EiNS0_19identity_decomposerEEEEE10hipError_tT0_T1_T2_jT3_P12ihipStream_tbPNSt15iterator_traitsISI_E10value_typeEPNSO_ISJ_E10value_typeEPSK_NS1_7vsmem_tEENKUlT_SI_SJ_SK_E_clISD_PiSD_S10_EESH_SX_SI_SJ_SK_EUlSX_E_NS1_11comp_targetILNS1_3genE9ELNS1_11target_archE1100ELNS1_3gpuE3ELNS1_3repE0EEENS1_48merge_mergepath_partition_config_static_selectorELNS0_4arch9wavefront6targetE0EEEvSJ_.num_agpr, 0
	.set _ZN7rocprim17ROCPRIM_400000_NS6detail17trampoline_kernelINS0_14default_configENS1_38merge_sort_block_merge_config_selectorIiiEEZZNS1_27merge_sort_block_merge_implIS3_N6thrust23THRUST_200600_302600_NS6detail15normal_iteratorINS8_10device_ptrIiEEEESD_jNS1_19radix_merge_compareILb1ELb0EiNS0_19identity_decomposerEEEEE10hipError_tT0_T1_T2_jT3_P12ihipStream_tbPNSt15iterator_traitsISI_E10value_typeEPNSO_ISJ_E10value_typeEPSK_NS1_7vsmem_tEENKUlT_SI_SJ_SK_E_clISD_PiSD_S10_EESH_SX_SI_SJ_SK_EUlSX_E_NS1_11comp_targetILNS1_3genE9ELNS1_11target_archE1100ELNS1_3gpuE3ELNS1_3repE0EEENS1_48merge_mergepath_partition_config_static_selectorELNS0_4arch9wavefront6targetE0EEEvSJ_.numbered_sgpr, 0
	.set _ZN7rocprim17ROCPRIM_400000_NS6detail17trampoline_kernelINS0_14default_configENS1_38merge_sort_block_merge_config_selectorIiiEEZZNS1_27merge_sort_block_merge_implIS3_N6thrust23THRUST_200600_302600_NS6detail15normal_iteratorINS8_10device_ptrIiEEEESD_jNS1_19radix_merge_compareILb1ELb0EiNS0_19identity_decomposerEEEEE10hipError_tT0_T1_T2_jT3_P12ihipStream_tbPNSt15iterator_traitsISI_E10value_typeEPNSO_ISJ_E10value_typeEPSK_NS1_7vsmem_tEENKUlT_SI_SJ_SK_E_clISD_PiSD_S10_EESH_SX_SI_SJ_SK_EUlSX_E_NS1_11comp_targetILNS1_3genE9ELNS1_11target_archE1100ELNS1_3gpuE3ELNS1_3repE0EEENS1_48merge_mergepath_partition_config_static_selectorELNS0_4arch9wavefront6targetE0EEEvSJ_.num_named_barrier, 0
	.set _ZN7rocprim17ROCPRIM_400000_NS6detail17trampoline_kernelINS0_14default_configENS1_38merge_sort_block_merge_config_selectorIiiEEZZNS1_27merge_sort_block_merge_implIS3_N6thrust23THRUST_200600_302600_NS6detail15normal_iteratorINS8_10device_ptrIiEEEESD_jNS1_19radix_merge_compareILb1ELb0EiNS0_19identity_decomposerEEEEE10hipError_tT0_T1_T2_jT3_P12ihipStream_tbPNSt15iterator_traitsISI_E10value_typeEPNSO_ISJ_E10value_typeEPSK_NS1_7vsmem_tEENKUlT_SI_SJ_SK_E_clISD_PiSD_S10_EESH_SX_SI_SJ_SK_EUlSX_E_NS1_11comp_targetILNS1_3genE9ELNS1_11target_archE1100ELNS1_3gpuE3ELNS1_3repE0EEENS1_48merge_mergepath_partition_config_static_selectorELNS0_4arch9wavefront6targetE0EEEvSJ_.private_seg_size, 0
	.set _ZN7rocprim17ROCPRIM_400000_NS6detail17trampoline_kernelINS0_14default_configENS1_38merge_sort_block_merge_config_selectorIiiEEZZNS1_27merge_sort_block_merge_implIS3_N6thrust23THRUST_200600_302600_NS6detail15normal_iteratorINS8_10device_ptrIiEEEESD_jNS1_19radix_merge_compareILb1ELb0EiNS0_19identity_decomposerEEEEE10hipError_tT0_T1_T2_jT3_P12ihipStream_tbPNSt15iterator_traitsISI_E10value_typeEPNSO_ISJ_E10value_typeEPSK_NS1_7vsmem_tEENKUlT_SI_SJ_SK_E_clISD_PiSD_S10_EESH_SX_SI_SJ_SK_EUlSX_E_NS1_11comp_targetILNS1_3genE9ELNS1_11target_archE1100ELNS1_3gpuE3ELNS1_3repE0EEENS1_48merge_mergepath_partition_config_static_selectorELNS0_4arch9wavefront6targetE0EEEvSJ_.uses_vcc, 0
	.set _ZN7rocprim17ROCPRIM_400000_NS6detail17trampoline_kernelINS0_14default_configENS1_38merge_sort_block_merge_config_selectorIiiEEZZNS1_27merge_sort_block_merge_implIS3_N6thrust23THRUST_200600_302600_NS6detail15normal_iteratorINS8_10device_ptrIiEEEESD_jNS1_19radix_merge_compareILb1ELb0EiNS0_19identity_decomposerEEEEE10hipError_tT0_T1_T2_jT3_P12ihipStream_tbPNSt15iterator_traitsISI_E10value_typeEPNSO_ISJ_E10value_typeEPSK_NS1_7vsmem_tEENKUlT_SI_SJ_SK_E_clISD_PiSD_S10_EESH_SX_SI_SJ_SK_EUlSX_E_NS1_11comp_targetILNS1_3genE9ELNS1_11target_archE1100ELNS1_3gpuE3ELNS1_3repE0EEENS1_48merge_mergepath_partition_config_static_selectorELNS0_4arch9wavefront6targetE0EEEvSJ_.uses_flat_scratch, 0
	.set _ZN7rocprim17ROCPRIM_400000_NS6detail17trampoline_kernelINS0_14default_configENS1_38merge_sort_block_merge_config_selectorIiiEEZZNS1_27merge_sort_block_merge_implIS3_N6thrust23THRUST_200600_302600_NS6detail15normal_iteratorINS8_10device_ptrIiEEEESD_jNS1_19radix_merge_compareILb1ELb0EiNS0_19identity_decomposerEEEEE10hipError_tT0_T1_T2_jT3_P12ihipStream_tbPNSt15iterator_traitsISI_E10value_typeEPNSO_ISJ_E10value_typeEPSK_NS1_7vsmem_tEENKUlT_SI_SJ_SK_E_clISD_PiSD_S10_EESH_SX_SI_SJ_SK_EUlSX_E_NS1_11comp_targetILNS1_3genE9ELNS1_11target_archE1100ELNS1_3gpuE3ELNS1_3repE0EEENS1_48merge_mergepath_partition_config_static_selectorELNS0_4arch9wavefront6targetE0EEEvSJ_.has_dyn_sized_stack, 0
	.set _ZN7rocprim17ROCPRIM_400000_NS6detail17trampoline_kernelINS0_14default_configENS1_38merge_sort_block_merge_config_selectorIiiEEZZNS1_27merge_sort_block_merge_implIS3_N6thrust23THRUST_200600_302600_NS6detail15normal_iteratorINS8_10device_ptrIiEEEESD_jNS1_19radix_merge_compareILb1ELb0EiNS0_19identity_decomposerEEEEE10hipError_tT0_T1_T2_jT3_P12ihipStream_tbPNSt15iterator_traitsISI_E10value_typeEPNSO_ISJ_E10value_typeEPSK_NS1_7vsmem_tEENKUlT_SI_SJ_SK_E_clISD_PiSD_S10_EESH_SX_SI_SJ_SK_EUlSX_E_NS1_11comp_targetILNS1_3genE9ELNS1_11target_archE1100ELNS1_3gpuE3ELNS1_3repE0EEENS1_48merge_mergepath_partition_config_static_selectorELNS0_4arch9wavefront6targetE0EEEvSJ_.has_recursion, 0
	.set _ZN7rocprim17ROCPRIM_400000_NS6detail17trampoline_kernelINS0_14default_configENS1_38merge_sort_block_merge_config_selectorIiiEEZZNS1_27merge_sort_block_merge_implIS3_N6thrust23THRUST_200600_302600_NS6detail15normal_iteratorINS8_10device_ptrIiEEEESD_jNS1_19radix_merge_compareILb1ELb0EiNS0_19identity_decomposerEEEEE10hipError_tT0_T1_T2_jT3_P12ihipStream_tbPNSt15iterator_traitsISI_E10value_typeEPNSO_ISJ_E10value_typeEPSK_NS1_7vsmem_tEENKUlT_SI_SJ_SK_E_clISD_PiSD_S10_EESH_SX_SI_SJ_SK_EUlSX_E_NS1_11comp_targetILNS1_3genE9ELNS1_11target_archE1100ELNS1_3gpuE3ELNS1_3repE0EEENS1_48merge_mergepath_partition_config_static_selectorELNS0_4arch9wavefront6targetE0EEEvSJ_.has_indirect_call, 0
	.section	.AMDGPU.csdata,"",@progbits
; Kernel info:
; codeLenInByte = 0
; TotalNumSgprs: 0
; NumVgprs: 0
; ScratchSize: 0
; MemoryBound: 0
; FloatMode: 240
; IeeeMode: 1
; LDSByteSize: 0 bytes/workgroup (compile time only)
; SGPRBlocks: 0
; VGPRBlocks: 0
; NumSGPRsForWavesPerEU: 1
; NumVGPRsForWavesPerEU: 1
; Occupancy: 16
; WaveLimiterHint : 0
; COMPUTE_PGM_RSRC2:SCRATCH_EN: 0
; COMPUTE_PGM_RSRC2:USER_SGPR: 6
; COMPUTE_PGM_RSRC2:TRAP_HANDLER: 0
; COMPUTE_PGM_RSRC2:TGID_X_EN: 1
; COMPUTE_PGM_RSRC2:TGID_Y_EN: 0
; COMPUTE_PGM_RSRC2:TGID_Z_EN: 0
; COMPUTE_PGM_RSRC2:TIDIG_COMP_CNT: 0
	.section	.text._ZN7rocprim17ROCPRIM_400000_NS6detail17trampoline_kernelINS0_14default_configENS1_38merge_sort_block_merge_config_selectorIiiEEZZNS1_27merge_sort_block_merge_implIS3_N6thrust23THRUST_200600_302600_NS6detail15normal_iteratorINS8_10device_ptrIiEEEESD_jNS1_19radix_merge_compareILb1ELb0EiNS0_19identity_decomposerEEEEE10hipError_tT0_T1_T2_jT3_P12ihipStream_tbPNSt15iterator_traitsISI_E10value_typeEPNSO_ISJ_E10value_typeEPSK_NS1_7vsmem_tEENKUlT_SI_SJ_SK_E_clISD_PiSD_S10_EESH_SX_SI_SJ_SK_EUlSX_E_NS1_11comp_targetILNS1_3genE8ELNS1_11target_archE1030ELNS1_3gpuE2ELNS1_3repE0EEENS1_48merge_mergepath_partition_config_static_selectorELNS0_4arch9wavefront6targetE0EEEvSJ_,"axG",@progbits,_ZN7rocprim17ROCPRIM_400000_NS6detail17trampoline_kernelINS0_14default_configENS1_38merge_sort_block_merge_config_selectorIiiEEZZNS1_27merge_sort_block_merge_implIS3_N6thrust23THRUST_200600_302600_NS6detail15normal_iteratorINS8_10device_ptrIiEEEESD_jNS1_19radix_merge_compareILb1ELb0EiNS0_19identity_decomposerEEEEE10hipError_tT0_T1_T2_jT3_P12ihipStream_tbPNSt15iterator_traitsISI_E10value_typeEPNSO_ISJ_E10value_typeEPSK_NS1_7vsmem_tEENKUlT_SI_SJ_SK_E_clISD_PiSD_S10_EESH_SX_SI_SJ_SK_EUlSX_E_NS1_11comp_targetILNS1_3genE8ELNS1_11target_archE1030ELNS1_3gpuE2ELNS1_3repE0EEENS1_48merge_mergepath_partition_config_static_selectorELNS0_4arch9wavefront6targetE0EEEvSJ_,comdat
	.protected	_ZN7rocprim17ROCPRIM_400000_NS6detail17trampoline_kernelINS0_14default_configENS1_38merge_sort_block_merge_config_selectorIiiEEZZNS1_27merge_sort_block_merge_implIS3_N6thrust23THRUST_200600_302600_NS6detail15normal_iteratorINS8_10device_ptrIiEEEESD_jNS1_19radix_merge_compareILb1ELb0EiNS0_19identity_decomposerEEEEE10hipError_tT0_T1_T2_jT3_P12ihipStream_tbPNSt15iterator_traitsISI_E10value_typeEPNSO_ISJ_E10value_typeEPSK_NS1_7vsmem_tEENKUlT_SI_SJ_SK_E_clISD_PiSD_S10_EESH_SX_SI_SJ_SK_EUlSX_E_NS1_11comp_targetILNS1_3genE8ELNS1_11target_archE1030ELNS1_3gpuE2ELNS1_3repE0EEENS1_48merge_mergepath_partition_config_static_selectorELNS0_4arch9wavefront6targetE0EEEvSJ_ ; -- Begin function _ZN7rocprim17ROCPRIM_400000_NS6detail17trampoline_kernelINS0_14default_configENS1_38merge_sort_block_merge_config_selectorIiiEEZZNS1_27merge_sort_block_merge_implIS3_N6thrust23THRUST_200600_302600_NS6detail15normal_iteratorINS8_10device_ptrIiEEEESD_jNS1_19radix_merge_compareILb1ELb0EiNS0_19identity_decomposerEEEEE10hipError_tT0_T1_T2_jT3_P12ihipStream_tbPNSt15iterator_traitsISI_E10value_typeEPNSO_ISJ_E10value_typeEPSK_NS1_7vsmem_tEENKUlT_SI_SJ_SK_E_clISD_PiSD_S10_EESH_SX_SI_SJ_SK_EUlSX_E_NS1_11comp_targetILNS1_3genE8ELNS1_11target_archE1030ELNS1_3gpuE2ELNS1_3repE0EEENS1_48merge_mergepath_partition_config_static_selectorELNS0_4arch9wavefront6targetE0EEEvSJ_
	.globl	_ZN7rocprim17ROCPRIM_400000_NS6detail17trampoline_kernelINS0_14default_configENS1_38merge_sort_block_merge_config_selectorIiiEEZZNS1_27merge_sort_block_merge_implIS3_N6thrust23THRUST_200600_302600_NS6detail15normal_iteratorINS8_10device_ptrIiEEEESD_jNS1_19radix_merge_compareILb1ELb0EiNS0_19identity_decomposerEEEEE10hipError_tT0_T1_T2_jT3_P12ihipStream_tbPNSt15iterator_traitsISI_E10value_typeEPNSO_ISJ_E10value_typeEPSK_NS1_7vsmem_tEENKUlT_SI_SJ_SK_E_clISD_PiSD_S10_EESH_SX_SI_SJ_SK_EUlSX_E_NS1_11comp_targetILNS1_3genE8ELNS1_11target_archE1030ELNS1_3gpuE2ELNS1_3repE0EEENS1_48merge_mergepath_partition_config_static_selectorELNS0_4arch9wavefront6targetE0EEEvSJ_
	.p2align	8
	.type	_ZN7rocprim17ROCPRIM_400000_NS6detail17trampoline_kernelINS0_14default_configENS1_38merge_sort_block_merge_config_selectorIiiEEZZNS1_27merge_sort_block_merge_implIS3_N6thrust23THRUST_200600_302600_NS6detail15normal_iteratorINS8_10device_ptrIiEEEESD_jNS1_19radix_merge_compareILb1ELb0EiNS0_19identity_decomposerEEEEE10hipError_tT0_T1_T2_jT3_P12ihipStream_tbPNSt15iterator_traitsISI_E10value_typeEPNSO_ISJ_E10value_typeEPSK_NS1_7vsmem_tEENKUlT_SI_SJ_SK_E_clISD_PiSD_S10_EESH_SX_SI_SJ_SK_EUlSX_E_NS1_11comp_targetILNS1_3genE8ELNS1_11target_archE1030ELNS1_3gpuE2ELNS1_3repE0EEENS1_48merge_mergepath_partition_config_static_selectorELNS0_4arch9wavefront6targetE0EEEvSJ_,@function
_ZN7rocprim17ROCPRIM_400000_NS6detail17trampoline_kernelINS0_14default_configENS1_38merge_sort_block_merge_config_selectorIiiEEZZNS1_27merge_sort_block_merge_implIS3_N6thrust23THRUST_200600_302600_NS6detail15normal_iteratorINS8_10device_ptrIiEEEESD_jNS1_19radix_merge_compareILb1ELb0EiNS0_19identity_decomposerEEEEE10hipError_tT0_T1_T2_jT3_P12ihipStream_tbPNSt15iterator_traitsISI_E10value_typeEPNSO_ISJ_E10value_typeEPSK_NS1_7vsmem_tEENKUlT_SI_SJ_SK_E_clISD_PiSD_S10_EESH_SX_SI_SJ_SK_EUlSX_E_NS1_11comp_targetILNS1_3genE8ELNS1_11target_archE1030ELNS1_3gpuE2ELNS1_3repE0EEENS1_48merge_mergepath_partition_config_static_selectorELNS0_4arch9wavefront6targetE0EEEvSJ_: ; @_ZN7rocprim17ROCPRIM_400000_NS6detail17trampoline_kernelINS0_14default_configENS1_38merge_sort_block_merge_config_selectorIiiEEZZNS1_27merge_sort_block_merge_implIS3_N6thrust23THRUST_200600_302600_NS6detail15normal_iteratorINS8_10device_ptrIiEEEESD_jNS1_19radix_merge_compareILb1ELb0EiNS0_19identity_decomposerEEEEE10hipError_tT0_T1_T2_jT3_P12ihipStream_tbPNSt15iterator_traitsISI_E10value_typeEPNSO_ISJ_E10value_typeEPSK_NS1_7vsmem_tEENKUlT_SI_SJ_SK_E_clISD_PiSD_S10_EESH_SX_SI_SJ_SK_EUlSX_E_NS1_11comp_targetILNS1_3genE8ELNS1_11target_archE1030ELNS1_3gpuE2ELNS1_3repE0EEENS1_48merge_mergepath_partition_config_static_selectorELNS0_4arch9wavefront6targetE0EEEvSJ_
; %bb.0:
	s_load_dword s0, s[4:5], 0x0
	v_lshl_or_b32 v0, s6, 7, v0
	s_waitcnt lgkmcnt(0)
	v_cmp_gt_u32_e32 vcc_lo, s0, v0
	s_and_saveexec_b32 s0, vcc_lo
	s_cbranch_execz .LBB916_6
; %bb.1:
	s_load_dwordx2 s[0:1], s[4:5], 0x4
	s_waitcnt lgkmcnt(0)
	s_lshr_b32 s2, s0, 9
	s_and_b32 s2, s2, 0x7ffffe
	s_sub_i32 s3, 0, s2
	s_add_i32 s2, s2, -1
	v_and_b32_e32 v1, s3, v0
	v_and_b32_e32 v5, s2, v0
	s_mov_b32 s3, 0
	s_mov_b32 s2, exec_lo
	v_lshlrev_b32_e32 v1, 10, v1
	v_add_nc_u32_e32 v2, s0, v1
	v_min_u32_e32 v4, s1, v2
	v_min_u32_e32 v2, s1, v1
	v_add_nc_u32_e32 v3, s0, v4
	v_min_u32_e32 v1, s1, v3
	s_load_dwordx2 s[0:1], s[4:5], 0x20
	v_lshlrev_b32_e32 v3, 10, v5
	v_sub_nc_u32_e32 v5, v1, v2
	v_sub_nc_u32_e32 v6, v1, v4
	v_min_u32_e32 v1, v5, v3
	v_sub_nc_u32_e32 v3, v4, v2
	v_sub_nc_u32_e64 v6, v1, v6 clamp
	v_min_u32_e32 v7, v1, v3
	v_cmpx_lt_u32_e64 v6, v7
	s_cbranch_execz .LBB916_5
; %bb.2:
	s_load_dwordx2 s[4:5], s[4:5], 0x10
	v_mov_b32_e32 v5, 0
	v_mov_b32_e32 v3, v5
	v_lshlrev_b64 v[10:11], 2, v[4:5]
	v_lshlrev_b64 v[8:9], 2, v[2:3]
	s_waitcnt lgkmcnt(0)
	v_add_co_u32 v3, vcc_lo, s4, v8
	v_add_co_ci_u32_e64 v8, null, s5, v9, vcc_lo
	v_add_co_u32 v9, vcc_lo, s4, v10
	v_add_co_ci_u32_e64 v10, null, s5, v11, vcc_lo
	.p2align	6
.LBB916_3:                              ; =>This Inner Loop Header: Depth=1
	v_add_nc_u32_e32 v4, v7, v6
	v_mov_b32_e32 v12, v5
	v_lshrrev_b32_e32 v4, 1, v4
	v_xad_u32 v11, v4, -1, v1
	v_lshlrev_b64 v[13:14], 2, v[4:5]
	v_lshlrev_b64 v[11:12], 2, v[11:12]
	v_add_co_u32 v13, vcc_lo, v3, v13
	v_add_co_ci_u32_e64 v14, null, v8, v14, vcc_lo
	v_add_co_u32 v11, vcc_lo, v9, v11
	v_add_co_ci_u32_e64 v12, null, v10, v12, vcc_lo
	s_clause 0x1
	flat_load_dword v13, v[13:14]
	flat_load_dword v11, v[11:12]
	v_add_nc_u32_e32 v12, 1, v4
	s_waitcnt vmcnt(0) lgkmcnt(0)
	v_cmp_gt_i32_e32 vcc_lo, v11, v13
	v_cndmask_b32_e32 v7, v7, v4, vcc_lo
	v_cndmask_b32_e32 v6, v12, v6, vcc_lo
	v_cmp_ge_u32_e32 vcc_lo, v6, v7
	s_or_b32 s3, vcc_lo, s3
	s_andn2_b32 exec_lo, exec_lo, s3
	s_cbranch_execnz .LBB916_3
; %bb.4:
	s_or_b32 exec_lo, exec_lo, s3
.LBB916_5:
	s_or_b32 exec_lo, exec_lo, s2
	v_mov_b32_e32 v1, 0
	v_add_nc_u32_e32 v2, v6, v2
	v_lshlrev_b64 v[0:1], 2, v[0:1]
	s_waitcnt lgkmcnt(0)
	v_add_co_u32 v0, vcc_lo, s0, v0
	v_add_co_ci_u32_e64 v1, null, s1, v1, vcc_lo
	global_store_dword v[0:1], v2, off
.LBB916_6:
	s_endpgm
	.section	.rodata,"a",@progbits
	.p2align	6, 0x0
	.amdhsa_kernel _ZN7rocprim17ROCPRIM_400000_NS6detail17trampoline_kernelINS0_14default_configENS1_38merge_sort_block_merge_config_selectorIiiEEZZNS1_27merge_sort_block_merge_implIS3_N6thrust23THRUST_200600_302600_NS6detail15normal_iteratorINS8_10device_ptrIiEEEESD_jNS1_19radix_merge_compareILb1ELb0EiNS0_19identity_decomposerEEEEE10hipError_tT0_T1_T2_jT3_P12ihipStream_tbPNSt15iterator_traitsISI_E10value_typeEPNSO_ISJ_E10value_typeEPSK_NS1_7vsmem_tEENKUlT_SI_SJ_SK_E_clISD_PiSD_S10_EESH_SX_SI_SJ_SK_EUlSX_E_NS1_11comp_targetILNS1_3genE8ELNS1_11target_archE1030ELNS1_3gpuE2ELNS1_3repE0EEENS1_48merge_mergepath_partition_config_static_selectorELNS0_4arch9wavefront6targetE0EEEvSJ_
		.amdhsa_group_segment_fixed_size 0
		.amdhsa_private_segment_fixed_size 0
		.amdhsa_kernarg_size 40
		.amdhsa_user_sgpr_count 6
		.amdhsa_user_sgpr_private_segment_buffer 1
		.amdhsa_user_sgpr_dispatch_ptr 0
		.amdhsa_user_sgpr_queue_ptr 0
		.amdhsa_user_sgpr_kernarg_segment_ptr 1
		.amdhsa_user_sgpr_dispatch_id 0
		.amdhsa_user_sgpr_flat_scratch_init 0
		.amdhsa_user_sgpr_private_segment_size 0
		.amdhsa_wavefront_size32 1
		.amdhsa_uses_dynamic_stack 0
		.amdhsa_system_sgpr_private_segment_wavefront_offset 0
		.amdhsa_system_sgpr_workgroup_id_x 1
		.amdhsa_system_sgpr_workgroup_id_y 0
		.amdhsa_system_sgpr_workgroup_id_z 0
		.amdhsa_system_sgpr_workgroup_info 0
		.amdhsa_system_vgpr_workitem_id 0
		.amdhsa_next_free_vgpr 15
		.amdhsa_next_free_sgpr 7
		.amdhsa_reserve_vcc 1
		.amdhsa_reserve_flat_scratch 1
		.amdhsa_float_round_mode_32 0
		.amdhsa_float_round_mode_16_64 0
		.amdhsa_float_denorm_mode_32 3
		.amdhsa_float_denorm_mode_16_64 3
		.amdhsa_dx10_clamp 1
		.amdhsa_ieee_mode 1
		.amdhsa_fp16_overflow 0
		.amdhsa_workgroup_processor_mode 1
		.amdhsa_memory_ordered 1
		.amdhsa_forward_progress 1
		.amdhsa_shared_vgpr_count 0
		.amdhsa_exception_fp_ieee_invalid_op 0
		.amdhsa_exception_fp_denorm_src 0
		.amdhsa_exception_fp_ieee_div_zero 0
		.amdhsa_exception_fp_ieee_overflow 0
		.amdhsa_exception_fp_ieee_underflow 0
		.amdhsa_exception_fp_ieee_inexact 0
		.amdhsa_exception_int_div_zero 0
	.end_amdhsa_kernel
	.section	.text._ZN7rocprim17ROCPRIM_400000_NS6detail17trampoline_kernelINS0_14default_configENS1_38merge_sort_block_merge_config_selectorIiiEEZZNS1_27merge_sort_block_merge_implIS3_N6thrust23THRUST_200600_302600_NS6detail15normal_iteratorINS8_10device_ptrIiEEEESD_jNS1_19radix_merge_compareILb1ELb0EiNS0_19identity_decomposerEEEEE10hipError_tT0_T1_T2_jT3_P12ihipStream_tbPNSt15iterator_traitsISI_E10value_typeEPNSO_ISJ_E10value_typeEPSK_NS1_7vsmem_tEENKUlT_SI_SJ_SK_E_clISD_PiSD_S10_EESH_SX_SI_SJ_SK_EUlSX_E_NS1_11comp_targetILNS1_3genE8ELNS1_11target_archE1030ELNS1_3gpuE2ELNS1_3repE0EEENS1_48merge_mergepath_partition_config_static_selectorELNS0_4arch9wavefront6targetE0EEEvSJ_,"axG",@progbits,_ZN7rocprim17ROCPRIM_400000_NS6detail17trampoline_kernelINS0_14default_configENS1_38merge_sort_block_merge_config_selectorIiiEEZZNS1_27merge_sort_block_merge_implIS3_N6thrust23THRUST_200600_302600_NS6detail15normal_iteratorINS8_10device_ptrIiEEEESD_jNS1_19radix_merge_compareILb1ELb0EiNS0_19identity_decomposerEEEEE10hipError_tT0_T1_T2_jT3_P12ihipStream_tbPNSt15iterator_traitsISI_E10value_typeEPNSO_ISJ_E10value_typeEPSK_NS1_7vsmem_tEENKUlT_SI_SJ_SK_E_clISD_PiSD_S10_EESH_SX_SI_SJ_SK_EUlSX_E_NS1_11comp_targetILNS1_3genE8ELNS1_11target_archE1030ELNS1_3gpuE2ELNS1_3repE0EEENS1_48merge_mergepath_partition_config_static_selectorELNS0_4arch9wavefront6targetE0EEEvSJ_,comdat
.Lfunc_end916:
	.size	_ZN7rocprim17ROCPRIM_400000_NS6detail17trampoline_kernelINS0_14default_configENS1_38merge_sort_block_merge_config_selectorIiiEEZZNS1_27merge_sort_block_merge_implIS3_N6thrust23THRUST_200600_302600_NS6detail15normal_iteratorINS8_10device_ptrIiEEEESD_jNS1_19radix_merge_compareILb1ELb0EiNS0_19identity_decomposerEEEEE10hipError_tT0_T1_T2_jT3_P12ihipStream_tbPNSt15iterator_traitsISI_E10value_typeEPNSO_ISJ_E10value_typeEPSK_NS1_7vsmem_tEENKUlT_SI_SJ_SK_E_clISD_PiSD_S10_EESH_SX_SI_SJ_SK_EUlSX_E_NS1_11comp_targetILNS1_3genE8ELNS1_11target_archE1030ELNS1_3gpuE2ELNS1_3repE0EEENS1_48merge_mergepath_partition_config_static_selectorELNS0_4arch9wavefront6targetE0EEEvSJ_, .Lfunc_end916-_ZN7rocprim17ROCPRIM_400000_NS6detail17trampoline_kernelINS0_14default_configENS1_38merge_sort_block_merge_config_selectorIiiEEZZNS1_27merge_sort_block_merge_implIS3_N6thrust23THRUST_200600_302600_NS6detail15normal_iteratorINS8_10device_ptrIiEEEESD_jNS1_19radix_merge_compareILb1ELb0EiNS0_19identity_decomposerEEEEE10hipError_tT0_T1_T2_jT3_P12ihipStream_tbPNSt15iterator_traitsISI_E10value_typeEPNSO_ISJ_E10value_typeEPSK_NS1_7vsmem_tEENKUlT_SI_SJ_SK_E_clISD_PiSD_S10_EESH_SX_SI_SJ_SK_EUlSX_E_NS1_11comp_targetILNS1_3genE8ELNS1_11target_archE1030ELNS1_3gpuE2ELNS1_3repE0EEENS1_48merge_mergepath_partition_config_static_selectorELNS0_4arch9wavefront6targetE0EEEvSJ_
                                        ; -- End function
	.set _ZN7rocprim17ROCPRIM_400000_NS6detail17trampoline_kernelINS0_14default_configENS1_38merge_sort_block_merge_config_selectorIiiEEZZNS1_27merge_sort_block_merge_implIS3_N6thrust23THRUST_200600_302600_NS6detail15normal_iteratorINS8_10device_ptrIiEEEESD_jNS1_19radix_merge_compareILb1ELb0EiNS0_19identity_decomposerEEEEE10hipError_tT0_T1_T2_jT3_P12ihipStream_tbPNSt15iterator_traitsISI_E10value_typeEPNSO_ISJ_E10value_typeEPSK_NS1_7vsmem_tEENKUlT_SI_SJ_SK_E_clISD_PiSD_S10_EESH_SX_SI_SJ_SK_EUlSX_E_NS1_11comp_targetILNS1_3genE8ELNS1_11target_archE1030ELNS1_3gpuE2ELNS1_3repE0EEENS1_48merge_mergepath_partition_config_static_selectorELNS0_4arch9wavefront6targetE0EEEvSJ_.num_vgpr, 15
	.set _ZN7rocprim17ROCPRIM_400000_NS6detail17trampoline_kernelINS0_14default_configENS1_38merge_sort_block_merge_config_selectorIiiEEZZNS1_27merge_sort_block_merge_implIS3_N6thrust23THRUST_200600_302600_NS6detail15normal_iteratorINS8_10device_ptrIiEEEESD_jNS1_19radix_merge_compareILb1ELb0EiNS0_19identity_decomposerEEEEE10hipError_tT0_T1_T2_jT3_P12ihipStream_tbPNSt15iterator_traitsISI_E10value_typeEPNSO_ISJ_E10value_typeEPSK_NS1_7vsmem_tEENKUlT_SI_SJ_SK_E_clISD_PiSD_S10_EESH_SX_SI_SJ_SK_EUlSX_E_NS1_11comp_targetILNS1_3genE8ELNS1_11target_archE1030ELNS1_3gpuE2ELNS1_3repE0EEENS1_48merge_mergepath_partition_config_static_selectorELNS0_4arch9wavefront6targetE0EEEvSJ_.num_agpr, 0
	.set _ZN7rocprim17ROCPRIM_400000_NS6detail17trampoline_kernelINS0_14default_configENS1_38merge_sort_block_merge_config_selectorIiiEEZZNS1_27merge_sort_block_merge_implIS3_N6thrust23THRUST_200600_302600_NS6detail15normal_iteratorINS8_10device_ptrIiEEEESD_jNS1_19radix_merge_compareILb1ELb0EiNS0_19identity_decomposerEEEEE10hipError_tT0_T1_T2_jT3_P12ihipStream_tbPNSt15iterator_traitsISI_E10value_typeEPNSO_ISJ_E10value_typeEPSK_NS1_7vsmem_tEENKUlT_SI_SJ_SK_E_clISD_PiSD_S10_EESH_SX_SI_SJ_SK_EUlSX_E_NS1_11comp_targetILNS1_3genE8ELNS1_11target_archE1030ELNS1_3gpuE2ELNS1_3repE0EEENS1_48merge_mergepath_partition_config_static_selectorELNS0_4arch9wavefront6targetE0EEEvSJ_.numbered_sgpr, 7
	.set _ZN7rocprim17ROCPRIM_400000_NS6detail17trampoline_kernelINS0_14default_configENS1_38merge_sort_block_merge_config_selectorIiiEEZZNS1_27merge_sort_block_merge_implIS3_N6thrust23THRUST_200600_302600_NS6detail15normal_iteratorINS8_10device_ptrIiEEEESD_jNS1_19radix_merge_compareILb1ELb0EiNS0_19identity_decomposerEEEEE10hipError_tT0_T1_T2_jT3_P12ihipStream_tbPNSt15iterator_traitsISI_E10value_typeEPNSO_ISJ_E10value_typeEPSK_NS1_7vsmem_tEENKUlT_SI_SJ_SK_E_clISD_PiSD_S10_EESH_SX_SI_SJ_SK_EUlSX_E_NS1_11comp_targetILNS1_3genE8ELNS1_11target_archE1030ELNS1_3gpuE2ELNS1_3repE0EEENS1_48merge_mergepath_partition_config_static_selectorELNS0_4arch9wavefront6targetE0EEEvSJ_.num_named_barrier, 0
	.set _ZN7rocprim17ROCPRIM_400000_NS6detail17trampoline_kernelINS0_14default_configENS1_38merge_sort_block_merge_config_selectorIiiEEZZNS1_27merge_sort_block_merge_implIS3_N6thrust23THRUST_200600_302600_NS6detail15normal_iteratorINS8_10device_ptrIiEEEESD_jNS1_19radix_merge_compareILb1ELb0EiNS0_19identity_decomposerEEEEE10hipError_tT0_T1_T2_jT3_P12ihipStream_tbPNSt15iterator_traitsISI_E10value_typeEPNSO_ISJ_E10value_typeEPSK_NS1_7vsmem_tEENKUlT_SI_SJ_SK_E_clISD_PiSD_S10_EESH_SX_SI_SJ_SK_EUlSX_E_NS1_11comp_targetILNS1_3genE8ELNS1_11target_archE1030ELNS1_3gpuE2ELNS1_3repE0EEENS1_48merge_mergepath_partition_config_static_selectorELNS0_4arch9wavefront6targetE0EEEvSJ_.private_seg_size, 0
	.set _ZN7rocprim17ROCPRIM_400000_NS6detail17trampoline_kernelINS0_14default_configENS1_38merge_sort_block_merge_config_selectorIiiEEZZNS1_27merge_sort_block_merge_implIS3_N6thrust23THRUST_200600_302600_NS6detail15normal_iteratorINS8_10device_ptrIiEEEESD_jNS1_19radix_merge_compareILb1ELb0EiNS0_19identity_decomposerEEEEE10hipError_tT0_T1_T2_jT3_P12ihipStream_tbPNSt15iterator_traitsISI_E10value_typeEPNSO_ISJ_E10value_typeEPSK_NS1_7vsmem_tEENKUlT_SI_SJ_SK_E_clISD_PiSD_S10_EESH_SX_SI_SJ_SK_EUlSX_E_NS1_11comp_targetILNS1_3genE8ELNS1_11target_archE1030ELNS1_3gpuE2ELNS1_3repE0EEENS1_48merge_mergepath_partition_config_static_selectorELNS0_4arch9wavefront6targetE0EEEvSJ_.uses_vcc, 1
	.set _ZN7rocprim17ROCPRIM_400000_NS6detail17trampoline_kernelINS0_14default_configENS1_38merge_sort_block_merge_config_selectorIiiEEZZNS1_27merge_sort_block_merge_implIS3_N6thrust23THRUST_200600_302600_NS6detail15normal_iteratorINS8_10device_ptrIiEEEESD_jNS1_19radix_merge_compareILb1ELb0EiNS0_19identity_decomposerEEEEE10hipError_tT0_T1_T2_jT3_P12ihipStream_tbPNSt15iterator_traitsISI_E10value_typeEPNSO_ISJ_E10value_typeEPSK_NS1_7vsmem_tEENKUlT_SI_SJ_SK_E_clISD_PiSD_S10_EESH_SX_SI_SJ_SK_EUlSX_E_NS1_11comp_targetILNS1_3genE8ELNS1_11target_archE1030ELNS1_3gpuE2ELNS1_3repE0EEENS1_48merge_mergepath_partition_config_static_selectorELNS0_4arch9wavefront6targetE0EEEvSJ_.uses_flat_scratch, 1
	.set _ZN7rocprim17ROCPRIM_400000_NS6detail17trampoline_kernelINS0_14default_configENS1_38merge_sort_block_merge_config_selectorIiiEEZZNS1_27merge_sort_block_merge_implIS3_N6thrust23THRUST_200600_302600_NS6detail15normal_iteratorINS8_10device_ptrIiEEEESD_jNS1_19radix_merge_compareILb1ELb0EiNS0_19identity_decomposerEEEEE10hipError_tT0_T1_T2_jT3_P12ihipStream_tbPNSt15iterator_traitsISI_E10value_typeEPNSO_ISJ_E10value_typeEPSK_NS1_7vsmem_tEENKUlT_SI_SJ_SK_E_clISD_PiSD_S10_EESH_SX_SI_SJ_SK_EUlSX_E_NS1_11comp_targetILNS1_3genE8ELNS1_11target_archE1030ELNS1_3gpuE2ELNS1_3repE0EEENS1_48merge_mergepath_partition_config_static_selectorELNS0_4arch9wavefront6targetE0EEEvSJ_.has_dyn_sized_stack, 0
	.set _ZN7rocprim17ROCPRIM_400000_NS6detail17trampoline_kernelINS0_14default_configENS1_38merge_sort_block_merge_config_selectorIiiEEZZNS1_27merge_sort_block_merge_implIS3_N6thrust23THRUST_200600_302600_NS6detail15normal_iteratorINS8_10device_ptrIiEEEESD_jNS1_19radix_merge_compareILb1ELb0EiNS0_19identity_decomposerEEEEE10hipError_tT0_T1_T2_jT3_P12ihipStream_tbPNSt15iterator_traitsISI_E10value_typeEPNSO_ISJ_E10value_typeEPSK_NS1_7vsmem_tEENKUlT_SI_SJ_SK_E_clISD_PiSD_S10_EESH_SX_SI_SJ_SK_EUlSX_E_NS1_11comp_targetILNS1_3genE8ELNS1_11target_archE1030ELNS1_3gpuE2ELNS1_3repE0EEENS1_48merge_mergepath_partition_config_static_selectorELNS0_4arch9wavefront6targetE0EEEvSJ_.has_recursion, 0
	.set _ZN7rocprim17ROCPRIM_400000_NS6detail17trampoline_kernelINS0_14default_configENS1_38merge_sort_block_merge_config_selectorIiiEEZZNS1_27merge_sort_block_merge_implIS3_N6thrust23THRUST_200600_302600_NS6detail15normal_iteratorINS8_10device_ptrIiEEEESD_jNS1_19radix_merge_compareILb1ELb0EiNS0_19identity_decomposerEEEEE10hipError_tT0_T1_T2_jT3_P12ihipStream_tbPNSt15iterator_traitsISI_E10value_typeEPNSO_ISJ_E10value_typeEPSK_NS1_7vsmem_tEENKUlT_SI_SJ_SK_E_clISD_PiSD_S10_EESH_SX_SI_SJ_SK_EUlSX_E_NS1_11comp_targetILNS1_3genE8ELNS1_11target_archE1030ELNS1_3gpuE2ELNS1_3repE0EEENS1_48merge_mergepath_partition_config_static_selectorELNS0_4arch9wavefront6targetE0EEEvSJ_.has_indirect_call, 0
	.section	.AMDGPU.csdata,"",@progbits
; Kernel info:
; codeLenInByte = 436
; TotalNumSgprs: 9
; NumVgprs: 15
; ScratchSize: 0
; MemoryBound: 0
; FloatMode: 240
; IeeeMode: 1
; LDSByteSize: 0 bytes/workgroup (compile time only)
; SGPRBlocks: 0
; VGPRBlocks: 1
; NumSGPRsForWavesPerEU: 9
; NumVGPRsForWavesPerEU: 15
; Occupancy: 16
; WaveLimiterHint : 0
; COMPUTE_PGM_RSRC2:SCRATCH_EN: 0
; COMPUTE_PGM_RSRC2:USER_SGPR: 6
; COMPUTE_PGM_RSRC2:TRAP_HANDLER: 0
; COMPUTE_PGM_RSRC2:TGID_X_EN: 1
; COMPUTE_PGM_RSRC2:TGID_Y_EN: 0
; COMPUTE_PGM_RSRC2:TGID_Z_EN: 0
; COMPUTE_PGM_RSRC2:TIDIG_COMP_CNT: 0
	.section	.text._ZN7rocprim17ROCPRIM_400000_NS6detail17trampoline_kernelINS0_14default_configENS1_38merge_sort_block_merge_config_selectorIiiEEZZNS1_27merge_sort_block_merge_implIS3_N6thrust23THRUST_200600_302600_NS6detail15normal_iteratorINS8_10device_ptrIiEEEESD_jNS1_19radix_merge_compareILb1ELb0EiNS0_19identity_decomposerEEEEE10hipError_tT0_T1_T2_jT3_P12ihipStream_tbPNSt15iterator_traitsISI_E10value_typeEPNSO_ISJ_E10value_typeEPSK_NS1_7vsmem_tEENKUlT_SI_SJ_SK_E_clISD_PiSD_S10_EESH_SX_SI_SJ_SK_EUlSX_E0_NS1_11comp_targetILNS1_3genE0ELNS1_11target_archE4294967295ELNS1_3gpuE0ELNS1_3repE0EEENS1_38merge_mergepath_config_static_selectorELNS0_4arch9wavefront6targetE0EEEvSJ_,"axG",@progbits,_ZN7rocprim17ROCPRIM_400000_NS6detail17trampoline_kernelINS0_14default_configENS1_38merge_sort_block_merge_config_selectorIiiEEZZNS1_27merge_sort_block_merge_implIS3_N6thrust23THRUST_200600_302600_NS6detail15normal_iteratorINS8_10device_ptrIiEEEESD_jNS1_19radix_merge_compareILb1ELb0EiNS0_19identity_decomposerEEEEE10hipError_tT0_T1_T2_jT3_P12ihipStream_tbPNSt15iterator_traitsISI_E10value_typeEPNSO_ISJ_E10value_typeEPSK_NS1_7vsmem_tEENKUlT_SI_SJ_SK_E_clISD_PiSD_S10_EESH_SX_SI_SJ_SK_EUlSX_E0_NS1_11comp_targetILNS1_3genE0ELNS1_11target_archE4294967295ELNS1_3gpuE0ELNS1_3repE0EEENS1_38merge_mergepath_config_static_selectorELNS0_4arch9wavefront6targetE0EEEvSJ_,comdat
	.protected	_ZN7rocprim17ROCPRIM_400000_NS6detail17trampoline_kernelINS0_14default_configENS1_38merge_sort_block_merge_config_selectorIiiEEZZNS1_27merge_sort_block_merge_implIS3_N6thrust23THRUST_200600_302600_NS6detail15normal_iteratorINS8_10device_ptrIiEEEESD_jNS1_19radix_merge_compareILb1ELb0EiNS0_19identity_decomposerEEEEE10hipError_tT0_T1_T2_jT3_P12ihipStream_tbPNSt15iterator_traitsISI_E10value_typeEPNSO_ISJ_E10value_typeEPSK_NS1_7vsmem_tEENKUlT_SI_SJ_SK_E_clISD_PiSD_S10_EESH_SX_SI_SJ_SK_EUlSX_E0_NS1_11comp_targetILNS1_3genE0ELNS1_11target_archE4294967295ELNS1_3gpuE0ELNS1_3repE0EEENS1_38merge_mergepath_config_static_selectorELNS0_4arch9wavefront6targetE0EEEvSJ_ ; -- Begin function _ZN7rocprim17ROCPRIM_400000_NS6detail17trampoline_kernelINS0_14default_configENS1_38merge_sort_block_merge_config_selectorIiiEEZZNS1_27merge_sort_block_merge_implIS3_N6thrust23THRUST_200600_302600_NS6detail15normal_iteratorINS8_10device_ptrIiEEEESD_jNS1_19radix_merge_compareILb1ELb0EiNS0_19identity_decomposerEEEEE10hipError_tT0_T1_T2_jT3_P12ihipStream_tbPNSt15iterator_traitsISI_E10value_typeEPNSO_ISJ_E10value_typeEPSK_NS1_7vsmem_tEENKUlT_SI_SJ_SK_E_clISD_PiSD_S10_EESH_SX_SI_SJ_SK_EUlSX_E0_NS1_11comp_targetILNS1_3genE0ELNS1_11target_archE4294967295ELNS1_3gpuE0ELNS1_3repE0EEENS1_38merge_mergepath_config_static_selectorELNS0_4arch9wavefront6targetE0EEEvSJ_
	.globl	_ZN7rocprim17ROCPRIM_400000_NS6detail17trampoline_kernelINS0_14default_configENS1_38merge_sort_block_merge_config_selectorIiiEEZZNS1_27merge_sort_block_merge_implIS3_N6thrust23THRUST_200600_302600_NS6detail15normal_iteratorINS8_10device_ptrIiEEEESD_jNS1_19radix_merge_compareILb1ELb0EiNS0_19identity_decomposerEEEEE10hipError_tT0_T1_T2_jT3_P12ihipStream_tbPNSt15iterator_traitsISI_E10value_typeEPNSO_ISJ_E10value_typeEPSK_NS1_7vsmem_tEENKUlT_SI_SJ_SK_E_clISD_PiSD_S10_EESH_SX_SI_SJ_SK_EUlSX_E0_NS1_11comp_targetILNS1_3genE0ELNS1_11target_archE4294967295ELNS1_3gpuE0ELNS1_3repE0EEENS1_38merge_mergepath_config_static_selectorELNS0_4arch9wavefront6targetE0EEEvSJ_
	.p2align	8
	.type	_ZN7rocprim17ROCPRIM_400000_NS6detail17trampoline_kernelINS0_14default_configENS1_38merge_sort_block_merge_config_selectorIiiEEZZNS1_27merge_sort_block_merge_implIS3_N6thrust23THRUST_200600_302600_NS6detail15normal_iteratorINS8_10device_ptrIiEEEESD_jNS1_19radix_merge_compareILb1ELb0EiNS0_19identity_decomposerEEEEE10hipError_tT0_T1_T2_jT3_P12ihipStream_tbPNSt15iterator_traitsISI_E10value_typeEPNSO_ISJ_E10value_typeEPSK_NS1_7vsmem_tEENKUlT_SI_SJ_SK_E_clISD_PiSD_S10_EESH_SX_SI_SJ_SK_EUlSX_E0_NS1_11comp_targetILNS1_3genE0ELNS1_11target_archE4294967295ELNS1_3gpuE0ELNS1_3repE0EEENS1_38merge_mergepath_config_static_selectorELNS0_4arch9wavefront6targetE0EEEvSJ_,@function
_ZN7rocprim17ROCPRIM_400000_NS6detail17trampoline_kernelINS0_14default_configENS1_38merge_sort_block_merge_config_selectorIiiEEZZNS1_27merge_sort_block_merge_implIS3_N6thrust23THRUST_200600_302600_NS6detail15normal_iteratorINS8_10device_ptrIiEEEESD_jNS1_19radix_merge_compareILb1ELb0EiNS0_19identity_decomposerEEEEE10hipError_tT0_T1_T2_jT3_P12ihipStream_tbPNSt15iterator_traitsISI_E10value_typeEPNSO_ISJ_E10value_typeEPSK_NS1_7vsmem_tEENKUlT_SI_SJ_SK_E_clISD_PiSD_S10_EESH_SX_SI_SJ_SK_EUlSX_E0_NS1_11comp_targetILNS1_3genE0ELNS1_11target_archE4294967295ELNS1_3gpuE0ELNS1_3repE0EEENS1_38merge_mergepath_config_static_selectorELNS0_4arch9wavefront6targetE0EEEvSJ_: ; @_ZN7rocprim17ROCPRIM_400000_NS6detail17trampoline_kernelINS0_14default_configENS1_38merge_sort_block_merge_config_selectorIiiEEZZNS1_27merge_sort_block_merge_implIS3_N6thrust23THRUST_200600_302600_NS6detail15normal_iteratorINS8_10device_ptrIiEEEESD_jNS1_19radix_merge_compareILb1ELb0EiNS0_19identity_decomposerEEEEE10hipError_tT0_T1_T2_jT3_P12ihipStream_tbPNSt15iterator_traitsISI_E10value_typeEPNSO_ISJ_E10value_typeEPSK_NS1_7vsmem_tEENKUlT_SI_SJ_SK_E_clISD_PiSD_S10_EESH_SX_SI_SJ_SK_EUlSX_E0_NS1_11comp_targetILNS1_3genE0ELNS1_11target_archE4294967295ELNS1_3gpuE0ELNS1_3repE0EEENS1_38merge_mergepath_config_static_selectorELNS0_4arch9wavefront6targetE0EEEvSJ_
; %bb.0:
	.section	.rodata,"a",@progbits
	.p2align	6, 0x0
	.amdhsa_kernel _ZN7rocprim17ROCPRIM_400000_NS6detail17trampoline_kernelINS0_14default_configENS1_38merge_sort_block_merge_config_selectorIiiEEZZNS1_27merge_sort_block_merge_implIS3_N6thrust23THRUST_200600_302600_NS6detail15normal_iteratorINS8_10device_ptrIiEEEESD_jNS1_19radix_merge_compareILb1ELb0EiNS0_19identity_decomposerEEEEE10hipError_tT0_T1_T2_jT3_P12ihipStream_tbPNSt15iterator_traitsISI_E10value_typeEPNSO_ISJ_E10value_typeEPSK_NS1_7vsmem_tEENKUlT_SI_SJ_SK_E_clISD_PiSD_S10_EESH_SX_SI_SJ_SK_EUlSX_E0_NS1_11comp_targetILNS1_3genE0ELNS1_11target_archE4294967295ELNS1_3gpuE0ELNS1_3repE0EEENS1_38merge_mergepath_config_static_selectorELNS0_4arch9wavefront6targetE0EEEvSJ_
		.amdhsa_group_segment_fixed_size 0
		.amdhsa_private_segment_fixed_size 0
		.amdhsa_kernarg_size 64
		.amdhsa_user_sgpr_count 6
		.amdhsa_user_sgpr_private_segment_buffer 1
		.amdhsa_user_sgpr_dispatch_ptr 0
		.amdhsa_user_sgpr_queue_ptr 0
		.amdhsa_user_sgpr_kernarg_segment_ptr 1
		.amdhsa_user_sgpr_dispatch_id 0
		.amdhsa_user_sgpr_flat_scratch_init 0
		.amdhsa_user_sgpr_private_segment_size 0
		.amdhsa_wavefront_size32 1
		.amdhsa_uses_dynamic_stack 0
		.amdhsa_system_sgpr_private_segment_wavefront_offset 0
		.amdhsa_system_sgpr_workgroup_id_x 1
		.amdhsa_system_sgpr_workgroup_id_y 0
		.amdhsa_system_sgpr_workgroup_id_z 0
		.amdhsa_system_sgpr_workgroup_info 0
		.amdhsa_system_vgpr_workitem_id 0
		.amdhsa_next_free_vgpr 1
		.amdhsa_next_free_sgpr 1
		.amdhsa_reserve_vcc 0
		.amdhsa_reserve_flat_scratch 0
		.amdhsa_float_round_mode_32 0
		.amdhsa_float_round_mode_16_64 0
		.amdhsa_float_denorm_mode_32 3
		.amdhsa_float_denorm_mode_16_64 3
		.amdhsa_dx10_clamp 1
		.amdhsa_ieee_mode 1
		.amdhsa_fp16_overflow 0
		.amdhsa_workgroup_processor_mode 1
		.amdhsa_memory_ordered 1
		.amdhsa_forward_progress 1
		.amdhsa_shared_vgpr_count 0
		.amdhsa_exception_fp_ieee_invalid_op 0
		.amdhsa_exception_fp_denorm_src 0
		.amdhsa_exception_fp_ieee_div_zero 0
		.amdhsa_exception_fp_ieee_overflow 0
		.amdhsa_exception_fp_ieee_underflow 0
		.amdhsa_exception_fp_ieee_inexact 0
		.amdhsa_exception_int_div_zero 0
	.end_amdhsa_kernel
	.section	.text._ZN7rocprim17ROCPRIM_400000_NS6detail17trampoline_kernelINS0_14default_configENS1_38merge_sort_block_merge_config_selectorIiiEEZZNS1_27merge_sort_block_merge_implIS3_N6thrust23THRUST_200600_302600_NS6detail15normal_iteratorINS8_10device_ptrIiEEEESD_jNS1_19radix_merge_compareILb1ELb0EiNS0_19identity_decomposerEEEEE10hipError_tT0_T1_T2_jT3_P12ihipStream_tbPNSt15iterator_traitsISI_E10value_typeEPNSO_ISJ_E10value_typeEPSK_NS1_7vsmem_tEENKUlT_SI_SJ_SK_E_clISD_PiSD_S10_EESH_SX_SI_SJ_SK_EUlSX_E0_NS1_11comp_targetILNS1_3genE0ELNS1_11target_archE4294967295ELNS1_3gpuE0ELNS1_3repE0EEENS1_38merge_mergepath_config_static_selectorELNS0_4arch9wavefront6targetE0EEEvSJ_,"axG",@progbits,_ZN7rocprim17ROCPRIM_400000_NS6detail17trampoline_kernelINS0_14default_configENS1_38merge_sort_block_merge_config_selectorIiiEEZZNS1_27merge_sort_block_merge_implIS3_N6thrust23THRUST_200600_302600_NS6detail15normal_iteratorINS8_10device_ptrIiEEEESD_jNS1_19radix_merge_compareILb1ELb0EiNS0_19identity_decomposerEEEEE10hipError_tT0_T1_T2_jT3_P12ihipStream_tbPNSt15iterator_traitsISI_E10value_typeEPNSO_ISJ_E10value_typeEPSK_NS1_7vsmem_tEENKUlT_SI_SJ_SK_E_clISD_PiSD_S10_EESH_SX_SI_SJ_SK_EUlSX_E0_NS1_11comp_targetILNS1_3genE0ELNS1_11target_archE4294967295ELNS1_3gpuE0ELNS1_3repE0EEENS1_38merge_mergepath_config_static_selectorELNS0_4arch9wavefront6targetE0EEEvSJ_,comdat
.Lfunc_end917:
	.size	_ZN7rocprim17ROCPRIM_400000_NS6detail17trampoline_kernelINS0_14default_configENS1_38merge_sort_block_merge_config_selectorIiiEEZZNS1_27merge_sort_block_merge_implIS3_N6thrust23THRUST_200600_302600_NS6detail15normal_iteratorINS8_10device_ptrIiEEEESD_jNS1_19radix_merge_compareILb1ELb0EiNS0_19identity_decomposerEEEEE10hipError_tT0_T1_T2_jT3_P12ihipStream_tbPNSt15iterator_traitsISI_E10value_typeEPNSO_ISJ_E10value_typeEPSK_NS1_7vsmem_tEENKUlT_SI_SJ_SK_E_clISD_PiSD_S10_EESH_SX_SI_SJ_SK_EUlSX_E0_NS1_11comp_targetILNS1_3genE0ELNS1_11target_archE4294967295ELNS1_3gpuE0ELNS1_3repE0EEENS1_38merge_mergepath_config_static_selectorELNS0_4arch9wavefront6targetE0EEEvSJ_, .Lfunc_end917-_ZN7rocprim17ROCPRIM_400000_NS6detail17trampoline_kernelINS0_14default_configENS1_38merge_sort_block_merge_config_selectorIiiEEZZNS1_27merge_sort_block_merge_implIS3_N6thrust23THRUST_200600_302600_NS6detail15normal_iteratorINS8_10device_ptrIiEEEESD_jNS1_19radix_merge_compareILb1ELb0EiNS0_19identity_decomposerEEEEE10hipError_tT0_T1_T2_jT3_P12ihipStream_tbPNSt15iterator_traitsISI_E10value_typeEPNSO_ISJ_E10value_typeEPSK_NS1_7vsmem_tEENKUlT_SI_SJ_SK_E_clISD_PiSD_S10_EESH_SX_SI_SJ_SK_EUlSX_E0_NS1_11comp_targetILNS1_3genE0ELNS1_11target_archE4294967295ELNS1_3gpuE0ELNS1_3repE0EEENS1_38merge_mergepath_config_static_selectorELNS0_4arch9wavefront6targetE0EEEvSJ_
                                        ; -- End function
	.set _ZN7rocprim17ROCPRIM_400000_NS6detail17trampoline_kernelINS0_14default_configENS1_38merge_sort_block_merge_config_selectorIiiEEZZNS1_27merge_sort_block_merge_implIS3_N6thrust23THRUST_200600_302600_NS6detail15normal_iteratorINS8_10device_ptrIiEEEESD_jNS1_19radix_merge_compareILb1ELb0EiNS0_19identity_decomposerEEEEE10hipError_tT0_T1_T2_jT3_P12ihipStream_tbPNSt15iterator_traitsISI_E10value_typeEPNSO_ISJ_E10value_typeEPSK_NS1_7vsmem_tEENKUlT_SI_SJ_SK_E_clISD_PiSD_S10_EESH_SX_SI_SJ_SK_EUlSX_E0_NS1_11comp_targetILNS1_3genE0ELNS1_11target_archE4294967295ELNS1_3gpuE0ELNS1_3repE0EEENS1_38merge_mergepath_config_static_selectorELNS0_4arch9wavefront6targetE0EEEvSJ_.num_vgpr, 0
	.set _ZN7rocprim17ROCPRIM_400000_NS6detail17trampoline_kernelINS0_14default_configENS1_38merge_sort_block_merge_config_selectorIiiEEZZNS1_27merge_sort_block_merge_implIS3_N6thrust23THRUST_200600_302600_NS6detail15normal_iteratorINS8_10device_ptrIiEEEESD_jNS1_19radix_merge_compareILb1ELb0EiNS0_19identity_decomposerEEEEE10hipError_tT0_T1_T2_jT3_P12ihipStream_tbPNSt15iterator_traitsISI_E10value_typeEPNSO_ISJ_E10value_typeEPSK_NS1_7vsmem_tEENKUlT_SI_SJ_SK_E_clISD_PiSD_S10_EESH_SX_SI_SJ_SK_EUlSX_E0_NS1_11comp_targetILNS1_3genE0ELNS1_11target_archE4294967295ELNS1_3gpuE0ELNS1_3repE0EEENS1_38merge_mergepath_config_static_selectorELNS0_4arch9wavefront6targetE0EEEvSJ_.num_agpr, 0
	.set _ZN7rocprim17ROCPRIM_400000_NS6detail17trampoline_kernelINS0_14default_configENS1_38merge_sort_block_merge_config_selectorIiiEEZZNS1_27merge_sort_block_merge_implIS3_N6thrust23THRUST_200600_302600_NS6detail15normal_iteratorINS8_10device_ptrIiEEEESD_jNS1_19radix_merge_compareILb1ELb0EiNS0_19identity_decomposerEEEEE10hipError_tT0_T1_T2_jT3_P12ihipStream_tbPNSt15iterator_traitsISI_E10value_typeEPNSO_ISJ_E10value_typeEPSK_NS1_7vsmem_tEENKUlT_SI_SJ_SK_E_clISD_PiSD_S10_EESH_SX_SI_SJ_SK_EUlSX_E0_NS1_11comp_targetILNS1_3genE0ELNS1_11target_archE4294967295ELNS1_3gpuE0ELNS1_3repE0EEENS1_38merge_mergepath_config_static_selectorELNS0_4arch9wavefront6targetE0EEEvSJ_.numbered_sgpr, 0
	.set _ZN7rocprim17ROCPRIM_400000_NS6detail17trampoline_kernelINS0_14default_configENS1_38merge_sort_block_merge_config_selectorIiiEEZZNS1_27merge_sort_block_merge_implIS3_N6thrust23THRUST_200600_302600_NS6detail15normal_iteratorINS8_10device_ptrIiEEEESD_jNS1_19radix_merge_compareILb1ELb0EiNS0_19identity_decomposerEEEEE10hipError_tT0_T1_T2_jT3_P12ihipStream_tbPNSt15iterator_traitsISI_E10value_typeEPNSO_ISJ_E10value_typeEPSK_NS1_7vsmem_tEENKUlT_SI_SJ_SK_E_clISD_PiSD_S10_EESH_SX_SI_SJ_SK_EUlSX_E0_NS1_11comp_targetILNS1_3genE0ELNS1_11target_archE4294967295ELNS1_3gpuE0ELNS1_3repE0EEENS1_38merge_mergepath_config_static_selectorELNS0_4arch9wavefront6targetE0EEEvSJ_.num_named_barrier, 0
	.set _ZN7rocprim17ROCPRIM_400000_NS6detail17trampoline_kernelINS0_14default_configENS1_38merge_sort_block_merge_config_selectorIiiEEZZNS1_27merge_sort_block_merge_implIS3_N6thrust23THRUST_200600_302600_NS6detail15normal_iteratorINS8_10device_ptrIiEEEESD_jNS1_19radix_merge_compareILb1ELb0EiNS0_19identity_decomposerEEEEE10hipError_tT0_T1_T2_jT3_P12ihipStream_tbPNSt15iterator_traitsISI_E10value_typeEPNSO_ISJ_E10value_typeEPSK_NS1_7vsmem_tEENKUlT_SI_SJ_SK_E_clISD_PiSD_S10_EESH_SX_SI_SJ_SK_EUlSX_E0_NS1_11comp_targetILNS1_3genE0ELNS1_11target_archE4294967295ELNS1_3gpuE0ELNS1_3repE0EEENS1_38merge_mergepath_config_static_selectorELNS0_4arch9wavefront6targetE0EEEvSJ_.private_seg_size, 0
	.set _ZN7rocprim17ROCPRIM_400000_NS6detail17trampoline_kernelINS0_14default_configENS1_38merge_sort_block_merge_config_selectorIiiEEZZNS1_27merge_sort_block_merge_implIS3_N6thrust23THRUST_200600_302600_NS6detail15normal_iteratorINS8_10device_ptrIiEEEESD_jNS1_19radix_merge_compareILb1ELb0EiNS0_19identity_decomposerEEEEE10hipError_tT0_T1_T2_jT3_P12ihipStream_tbPNSt15iterator_traitsISI_E10value_typeEPNSO_ISJ_E10value_typeEPSK_NS1_7vsmem_tEENKUlT_SI_SJ_SK_E_clISD_PiSD_S10_EESH_SX_SI_SJ_SK_EUlSX_E0_NS1_11comp_targetILNS1_3genE0ELNS1_11target_archE4294967295ELNS1_3gpuE0ELNS1_3repE0EEENS1_38merge_mergepath_config_static_selectorELNS0_4arch9wavefront6targetE0EEEvSJ_.uses_vcc, 0
	.set _ZN7rocprim17ROCPRIM_400000_NS6detail17trampoline_kernelINS0_14default_configENS1_38merge_sort_block_merge_config_selectorIiiEEZZNS1_27merge_sort_block_merge_implIS3_N6thrust23THRUST_200600_302600_NS6detail15normal_iteratorINS8_10device_ptrIiEEEESD_jNS1_19radix_merge_compareILb1ELb0EiNS0_19identity_decomposerEEEEE10hipError_tT0_T1_T2_jT3_P12ihipStream_tbPNSt15iterator_traitsISI_E10value_typeEPNSO_ISJ_E10value_typeEPSK_NS1_7vsmem_tEENKUlT_SI_SJ_SK_E_clISD_PiSD_S10_EESH_SX_SI_SJ_SK_EUlSX_E0_NS1_11comp_targetILNS1_3genE0ELNS1_11target_archE4294967295ELNS1_3gpuE0ELNS1_3repE0EEENS1_38merge_mergepath_config_static_selectorELNS0_4arch9wavefront6targetE0EEEvSJ_.uses_flat_scratch, 0
	.set _ZN7rocprim17ROCPRIM_400000_NS6detail17trampoline_kernelINS0_14default_configENS1_38merge_sort_block_merge_config_selectorIiiEEZZNS1_27merge_sort_block_merge_implIS3_N6thrust23THRUST_200600_302600_NS6detail15normal_iteratorINS8_10device_ptrIiEEEESD_jNS1_19radix_merge_compareILb1ELb0EiNS0_19identity_decomposerEEEEE10hipError_tT0_T1_T2_jT3_P12ihipStream_tbPNSt15iterator_traitsISI_E10value_typeEPNSO_ISJ_E10value_typeEPSK_NS1_7vsmem_tEENKUlT_SI_SJ_SK_E_clISD_PiSD_S10_EESH_SX_SI_SJ_SK_EUlSX_E0_NS1_11comp_targetILNS1_3genE0ELNS1_11target_archE4294967295ELNS1_3gpuE0ELNS1_3repE0EEENS1_38merge_mergepath_config_static_selectorELNS0_4arch9wavefront6targetE0EEEvSJ_.has_dyn_sized_stack, 0
	.set _ZN7rocprim17ROCPRIM_400000_NS6detail17trampoline_kernelINS0_14default_configENS1_38merge_sort_block_merge_config_selectorIiiEEZZNS1_27merge_sort_block_merge_implIS3_N6thrust23THRUST_200600_302600_NS6detail15normal_iteratorINS8_10device_ptrIiEEEESD_jNS1_19radix_merge_compareILb1ELb0EiNS0_19identity_decomposerEEEEE10hipError_tT0_T1_T2_jT3_P12ihipStream_tbPNSt15iterator_traitsISI_E10value_typeEPNSO_ISJ_E10value_typeEPSK_NS1_7vsmem_tEENKUlT_SI_SJ_SK_E_clISD_PiSD_S10_EESH_SX_SI_SJ_SK_EUlSX_E0_NS1_11comp_targetILNS1_3genE0ELNS1_11target_archE4294967295ELNS1_3gpuE0ELNS1_3repE0EEENS1_38merge_mergepath_config_static_selectorELNS0_4arch9wavefront6targetE0EEEvSJ_.has_recursion, 0
	.set _ZN7rocprim17ROCPRIM_400000_NS6detail17trampoline_kernelINS0_14default_configENS1_38merge_sort_block_merge_config_selectorIiiEEZZNS1_27merge_sort_block_merge_implIS3_N6thrust23THRUST_200600_302600_NS6detail15normal_iteratorINS8_10device_ptrIiEEEESD_jNS1_19radix_merge_compareILb1ELb0EiNS0_19identity_decomposerEEEEE10hipError_tT0_T1_T2_jT3_P12ihipStream_tbPNSt15iterator_traitsISI_E10value_typeEPNSO_ISJ_E10value_typeEPSK_NS1_7vsmem_tEENKUlT_SI_SJ_SK_E_clISD_PiSD_S10_EESH_SX_SI_SJ_SK_EUlSX_E0_NS1_11comp_targetILNS1_3genE0ELNS1_11target_archE4294967295ELNS1_3gpuE0ELNS1_3repE0EEENS1_38merge_mergepath_config_static_selectorELNS0_4arch9wavefront6targetE0EEEvSJ_.has_indirect_call, 0
	.section	.AMDGPU.csdata,"",@progbits
; Kernel info:
; codeLenInByte = 0
; TotalNumSgprs: 0
; NumVgprs: 0
; ScratchSize: 0
; MemoryBound: 0
; FloatMode: 240
; IeeeMode: 1
; LDSByteSize: 0 bytes/workgroup (compile time only)
; SGPRBlocks: 0
; VGPRBlocks: 0
; NumSGPRsForWavesPerEU: 1
; NumVGPRsForWavesPerEU: 1
; Occupancy: 16
; WaveLimiterHint : 0
; COMPUTE_PGM_RSRC2:SCRATCH_EN: 0
; COMPUTE_PGM_RSRC2:USER_SGPR: 6
; COMPUTE_PGM_RSRC2:TRAP_HANDLER: 0
; COMPUTE_PGM_RSRC2:TGID_X_EN: 1
; COMPUTE_PGM_RSRC2:TGID_Y_EN: 0
; COMPUTE_PGM_RSRC2:TGID_Z_EN: 0
; COMPUTE_PGM_RSRC2:TIDIG_COMP_CNT: 0
	.section	.text._ZN7rocprim17ROCPRIM_400000_NS6detail17trampoline_kernelINS0_14default_configENS1_38merge_sort_block_merge_config_selectorIiiEEZZNS1_27merge_sort_block_merge_implIS3_N6thrust23THRUST_200600_302600_NS6detail15normal_iteratorINS8_10device_ptrIiEEEESD_jNS1_19radix_merge_compareILb1ELb0EiNS0_19identity_decomposerEEEEE10hipError_tT0_T1_T2_jT3_P12ihipStream_tbPNSt15iterator_traitsISI_E10value_typeEPNSO_ISJ_E10value_typeEPSK_NS1_7vsmem_tEENKUlT_SI_SJ_SK_E_clISD_PiSD_S10_EESH_SX_SI_SJ_SK_EUlSX_E0_NS1_11comp_targetILNS1_3genE10ELNS1_11target_archE1201ELNS1_3gpuE5ELNS1_3repE0EEENS1_38merge_mergepath_config_static_selectorELNS0_4arch9wavefront6targetE0EEEvSJ_,"axG",@progbits,_ZN7rocprim17ROCPRIM_400000_NS6detail17trampoline_kernelINS0_14default_configENS1_38merge_sort_block_merge_config_selectorIiiEEZZNS1_27merge_sort_block_merge_implIS3_N6thrust23THRUST_200600_302600_NS6detail15normal_iteratorINS8_10device_ptrIiEEEESD_jNS1_19radix_merge_compareILb1ELb0EiNS0_19identity_decomposerEEEEE10hipError_tT0_T1_T2_jT3_P12ihipStream_tbPNSt15iterator_traitsISI_E10value_typeEPNSO_ISJ_E10value_typeEPSK_NS1_7vsmem_tEENKUlT_SI_SJ_SK_E_clISD_PiSD_S10_EESH_SX_SI_SJ_SK_EUlSX_E0_NS1_11comp_targetILNS1_3genE10ELNS1_11target_archE1201ELNS1_3gpuE5ELNS1_3repE0EEENS1_38merge_mergepath_config_static_selectorELNS0_4arch9wavefront6targetE0EEEvSJ_,comdat
	.protected	_ZN7rocprim17ROCPRIM_400000_NS6detail17trampoline_kernelINS0_14default_configENS1_38merge_sort_block_merge_config_selectorIiiEEZZNS1_27merge_sort_block_merge_implIS3_N6thrust23THRUST_200600_302600_NS6detail15normal_iteratorINS8_10device_ptrIiEEEESD_jNS1_19radix_merge_compareILb1ELb0EiNS0_19identity_decomposerEEEEE10hipError_tT0_T1_T2_jT3_P12ihipStream_tbPNSt15iterator_traitsISI_E10value_typeEPNSO_ISJ_E10value_typeEPSK_NS1_7vsmem_tEENKUlT_SI_SJ_SK_E_clISD_PiSD_S10_EESH_SX_SI_SJ_SK_EUlSX_E0_NS1_11comp_targetILNS1_3genE10ELNS1_11target_archE1201ELNS1_3gpuE5ELNS1_3repE0EEENS1_38merge_mergepath_config_static_selectorELNS0_4arch9wavefront6targetE0EEEvSJ_ ; -- Begin function _ZN7rocprim17ROCPRIM_400000_NS6detail17trampoline_kernelINS0_14default_configENS1_38merge_sort_block_merge_config_selectorIiiEEZZNS1_27merge_sort_block_merge_implIS3_N6thrust23THRUST_200600_302600_NS6detail15normal_iteratorINS8_10device_ptrIiEEEESD_jNS1_19radix_merge_compareILb1ELb0EiNS0_19identity_decomposerEEEEE10hipError_tT0_T1_T2_jT3_P12ihipStream_tbPNSt15iterator_traitsISI_E10value_typeEPNSO_ISJ_E10value_typeEPSK_NS1_7vsmem_tEENKUlT_SI_SJ_SK_E_clISD_PiSD_S10_EESH_SX_SI_SJ_SK_EUlSX_E0_NS1_11comp_targetILNS1_3genE10ELNS1_11target_archE1201ELNS1_3gpuE5ELNS1_3repE0EEENS1_38merge_mergepath_config_static_selectorELNS0_4arch9wavefront6targetE0EEEvSJ_
	.globl	_ZN7rocprim17ROCPRIM_400000_NS6detail17trampoline_kernelINS0_14default_configENS1_38merge_sort_block_merge_config_selectorIiiEEZZNS1_27merge_sort_block_merge_implIS3_N6thrust23THRUST_200600_302600_NS6detail15normal_iteratorINS8_10device_ptrIiEEEESD_jNS1_19radix_merge_compareILb1ELb0EiNS0_19identity_decomposerEEEEE10hipError_tT0_T1_T2_jT3_P12ihipStream_tbPNSt15iterator_traitsISI_E10value_typeEPNSO_ISJ_E10value_typeEPSK_NS1_7vsmem_tEENKUlT_SI_SJ_SK_E_clISD_PiSD_S10_EESH_SX_SI_SJ_SK_EUlSX_E0_NS1_11comp_targetILNS1_3genE10ELNS1_11target_archE1201ELNS1_3gpuE5ELNS1_3repE0EEENS1_38merge_mergepath_config_static_selectorELNS0_4arch9wavefront6targetE0EEEvSJ_
	.p2align	8
	.type	_ZN7rocprim17ROCPRIM_400000_NS6detail17trampoline_kernelINS0_14default_configENS1_38merge_sort_block_merge_config_selectorIiiEEZZNS1_27merge_sort_block_merge_implIS3_N6thrust23THRUST_200600_302600_NS6detail15normal_iteratorINS8_10device_ptrIiEEEESD_jNS1_19radix_merge_compareILb1ELb0EiNS0_19identity_decomposerEEEEE10hipError_tT0_T1_T2_jT3_P12ihipStream_tbPNSt15iterator_traitsISI_E10value_typeEPNSO_ISJ_E10value_typeEPSK_NS1_7vsmem_tEENKUlT_SI_SJ_SK_E_clISD_PiSD_S10_EESH_SX_SI_SJ_SK_EUlSX_E0_NS1_11comp_targetILNS1_3genE10ELNS1_11target_archE1201ELNS1_3gpuE5ELNS1_3repE0EEENS1_38merge_mergepath_config_static_selectorELNS0_4arch9wavefront6targetE0EEEvSJ_,@function
_ZN7rocprim17ROCPRIM_400000_NS6detail17trampoline_kernelINS0_14default_configENS1_38merge_sort_block_merge_config_selectorIiiEEZZNS1_27merge_sort_block_merge_implIS3_N6thrust23THRUST_200600_302600_NS6detail15normal_iteratorINS8_10device_ptrIiEEEESD_jNS1_19radix_merge_compareILb1ELb0EiNS0_19identity_decomposerEEEEE10hipError_tT0_T1_T2_jT3_P12ihipStream_tbPNSt15iterator_traitsISI_E10value_typeEPNSO_ISJ_E10value_typeEPSK_NS1_7vsmem_tEENKUlT_SI_SJ_SK_E_clISD_PiSD_S10_EESH_SX_SI_SJ_SK_EUlSX_E0_NS1_11comp_targetILNS1_3genE10ELNS1_11target_archE1201ELNS1_3gpuE5ELNS1_3repE0EEENS1_38merge_mergepath_config_static_selectorELNS0_4arch9wavefront6targetE0EEEvSJ_: ; @_ZN7rocprim17ROCPRIM_400000_NS6detail17trampoline_kernelINS0_14default_configENS1_38merge_sort_block_merge_config_selectorIiiEEZZNS1_27merge_sort_block_merge_implIS3_N6thrust23THRUST_200600_302600_NS6detail15normal_iteratorINS8_10device_ptrIiEEEESD_jNS1_19radix_merge_compareILb1ELb0EiNS0_19identity_decomposerEEEEE10hipError_tT0_T1_T2_jT3_P12ihipStream_tbPNSt15iterator_traitsISI_E10value_typeEPNSO_ISJ_E10value_typeEPSK_NS1_7vsmem_tEENKUlT_SI_SJ_SK_E_clISD_PiSD_S10_EESH_SX_SI_SJ_SK_EUlSX_E0_NS1_11comp_targetILNS1_3genE10ELNS1_11target_archE1201ELNS1_3gpuE5ELNS1_3repE0EEENS1_38merge_mergepath_config_static_selectorELNS0_4arch9wavefront6targetE0EEEvSJ_
; %bb.0:
	.section	.rodata,"a",@progbits
	.p2align	6, 0x0
	.amdhsa_kernel _ZN7rocprim17ROCPRIM_400000_NS6detail17trampoline_kernelINS0_14default_configENS1_38merge_sort_block_merge_config_selectorIiiEEZZNS1_27merge_sort_block_merge_implIS3_N6thrust23THRUST_200600_302600_NS6detail15normal_iteratorINS8_10device_ptrIiEEEESD_jNS1_19radix_merge_compareILb1ELb0EiNS0_19identity_decomposerEEEEE10hipError_tT0_T1_T2_jT3_P12ihipStream_tbPNSt15iterator_traitsISI_E10value_typeEPNSO_ISJ_E10value_typeEPSK_NS1_7vsmem_tEENKUlT_SI_SJ_SK_E_clISD_PiSD_S10_EESH_SX_SI_SJ_SK_EUlSX_E0_NS1_11comp_targetILNS1_3genE10ELNS1_11target_archE1201ELNS1_3gpuE5ELNS1_3repE0EEENS1_38merge_mergepath_config_static_selectorELNS0_4arch9wavefront6targetE0EEEvSJ_
		.amdhsa_group_segment_fixed_size 0
		.amdhsa_private_segment_fixed_size 0
		.amdhsa_kernarg_size 64
		.amdhsa_user_sgpr_count 6
		.amdhsa_user_sgpr_private_segment_buffer 1
		.amdhsa_user_sgpr_dispatch_ptr 0
		.amdhsa_user_sgpr_queue_ptr 0
		.amdhsa_user_sgpr_kernarg_segment_ptr 1
		.amdhsa_user_sgpr_dispatch_id 0
		.amdhsa_user_sgpr_flat_scratch_init 0
		.amdhsa_user_sgpr_private_segment_size 0
		.amdhsa_wavefront_size32 1
		.amdhsa_uses_dynamic_stack 0
		.amdhsa_system_sgpr_private_segment_wavefront_offset 0
		.amdhsa_system_sgpr_workgroup_id_x 1
		.amdhsa_system_sgpr_workgroup_id_y 0
		.amdhsa_system_sgpr_workgroup_id_z 0
		.amdhsa_system_sgpr_workgroup_info 0
		.amdhsa_system_vgpr_workitem_id 0
		.amdhsa_next_free_vgpr 1
		.amdhsa_next_free_sgpr 1
		.amdhsa_reserve_vcc 0
		.amdhsa_reserve_flat_scratch 0
		.amdhsa_float_round_mode_32 0
		.amdhsa_float_round_mode_16_64 0
		.amdhsa_float_denorm_mode_32 3
		.amdhsa_float_denorm_mode_16_64 3
		.amdhsa_dx10_clamp 1
		.amdhsa_ieee_mode 1
		.amdhsa_fp16_overflow 0
		.amdhsa_workgroup_processor_mode 1
		.amdhsa_memory_ordered 1
		.amdhsa_forward_progress 1
		.amdhsa_shared_vgpr_count 0
		.amdhsa_exception_fp_ieee_invalid_op 0
		.amdhsa_exception_fp_denorm_src 0
		.amdhsa_exception_fp_ieee_div_zero 0
		.amdhsa_exception_fp_ieee_overflow 0
		.amdhsa_exception_fp_ieee_underflow 0
		.amdhsa_exception_fp_ieee_inexact 0
		.amdhsa_exception_int_div_zero 0
	.end_amdhsa_kernel
	.section	.text._ZN7rocprim17ROCPRIM_400000_NS6detail17trampoline_kernelINS0_14default_configENS1_38merge_sort_block_merge_config_selectorIiiEEZZNS1_27merge_sort_block_merge_implIS3_N6thrust23THRUST_200600_302600_NS6detail15normal_iteratorINS8_10device_ptrIiEEEESD_jNS1_19radix_merge_compareILb1ELb0EiNS0_19identity_decomposerEEEEE10hipError_tT0_T1_T2_jT3_P12ihipStream_tbPNSt15iterator_traitsISI_E10value_typeEPNSO_ISJ_E10value_typeEPSK_NS1_7vsmem_tEENKUlT_SI_SJ_SK_E_clISD_PiSD_S10_EESH_SX_SI_SJ_SK_EUlSX_E0_NS1_11comp_targetILNS1_3genE10ELNS1_11target_archE1201ELNS1_3gpuE5ELNS1_3repE0EEENS1_38merge_mergepath_config_static_selectorELNS0_4arch9wavefront6targetE0EEEvSJ_,"axG",@progbits,_ZN7rocprim17ROCPRIM_400000_NS6detail17trampoline_kernelINS0_14default_configENS1_38merge_sort_block_merge_config_selectorIiiEEZZNS1_27merge_sort_block_merge_implIS3_N6thrust23THRUST_200600_302600_NS6detail15normal_iteratorINS8_10device_ptrIiEEEESD_jNS1_19radix_merge_compareILb1ELb0EiNS0_19identity_decomposerEEEEE10hipError_tT0_T1_T2_jT3_P12ihipStream_tbPNSt15iterator_traitsISI_E10value_typeEPNSO_ISJ_E10value_typeEPSK_NS1_7vsmem_tEENKUlT_SI_SJ_SK_E_clISD_PiSD_S10_EESH_SX_SI_SJ_SK_EUlSX_E0_NS1_11comp_targetILNS1_3genE10ELNS1_11target_archE1201ELNS1_3gpuE5ELNS1_3repE0EEENS1_38merge_mergepath_config_static_selectorELNS0_4arch9wavefront6targetE0EEEvSJ_,comdat
.Lfunc_end918:
	.size	_ZN7rocprim17ROCPRIM_400000_NS6detail17trampoline_kernelINS0_14default_configENS1_38merge_sort_block_merge_config_selectorIiiEEZZNS1_27merge_sort_block_merge_implIS3_N6thrust23THRUST_200600_302600_NS6detail15normal_iteratorINS8_10device_ptrIiEEEESD_jNS1_19radix_merge_compareILb1ELb0EiNS0_19identity_decomposerEEEEE10hipError_tT0_T1_T2_jT3_P12ihipStream_tbPNSt15iterator_traitsISI_E10value_typeEPNSO_ISJ_E10value_typeEPSK_NS1_7vsmem_tEENKUlT_SI_SJ_SK_E_clISD_PiSD_S10_EESH_SX_SI_SJ_SK_EUlSX_E0_NS1_11comp_targetILNS1_3genE10ELNS1_11target_archE1201ELNS1_3gpuE5ELNS1_3repE0EEENS1_38merge_mergepath_config_static_selectorELNS0_4arch9wavefront6targetE0EEEvSJ_, .Lfunc_end918-_ZN7rocprim17ROCPRIM_400000_NS6detail17trampoline_kernelINS0_14default_configENS1_38merge_sort_block_merge_config_selectorIiiEEZZNS1_27merge_sort_block_merge_implIS3_N6thrust23THRUST_200600_302600_NS6detail15normal_iteratorINS8_10device_ptrIiEEEESD_jNS1_19radix_merge_compareILb1ELb0EiNS0_19identity_decomposerEEEEE10hipError_tT0_T1_T2_jT3_P12ihipStream_tbPNSt15iterator_traitsISI_E10value_typeEPNSO_ISJ_E10value_typeEPSK_NS1_7vsmem_tEENKUlT_SI_SJ_SK_E_clISD_PiSD_S10_EESH_SX_SI_SJ_SK_EUlSX_E0_NS1_11comp_targetILNS1_3genE10ELNS1_11target_archE1201ELNS1_3gpuE5ELNS1_3repE0EEENS1_38merge_mergepath_config_static_selectorELNS0_4arch9wavefront6targetE0EEEvSJ_
                                        ; -- End function
	.set _ZN7rocprim17ROCPRIM_400000_NS6detail17trampoline_kernelINS0_14default_configENS1_38merge_sort_block_merge_config_selectorIiiEEZZNS1_27merge_sort_block_merge_implIS3_N6thrust23THRUST_200600_302600_NS6detail15normal_iteratorINS8_10device_ptrIiEEEESD_jNS1_19radix_merge_compareILb1ELb0EiNS0_19identity_decomposerEEEEE10hipError_tT0_T1_T2_jT3_P12ihipStream_tbPNSt15iterator_traitsISI_E10value_typeEPNSO_ISJ_E10value_typeEPSK_NS1_7vsmem_tEENKUlT_SI_SJ_SK_E_clISD_PiSD_S10_EESH_SX_SI_SJ_SK_EUlSX_E0_NS1_11comp_targetILNS1_3genE10ELNS1_11target_archE1201ELNS1_3gpuE5ELNS1_3repE0EEENS1_38merge_mergepath_config_static_selectorELNS0_4arch9wavefront6targetE0EEEvSJ_.num_vgpr, 0
	.set _ZN7rocprim17ROCPRIM_400000_NS6detail17trampoline_kernelINS0_14default_configENS1_38merge_sort_block_merge_config_selectorIiiEEZZNS1_27merge_sort_block_merge_implIS3_N6thrust23THRUST_200600_302600_NS6detail15normal_iteratorINS8_10device_ptrIiEEEESD_jNS1_19radix_merge_compareILb1ELb0EiNS0_19identity_decomposerEEEEE10hipError_tT0_T1_T2_jT3_P12ihipStream_tbPNSt15iterator_traitsISI_E10value_typeEPNSO_ISJ_E10value_typeEPSK_NS1_7vsmem_tEENKUlT_SI_SJ_SK_E_clISD_PiSD_S10_EESH_SX_SI_SJ_SK_EUlSX_E0_NS1_11comp_targetILNS1_3genE10ELNS1_11target_archE1201ELNS1_3gpuE5ELNS1_3repE0EEENS1_38merge_mergepath_config_static_selectorELNS0_4arch9wavefront6targetE0EEEvSJ_.num_agpr, 0
	.set _ZN7rocprim17ROCPRIM_400000_NS6detail17trampoline_kernelINS0_14default_configENS1_38merge_sort_block_merge_config_selectorIiiEEZZNS1_27merge_sort_block_merge_implIS3_N6thrust23THRUST_200600_302600_NS6detail15normal_iteratorINS8_10device_ptrIiEEEESD_jNS1_19radix_merge_compareILb1ELb0EiNS0_19identity_decomposerEEEEE10hipError_tT0_T1_T2_jT3_P12ihipStream_tbPNSt15iterator_traitsISI_E10value_typeEPNSO_ISJ_E10value_typeEPSK_NS1_7vsmem_tEENKUlT_SI_SJ_SK_E_clISD_PiSD_S10_EESH_SX_SI_SJ_SK_EUlSX_E0_NS1_11comp_targetILNS1_3genE10ELNS1_11target_archE1201ELNS1_3gpuE5ELNS1_3repE0EEENS1_38merge_mergepath_config_static_selectorELNS0_4arch9wavefront6targetE0EEEvSJ_.numbered_sgpr, 0
	.set _ZN7rocprim17ROCPRIM_400000_NS6detail17trampoline_kernelINS0_14default_configENS1_38merge_sort_block_merge_config_selectorIiiEEZZNS1_27merge_sort_block_merge_implIS3_N6thrust23THRUST_200600_302600_NS6detail15normal_iteratorINS8_10device_ptrIiEEEESD_jNS1_19radix_merge_compareILb1ELb0EiNS0_19identity_decomposerEEEEE10hipError_tT0_T1_T2_jT3_P12ihipStream_tbPNSt15iterator_traitsISI_E10value_typeEPNSO_ISJ_E10value_typeEPSK_NS1_7vsmem_tEENKUlT_SI_SJ_SK_E_clISD_PiSD_S10_EESH_SX_SI_SJ_SK_EUlSX_E0_NS1_11comp_targetILNS1_3genE10ELNS1_11target_archE1201ELNS1_3gpuE5ELNS1_3repE0EEENS1_38merge_mergepath_config_static_selectorELNS0_4arch9wavefront6targetE0EEEvSJ_.num_named_barrier, 0
	.set _ZN7rocprim17ROCPRIM_400000_NS6detail17trampoline_kernelINS0_14default_configENS1_38merge_sort_block_merge_config_selectorIiiEEZZNS1_27merge_sort_block_merge_implIS3_N6thrust23THRUST_200600_302600_NS6detail15normal_iteratorINS8_10device_ptrIiEEEESD_jNS1_19radix_merge_compareILb1ELb0EiNS0_19identity_decomposerEEEEE10hipError_tT0_T1_T2_jT3_P12ihipStream_tbPNSt15iterator_traitsISI_E10value_typeEPNSO_ISJ_E10value_typeEPSK_NS1_7vsmem_tEENKUlT_SI_SJ_SK_E_clISD_PiSD_S10_EESH_SX_SI_SJ_SK_EUlSX_E0_NS1_11comp_targetILNS1_3genE10ELNS1_11target_archE1201ELNS1_3gpuE5ELNS1_3repE0EEENS1_38merge_mergepath_config_static_selectorELNS0_4arch9wavefront6targetE0EEEvSJ_.private_seg_size, 0
	.set _ZN7rocprim17ROCPRIM_400000_NS6detail17trampoline_kernelINS0_14default_configENS1_38merge_sort_block_merge_config_selectorIiiEEZZNS1_27merge_sort_block_merge_implIS3_N6thrust23THRUST_200600_302600_NS6detail15normal_iteratorINS8_10device_ptrIiEEEESD_jNS1_19radix_merge_compareILb1ELb0EiNS0_19identity_decomposerEEEEE10hipError_tT0_T1_T2_jT3_P12ihipStream_tbPNSt15iterator_traitsISI_E10value_typeEPNSO_ISJ_E10value_typeEPSK_NS1_7vsmem_tEENKUlT_SI_SJ_SK_E_clISD_PiSD_S10_EESH_SX_SI_SJ_SK_EUlSX_E0_NS1_11comp_targetILNS1_3genE10ELNS1_11target_archE1201ELNS1_3gpuE5ELNS1_3repE0EEENS1_38merge_mergepath_config_static_selectorELNS0_4arch9wavefront6targetE0EEEvSJ_.uses_vcc, 0
	.set _ZN7rocprim17ROCPRIM_400000_NS6detail17trampoline_kernelINS0_14default_configENS1_38merge_sort_block_merge_config_selectorIiiEEZZNS1_27merge_sort_block_merge_implIS3_N6thrust23THRUST_200600_302600_NS6detail15normal_iteratorINS8_10device_ptrIiEEEESD_jNS1_19radix_merge_compareILb1ELb0EiNS0_19identity_decomposerEEEEE10hipError_tT0_T1_T2_jT3_P12ihipStream_tbPNSt15iterator_traitsISI_E10value_typeEPNSO_ISJ_E10value_typeEPSK_NS1_7vsmem_tEENKUlT_SI_SJ_SK_E_clISD_PiSD_S10_EESH_SX_SI_SJ_SK_EUlSX_E0_NS1_11comp_targetILNS1_3genE10ELNS1_11target_archE1201ELNS1_3gpuE5ELNS1_3repE0EEENS1_38merge_mergepath_config_static_selectorELNS0_4arch9wavefront6targetE0EEEvSJ_.uses_flat_scratch, 0
	.set _ZN7rocprim17ROCPRIM_400000_NS6detail17trampoline_kernelINS0_14default_configENS1_38merge_sort_block_merge_config_selectorIiiEEZZNS1_27merge_sort_block_merge_implIS3_N6thrust23THRUST_200600_302600_NS6detail15normal_iteratorINS8_10device_ptrIiEEEESD_jNS1_19radix_merge_compareILb1ELb0EiNS0_19identity_decomposerEEEEE10hipError_tT0_T1_T2_jT3_P12ihipStream_tbPNSt15iterator_traitsISI_E10value_typeEPNSO_ISJ_E10value_typeEPSK_NS1_7vsmem_tEENKUlT_SI_SJ_SK_E_clISD_PiSD_S10_EESH_SX_SI_SJ_SK_EUlSX_E0_NS1_11comp_targetILNS1_3genE10ELNS1_11target_archE1201ELNS1_3gpuE5ELNS1_3repE0EEENS1_38merge_mergepath_config_static_selectorELNS0_4arch9wavefront6targetE0EEEvSJ_.has_dyn_sized_stack, 0
	.set _ZN7rocprim17ROCPRIM_400000_NS6detail17trampoline_kernelINS0_14default_configENS1_38merge_sort_block_merge_config_selectorIiiEEZZNS1_27merge_sort_block_merge_implIS3_N6thrust23THRUST_200600_302600_NS6detail15normal_iteratorINS8_10device_ptrIiEEEESD_jNS1_19radix_merge_compareILb1ELb0EiNS0_19identity_decomposerEEEEE10hipError_tT0_T1_T2_jT3_P12ihipStream_tbPNSt15iterator_traitsISI_E10value_typeEPNSO_ISJ_E10value_typeEPSK_NS1_7vsmem_tEENKUlT_SI_SJ_SK_E_clISD_PiSD_S10_EESH_SX_SI_SJ_SK_EUlSX_E0_NS1_11comp_targetILNS1_3genE10ELNS1_11target_archE1201ELNS1_3gpuE5ELNS1_3repE0EEENS1_38merge_mergepath_config_static_selectorELNS0_4arch9wavefront6targetE0EEEvSJ_.has_recursion, 0
	.set _ZN7rocprim17ROCPRIM_400000_NS6detail17trampoline_kernelINS0_14default_configENS1_38merge_sort_block_merge_config_selectorIiiEEZZNS1_27merge_sort_block_merge_implIS3_N6thrust23THRUST_200600_302600_NS6detail15normal_iteratorINS8_10device_ptrIiEEEESD_jNS1_19radix_merge_compareILb1ELb0EiNS0_19identity_decomposerEEEEE10hipError_tT0_T1_T2_jT3_P12ihipStream_tbPNSt15iterator_traitsISI_E10value_typeEPNSO_ISJ_E10value_typeEPSK_NS1_7vsmem_tEENKUlT_SI_SJ_SK_E_clISD_PiSD_S10_EESH_SX_SI_SJ_SK_EUlSX_E0_NS1_11comp_targetILNS1_3genE10ELNS1_11target_archE1201ELNS1_3gpuE5ELNS1_3repE0EEENS1_38merge_mergepath_config_static_selectorELNS0_4arch9wavefront6targetE0EEEvSJ_.has_indirect_call, 0
	.section	.AMDGPU.csdata,"",@progbits
; Kernel info:
; codeLenInByte = 0
; TotalNumSgprs: 0
; NumVgprs: 0
; ScratchSize: 0
; MemoryBound: 0
; FloatMode: 240
; IeeeMode: 1
; LDSByteSize: 0 bytes/workgroup (compile time only)
; SGPRBlocks: 0
; VGPRBlocks: 0
; NumSGPRsForWavesPerEU: 1
; NumVGPRsForWavesPerEU: 1
; Occupancy: 16
; WaveLimiterHint : 0
; COMPUTE_PGM_RSRC2:SCRATCH_EN: 0
; COMPUTE_PGM_RSRC2:USER_SGPR: 6
; COMPUTE_PGM_RSRC2:TRAP_HANDLER: 0
; COMPUTE_PGM_RSRC2:TGID_X_EN: 1
; COMPUTE_PGM_RSRC2:TGID_Y_EN: 0
; COMPUTE_PGM_RSRC2:TGID_Z_EN: 0
; COMPUTE_PGM_RSRC2:TIDIG_COMP_CNT: 0
	.section	.text._ZN7rocprim17ROCPRIM_400000_NS6detail17trampoline_kernelINS0_14default_configENS1_38merge_sort_block_merge_config_selectorIiiEEZZNS1_27merge_sort_block_merge_implIS3_N6thrust23THRUST_200600_302600_NS6detail15normal_iteratorINS8_10device_ptrIiEEEESD_jNS1_19radix_merge_compareILb1ELb0EiNS0_19identity_decomposerEEEEE10hipError_tT0_T1_T2_jT3_P12ihipStream_tbPNSt15iterator_traitsISI_E10value_typeEPNSO_ISJ_E10value_typeEPSK_NS1_7vsmem_tEENKUlT_SI_SJ_SK_E_clISD_PiSD_S10_EESH_SX_SI_SJ_SK_EUlSX_E0_NS1_11comp_targetILNS1_3genE5ELNS1_11target_archE942ELNS1_3gpuE9ELNS1_3repE0EEENS1_38merge_mergepath_config_static_selectorELNS0_4arch9wavefront6targetE0EEEvSJ_,"axG",@progbits,_ZN7rocprim17ROCPRIM_400000_NS6detail17trampoline_kernelINS0_14default_configENS1_38merge_sort_block_merge_config_selectorIiiEEZZNS1_27merge_sort_block_merge_implIS3_N6thrust23THRUST_200600_302600_NS6detail15normal_iteratorINS8_10device_ptrIiEEEESD_jNS1_19radix_merge_compareILb1ELb0EiNS0_19identity_decomposerEEEEE10hipError_tT0_T1_T2_jT3_P12ihipStream_tbPNSt15iterator_traitsISI_E10value_typeEPNSO_ISJ_E10value_typeEPSK_NS1_7vsmem_tEENKUlT_SI_SJ_SK_E_clISD_PiSD_S10_EESH_SX_SI_SJ_SK_EUlSX_E0_NS1_11comp_targetILNS1_3genE5ELNS1_11target_archE942ELNS1_3gpuE9ELNS1_3repE0EEENS1_38merge_mergepath_config_static_selectorELNS0_4arch9wavefront6targetE0EEEvSJ_,comdat
	.protected	_ZN7rocprim17ROCPRIM_400000_NS6detail17trampoline_kernelINS0_14default_configENS1_38merge_sort_block_merge_config_selectorIiiEEZZNS1_27merge_sort_block_merge_implIS3_N6thrust23THRUST_200600_302600_NS6detail15normal_iteratorINS8_10device_ptrIiEEEESD_jNS1_19radix_merge_compareILb1ELb0EiNS0_19identity_decomposerEEEEE10hipError_tT0_T1_T2_jT3_P12ihipStream_tbPNSt15iterator_traitsISI_E10value_typeEPNSO_ISJ_E10value_typeEPSK_NS1_7vsmem_tEENKUlT_SI_SJ_SK_E_clISD_PiSD_S10_EESH_SX_SI_SJ_SK_EUlSX_E0_NS1_11comp_targetILNS1_3genE5ELNS1_11target_archE942ELNS1_3gpuE9ELNS1_3repE0EEENS1_38merge_mergepath_config_static_selectorELNS0_4arch9wavefront6targetE0EEEvSJ_ ; -- Begin function _ZN7rocprim17ROCPRIM_400000_NS6detail17trampoline_kernelINS0_14default_configENS1_38merge_sort_block_merge_config_selectorIiiEEZZNS1_27merge_sort_block_merge_implIS3_N6thrust23THRUST_200600_302600_NS6detail15normal_iteratorINS8_10device_ptrIiEEEESD_jNS1_19radix_merge_compareILb1ELb0EiNS0_19identity_decomposerEEEEE10hipError_tT0_T1_T2_jT3_P12ihipStream_tbPNSt15iterator_traitsISI_E10value_typeEPNSO_ISJ_E10value_typeEPSK_NS1_7vsmem_tEENKUlT_SI_SJ_SK_E_clISD_PiSD_S10_EESH_SX_SI_SJ_SK_EUlSX_E0_NS1_11comp_targetILNS1_3genE5ELNS1_11target_archE942ELNS1_3gpuE9ELNS1_3repE0EEENS1_38merge_mergepath_config_static_selectorELNS0_4arch9wavefront6targetE0EEEvSJ_
	.globl	_ZN7rocprim17ROCPRIM_400000_NS6detail17trampoline_kernelINS0_14default_configENS1_38merge_sort_block_merge_config_selectorIiiEEZZNS1_27merge_sort_block_merge_implIS3_N6thrust23THRUST_200600_302600_NS6detail15normal_iteratorINS8_10device_ptrIiEEEESD_jNS1_19radix_merge_compareILb1ELb0EiNS0_19identity_decomposerEEEEE10hipError_tT0_T1_T2_jT3_P12ihipStream_tbPNSt15iterator_traitsISI_E10value_typeEPNSO_ISJ_E10value_typeEPSK_NS1_7vsmem_tEENKUlT_SI_SJ_SK_E_clISD_PiSD_S10_EESH_SX_SI_SJ_SK_EUlSX_E0_NS1_11comp_targetILNS1_3genE5ELNS1_11target_archE942ELNS1_3gpuE9ELNS1_3repE0EEENS1_38merge_mergepath_config_static_selectorELNS0_4arch9wavefront6targetE0EEEvSJ_
	.p2align	8
	.type	_ZN7rocprim17ROCPRIM_400000_NS6detail17trampoline_kernelINS0_14default_configENS1_38merge_sort_block_merge_config_selectorIiiEEZZNS1_27merge_sort_block_merge_implIS3_N6thrust23THRUST_200600_302600_NS6detail15normal_iteratorINS8_10device_ptrIiEEEESD_jNS1_19radix_merge_compareILb1ELb0EiNS0_19identity_decomposerEEEEE10hipError_tT0_T1_T2_jT3_P12ihipStream_tbPNSt15iterator_traitsISI_E10value_typeEPNSO_ISJ_E10value_typeEPSK_NS1_7vsmem_tEENKUlT_SI_SJ_SK_E_clISD_PiSD_S10_EESH_SX_SI_SJ_SK_EUlSX_E0_NS1_11comp_targetILNS1_3genE5ELNS1_11target_archE942ELNS1_3gpuE9ELNS1_3repE0EEENS1_38merge_mergepath_config_static_selectorELNS0_4arch9wavefront6targetE0EEEvSJ_,@function
_ZN7rocprim17ROCPRIM_400000_NS6detail17trampoline_kernelINS0_14default_configENS1_38merge_sort_block_merge_config_selectorIiiEEZZNS1_27merge_sort_block_merge_implIS3_N6thrust23THRUST_200600_302600_NS6detail15normal_iteratorINS8_10device_ptrIiEEEESD_jNS1_19radix_merge_compareILb1ELb0EiNS0_19identity_decomposerEEEEE10hipError_tT0_T1_T2_jT3_P12ihipStream_tbPNSt15iterator_traitsISI_E10value_typeEPNSO_ISJ_E10value_typeEPSK_NS1_7vsmem_tEENKUlT_SI_SJ_SK_E_clISD_PiSD_S10_EESH_SX_SI_SJ_SK_EUlSX_E0_NS1_11comp_targetILNS1_3genE5ELNS1_11target_archE942ELNS1_3gpuE9ELNS1_3repE0EEENS1_38merge_mergepath_config_static_selectorELNS0_4arch9wavefront6targetE0EEEvSJ_: ; @_ZN7rocprim17ROCPRIM_400000_NS6detail17trampoline_kernelINS0_14default_configENS1_38merge_sort_block_merge_config_selectorIiiEEZZNS1_27merge_sort_block_merge_implIS3_N6thrust23THRUST_200600_302600_NS6detail15normal_iteratorINS8_10device_ptrIiEEEESD_jNS1_19radix_merge_compareILb1ELb0EiNS0_19identity_decomposerEEEEE10hipError_tT0_T1_T2_jT3_P12ihipStream_tbPNSt15iterator_traitsISI_E10value_typeEPNSO_ISJ_E10value_typeEPSK_NS1_7vsmem_tEENKUlT_SI_SJ_SK_E_clISD_PiSD_S10_EESH_SX_SI_SJ_SK_EUlSX_E0_NS1_11comp_targetILNS1_3genE5ELNS1_11target_archE942ELNS1_3gpuE9ELNS1_3repE0EEENS1_38merge_mergepath_config_static_selectorELNS0_4arch9wavefront6targetE0EEEvSJ_
; %bb.0:
	.section	.rodata,"a",@progbits
	.p2align	6, 0x0
	.amdhsa_kernel _ZN7rocprim17ROCPRIM_400000_NS6detail17trampoline_kernelINS0_14default_configENS1_38merge_sort_block_merge_config_selectorIiiEEZZNS1_27merge_sort_block_merge_implIS3_N6thrust23THRUST_200600_302600_NS6detail15normal_iteratorINS8_10device_ptrIiEEEESD_jNS1_19radix_merge_compareILb1ELb0EiNS0_19identity_decomposerEEEEE10hipError_tT0_T1_T2_jT3_P12ihipStream_tbPNSt15iterator_traitsISI_E10value_typeEPNSO_ISJ_E10value_typeEPSK_NS1_7vsmem_tEENKUlT_SI_SJ_SK_E_clISD_PiSD_S10_EESH_SX_SI_SJ_SK_EUlSX_E0_NS1_11comp_targetILNS1_3genE5ELNS1_11target_archE942ELNS1_3gpuE9ELNS1_3repE0EEENS1_38merge_mergepath_config_static_selectorELNS0_4arch9wavefront6targetE0EEEvSJ_
		.amdhsa_group_segment_fixed_size 0
		.amdhsa_private_segment_fixed_size 0
		.amdhsa_kernarg_size 64
		.amdhsa_user_sgpr_count 6
		.amdhsa_user_sgpr_private_segment_buffer 1
		.amdhsa_user_sgpr_dispatch_ptr 0
		.amdhsa_user_sgpr_queue_ptr 0
		.amdhsa_user_sgpr_kernarg_segment_ptr 1
		.amdhsa_user_sgpr_dispatch_id 0
		.amdhsa_user_sgpr_flat_scratch_init 0
		.amdhsa_user_sgpr_private_segment_size 0
		.amdhsa_wavefront_size32 1
		.amdhsa_uses_dynamic_stack 0
		.amdhsa_system_sgpr_private_segment_wavefront_offset 0
		.amdhsa_system_sgpr_workgroup_id_x 1
		.amdhsa_system_sgpr_workgroup_id_y 0
		.amdhsa_system_sgpr_workgroup_id_z 0
		.amdhsa_system_sgpr_workgroup_info 0
		.amdhsa_system_vgpr_workitem_id 0
		.amdhsa_next_free_vgpr 1
		.amdhsa_next_free_sgpr 1
		.amdhsa_reserve_vcc 0
		.amdhsa_reserve_flat_scratch 0
		.amdhsa_float_round_mode_32 0
		.amdhsa_float_round_mode_16_64 0
		.amdhsa_float_denorm_mode_32 3
		.amdhsa_float_denorm_mode_16_64 3
		.amdhsa_dx10_clamp 1
		.amdhsa_ieee_mode 1
		.amdhsa_fp16_overflow 0
		.amdhsa_workgroup_processor_mode 1
		.amdhsa_memory_ordered 1
		.amdhsa_forward_progress 1
		.amdhsa_shared_vgpr_count 0
		.amdhsa_exception_fp_ieee_invalid_op 0
		.amdhsa_exception_fp_denorm_src 0
		.amdhsa_exception_fp_ieee_div_zero 0
		.amdhsa_exception_fp_ieee_overflow 0
		.amdhsa_exception_fp_ieee_underflow 0
		.amdhsa_exception_fp_ieee_inexact 0
		.amdhsa_exception_int_div_zero 0
	.end_amdhsa_kernel
	.section	.text._ZN7rocprim17ROCPRIM_400000_NS6detail17trampoline_kernelINS0_14default_configENS1_38merge_sort_block_merge_config_selectorIiiEEZZNS1_27merge_sort_block_merge_implIS3_N6thrust23THRUST_200600_302600_NS6detail15normal_iteratorINS8_10device_ptrIiEEEESD_jNS1_19radix_merge_compareILb1ELb0EiNS0_19identity_decomposerEEEEE10hipError_tT0_T1_T2_jT3_P12ihipStream_tbPNSt15iterator_traitsISI_E10value_typeEPNSO_ISJ_E10value_typeEPSK_NS1_7vsmem_tEENKUlT_SI_SJ_SK_E_clISD_PiSD_S10_EESH_SX_SI_SJ_SK_EUlSX_E0_NS1_11comp_targetILNS1_3genE5ELNS1_11target_archE942ELNS1_3gpuE9ELNS1_3repE0EEENS1_38merge_mergepath_config_static_selectorELNS0_4arch9wavefront6targetE0EEEvSJ_,"axG",@progbits,_ZN7rocprim17ROCPRIM_400000_NS6detail17trampoline_kernelINS0_14default_configENS1_38merge_sort_block_merge_config_selectorIiiEEZZNS1_27merge_sort_block_merge_implIS3_N6thrust23THRUST_200600_302600_NS6detail15normal_iteratorINS8_10device_ptrIiEEEESD_jNS1_19radix_merge_compareILb1ELb0EiNS0_19identity_decomposerEEEEE10hipError_tT0_T1_T2_jT3_P12ihipStream_tbPNSt15iterator_traitsISI_E10value_typeEPNSO_ISJ_E10value_typeEPSK_NS1_7vsmem_tEENKUlT_SI_SJ_SK_E_clISD_PiSD_S10_EESH_SX_SI_SJ_SK_EUlSX_E0_NS1_11comp_targetILNS1_3genE5ELNS1_11target_archE942ELNS1_3gpuE9ELNS1_3repE0EEENS1_38merge_mergepath_config_static_selectorELNS0_4arch9wavefront6targetE0EEEvSJ_,comdat
.Lfunc_end919:
	.size	_ZN7rocprim17ROCPRIM_400000_NS6detail17trampoline_kernelINS0_14default_configENS1_38merge_sort_block_merge_config_selectorIiiEEZZNS1_27merge_sort_block_merge_implIS3_N6thrust23THRUST_200600_302600_NS6detail15normal_iteratorINS8_10device_ptrIiEEEESD_jNS1_19radix_merge_compareILb1ELb0EiNS0_19identity_decomposerEEEEE10hipError_tT0_T1_T2_jT3_P12ihipStream_tbPNSt15iterator_traitsISI_E10value_typeEPNSO_ISJ_E10value_typeEPSK_NS1_7vsmem_tEENKUlT_SI_SJ_SK_E_clISD_PiSD_S10_EESH_SX_SI_SJ_SK_EUlSX_E0_NS1_11comp_targetILNS1_3genE5ELNS1_11target_archE942ELNS1_3gpuE9ELNS1_3repE0EEENS1_38merge_mergepath_config_static_selectorELNS0_4arch9wavefront6targetE0EEEvSJ_, .Lfunc_end919-_ZN7rocprim17ROCPRIM_400000_NS6detail17trampoline_kernelINS0_14default_configENS1_38merge_sort_block_merge_config_selectorIiiEEZZNS1_27merge_sort_block_merge_implIS3_N6thrust23THRUST_200600_302600_NS6detail15normal_iteratorINS8_10device_ptrIiEEEESD_jNS1_19radix_merge_compareILb1ELb0EiNS0_19identity_decomposerEEEEE10hipError_tT0_T1_T2_jT3_P12ihipStream_tbPNSt15iterator_traitsISI_E10value_typeEPNSO_ISJ_E10value_typeEPSK_NS1_7vsmem_tEENKUlT_SI_SJ_SK_E_clISD_PiSD_S10_EESH_SX_SI_SJ_SK_EUlSX_E0_NS1_11comp_targetILNS1_3genE5ELNS1_11target_archE942ELNS1_3gpuE9ELNS1_3repE0EEENS1_38merge_mergepath_config_static_selectorELNS0_4arch9wavefront6targetE0EEEvSJ_
                                        ; -- End function
	.set _ZN7rocprim17ROCPRIM_400000_NS6detail17trampoline_kernelINS0_14default_configENS1_38merge_sort_block_merge_config_selectorIiiEEZZNS1_27merge_sort_block_merge_implIS3_N6thrust23THRUST_200600_302600_NS6detail15normal_iteratorINS8_10device_ptrIiEEEESD_jNS1_19radix_merge_compareILb1ELb0EiNS0_19identity_decomposerEEEEE10hipError_tT0_T1_T2_jT3_P12ihipStream_tbPNSt15iterator_traitsISI_E10value_typeEPNSO_ISJ_E10value_typeEPSK_NS1_7vsmem_tEENKUlT_SI_SJ_SK_E_clISD_PiSD_S10_EESH_SX_SI_SJ_SK_EUlSX_E0_NS1_11comp_targetILNS1_3genE5ELNS1_11target_archE942ELNS1_3gpuE9ELNS1_3repE0EEENS1_38merge_mergepath_config_static_selectorELNS0_4arch9wavefront6targetE0EEEvSJ_.num_vgpr, 0
	.set _ZN7rocprim17ROCPRIM_400000_NS6detail17trampoline_kernelINS0_14default_configENS1_38merge_sort_block_merge_config_selectorIiiEEZZNS1_27merge_sort_block_merge_implIS3_N6thrust23THRUST_200600_302600_NS6detail15normal_iteratorINS8_10device_ptrIiEEEESD_jNS1_19radix_merge_compareILb1ELb0EiNS0_19identity_decomposerEEEEE10hipError_tT0_T1_T2_jT3_P12ihipStream_tbPNSt15iterator_traitsISI_E10value_typeEPNSO_ISJ_E10value_typeEPSK_NS1_7vsmem_tEENKUlT_SI_SJ_SK_E_clISD_PiSD_S10_EESH_SX_SI_SJ_SK_EUlSX_E0_NS1_11comp_targetILNS1_3genE5ELNS1_11target_archE942ELNS1_3gpuE9ELNS1_3repE0EEENS1_38merge_mergepath_config_static_selectorELNS0_4arch9wavefront6targetE0EEEvSJ_.num_agpr, 0
	.set _ZN7rocprim17ROCPRIM_400000_NS6detail17trampoline_kernelINS0_14default_configENS1_38merge_sort_block_merge_config_selectorIiiEEZZNS1_27merge_sort_block_merge_implIS3_N6thrust23THRUST_200600_302600_NS6detail15normal_iteratorINS8_10device_ptrIiEEEESD_jNS1_19radix_merge_compareILb1ELb0EiNS0_19identity_decomposerEEEEE10hipError_tT0_T1_T2_jT3_P12ihipStream_tbPNSt15iterator_traitsISI_E10value_typeEPNSO_ISJ_E10value_typeEPSK_NS1_7vsmem_tEENKUlT_SI_SJ_SK_E_clISD_PiSD_S10_EESH_SX_SI_SJ_SK_EUlSX_E0_NS1_11comp_targetILNS1_3genE5ELNS1_11target_archE942ELNS1_3gpuE9ELNS1_3repE0EEENS1_38merge_mergepath_config_static_selectorELNS0_4arch9wavefront6targetE0EEEvSJ_.numbered_sgpr, 0
	.set _ZN7rocprim17ROCPRIM_400000_NS6detail17trampoline_kernelINS0_14default_configENS1_38merge_sort_block_merge_config_selectorIiiEEZZNS1_27merge_sort_block_merge_implIS3_N6thrust23THRUST_200600_302600_NS6detail15normal_iteratorINS8_10device_ptrIiEEEESD_jNS1_19radix_merge_compareILb1ELb0EiNS0_19identity_decomposerEEEEE10hipError_tT0_T1_T2_jT3_P12ihipStream_tbPNSt15iterator_traitsISI_E10value_typeEPNSO_ISJ_E10value_typeEPSK_NS1_7vsmem_tEENKUlT_SI_SJ_SK_E_clISD_PiSD_S10_EESH_SX_SI_SJ_SK_EUlSX_E0_NS1_11comp_targetILNS1_3genE5ELNS1_11target_archE942ELNS1_3gpuE9ELNS1_3repE0EEENS1_38merge_mergepath_config_static_selectorELNS0_4arch9wavefront6targetE0EEEvSJ_.num_named_barrier, 0
	.set _ZN7rocprim17ROCPRIM_400000_NS6detail17trampoline_kernelINS0_14default_configENS1_38merge_sort_block_merge_config_selectorIiiEEZZNS1_27merge_sort_block_merge_implIS3_N6thrust23THRUST_200600_302600_NS6detail15normal_iteratorINS8_10device_ptrIiEEEESD_jNS1_19radix_merge_compareILb1ELb0EiNS0_19identity_decomposerEEEEE10hipError_tT0_T1_T2_jT3_P12ihipStream_tbPNSt15iterator_traitsISI_E10value_typeEPNSO_ISJ_E10value_typeEPSK_NS1_7vsmem_tEENKUlT_SI_SJ_SK_E_clISD_PiSD_S10_EESH_SX_SI_SJ_SK_EUlSX_E0_NS1_11comp_targetILNS1_3genE5ELNS1_11target_archE942ELNS1_3gpuE9ELNS1_3repE0EEENS1_38merge_mergepath_config_static_selectorELNS0_4arch9wavefront6targetE0EEEvSJ_.private_seg_size, 0
	.set _ZN7rocprim17ROCPRIM_400000_NS6detail17trampoline_kernelINS0_14default_configENS1_38merge_sort_block_merge_config_selectorIiiEEZZNS1_27merge_sort_block_merge_implIS3_N6thrust23THRUST_200600_302600_NS6detail15normal_iteratorINS8_10device_ptrIiEEEESD_jNS1_19radix_merge_compareILb1ELb0EiNS0_19identity_decomposerEEEEE10hipError_tT0_T1_T2_jT3_P12ihipStream_tbPNSt15iterator_traitsISI_E10value_typeEPNSO_ISJ_E10value_typeEPSK_NS1_7vsmem_tEENKUlT_SI_SJ_SK_E_clISD_PiSD_S10_EESH_SX_SI_SJ_SK_EUlSX_E0_NS1_11comp_targetILNS1_3genE5ELNS1_11target_archE942ELNS1_3gpuE9ELNS1_3repE0EEENS1_38merge_mergepath_config_static_selectorELNS0_4arch9wavefront6targetE0EEEvSJ_.uses_vcc, 0
	.set _ZN7rocprim17ROCPRIM_400000_NS6detail17trampoline_kernelINS0_14default_configENS1_38merge_sort_block_merge_config_selectorIiiEEZZNS1_27merge_sort_block_merge_implIS3_N6thrust23THRUST_200600_302600_NS6detail15normal_iteratorINS8_10device_ptrIiEEEESD_jNS1_19radix_merge_compareILb1ELb0EiNS0_19identity_decomposerEEEEE10hipError_tT0_T1_T2_jT3_P12ihipStream_tbPNSt15iterator_traitsISI_E10value_typeEPNSO_ISJ_E10value_typeEPSK_NS1_7vsmem_tEENKUlT_SI_SJ_SK_E_clISD_PiSD_S10_EESH_SX_SI_SJ_SK_EUlSX_E0_NS1_11comp_targetILNS1_3genE5ELNS1_11target_archE942ELNS1_3gpuE9ELNS1_3repE0EEENS1_38merge_mergepath_config_static_selectorELNS0_4arch9wavefront6targetE0EEEvSJ_.uses_flat_scratch, 0
	.set _ZN7rocprim17ROCPRIM_400000_NS6detail17trampoline_kernelINS0_14default_configENS1_38merge_sort_block_merge_config_selectorIiiEEZZNS1_27merge_sort_block_merge_implIS3_N6thrust23THRUST_200600_302600_NS6detail15normal_iteratorINS8_10device_ptrIiEEEESD_jNS1_19radix_merge_compareILb1ELb0EiNS0_19identity_decomposerEEEEE10hipError_tT0_T1_T2_jT3_P12ihipStream_tbPNSt15iterator_traitsISI_E10value_typeEPNSO_ISJ_E10value_typeEPSK_NS1_7vsmem_tEENKUlT_SI_SJ_SK_E_clISD_PiSD_S10_EESH_SX_SI_SJ_SK_EUlSX_E0_NS1_11comp_targetILNS1_3genE5ELNS1_11target_archE942ELNS1_3gpuE9ELNS1_3repE0EEENS1_38merge_mergepath_config_static_selectorELNS0_4arch9wavefront6targetE0EEEvSJ_.has_dyn_sized_stack, 0
	.set _ZN7rocprim17ROCPRIM_400000_NS6detail17trampoline_kernelINS0_14default_configENS1_38merge_sort_block_merge_config_selectorIiiEEZZNS1_27merge_sort_block_merge_implIS3_N6thrust23THRUST_200600_302600_NS6detail15normal_iteratorINS8_10device_ptrIiEEEESD_jNS1_19radix_merge_compareILb1ELb0EiNS0_19identity_decomposerEEEEE10hipError_tT0_T1_T2_jT3_P12ihipStream_tbPNSt15iterator_traitsISI_E10value_typeEPNSO_ISJ_E10value_typeEPSK_NS1_7vsmem_tEENKUlT_SI_SJ_SK_E_clISD_PiSD_S10_EESH_SX_SI_SJ_SK_EUlSX_E0_NS1_11comp_targetILNS1_3genE5ELNS1_11target_archE942ELNS1_3gpuE9ELNS1_3repE0EEENS1_38merge_mergepath_config_static_selectorELNS0_4arch9wavefront6targetE0EEEvSJ_.has_recursion, 0
	.set _ZN7rocprim17ROCPRIM_400000_NS6detail17trampoline_kernelINS0_14default_configENS1_38merge_sort_block_merge_config_selectorIiiEEZZNS1_27merge_sort_block_merge_implIS3_N6thrust23THRUST_200600_302600_NS6detail15normal_iteratorINS8_10device_ptrIiEEEESD_jNS1_19radix_merge_compareILb1ELb0EiNS0_19identity_decomposerEEEEE10hipError_tT0_T1_T2_jT3_P12ihipStream_tbPNSt15iterator_traitsISI_E10value_typeEPNSO_ISJ_E10value_typeEPSK_NS1_7vsmem_tEENKUlT_SI_SJ_SK_E_clISD_PiSD_S10_EESH_SX_SI_SJ_SK_EUlSX_E0_NS1_11comp_targetILNS1_3genE5ELNS1_11target_archE942ELNS1_3gpuE9ELNS1_3repE0EEENS1_38merge_mergepath_config_static_selectorELNS0_4arch9wavefront6targetE0EEEvSJ_.has_indirect_call, 0
	.section	.AMDGPU.csdata,"",@progbits
; Kernel info:
; codeLenInByte = 0
; TotalNumSgprs: 0
; NumVgprs: 0
; ScratchSize: 0
; MemoryBound: 0
; FloatMode: 240
; IeeeMode: 1
; LDSByteSize: 0 bytes/workgroup (compile time only)
; SGPRBlocks: 0
; VGPRBlocks: 0
; NumSGPRsForWavesPerEU: 1
; NumVGPRsForWavesPerEU: 1
; Occupancy: 16
; WaveLimiterHint : 0
; COMPUTE_PGM_RSRC2:SCRATCH_EN: 0
; COMPUTE_PGM_RSRC2:USER_SGPR: 6
; COMPUTE_PGM_RSRC2:TRAP_HANDLER: 0
; COMPUTE_PGM_RSRC2:TGID_X_EN: 1
; COMPUTE_PGM_RSRC2:TGID_Y_EN: 0
; COMPUTE_PGM_RSRC2:TGID_Z_EN: 0
; COMPUTE_PGM_RSRC2:TIDIG_COMP_CNT: 0
	.section	.text._ZN7rocprim17ROCPRIM_400000_NS6detail17trampoline_kernelINS0_14default_configENS1_38merge_sort_block_merge_config_selectorIiiEEZZNS1_27merge_sort_block_merge_implIS3_N6thrust23THRUST_200600_302600_NS6detail15normal_iteratorINS8_10device_ptrIiEEEESD_jNS1_19radix_merge_compareILb1ELb0EiNS0_19identity_decomposerEEEEE10hipError_tT0_T1_T2_jT3_P12ihipStream_tbPNSt15iterator_traitsISI_E10value_typeEPNSO_ISJ_E10value_typeEPSK_NS1_7vsmem_tEENKUlT_SI_SJ_SK_E_clISD_PiSD_S10_EESH_SX_SI_SJ_SK_EUlSX_E0_NS1_11comp_targetILNS1_3genE4ELNS1_11target_archE910ELNS1_3gpuE8ELNS1_3repE0EEENS1_38merge_mergepath_config_static_selectorELNS0_4arch9wavefront6targetE0EEEvSJ_,"axG",@progbits,_ZN7rocprim17ROCPRIM_400000_NS6detail17trampoline_kernelINS0_14default_configENS1_38merge_sort_block_merge_config_selectorIiiEEZZNS1_27merge_sort_block_merge_implIS3_N6thrust23THRUST_200600_302600_NS6detail15normal_iteratorINS8_10device_ptrIiEEEESD_jNS1_19radix_merge_compareILb1ELb0EiNS0_19identity_decomposerEEEEE10hipError_tT0_T1_T2_jT3_P12ihipStream_tbPNSt15iterator_traitsISI_E10value_typeEPNSO_ISJ_E10value_typeEPSK_NS1_7vsmem_tEENKUlT_SI_SJ_SK_E_clISD_PiSD_S10_EESH_SX_SI_SJ_SK_EUlSX_E0_NS1_11comp_targetILNS1_3genE4ELNS1_11target_archE910ELNS1_3gpuE8ELNS1_3repE0EEENS1_38merge_mergepath_config_static_selectorELNS0_4arch9wavefront6targetE0EEEvSJ_,comdat
	.protected	_ZN7rocprim17ROCPRIM_400000_NS6detail17trampoline_kernelINS0_14default_configENS1_38merge_sort_block_merge_config_selectorIiiEEZZNS1_27merge_sort_block_merge_implIS3_N6thrust23THRUST_200600_302600_NS6detail15normal_iteratorINS8_10device_ptrIiEEEESD_jNS1_19radix_merge_compareILb1ELb0EiNS0_19identity_decomposerEEEEE10hipError_tT0_T1_T2_jT3_P12ihipStream_tbPNSt15iterator_traitsISI_E10value_typeEPNSO_ISJ_E10value_typeEPSK_NS1_7vsmem_tEENKUlT_SI_SJ_SK_E_clISD_PiSD_S10_EESH_SX_SI_SJ_SK_EUlSX_E0_NS1_11comp_targetILNS1_3genE4ELNS1_11target_archE910ELNS1_3gpuE8ELNS1_3repE0EEENS1_38merge_mergepath_config_static_selectorELNS0_4arch9wavefront6targetE0EEEvSJ_ ; -- Begin function _ZN7rocprim17ROCPRIM_400000_NS6detail17trampoline_kernelINS0_14default_configENS1_38merge_sort_block_merge_config_selectorIiiEEZZNS1_27merge_sort_block_merge_implIS3_N6thrust23THRUST_200600_302600_NS6detail15normal_iteratorINS8_10device_ptrIiEEEESD_jNS1_19radix_merge_compareILb1ELb0EiNS0_19identity_decomposerEEEEE10hipError_tT0_T1_T2_jT3_P12ihipStream_tbPNSt15iterator_traitsISI_E10value_typeEPNSO_ISJ_E10value_typeEPSK_NS1_7vsmem_tEENKUlT_SI_SJ_SK_E_clISD_PiSD_S10_EESH_SX_SI_SJ_SK_EUlSX_E0_NS1_11comp_targetILNS1_3genE4ELNS1_11target_archE910ELNS1_3gpuE8ELNS1_3repE0EEENS1_38merge_mergepath_config_static_selectorELNS0_4arch9wavefront6targetE0EEEvSJ_
	.globl	_ZN7rocprim17ROCPRIM_400000_NS6detail17trampoline_kernelINS0_14default_configENS1_38merge_sort_block_merge_config_selectorIiiEEZZNS1_27merge_sort_block_merge_implIS3_N6thrust23THRUST_200600_302600_NS6detail15normal_iteratorINS8_10device_ptrIiEEEESD_jNS1_19radix_merge_compareILb1ELb0EiNS0_19identity_decomposerEEEEE10hipError_tT0_T1_T2_jT3_P12ihipStream_tbPNSt15iterator_traitsISI_E10value_typeEPNSO_ISJ_E10value_typeEPSK_NS1_7vsmem_tEENKUlT_SI_SJ_SK_E_clISD_PiSD_S10_EESH_SX_SI_SJ_SK_EUlSX_E0_NS1_11comp_targetILNS1_3genE4ELNS1_11target_archE910ELNS1_3gpuE8ELNS1_3repE0EEENS1_38merge_mergepath_config_static_selectorELNS0_4arch9wavefront6targetE0EEEvSJ_
	.p2align	8
	.type	_ZN7rocprim17ROCPRIM_400000_NS6detail17trampoline_kernelINS0_14default_configENS1_38merge_sort_block_merge_config_selectorIiiEEZZNS1_27merge_sort_block_merge_implIS3_N6thrust23THRUST_200600_302600_NS6detail15normal_iteratorINS8_10device_ptrIiEEEESD_jNS1_19radix_merge_compareILb1ELb0EiNS0_19identity_decomposerEEEEE10hipError_tT0_T1_T2_jT3_P12ihipStream_tbPNSt15iterator_traitsISI_E10value_typeEPNSO_ISJ_E10value_typeEPSK_NS1_7vsmem_tEENKUlT_SI_SJ_SK_E_clISD_PiSD_S10_EESH_SX_SI_SJ_SK_EUlSX_E0_NS1_11comp_targetILNS1_3genE4ELNS1_11target_archE910ELNS1_3gpuE8ELNS1_3repE0EEENS1_38merge_mergepath_config_static_selectorELNS0_4arch9wavefront6targetE0EEEvSJ_,@function
_ZN7rocprim17ROCPRIM_400000_NS6detail17trampoline_kernelINS0_14default_configENS1_38merge_sort_block_merge_config_selectorIiiEEZZNS1_27merge_sort_block_merge_implIS3_N6thrust23THRUST_200600_302600_NS6detail15normal_iteratorINS8_10device_ptrIiEEEESD_jNS1_19radix_merge_compareILb1ELb0EiNS0_19identity_decomposerEEEEE10hipError_tT0_T1_T2_jT3_P12ihipStream_tbPNSt15iterator_traitsISI_E10value_typeEPNSO_ISJ_E10value_typeEPSK_NS1_7vsmem_tEENKUlT_SI_SJ_SK_E_clISD_PiSD_S10_EESH_SX_SI_SJ_SK_EUlSX_E0_NS1_11comp_targetILNS1_3genE4ELNS1_11target_archE910ELNS1_3gpuE8ELNS1_3repE0EEENS1_38merge_mergepath_config_static_selectorELNS0_4arch9wavefront6targetE0EEEvSJ_: ; @_ZN7rocprim17ROCPRIM_400000_NS6detail17trampoline_kernelINS0_14default_configENS1_38merge_sort_block_merge_config_selectorIiiEEZZNS1_27merge_sort_block_merge_implIS3_N6thrust23THRUST_200600_302600_NS6detail15normal_iteratorINS8_10device_ptrIiEEEESD_jNS1_19radix_merge_compareILb1ELb0EiNS0_19identity_decomposerEEEEE10hipError_tT0_T1_T2_jT3_P12ihipStream_tbPNSt15iterator_traitsISI_E10value_typeEPNSO_ISJ_E10value_typeEPSK_NS1_7vsmem_tEENKUlT_SI_SJ_SK_E_clISD_PiSD_S10_EESH_SX_SI_SJ_SK_EUlSX_E0_NS1_11comp_targetILNS1_3genE4ELNS1_11target_archE910ELNS1_3gpuE8ELNS1_3repE0EEENS1_38merge_mergepath_config_static_selectorELNS0_4arch9wavefront6targetE0EEEvSJ_
; %bb.0:
	.section	.rodata,"a",@progbits
	.p2align	6, 0x0
	.amdhsa_kernel _ZN7rocprim17ROCPRIM_400000_NS6detail17trampoline_kernelINS0_14default_configENS1_38merge_sort_block_merge_config_selectorIiiEEZZNS1_27merge_sort_block_merge_implIS3_N6thrust23THRUST_200600_302600_NS6detail15normal_iteratorINS8_10device_ptrIiEEEESD_jNS1_19radix_merge_compareILb1ELb0EiNS0_19identity_decomposerEEEEE10hipError_tT0_T1_T2_jT3_P12ihipStream_tbPNSt15iterator_traitsISI_E10value_typeEPNSO_ISJ_E10value_typeEPSK_NS1_7vsmem_tEENKUlT_SI_SJ_SK_E_clISD_PiSD_S10_EESH_SX_SI_SJ_SK_EUlSX_E0_NS1_11comp_targetILNS1_3genE4ELNS1_11target_archE910ELNS1_3gpuE8ELNS1_3repE0EEENS1_38merge_mergepath_config_static_selectorELNS0_4arch9wavefront6targetE0EEEvSJ_
		.amdhsa_group_segment_fixed_size 0
		.amdhsa_private_segment_fixed_size 0
		.amdhsa_kernarg_size 64
		.amdhsa_user_sgpr_count 6
		.amdhsa_user_sgpr_private_segment_buffer 1
		.amdhsa_user_sgpr_dispatch_ptr 0
		.amdhsa_user_sgpr_queue_ptr 0
		.amdhsa_user_sgpr_kernarg_segment_ptr 1
		.amdhsa_user_sgpr_dispatch_id 0
		.amdhsa_user_sgpr_flat_scratch_init 0
		.amdhsa_user_sgpr_private_segment_size 0
		.amdhsa_wavefront_size32 1
		.amdhsa_uses_dynamic_stack 0
		.amdhsa_system_sgpr_private_segment_wavefront_offset 0
		.amdhsa_system_sgpr_workgroup_id_x 1
		.amdhsa_system_sgpr_workgroup_id_y 0
		.amdhsa_system_sgpr_workgroup_id_z 0
		.amdhsa_system_sgpr_workgroup_info 0
		.amdhsa_system_vgpr_workitem_id 0
		.amdhsa_next_free_vgpr 1
		.amdhsa_next_free_sgpr 1
		.amdhsa_reserve_vcc 0
		.amdhsa_reserve_flat_scratch 0
		.amdhsa_float_round_mode_32 0
		.amdhsa_float_round_mode_16_64 0
		.amdhsa_float_denorm_mode_32 3
		.amdhsa_float_denorm_mode_16_64 3
		.amdhsa_dx10_clamp 1
		.amdhsa_ieee_mode 1
		.amdhsa_fp16_overflow 0
		.amdhsa_workgroup_processor_mode 1
		.amdhsa_memory_ordered 1
		.amdhsa_forward_progress 1
		.amdhsa_shared_vgpr_count 0
		.amdhsa_exception_fp_ieee_invalid_op 0
		.amdhsa_exception_fp_denorm_src 0
		.amdhsa_exception_fp_ieee_div_zero 0
		.amdhsa_exception_fp_ieee_overflow 0
		.amdhsa_exception_fp_ieee_underflow 0
		.amdhsa_exception_fp_ieee_inexact 0
		.amdhsa_exception_int_div_zero 0
	.end_amdhsa_kernel
	.section	.text._ZN7rocprim17ROCPRIM_400000_NS6detail17trampoline_kernelINS0_14default_configENS1_38merge_sort_block_merge_config_selectorIiiEEZZNS1_27merge_sort_block_merge_implIS3_N6thrust23THRUST_200600_302600_NS6detail15normal_iteratorINS8_10device_ptrIiEEEESD_jNS1_19radix_merge_compareILb1ELb0EiNS0_19identity_decomposerEEEEE10hipError_tT0_T1_T2_jT3_P12ihipStream_tbPNSt15iterator_traitsISI_E10value_typeEPNSO_ISJ_E10value_typeEPSK_NS1_7vsmem_tEENKUlT_SI_SJ_SK_E_clISD_PiSD_S10_EESH_SX_SI_SJ_SK_EUlSX_E0_NS1_11comp_targetILNS1_3genE4ELNS1_11target_archE910ELNS1_3gpuE8ELNS1_3repE0EEENS1_38merge_mergepath_config_static_selectorELNS0_4arch9wavefront6targetE0EEEvSJ_,"axG",@progbits,_ZN7rocprim17ROCPRIM_400000_NS6detail17trampoline_kernelINS0_14default_configENS1_38merge_sort_block_merge_config_selectorIiiEEZZNS1_27merge_sort_block_merge_implIS3_N6thrust23THRUST_200600_302600_NS6detail15normal_iteratorINS8_10device_ptrIiEEEESD_jNS1_19radix_merge_compareILb1ELb0EiNS0_19identity_decomposerEEEEE10hipError_tT0_T1_T2_jT3_P12ihipStream_tbPNSt15iterator_traitsISI_E10value_typeEPNSO_ISJ_E10value_typeEPSK_NS1_7vsmem_tEENKUlT_SI_SJ_SK_E_clISD_PiSD_S10_EESH_SX_SI_SJ_SK_EUlSX_E0_NS1_11comp_targetILNS1_3genE4ELNS1_11target_archE910ELNS1_3gpuE8ELNS1_3repE0EEENS1_38merge_mergepath_config_static_selectorELNS0_4arch9wavefront6targetE0EEEvSJ_,comdat
.Lfunc_end920:
	.size	_ZN7rocprim17ROCPRIM_400000_NS6detail17trampoline_kernelINS0_14default_configENS1_38merge_sort_block_merge_config_selectorIiiEEZZNS1_27merge_sort_block_merge_implIS3_N6thrust23THRUST_200600_302600_NS6detail15normal_iteratorINS8_10device_ptrIiEEEESD_jNS1_19radix_merge_compareILb1ELb0EiNS0_19identity_decomposerEEEEE10hipError_tT0_T1_T2_jT3_P12ihipStream_tbPNSt15iterator_traitsISI_E10value_typeEPNSO_ISJ_E10value_typeEPSK_NS1_7vsmem_tEENKUlT_SI_SJ_SK_E_clISD_PiSD_S10_EESH_SX_SI_SJ_SK_EUlSX_E0_NS1_11comp_targetILNS1_3genE4ELNS1_11target_archE910ELNS1_3gpuE8ELNS1_3repE0EEENS1_38merge_mergepath_config_static_selectorELNS0_4arch9wavefront6targetE0EEEvSJ_, .Lfunc_end920-_ZN7rocprim17ROCPRIM_400000_NS6detail17trampoline_kernelINS0_14default_configENS1_38merge_sort_block_merge_config_selectorIiiEEZZNS1_27merge_sort_block_merge_implIS3_N6thrust23THRUST_200600_302600_NS6detail15normal_iteratorINS8_10device_ptrIiEEEESD_jNS1_19radix_merge_compareILb1ELb0EiNS0_19identity_decomposerEEEEE10hipError_tT0_T1_T2_jT3_P12ihipStream_tbPNSt15iterator_traitsISI_E10value_typeEPNSO_ISJ_E10value_typeEPSK_NS1_7vsmem_tEENKUlT_SI_SJ_SK_E_clISD_PiSD_S10_EESH_SX_SI_SJ_SK_EUlSX_E0_NS1_11comp_targetILNS1_3genE4ELNS1_11target_archE910ELNS1_3gpuE8ELNS1_3repE0EEENS1_38merge_mergepath_config_static_selectorELNS0_4arch9wavefront6targetE0EEEvSJ_
                                        ; -- End function
	.set _ZN7rocprim17ROCPRIM_400000_NS6detail17trampoline_kernelINS0_14default_configENS1_38merge_sort_block_merge_config_selectorIiiEEZZNS1_27merge_sort_block_merge_implIS3_N6thrust23THRUST_200600_302600_NS6detail15normal_iteratorINS8_10device_ptrIiEEEESD_jNS1_19radix_merge_compareILb1ELb0EiNS0_19identity_decomposerEEEEE10hipError_tT0_T1_T2_jT3_P12ihipStream_tbPNSt15iterator_traitsISI_E10value_typeEPNSO_ISJ_E10value_typeEPSK_NS1_7vsmem_tEENKUlT_SI_SJ_SK_E_clISD_PiSD_S10_EESH_SX_SI_SJ_SK_EUlSX_E0_NS1_11comp_targetILNS1_3genE4ELNS1_11target_archE910ELNS1_3gpuE8ELNS1_3repE0EEENS1_38merge_mergepath_config_static_selectorELNS0_4arch9wavefront6targetE0EEEvSJ_.num_vgpr, 0
	.set _ZN7rocprim17ROCPRIM_400000_NS6detail17trampoline_kernelINS0_14default_configENS1_38merge_sort_block_merge_config_selectorIiiEEZZNS1_27merge_sort_block_merge_implIS3_N6thrust23THRUST_200600_302600_NS6detail15normal_iteratorINS8_10device_ptrIiEEEESD_jNS1_19radix_merge_compareILb1ELb0EiNS0_19identity_decomposerEEEEE10hipError_tT0_T1_T2_jT3_P12ihipStream_tbPNSt15iterator_traitsISI_E10value_typeEPNSO_ISJ_E10value_typeEPSK_NS1_7vsmem_tEENKUlT_SI_SJ_SK_E_clISD_PiSD_S10_EESH_SX_SI_SJ_SK_EUlSX_E0_NS1_11comp_targetILNS1_3genE4ELNS1_11target_archE910ELNS1_3gpuE8ELNS1_3repE0EEENS1_38merge_mergepath_config_static_selectorELNS0_4arch9wavefront6targetE0EEEvSJ_.num_agpr, 0
	.set _ZN7rocprim17ROCPRIM_400000_NS6detail17trampoline_kernelINS0_14default_configENS1_38merge_sort_block_merge_config_selectorIiiEEZZNS1_27merge_sort_block_merge_implIS3_N6thrust23THRUST_200600_302600_NS6detail15normal_iteratorINS8_10device_ptrIiEEEESD_jNS1_19radix_merge_compareILb1ELb0EiNS0_19identity_decomposerEEEEE10hipError_tT0_T1_T2_jT3_P12ihipStream_tbPNSt15iterator_traitsISI_E10value_typeEPNSO_ISJ_E10value_typeEPSK_NS1_7vsmem_tEENKUlT_SI_SJ_SK_E_clISD_PiSD_S10_EESH_SX_SI_SJ_SK_EUlSX_E0_NS1_11comp_targetILNS1_3genE4ELNS1_11target_archE910ELNS1_3gpuE8ELNS1_3repE0EEENS1_38merge_mergepath_config_static_selectorELNS0_4arch9wavefront6targetE0EEEvSJ_.numbered_sgpr, 0
	.set _ZN7rocprim17ROCPRIM_400000_NS6detail17trampoline_kernelINS0_14default_configENS1_38merge_sort_block_merge_config_selectorIiiEEZZNS1_27merge_sort_block_merge_implIS3_N6thrust23THRUST_200600_302600_NS6detail15normal_iteratorINS8_10device_ptrIiEEEESD_jNS1_19radix_merge_compareILb1ELb0EiNS0_19identity_decomposerEEEEE10hipError_tT0_T1_T2_jT3_P12ihipStream_tbPNSt15iterator_traitsISI_E10value_typeEPNSO_ISJ_E10value_typeEPSK_NS1_7vsmem_tEENKUlT_SI_SJ_SK_E_clISD_PiSD_S10_EESH_SX_SI_SJ_SK_EUlSX_E0_NS1_11comp_targetILNS1_3genE4ELNS1_11target_archE910ELNS1_3gpuE8ELNS1_3repE0EEENS1_38merge_mergepath_config_static_selectorELNS0_4arch9wavefront6targetE0EEEvSJ_.num_named_barrier, 0
	.set _ZN7rocprim17ROCPRIM_400000_NS6detail17trampoline_kernelINS0_14default_configENS1_38merge_sort_block_merge_config_selectorIiiEEZZNS1_27merge_sort_block_merge_implIS3_N6thrust23THRUST_200600_302600_NS6detail15normal_iteratorINS8_10device_ptrIiEEEESD_jNS1_19radix_merge_compareILb1ELb0EiNS0_19identity_decomposerEEEEE10hipError_tT0_T1_T2_jT3_P12ihipStream_tbPNSt15iterator_traitsISI_E10value_typeEPNSO_ISJ_E10value_typeEPSK_NS1_7vsmem_tEENKUlT_SI_SJ_SK_E_clISD_PiSD_S10_EESH_SX_SI_SJ_SK_EUlSX_E0_NS1_11comp_targetILNS1_3genE4ELNS1_11target_archE910ELNS1_3gpuE8ELNS1_3repE0EEENS1_38merge_mergepath_config_static_selectorELNS0_4arch9wavefront6targetE0EEEvSJ_.private_seg_size, 0
	.set _ZN7rocprim17ROCPRIM_400000_NS6detail17trampoline_kernelINS0_14default_configENS1_38merge_sort_block_merge_config_selectorIiiEEZZNS1_27merge_sort_block_merge_implIS3_N6thrust23THRUST_200600_302600_NS6detail15normal_iteratorINS8_10device_ptrIiEEEESD_jNS1_19radix_merge_compareILb1ELb0EiNS0_19identity_decomposerEEEEE10hipError_tT0_T1_T2_jT3_P12ihipStream_tbPNSt15iterator_traitsISI_E10value_typeEPNSO_ISJ_E10value_typeEPSK_NS1_7vsmem_tEENKUlT_SI_SJ_SK_E_clISD_PiSD_S10_EESH_SX_SI_SJ_SK_EUlSX_E0_NS1_11comp_targetILNS1_3genE4ELNS1_11target_archE910ELNS1_3gpuE8ELNS1_3repE0EEENS1_38merge_mergepath_config_static_selectorELNS0_4arch9wavefront6targetE0EEEvSJ_.uses_vcc, 0
	.set _ZN7rocprim17ROCPRIM_400000_NS6detail17trampoline_kernelINS0_14default_configENS1_38merge_sort_block_merge_config_selectorIiiEEZZNS1_27merge_sort_block_merge_implIS3_N6thrust23THRUST_200600_302600_NS6detail15normal_iteratorINS8_10device_ptrIiEEEESD_jNS1_19radix_merge_compareILb1ELb0EiNS0_19identity_decomposerEEEEE10hipError_tT0_T1_T2_jT3_P12ihipStream_tbPNSt15iterator_traitsISI_E10value_typeEPNSO_ISJ_E10value_typeEPSK_NS1_7vsmem_tEENKUlT_SI_SJ_SK_E_clISD_PiSD_S10_EESH_SX_SI_SJ_SK_EUlSX_E0_NS1_11comp_targetILNS1_3genE4ELNS1_11target_archE910ELNS1_3gpuE8ELNS1_3repE0EEENS1_38merge_mergepath_config_static_selectorELNS0_4arch9wavefront6targetE0EEEvSJ_.uses_flat_scratch, 0
	.set _ZN7rocprim17ROCPRIM_400000_NS6detail17trampoline_kernelINS0_14default_configENS1_38merge_sort_block_merge_config_selectorIiiEEZZNS1_27merge_sort_block_merge_implIS3_N6thrust23THRUST_200600_302600_NS6detail15normal_iteratorINS8_10device_ptrIiEEEESD_jNS1_19radix_merge_compareILb1ELb0EiNS0_19identity_decomposerEEEEE10hipError_tT0_T1_T2_jT3_P12ihipStream_tbPNSt15iterator_traitsISI_E10value_typeEPNSO_ISJ_E10value_typeEPSK_NS1_7vsmem_tEENKUlT_SI_SJ_SK_E_clISD_PiSD_S10_EESH_SX_SI_SJ_SK_EUlSX_E0_NS1_11comp_targetILNS1_3genE4ELNS1_11target_archE910ELNS1_3gpuE8ELNS1_3repE0EEENS1_38merge_mergepath_config_static_selectorELNS0_4arch9wavefront6targetE0EEEvSJ_.has_dyn_sized_stack, 0
	.set _ZN7rocprim17ROCPRIM_400000_NS6detail17trampoline_kernelINS0_14default_configENS1_38merge_sort_block_merge_config_selectorIiiEEZZNS1_27merge_sort_block_merge_implIS3_N6thrust23THRUST_200600_302600_NS6detail15normal_iteratorINS8_10device_ptrIiEEEESD_jNS1_19radix_merge_compareILb1ELb0EiNS0_19identity_decomposerEEEEE10hipError_tT0_T1_T2_jT3_P12ihipStream_tbPNSt15iterator_traitsISI_E10value_typeEPNSO_ISJ_E10value_typeEPSK_NS1_7vsmem_tEENKUlT_SI_SJ_SK_E_clISD_PiSD_S10_EESH_SX_SI_SJ_SK_EUlSX_E0_NS1_11comp_targetILNS1_3genE4ELNS1_11target_archE910ELNS1_3gpuE8ELNS1_3repE0EEENS1_38merge_mergepath_config_static_selectorELNS0_4arch9wavefront6targetE0EEEvSJ_.has_recursion, 0
	.set _ZN7rocprim17ROCPRIM_400000_NS6detail17trampoline_kernelINS0_14default_configENS1_38merge_sort_block_merge_config_selectorIiiEEZZNS1_27merge_sort_block_merge_implIS3_N6thrust23THRUST_200600_302600_NS6detail15normal_iteratorINS8_10device_ptrIiEEEESD_jNS1_19radix_merge_compareILb1ELb0EiNS0_19identity_decomposerEEEEE10hipError_tT0_T1_T2_jT3_P12ihipStream_tbPNSt15iterator_traitsISI_E10value_typeEPNSO_ISJ_E10value_typeEPSK_NS1_7vsmem_tEENKUlT_SI_SJ_SK_E_clISD_PiSD_S10_EESH_SX_SI_SJ_SK_EUlSX_E0_NS1_11comp_targetILNS1_3genE4ELNS1_11target_archE910ELNS1_3gpuE8ELNS1_3repE0EEENS1_38merge_mergepath_config_static_selectorELNS0_4arch9wavefront6targetE0EEEvSJ_.has_indirect_call, 0
	.section	.AMDGPU.csdata,"",@progbits
; Kernel info:
; codeLenInByte = 0
; TotalNumSgprs: 0
; NumVgprs: 0
; ScratchSize: 0
; MemoryBound: 0
; FloatMode: 240
; IeeeMode: 1
; LDSByteSize: 0 bytes/workgroup (compile time only)
; SGPRBlocks: 0
; VGPRBlocks: 0
; NumSGPRsForWavesPerEU: 1
; NumVGPRsForWavesPerEU: 1
; Occupancy: 16
; WaveLimiterHint : 0
; COMPUTE_PGM_RSRC2:SCRATCH_EN: 0
; COMPUTE_PGM_RSRC2:USER_SGPR: 6
; COMPUTE_PGM_RSRC2:TRAP_HANDLER: 0
; COMPUTE_PGM_RSRC2:TGID_X_EN: 1
; COMPUTE_PGM_RSRC2:TGID_Y_EN: 0
; COMPUTE_PGM_RSRC2:TGID_Z_EN: 0
; COMPUTE_PGM_RSRC2:TIDIG_COMP_CNT: 0
	.section	.text._ZN7rocprim17ROCPRIM_400000_NS6detail17trampoline_kernelINS0_14default_configENS1_38merge_sort_block_merge_config_selectorIiiEEZZNS1_27merge_sort_block_merge_implIS3_N6thrust23THRUST_200600_302600_NS6detail15normal_iteratorINS8_10device_ptrIiEEEESD_jNS1_19radix_merge_compareILb1ELb0EiNS0_19identity_decomposerEEEEE10hipError_tT0_T1_T2_jT3_P12ihipStream_tbPNSt15iterator_traitsISI_E10value_typeEPNSO_ISJ_E10value_typeEPSK_NS1_7vsmem_tEENKUlT_SI_SJ_SK_E_clISD_PiSD_S10_EESH_SX_SI_SJ_SK_EUlSX_E0_NS1_11comp_targetILNS1_3genE3ELNS1_11target_archE908ELNS1_3gpuE7ELNS1_3repE0EEENS1_38merge_mergepath_config_static_selectorELNS0_4arch9wavefront6targetE0EEEvSJ_,"axG",@progbits,_ZN7rocprim17ROCPRIM_400000_NS6detail17trampoline_kernelINS0_14default_configENS1_38merge_sort_block_merge_config_selectorIiiEEZZNS1_27merge_sort_block_merge_implIS3_N6thrust23THRUST_200600_302600_NS6detail15normal_iteratorINS8_10device_ptrIiEEEESD_jNS1_19radix_merge_compareILb1ELb0EiNS0_19identity_decomposerEEEEE10hipError_tT0_T1_T2_jT3_P12ihipStream_tbPNSt15iterator_traitsISI_E10value_typeEPNSO_ISJ_E10value_typeEPSK_NS1_7vsmem_tEENKUlT_SI_SJ_SK_E_clISD_PiSD_S10_EESH_SX_SI_SJ_SK_EUlSX_E0_NS1_11comp_targetILNS1_3genE3ELNS1_11target_archE908ELNS1_3gpuE7ELNS1_3repE0EEENS1_38merge_mergepath_config_static_selectorELNS0_4arch9wavefront6targetE0EEEvSJ_,comdat
	.protected	_ZN7rocprim17ROCPRIM_400000_NS6detail17trampoline_kernelINS0_14default_configENS1_38merge_sort_block_merge_config_selectorIiiEEZZNS1_27merge_sort_block_merge_implIS3_N6thrust23THRUST_200600_302600_NS6detail15normal_iteratorINS8_10device_ptrIiEEEESD_jNS1_19radix_merge_compareILb1ELb0EiNS0_19identity_decomposerEEEEE10hipError_tT0_T1_T2_jT3_P12ihipStream_tbPNSt15iterator_traitsISI_E10value_typeEPNSO_ISJ_E10value_typeEPSK_NS1_7vsmem_tEENKUlT_SI_SJ_SK_E_clISD_PiSD_S10_EESH_SX_SI_SJ_SK_EUlSX_E0_NS1_11comp_targetILNS1_3genE3ELNS1_11target_archE908ELNS1_3gpuE7ELNS1_3repE0EEENS1_38merge_mergepath_config_static_selectorELNS0_4arch9wavefront6targetE0EEEvSJ_ ; -- Begin function _ZN7rocprim17ROCPRIM_400000_NS6detail17trampoline_kernelINS0_14default_configENS1_38merge_sort_block_merge_config_selectorIiiEEZZNS1_27merge_sort_block_merge_implIS3_N6thrust23THRUST_200600_302600_NS6detail15normal_iteratorINS8_10device_ptrIiEEEESD_jNS1_19radix_merge_compareILb1ELb0EiNS0_19identity_decomposerEEEEE10hipError_tT0_T1_T2_jT3_P12ihipStream_tbPNSt15iterator_traitsISI_E10value_typeEPNSO_ISJ_E10value_typeEPSK_NS1_7vsmem_tEENKUlT_SI_SJ_SK_E_clISD_PiSD_S10_EESH_SX_SI_SJ_SK_EUlSX_E0_NS1_11comp_targetILNS1_3genE3ELNS1_11target_archE908ELNS1_3gpuE7ELNS1_3repE0EEENS1_38merge_mergepath_config_static_selectorELNS0_4arch9wavefront6targetE0EEEvSJ_
	.globl	_ZN7rocprim17ROCPRIM_400000_NS6detail17trampoline_kernelINS0_14default_configENS1_38merge_sort_block_merge_config_selectorIiiEEZZNS1_27merge_sort_block_merge_implIS3_N6thrust23THRUST_200600_302600_NS6detail15normal_iteratorINS8_10device_ptrIiEEEESD_jNS1_19radix_merge_compareILb1ELb0EiNS0_19identity_decomposerEEEEE10hipError_tT0_T1_T2_jT3_P12ihipStream_tbPNSt15iterator_traitsISI_E10value_typeEPNSO_ISJ_E10value_typeEPSK_NS1_7vsmem_tEENKUlT_SI_SJ_SK_E_clISD_PiSD_S10_EESH_SX_SI_SJ_SK_EUlSX_E0_NS1_11comp_targetILNS1_3genE3ELNS1_11target_archE908ELNS1_3gpuE7ELNS1_3repE0EEENS1_38merge_mergepath_config_static_selectorELNS0_4arch9wavefront6targetE0EEEvSJ_
	.p2align	8
	.type	_ZN7rocprim17ROCPRIM_400000_NS6detail17trampoline_kernelINS0_14default_configENS1_38merge_sort_block_merge_config_selectorIiiEEZZNS1_27merge_sort_block_merge_implIS3_N6thrust23THRUST_200600_302600_NS6detail15normal_iteratorINS8_10device_ptrIiEEEESD_jNS1_19radix_merge_compareILb1ELb0EiNS0_19identity_decomposerEEEEE10hipError_tT0_T1_T2_jT3_P12ihipStream_tbPNSt15iterator_traitsISI_E10value_typeEPNSO_ISJ_E10value_typeEPSK_NS1_7vsmem_tEENKUlT_SI_SJ_SK_E_clISD_PiSD_S10_EESH_SX_SI_SJ_SK_EUlSX_E0_NS1_11comp_targetILNS1_3genE3ELNS1_11target_archE908ELNS1_3gpuE7ELNS1_3repE0EEENS1_38merge_mergepath_config_static_selectorELNS0_4arch9wavefront6targetE0EEEvSJ_,@function
_ZN7rocprim17ROCPRIM_400000_NS6detail17trampoline_kernelINS0_14default_configENS1_38merge_sort_block_merge_config_selectorIiiEEZZNS1_27merge_sort_block_merge_implIS3_N6thrust23THRUST_200600_302600_NS6detail15normal_iteratorINS8_10device_ptrIiEEEESD_jNS1_19radix_merge_compareILb1ELb0EiNS0_19identity_decomposerEEEEE10hipError_tT0_T1_T2_jT3_P12ihipStream_tbPNSt15iterator_traitsISI_E10value_typeEPNSO_ISJ_E10value_typeEPSK_NS1_7vsmem_tEENKUlT_SI_SJ_SK_E_clISD_PiSD_S10_EESH_SX_SI_SJ_SK_EUlSX_E0_NS1_11comp_targetILNS1_3genE3ELNS1_11target_archE908ELNS1_3gpuE7ELNS1_3repE0EEENS1_38merge_mergepath_config_static_selectorELNS0_4arch9wavefront6targetE0EEEvSJ_: ; @_ZN7rocprim17ROCPRIM_400000_NS6detail17trampoline_kernelINS0_14default_configENS1_38merge_sort_block_merge_config_selectorIiiEEZZNS1_27merge_sort_block_merge_implIS3_N6thrust23THRUST_200600_302600_NS6detail15normal_iteratorINS8_10device_ptrIiEEEESD_jNS1_19radix_merge_compareILb1ELb0EiNS0_19identity_decomposerEEEEE10hipError_tT0_T1_T2_jT3_P12ihipStream_tbPNSt15iterator_traitsISI_E10value_typeEPNSO_ISJ_E10value_typeEPSK_NS1_7vsmem_tEENKUlT_SI_SJ_SK_E_clISD_PiSD_S10_EESH_SX_SI_SJ_SK_EUlSX_E0_NS1_11comp_targetILNS1_3genE3ELNS1_11target_archE908ELNS1_3gpuE7ELNS1_3repE0EEENS1_38merge_mergepath_config_static_selectorELNS0_4arch9wavefront6targetE0EEEvSJ_
; %bb.0:
	.section	.rodata,"a",@progbits
	.p2align	6, 0x0
	.amdhsa_kernel _ZN7rocprim17ROCPRIM_400000_NS6detail17trampoline_kernelINS0_14default_configENS1_38merge_sort_block_merge_config_selectorIiiEEZZNS1_27merge_sort_block_merge_implIS3_N6thrust23THRUST_200600_302600_NS6detail15normal_iteratorINS8_10device_ptrIiEEEESD_jNS1_19radix_merge_compareILb1ELb0EiNS0_19identity_decomposerEEEEE10hipError_tT0_T1_T2_jT3_P12ihipStream_tbPNSt15iterator_traitsISI_E10value_typeEPNSO_ISJ_E10value_typeEPSK_NS1_7vsmem_tEENKUlT_SI_SJ_SK_E_clISD_PiSD_S10_EESH_SX_SI_SJ_SK_EUlSX_E0_NS1_11comp_targetILNS1_3genE3ELNS1_11target_archE908ELNS1_3gpuE7ELNS1_3repE0EEENS1_38merge_mergepath_config_static_selectorELNS0_4arch9wavefront6targetE0EEEvSJ_
		.amdhsa_group_segment_fixed_size 0
		.amdhsa_private_segment_fixed_size 0
		.amdhsa_kernarg_size 64
		.amdhsa_user_sgpr_count 6
		.amdhsa_user_sgpr_private_segment_buffer 1
		.amdhsa_user_sgpr_dispatch_ptr 0
		.amdhsa_user_sgpr_queue_ptr 0
		.amdhsa_user_sgpr_kernarg_segment_ptr 1
		.amdhsa_user_sgpr_dispatch_id 0
		.amdhsa_user_sgpr_flat_scratch_init 0
		.amdhsa_user_sgpr_private_segment_size 0
		.amdhsa_wavefront_size32 1
		.amdhsa_uses_dynamic_stack 0
		.amdhsa_system_sgpr_private_segment_wavefront_offset 0
		.amdhsa_system_sgpr_workgroup_id_x 1
		.amdhsa_system_sgpr_workgroup_id_y 0
		.amdhsa_system_sgpr_workgroup_id_z 0
		.amdhsa_system_sgpr_workgroup_info 0
		.amdhsa_system_vgpr_workitem_id 0
		.amdhsa_next_free_vgpr 1
		.amdhsa_next_free_sgpr 1
		.amdhsa_reserve_vcc 0
		.amdhsa_reserve_flat_scratch 0
		.amdhsa_float_round_mode_32 0
		.amdhsa_float_round_mode_16_64 0
		.amdhsa_float_denorm_mode_32 3
		.amdhsa_float_denorm_mode_16_64 3
		.amdhsa_dx10_clamp 1
		.amdhsa_ieee_mode 1
		.amdhsa_fp16_overflow 0
		.amdhsa_workgroup_processor_mode 1
		.amdhsa_memory_ordered 1
		.amdhsa_forward_progress 1
		.amdhsa_shared_vgpr_count 0
		.amdhsa_exception_fp_ieee_invalid_op 0
		.amdhsa_exception_fp_denorm_src 0
		.amdhsa_exception_fp_ieee_div_zero 0
		.amdhsa_exception_fp_ieee_overflow 0
		.amdhsa_exception_fp_ieee_underflow 0
		.amdhsa_exception_fp_ieee_inexact 0
		.amdhsa_exception_int_div_zero 0
	.end_amdhsa_kernel
	.section	.text._ZN7rocprim17ROCPRIM_400000_NS6detail17trampoline_kernelINS0_14default_configENS1_38merge_sort_block_merge_config_selectorIiiEEZZNS1_27merge_sort_block_merge_implIS3_N6thrust23THRUST_200600_302600_NS6detail15normal_iteratorINS8_10device_ptrIiEEEESD_jNS1_19radix_merge_compareILb1ELb0EiNS0_19identity_decomposerEEEEE10hipError_tT0_T1_T2_jT3_P12ihipStream_tbPNSt15iterator_traitsISI_E10value_typeEPNSO_ISJ_E10value_typeEPSK_NS1_7vsmem_tEENKUlT_SI_SJ_SK_E_clISD_PiSD_S10_EESH_SX_SI_SJ_SK_EUlSX_E0_NS1_11comp_targetILNS1_3genE3ELNS1_11target_archE908ELNS1_3gpuE7ELNS1_3repE0EEENS1_38merge_mergepath_config_static_selectorELNS0_4arch9wavefront6targetE0EEEvSJ_,"axG",@progbits,_ZN7rocprim17ROCPRIM_400000_NS6detail17trampoline_kernelINS0_14default_configENS1_38merge_sort_block_merge_config_selectorIiiEEZZNS1_27merge_sort_block_merge_implIS3_N6thrust23THRUST_200600_302600_NS6detail15normal_iteratorINS8_10device_ptrIiEEEESD_jNS1_19radix_merge_compareILb1ELb0EiNS0_19identity_decomposerEEEEE10hipError_tT0_T1_T2_jT3_P12ihipStream_tbPNSt15iterator_traitsISI_E10value_typeEPNSO_ISJ_E10value_typeEPSK_NS1_7vsmem_tEENKUlT_SI_SJ_SK_E_clISD_PiSD_S10_EESH_SX_SI_SJ_SK_EUlSX_E0_NS1_11comp_targetILNS1_3genE3ELNS1_11target_archE908ELNS1_3gpuE7ELNS1_3repE0EEENS1_38merge_mergepath_config_static_selectorELNS0_4arch9wavefront6targetE0EEEvSJ_,comdat
.Lfunc_end921:
	.size	_ZN7rocprim17ROCPRIM_400000_NS6detail17trampoline_kernelINS0_14default_configENS1_38merge_sort_block_merge_config_selectorIiiEEZZNS1_27merge_sort_block_merge_implIS3_N6thrust23THRUST_200600_302600_NS6detail15normal_iteratorINS8_10device_ptrIiEEEESD_jNS1_19radix_merge_compareILb1ELb0EiNS0_19identity_decomposerEEEEE10hipError_tT0_T1_T2_jT3_P12ihipStream_tbPNSt15iterator_traitsISI_E10value_typeEPNSO_ISJ_E10value_typeEPSK_NS1_7vsmem_tEENKUlT_SI_SJ_SK_E_clISD_PiSD_S10_EESH_SX_SI_SJ_SK_EUlSX_E0_NS1_11comp_targetILNS1_3genE3ELNS1_11target_archE908ELNS1_3gpuE7ELNS1_3repE0EEENS1_38merge_mergepath_config_static_selectorELNS0_4arch9wavefront6targetE0EEEvSJ_, .Lfunc_end921-_ZN7rocprim17ROCPRIM_400000_NS6detail17trampoline_kernelINS0_14default_configENS1_38merge_sort_block_merge_config_selectorIiiEEZZNS1_27merge_sort_block_merge_implIS3_N6thrust23THRUST_200600_302600_NS6detail15normal_iteratorINS8_10device_ptrIiEEEESD_jNS1_19radix_merge_compareILb1ELb0EiNS0_19identity_decomposerEEEEE10hipError_tT0_T1_T2_jT3_P12ihipStream_tbPNSt15iterator_traitsISI_E10value_typeEPNSO_ISJ_E10value_typeEPSK_NS1_7vsmem_tEENKUlT_SI_SJ_SK_E_clISD_PiSD_S10_EESH_SX_SI_SJ_SK_EUlSX_E0_NS1_11comp_targetILNS1_3genE3ELNS1_11target_archE908ELNS1_3gpuE7ELNS1_3repE0EEENS1_38merge_mergepath_config_static_selectorELNS0_4arch9wavefront6targetE0EEEvSJ_
                                        ; -- End function
	.set _ZN7rocprim17ROCPRIM_400000_NS6detail17trampoline_kernelINS0_14default_configENS1_38merge_sort_block_merge_config_selectorIiiEEZZNS1_27merge_sort_block_merge_implIS3_N6thrust23THRUST_200600_302600_NS6detail15normal_iteratorINS8_10device_ptrIiEEEESD_jNS1_19radix_merge_compareILb1ELb0EiNS0_19identity_decomposerEEEEE10hipError_tT0_T1_T2_jT3_P12ihipStream_tbPNSt15iterator_traitsISI_E10value_typeEPNSO_ISJ_E10value_typeEPSK_NS1_7vsmem_tEENKUlT_SI_SJ_SK_E_clISD_PiSD_S10_EESH_SX_SI_SJ_SK_EUlSX_E0_NS1_11comp_targetILNS1_3genE3ELNS1_11target_archE908ELNS1_3gpuE7ELNS1_3repE0EEENS1_38merge_mergepath_config_static_selectorELNS0_4arch9wavefront6targetE0EEEvSJ_.num_vgpr, 0
	.set _ZN7rocprim17ROCPRIM_400000_NS6detail17trampoline_kernelINS0_14default_configENS1_38merge_sort_block_merge_config_selectorIiiEEZZNS1_27merge_sort_block_merge_implIS3_N6thrust23THRUST_200600_302600_NS6detail15normal_iteratorINS8_10device_ptrIiEEEESD_jNS1_19radix_merge_compareILb1ELb0EiNS0_19identity_decomposerEEEEE10hipError_tT0_T1_T2_jT3_P12ihipStream_tbPNSt15iterator_traitsISI_E10value_typeEPNSO_ISJ_E10value_typeEPSK_NS1_7vsmem_tEENKUlT_SI_SJ_SK_E_clISD_PiSD_S10_EESH_SX_SI_SJ_SK_EUlSX_E0_NS1_11comp_targetILNS1_3genE3ELNS1_11target_archE908ELNS1_3gpuE7ELNS1_3repE0EEENS1_38merge_mergepath_config_static_selectorELNS0_4arch9wavefront6targetE0EEEvSJ_.num_agpr, 0
	.set _ZN7rocprim17ROCPRIM_400000_NS6detail17trampoline_kernelINS0_14default_configENS1_38merge_sort_block_merge_config_selectorIiiEEZZNS1_27merge_sort_block_merge_implIS3_N6thrust23THRUST_200600_302600_NS6detail15normal_iteratorINS8_10device_ptrIiEEEESD_jNS1_19radix_merge_compareILb1ELb0EiNS0_19identity_decomposerEEEEE10hipError_tT0_T1_T2_jT3_P12ihipStream_tbPNSt15iterator_traitsISI_E10value_typeEPNSO_ISJ_E10value_typeEPSK_NS1_7vsmem_tEENKUlT_SI_SJ_SK_E_clISD_PiSD_S10_EESH_SX_SI_SJ_SK_EUlSX_E0_NS1_11comp_targetILNS1_3genE3ELNS1_11target_archE908ELNS1_3gpuE7ELNS1_3repE0EEENS1_38merge_mergepath_config_static_selectorELNS0_4arch9wavefront6targetE0EEEvSJ_.numbered_sgpr, 0
	.set _ZN7rocprim17ROCPRIM_400000_NS6detail17trampoline_kernelINS0_14default_configENS1_38merge_sort_block_merge_config_selectorIiiEEZZNS1_27merge_sort_block_merge_implIS3_N6thrust23THRUST_200600_302600_NS6detail15normal_iteratorINS8_10device_ptrIiEEEESD_jNS1_19radix_merge_compareILb1ELb0EiNS0_19identity_decomposerEEEEE10hipError_tT0_T1_T2_jT3_P12ihipStream_tbPNSt15iterator_traitsISI_E10value_typeEPNSO_ISJ_E10value_typeEPSK_NS1_7vsmem_tEENKUlT_SI_SJ_SK_E_clISD_PiSD_S10_EESH_SX_SI_SJ_SK_EUlSX_E0_NS1_11comp_targetILNS1_3genE3ELNS1_11target_archE908ELNS1_3gpuE7ELNS1_3repE0EEENS1_38merge_mergepath_config_static_selectorELNS0_4arch9wavefront6targetE0EEEvSJ_.num_named_barrier, 0
	.set _ZN7rocprim17ROCPRIM_400000_NS6detail17trampoline_kernelINS0_14default_configENS1_38merge_sort_block_merge_config_selectorIiiEEZZNS1_27merge_sort_block_merge_implIS3_N6thrust23THRUST_200600_302600_NS6detail15normal_iteratorINS8_10device_ptrIiEEEESD_jNS1_19radix_merge_compareILb1ELb0EiNS0_19identity_decomposerEEEEE10hipError_tT0_T1_T2_jT3_P12ihipStream_tbPNSt15iterator_traitsISI_E10value_typeEPNSO_ISJ_E10value_typeEPSK_NS1_7vsmem_tEENKUlT_SI_SJ_SK_E_clISD_PiSD_S10_EESH_SX_SI_SJ_SK_EUlSX_E0_NS1_11comp_targetILNS1_3genE3ELNS1_11target_archE908ELNS1_3gpuE7ELNS1_3repE0EEENS1_38merge_mergepath_config_static_selectorELNS0_4arch9wavefront6targetE0EEEvSJ_.private_seg_size, 0
	.set _ZN7rocprim17ROCPRIM_400000_NS6detail17trampoline_kernelINS0_14default_configENS1_38merge_sort_block_merge_config_selectorIiiEEZZNS1_27merge_sort_block_merge_implIS3_N6thrust23THRUST_200600_302600_NS6detail15normal_iteratorINS8_10device_ptrIiEEEESD_jNS1_19radix_merge_compareILb1ELb0EiNS0_19identity_decomposerEEEEE10hipError_tT0_T1_T2_jT3_P12ihipStream_tbPNSt15iterator_traitsISI_E10value_typeEPNSO_ISJ_E10value_typeEPSK_NS1_7vsmem_tEENKUlT_SI_SJ_SK_E_clISD_PiSD_S10_EESH_SX_SI_SJ_SK_EUlSX_E0_NS1_11comp_targetILNS1_3genE3ELNS1_11target_archE908ELNS1_3gpuE7ELNS1_3repE0EEENS1_38merge_mergepath_config_static_selectorELNS0_4arch9wavefront6targetE0EEEvSJ_.uses_vcc, 0
	.set _ZN7rocprim17ROCPRIM_400000_NS6detail17trampoline_kernelINS0_14default_configENS1_38merge_sort_block_merge_config_selectorIiiEEZZNS1_27merge_sort_block_merge_implIS3_N6thrust23THRUST_200600_302600_NS6detail15normal_iteratorINS8_10device_ptrIiEEEESD_jNS1_19radix_merge_compareILb1ELb0EiNS0_19identity_decomposerEEEEE10hipError_tT0_T1_T2_jT3_P12ihipStream_tbPNSt15iterator_traitsISI_E10value_typeEPNSO_ISJ_E10value_typeEPSK_NS1_7vsmem_tEENKUlT_SI_SJ_SK_E_clISD_PiSD_S10_EESH_SX_SI_SJ_SK_EUlSX_E0_NS1_11comp_targetILNS1_3genE3ELNS1_11target_archE908ELNS1_3gpuE7ELNS1_3repE0EEENS1_38merge_mergepath_config_static_selectorELNS0_4arch9wavefront6targetE0EEEvSJ_.uses_flat_scratch, 0
	.set _ZN7rocprim17ROCPRIM_400000_NS6detail17trampoline_kernelINS0_14default_configENS1_38merge_sort_block_merge_config_selectorIiiEEZZNS1_27merge_sort_block_merge_implIS3_N6thrust23THRUST_200600_302600_NS6detail15normal_iteratorINS8_10device_ptrIiEEEESD_jNS1_19radix_merge_compareILb1ELb0EiNS0_19identity_decomposerEEEEE10hipError_tT0_T1_T2_jT3_P12ihipStream_tbPNSt15iterator_traitsISI_E10value_typeEPNSO_ISJ_E10value_typeEPSK_NS1_7vsmem_tEENKUlT_SI_SJ_SK_E_clISD_PiSD_S10_EESH_SX_SI_SJ_SK_EUlSX_E0_NS1_11comp_targetILNS1_3genE3ELNS1_11target_archE908ELNS1_3gpuE7ELNS1_3repE0EEENS1_38merge_mergepath_config_static_selectorELNS0_4arch9wavefront6targetE0EEEvSJ_.has_dyn_sized_stack, 0
	.set _ZN7rocprim17ROCPRIM_400000_NS6detail17trampoline_kernelINS0_14default_configENS1_38merge_sort_block_merge_config_selectorIiiEEZZNS1_27merge_sort_block_merge_implIS3_N6thrust23THRUST_200600_302600_NS6detail15normal_iteratorINS8_10device_ptrIiEEEESD_jNS1_19radix_merge_compareILb1ELb0EiNS0_19identity_decomposerEEEEE10hipError_tT0_T1_T2_jT3_P12ihipStream_tbPNSt15iterator_traitsISI_E10value_typeEPNSO_ISJ_E10value_typeEPSK_NS1_7vsmem_tEENKUlT_SI_SJ_SK_E_clISD_PiSD_S10_EESH_SX_SI_SJ_SK_EUlSX_E0_NS1_11comp_targetILNS1_3genE3ELNS1_11target_archE908ELNS1_3gpuE7ELNS1_3repE0EEENS1_38merge_mergepath_config_static_selectorELNS0_4arch9wavefront6targetE0EEEvSJ_.has_recursion, 0
	.set _ZN7rocprim17ROCPRIM_400000_NS6detail17trampoline_kernelINS0_14default_configENS1_38merge_sort_block_merge_config_selectorIiiEEZZNS1_27merge_sort_block_merge_implIS3_N6thrust23THRUST_200600_302600_NS6detail15normal_iteratorINS8_10device_ptrIiEEEESD_jNS1_19radix_merge_compareILb1ELb0EiNS0_19identity_decomposerEEEEE10hipError_tT0_T1_T2_jT3_P12ihipStream_tbPNSt15iterator_traitsISI_E10value_typeEPNSO_ISJ_E10value_typeEPSK_NS1_7vsmem_tEENKUlT_SI_SJ_SK_E_clISD_PiSD_S10_EESH_SX_SI_SJ_SK_EUlSX_E0_NS1_11comp_targetILNS1_3genE3ELNS1_11target_archE908ELNS1_3gpuE7ELNS1_3repE0EEENS1_38merge_mergepath_config_static_selectorELNS0_4arch9wavefront6targetE0EEEvSJ_.has_indirect_call, 0
	.section	.AMDGPU.csdata,"",@progbits
; Kernel info:
; codeLenInByte = 0
; TotalNumSgprs: 0
; NumVgprs: 0
; ScratchSize: 0
; MemoryBound: 0
; FloatMode: 240
; IeeeMode: 1
; LDSByteSize: 0 bytes/workgroup (compile time only)
; SGPRBlocks: 0
; VGPRBlocks: 0
; NumSGPRsForWavesPerEU: 1
; NumVGPRsForWavesPerEU: 1
; Occupancy: 16
; WaveLimiterHint : 0
; COMPUTE_PGM_RSRC2:SCRATCH_EN: 0
; COMPUTE_PGM_RSRC2:USER_SGPR: 6
; COMPUTE_PGM_RSRC2:TRAP_HANDLER: 0
; COMPUTE_PGM_RSRC2:TGID_X_EN: 1
; COMPUTE_PGM_RSRC2:TGID_Y_EN: 0
; COMPUTE_PGM_RSRC2:TGID_Z_EN: 0
; COMPUTE_PGM_RSRC2:TIDIG_COMP_CNT: 0
	.section	.text._ZN7rocprim17ROCPRIM_400000_NS6detail17trampoline_kernelINS0_14default_configENS1_38merge_sort_block_merge_config_selectorIiiEEZZNS1_27merge_sort_block_merge_implIS3_N6thrust23THRUST_200600_302600_NS6detail15normal_iteratorINS8_10device_ptrIiEEEESD_jNS1_19radix_merge_compareILb1ELb0EiNS0_19identity_decomposerEEEEE10hipError_tT0_T1_T2_jT3_P12ihipStream_tbPNSt15iterator_traitsISI_E10value_typeEPNSO_ISJ_E10value_typeEPSK_NS1_7vsmem_tEENKUlT_SI_SJ_SK_E_clISD_PiSD_S10_EESH_SX_SI_SJ_SK_EUlSX_E0_NS1_11comp_targetILNS1_3genE2ELNS1_11target_archE906ELNS1_3gpuE6ELNS1_3repE0EEENS1_38merge_mergepath_config_static_selectorELNS0_4arch9wavefront6targetE0EEEvSJ_,"axG",@progbits,_ZN7rocprim17ROCPRIM_400000_NS6detail17trampoline_kernelINS0_14default_configENS1_38merge_sort_block_merge_config_selectorIiiEEZZNS1_27merge_sort_block_merge_implIS3_N6thrust23THRUST_200600_302600_NS6detail15normal_iteratorINS8_10device_ptrIiEEEESD_jNS1_19radix_merge_compareILb1ELb0EiNS0_19identity_decomposerEEEEE10hipError_tT0_T1_T2_jT3_P12ihipStream_tbPNSt15iterator_traitsISI_E10value_typeEPNSO_ISJ_E10value_typeEPSK_NS1_7vsmem_tEENKUlT_SI_SJ_SK_E_clISD_PiSD_S10_EESH_SX_SI_SJ_SK_EUlSX_E0_NS1_11comp_targetILNS1_3genE2ELNS1_11target_archE906ELNS1_3gpuE6ELNS1_3repE0EEENS1_38merge_mergepath_config_static_selectorELNS0_4arch9wavefront6targetE0EEEvSJ_,comdat
	.protected	_ZN7rocprim17ROCPRIM_400000_NS6detail17trampoline_kernelINS0_14default_configENS1_38merge_sort_block_merge_config_selectorIiiEEZZNS1_27merge_sort_block_merge_implIS3_N6thrust23THRUST_200600_302600_NS6detail15normal_iteratorINS8_10device_ptrIiEEEESD_jNS1_19radix_merge_compareILb1ELb0EiNS0_19identity_decomposerEEEEE10hipError_tT0_T1_T2_jT3_P12ihipStream_tbPNSt15iterator_traitsISI_E10value_typeEPNSO_ISJ_E10value_typeEPSK_NS1_7vsmem_tEENKUlT_SI_SJ_SK_E_clISD_PiSD_S10_EESH_SX_SI_SJ_SK_EUlSX_E0_NS1_11comp_targetILNS1_3genE2ELNS1_11target_archE906ELNS1_3gpuE6ELNS1_3repE0EEENS1_38merge_mergepath_config_static_selectorELNS0_4arch9wavefront6targetE0EEEvSJ_ ; -- Begin function _ZN7rocprim17ROCPRIM_400000_NS6detail17trampoline_kernelINS0_14default_configENS1_38merge_sort_block_merge_config_selectorIiiEEZZNS1_27merge_sort_block_merge_implIS3_N6thrust23THRUST_200600_302600_NS6detail15normal_iteratorINS8_10device_ptrIiEEEESD_jNS1_19radix_merge_compareILb1ELb0EiNS0_19identity_decomposerEEEEE10hipError_tT0_T1_T2_jT3_P12ihipStream_tbPNSt15iterator_traitsISI_E10value_typeEPNSO_ISJ_E10value_typeEPSK_NS1_7vsmem_tEENKUlT_SI_SJ_SK_E_clISD_PiSD_S10_EESH_SX_SI_SJ_SK_EUlSX_E0_NS1_11comp_targetILNS1_3genE2ELNS1_11target_archE906ELNS1_3gpuE6ELNS1_3repE0EEENS1_38merge_mergepath_config_static_selectorELNS0_4arch9wavefront6targetE0EEEvSJ_
	.globl	_ZN7rocprim17ROCPRIM_400000_NS6detail17trampoline_kernelINS0_14default_configENS1_38merge_sort_block_merge_config_selectorIiiEEZZNS1_27merge_sort_block_merge_implIS3_N6thrust23THRUST_200600_302600_NS6detail15normal_iteratorINS8_10device_ptrIiEEEESD_jNS1_19radix_merge_compareILb1ELb0EiNS0_19identity_decomposerEEEEE10hipError_tT0_T1_T2_jT3_P12ihipStream_tbPNSt15iterator_traitsISI_E10value_typeEPNSO_ISJ_E10value_typeEPSK_NS1_7vsmem_tEENKUlT_SI_SJ_SK_E_clISD_PiSD_S10_EESH_SX_SI_SJ_SK_EUlSX_E0_NS1_11comp_targetILNS1_3genE2ELNS1_11target_archE906ELNS1_3gpuE6ELNS1_3repE0EEENS1_38merge_mergepath_config_static_selectorELNS0_4arch9wavefront6targetE0EEEvSJ_
	.p2align	8
	.type	_ZN7rocprim17ROCPRIM_400000_NS6detail17trampoline_kernelINS0_14default_configENS1_38merge_sort_block_merge_config_selectorIiiEEZZNS1_27merge_sort_block_merge_implIS3_N6thrust23THRUST_200600_302600_NS6detail15normal_iteratorINS8_10device_ptrIiEEEESD_jNS1_19radix_merge_compareILb1ELb0EiNS0_19identity_decomposerEEEEE10hipError_tT0_T1_T2_jT3_P12ihipStream_tbPNSt15iterator_traitsISI_E10value_typeEPNSO_ISJ_E10value_typeEPSK_NS1_7vsmem_tEENKUlT_SI_SJ_SK_E_clISD_PiSD_S10_EESH_SX_SI_SJ_SK_EUlSX_E0_NS1_11comp_targetILNS1_3genE2ELNS1_11target_archE906ELNS1_3gpuE6ELNS1_3repE0EEENS1_38merge_mergepath_config_static_selectorELNS0_4arch9wavefront6targetE0EEEvSJ_,@function
_ZN7rocprim17ROCPRIM_400000_NS6detail17trampoline_kernelINS0_14default_configENS1_38merge_sort_block_merge_config_selectorIiiEEZZNS1_27merge_sort_block_merge_implIS3_N6thrust23THRUST_200600_302600_NS6detail15normal_iteratorINS8_10device_ptrIiEEEESD_jNS1_19radix_merge_compareILb1ELb0EiNS0_19identity_decomposerEEEEE10hipError_tT0_T1_T2_jT3_P12ihipStream_tbPNSt15iterator_traitsISI_E10value_typeEPNSO_ISJ_E10value_typeEPSK_NS1_7vsmem_tEENKUlT_SI_SJ_SK_E_clISD_PiSD_S10_EESH_SX_SI_SJ_SK_EUlSX_E0_NS1_11comp_targetILNS1_3genE2ELNS1_11target_archE906ELNS1_3gpuE6ELNS1_3repE0EEENS1_38merge_mergepath_config_static_selectorELNS0_4arch9wavefront6targetE0EEEvSJ_: ; @_ZN7rocprim17ROCPRIM_400000_NS6detail17trampoline_kernelINS0_14default_configENS1_38merge_sort_block_merge_config_selectorIiiEEZZNS1_27merge_sort_block_merge_implIS3_N6thrust23THRUST_200600_302600_NS6detail15normal_iteratorINS8_10device_ptrIiEEEESD_jNS1_19radix_merge_compareILb1ELb0EiNS0_19identity_decomposerEEEEE10hipError_tT0_T1_T2_jT3_P12ihipStream_tbPNSt15iterator_traitsISI_E10value_typeEPNSO_ISJ_E10value_typeEPSK_NS1_7vsmem_tEENKUlT_SI_SJ_SK_E_clISD_PiSD_S10_EESH_SX_SI_SJ_SK_EUlSX_E0_NS1_11comp_targetILNS1_3genE2ELNS1_11target_archE906ELNS1_3gpuE6ELNS1_3repE0EEENS1_38merge_mergepath_config_static_selectorELNS0_4arch9wavefront6targetE0EEEvSJ_
; %bb.0:
	.section	.rodata,"a",@progbits
	.p2align	6, 0x0
	.amdhsa_kernel _ZN7rocprim17ROCPRIM_400000_NS6detail17trampoline_kernelINS0_14default_configENS1_38merge_sort_block_merge_config_selectorIiiEEZZNS1_27merge_sort_block_merge_implIS3_N6thrust23THRUST_200600_302600_NS6detail15normal_iteratorINS8_10device_ptrIiEEEESD_jNS1_19radix_merge_compareILb1ELb0EiNS0_19identity_decomposerEEEEE10hipError_tT0_T1_T2_jT3_P12ihipStream_tbPNSt15iterator_traitsISI_E10value_typeEPNSO_ISJ_E10value_typeEPSK_NS1_7vsmem_tEENKUlT_SI_SJ_SK_E_clISD_PiSD_S10_EESH_SX_SI_SJ_SK_EUlSX_E0_NS1_11comp_targetILNS1_3genE2ELNS1_11target_archE906ELNS1_3gpuE6ELNS1_3repE0EEENS1_38merge_mergepath_config_static_selectorELNS0_4arch9wavefront6targetE0EEEvSJ_
		.amdhsa_group_segment_fixed_size 0
		.amdhsa_private_segment_fixed_size 0
		.amdhsa_kernarg_size 64
		.amdhsa_user_sgpr_count 6
		.amdhsa_user_sgpr_private_segment_buffer 1
		.amdhsa_user_sgpr_dispatch_ptr 0
		.amdhsa_user_sgpr_queue_ptr 0
		.amdhsa_user_sgpr_kernarg_segment_ptr 1
		.amdhsa_user_sgpr_dispatch_id 0
		.amdhsa_user_sgpr_flat_scratch_init 0
		.amdhsa_user_sgpr_private_segment_size 0
		.amdhsa_wavefront_size32 1
		.amdhsa_uses_dynamic_stack 0
		.amdhsa_system_sgpr_private_segment_wavefront_offset 0
		.amdhsa_system_sgpr_workgroup_id_x 1
		.amdhsa_system_sgpr_workgroup_id_y 0
		.amdhsa_system_sgpr_workgroup_id_z 0
		.amdhsa_system_sgpr_workgroup_info 0
		.amdhsa_system_vgpr_workitem_id 0
		.amdhsa_next_free_vgpr 1
		.amdhsa_next_free_sgpr 1
		.amdhsa_reserve_vcc 0
		.amdhsa_reserve_flat_scratch 0
		.amdhsa_float_round_mode_32 0
		.amdhsa_float_round_mode_16_64 0
		.amdhsa_float_denorm_mode_32 3
		.amdhsa_float_denorm_mode_16_64 3
		.amdhsa_dx10_clamp 1
		.amdhsa_ieee_mode 1
		.amdhsa_fp16_overflow 0
		.amdhsa_workgroup_processor_mode 1
		.amdhsa_memory_ordered 1
		.amdhsa_forward_progress 1
		.amdhsa_shared_vgpr_count 0
		.amdhsa_exception_fp_ieee_invalid_op 0
		.amdhsa_exception_fp_denorm_src 0
		.amdhsa_exception_fp_ieee_div_zero 0
		.amdhsa_exception_fp_ieee_overflow 0
		.amdhsa_exception_fp_ieee_underflow 0
		.amdhsa_exception_fp_ieee_inexact 0
		.amdhsa_exception_int_div_zero 0
	.end_amdhsa_kernel
	.section	.text._ZN7rocprim17ROCPRIM_400000_NS6detail17trampoline_kernelINS0_14default_configENS1_38merge_sort_block_merge_config_selectorIiiEEZZNS1_27merge_sort_block_merge_implIS3_N6thrust23THRUST_200600_302600_NS6detail15normal_iteratorINS8_10device_ptrIiEEEESD_jNS1_19radix_merge_compareILb1ELb0EiNS0_19identity_decomposerEEEEE10hipError_tT0_T1_T2_jT3_P12ihipStream_tbPNSt15iterator_traitsISI_E10value_typeEPNSO_ISJ_E10value_typeEPSK_NS1_7vsmem_tEENKUlT_SI_SJ_SK_E_clISD_PiSD_S10_EESH_SX_SI_SJ_SK_EUlSX_E0_NS1_11comp_targetILNS1_3genE2ELNS1_11target_archE906ELNS1_3gpuE6ELNS1_3repE0EEENS1_38merge_mergepath_config_static_selectorELNS0_4arch9wavefront6targetE0EEEvSJ_,"axG",@progbits,_ZN7rocprim17ROCPRIM_400000_NS6detail17trampoline_kernelINS0_14default_configENS1_38merge_sort_block_merge_config_selectorIiiEEZZNS1_27merge_sort_block_merge_implIS3_N6thrust23THRUST_200600_302600_NS6detail15normal_iteratorINS8_10device_ptrIiEEEESD_jNS1_19radix_merge_compareILb1ELb0EiNS0_19identity_decomposerEEEEE10hipError_tT0_T1_T2_jT3_P12ihipStream_tbPNSt15iterator_traitsISI_E10value_typeEPNSO_ISJ_E10value_typeEPSK_NS1_7vsmem_tEENKUlT_SI_SJ_SK_E_clISD_PiSD_S10_EESH_SX_SI_SJ_SK_EUlSX_E0_NS1_11comp_targetILNS1_3genE2ELNS1_11target_archE906ELNS1_3gpuE6ELNS1_3repE0EEENS1_38merge_mergepath_config_static_selectorELNS0_4arch9wavefront6targetE0EEEvSJ_,comdat
.Lfunc_end922:
	.size	_ZN7rocprim17ROCPRIM_400000_NS6detail17trampoline_kernelINS0_14default_configENS1_38merge_sort_block_merge_config_selectorIiiEEZZNS1_27merge_sort_block_merge_implIS3_N6thrust23THRUST_200600_302600_NS6detail15normal_iteratorINS8_10device_ptrIiEEEESD_jNS1_19radix_merge_compareILb1ELb0EiNS0_19identity_decomposerEEEEE10hipError_tT0_T1_T2_jT3_P12ihipStream_tbPNSt15iterator_traitsISI_E10value_typeEPNSO_ISJ_E10value_typeEPSK_NS1_7vsmem_tEENKUlT_SI_SJ_SK_E_clISD_PiSD_S10_EESH_SX_SI_SJ_SK_EUlSX_E0_NS1_11comp_targetILNS1_3genE2ELNS1_11target_archE906ELNS1_3gpuE6ELNS1_3repE0EEENS1_38merge_mergepath_config_static_selectorELNS0_4arch9wavefront6targetE0EEEvSJ_, .Lfunc_end922-_ZN7rocprim17ROCPRIM_400000_NS6detail17trampoline_kernelINS0_14default_configENS1_38merge_sort_block_merge_config_selectorIiiEEZZNS1_27merge_sort_block_merge_implIS3_N6thrust23THRUST_200600_302600_NS6detail15normal_iteratorINS8_10device_ptrIiEEEESD_jNS1_19radix_merge_compareILb1ELb0EiNS0_19identity_decomposerEEEEE10hipError_tT0_T1_T2_jT3_P12ihipStream_tbPNSt15iterator_traitsISI_E10value_typeEPNSO_ISJ_E10value_typeEPSK_NS1_7vsmem_tEENKUlT_SI_SJ_SK_E_clISD_PiSD_S10_EESH_SX_SI_SJ_SK_EUlSX_E0_NS1_11comp_targetILNS1_3genE2ELNS1_11target_archE906ELNS1_3gpuE6ELNS1_3repE0EEENS1_38merge_mergepath_config_static_selectorELNS0_4arch9wavefront6targetE0EEEvSJ_
                                        ; -- End function
	.set _ZN7rocprim17ROCPRIM_400000_NS6detail17trampoline_kernelINS0_14default_configENS1_38merge_sort_block_merge_config_selectorIiiEEZZNS1_27merge_sort_block_merge_implIS3_N6thrust23THRUST_200600_302600_NS6detail15normal_iteratorINS8_10device_ptrIiEEEESD_jNS1_19radix_merge_compareILb1ELb0EiNS0_19identity_decomposerEEEEE10hipError_tT0_T1_T2_jT3_P12ihipStream_tbPNSt15iterator_traitsISI_E10value_typeEPNSO_ISJ_E10value_typeEPSK_NS1_7vsmem_tEENKUlT_SI_SJ_SK_E_clISD_PiSD_S10_EESH_SX_SI_SJ_SK_EUlSX_E0_NS1_11comp_targetILNS1_3genE2ELNS1_11target_archE906ELNS1_3gpuE6ELNS1_3repE0EEENS1_38merge_mergepath_config_static_selectorELNS0_4arch9wavefront6targetE0EEEvSJ_.num_vgpr, 0
	.set _ZN7rocprim17ROCPRIM_400000_NS6detail17trampoline_kernelINS0_14default_configENS1_38merge_sort_block_merge_config_selectorIiiEEZZNS1_27merge_sort_block_merge_implIS3_N6thrust23THRUST_200600_302600_NS6detail15normal_iteratorINS8_10device_ptrIiEEEESD_jNS1_19radix_merge_compareILb1ELb0EiNS0_19identity_decomposerEEEEE10hipError_tT0_T1_T2_jT3_P12ihipStream_tbPNSt15iterator_traitsISI_E10value_typeEPNSO_ISJ_E10value_typeEPSK_NS1_7vsmem_tEENKUlT_SI_SJ_SK_E_clISD_PiSD_S10_EESH_SX_SI_SJ_SK_EUlSX_E0_NS1_11comp_targetILNS1_3genE2ELNS1_11target_archE906ELNS1_3gpuE6ELNS1_3repE0EEENS1_38merge_mergepath_config_static_selectorELNS0_4arch9wavefront6targetE0EEEvSJ_.num_agpr, 0
	.set _ZN7rocprim17ROCPRIM_400000_NS6detail17trampoline_kernelINS0_14default_configENS1_38merge_sort_block_merge_config_selectorIiiEEZZNS1_27merge_sort_block_merge_implIS3_N6thrust23THRUST_200600_302600_NS6detail15normal_iteratorINS8_10device_ptrIiEEEESD_jNS1_19radix_merge_compareILb1ELb0EiNS0_19identity_decomposerEEEEE10hipError_tT0_T1_T2_jT3_P12ihipStream_tbPNSt15iterator_traitsISI_E10value_typeEPNSO_ISJ_E10value_typeEPSK_NS1_7vsmem_tEENKUlT_SI_SJ_SK_E_clISD_PiSD_S10_EESH_SX_SI_SJ_SK_EUlSX_E0_NS1_11comp_targetILNS1_3genE2ELNS1_11target_archE906ELNS1_3gpuE6ELNS1_3repE0EEENS1_38merge_mergepath_config_static_selectorELNS0_4arch9wavefront6targetE0EEEvSJ_.numbered_sgpr, 0
	.set _ZN7rocprim17ROCPRIM_400000_NS6detail17trampoline_kernelINS0_14default_configENS1_38merge_sort_block_merge_config_selectorIiiEEZZNS1_27merge_sort_block_merge_implIS3_N6thrust23THRUST_200600_302600_NS6detail15normal_iteratorINS8_10device_ptrIiEEEESD_jNS1_19radix_merge_compareILb1ELb0EiNS0_19identity_decomposerEEEEE10hipError_tT0_T1_T2_jT3_P12ihipStream_tbPNSt15iterator_traitsISI_E10value_typeEPNSO_ISJ_E10value_typeEPSK_NS1_7vsmem_tEENKUlT_SI_SJ_SK_E_clISD_PiSD_S10_EESH_SX_SI_SJ_SK_EUlSX_E0_NS1_11comp_targetILNS1_3genE2ELNS1_11target_archE906ELNS1_3gpuE6ELNS1_3repE0EEENS1_38merge_mergepath_config_static_selectorELNS0_4arch9wavefront6targetE0EEEvSJ_.num_named_barrier, 0
	.set _ZN7rocprim17ROCPRIM_400000_NS6detail17trampoline_kernelINS0_14default_configENS1_38merge_sort_block_merge_config_selectorIiiEEZZNS1_27merge_sort_block_merge_implIS3_N6thrust23THRUST_200600_302600_NS6detail15normal_iteratorINS8_10device_ptrIiEEEESD_jNS1_19radix_merge_compareILb1ELb0EiNS0_19identity_decomposerEEEEE10hipError_tT0_T1_T2_jT3_P12ihipStream_tbPNSt15iterator_traitsISI_E10value_typeEPNSO_ISJ_E10value_typeEPSK_NS1_7vsmem_tEENKUlT_SI_SJ_SK_E_clISD_PiSD_S10_EESH_SX_SI_SJ_SK_EUlSX_E0_NS1_11comp_targetILNS1_3genE2ELNS1_11target_archE906ELNS1_3gpuE6ELNS1_3repE0EEENS1_38merge_mergepath_config_static_selectorELNS0_4arch9wavefront6targetE0EEEvSJ_.private_seg_size, 0
	.set _ZN7rocprim17ROCPRIM_400000_NS6detail17trampoline_kernelINS0_14default_configENS1_38merge_sort_block_merge_config_selectorIiiEEZZNS1_27merge_sort_block_merge_implIS3_N6thrust23THRUST_200600_302600_NS6detail15normal_iteratorINS8_10device_ptrIiEEEESD_jNS1_19radix_merge_compareILb1ELb0EiNS0_19identity_decomposerEEEEE10hipError_tT0_T1_T2_jT3_P12ihipStream_tbPNSt15iterator_traitsISI_E10value_typeEPNSO_ISJ_E10value_typeEPSK_NS1_7vsmem_tEENKUlT_SI_SJ_SK_E_clISD_PiSD_S10_EESH_SX_SI_SJ_SK_EUlSX_E0_NS1_11comp_targetILNS1_3genE2ELNS1_11target_archE906ELNS1_3gpuE6ELNS1_3repE0EEENS1_38merge_mergepath_config_static_selectorELNS0_4arch9wavefront6targetE0EEEvSJ_.uses_vcc, 0
	.set _ZN7rocprim17ROCPRIM_400000_NS6detail17trampoline_kernelINS0_14default_configENS1_38merge_sort_block_merge_config_selectorIiiEEZZNS1_27merge_sort_block_merge_implIS3_N6thrust23THRUST_200600_302600_NS6detail15normal_iteratorINS8_10device_ptrIiEEEESD_jNS1_19radix_merge_compareILb1ELb0EiNS0_19identity_decomposerEEEEE10hipError_tT0_T1_T2_jT3_P12ihipStream_tbPNSt15iterator_traitsISI_E10value_typeEPNSO_ISJ_E10value_typeEPSK_NS1_7vsmem_tEENKUlT_SI_SJ_SK_E_clISD_PiSD_S10_EESH_SX_SI_SJ_SK_EUlSX_E0_NS1_11comp_targetILNS1_3genE2ELNS1_11target_archE906ELNS1_3gpuE6ELNS1_3repE0EEENS1_38merge_mergepath_config_static_selectorELNS0_4arch9wavefront6targetE0EEEvSJ_.uses_flat_scratch, 0
	.set _ZN7rocprim17ROCPRIM_400000_NS6detail17trampoline_kernelINS0_14default_configENS1_38merge_sort_block_merge_config_selectorIiiEEZZNS1_27merge_sort_block_merge_implIS3_N6thrust23THRUST_200600_302600_NS6detail15normal_iteratorINS8_10device_ptrIiEEEESD_jNS1_19radix_merge_compareILb1ELb0EiNS0_19identity_decomposerEEEEE10hipError_tT0_T1_T2_jT3_P12ihipStream_tbPNSt15iterator_traitsISI_E10value_typeEPNSO_ISJ_E10value_typeEPSK_NS1_7vsmem_tEENKUlT_SI_SJ_SK_E_clISD_PiSD_S10_EESH_SX_SI_SJ_SK_EUlSX_E0_NS1_11comp_targetILNS1_3genE2ELNS1_11target_archE906ELNS1_3gpuE6ELNS1_3repE0EEENS1_38merge_mergepath_config_static_selectorELNS0_4arch9wavefront6targetE0EEEvSJ_.has_dyn_sized_stack, 0
	.set _ZN7rocprim17ROCPRIM_400000_NS6detail17trampoline_kernelINS0_14default_configENS1_38merge_sort_block_merge_config_selectorIiiEEZZNS1_27merge_sort_block_merge_implIS3_N6thrust23THRUST_200600_302600_NS6detail15normal_iteratorINS8_10device_ptrIiEEEESD_jNS1_19radix_merge_compareILb1ELb0EiNS0_19identity_decomposerEEEEE10hipError_tT0_T1_T2_jT3_P12ihipStream_tbPNSt15iterator_traitsISI_E10value_typeEPNSO_ISJ_E10value_typeEPSK_NS1_7vsmem_tEENKUlT_SI_SJ_SK_E_clISD_PiSD_S10_EESH_SX_SI_SJ_SK_EUlSX_E0_NS1_11comp_targetILNS1_3genE2ELNS1_11target_archE906ELNS1_3gpuE6ELNS1_3repE0EEENS1_38merge_mergepath_config_static_selectorELNS0_4arch9wavefront6targetE0EEEvSJ_.has_recursion, 0
	.set _ZN7rocprim17ROCPRIM_400000_NS6detail17trampoline_kernelINS0_14default_configENS1_38merge_sort_block_merge_config_selectorIiiEEZZNS1_27merge_sort_block_merge_implIS3_N6thrust23THRUST_200600_302600_NS6detail15normal_iteratorINS8_10device_ptrIiEEEESD_jNS1_19radix_merge_compareILb1ELb0EiNS0_19identity_decomposerEEEEE10hipError_tT0_T1_T2_jT3_P12ihipStream_tbPNSt15iterator_traitsISI_E10value_typeEPNSO_ISJ_E10value_typeEPSK_NS1_7vsmem_tEENKUlT_SI_SJ_SK_E_clISD_PiSD_S10_EESH_SX_SI_SJ_SK_EUlSX_E0_NS1_11comp_targetILNS1_3genE2ELNS1_11target_archE906ELNS1_3gpuE6ELNS1_3repE0EEENS1_38merge_mergepath_config_static_selectorELNS0_4arch9wavefront6targetE0EEEvSJ_.has_indirect_call, 0
	.section	.AMDGPU.csdata,"",@progbits
; Kernel info:
; codeLenInByte = 0
; TotalNumSgprs: 0
; NumVgprs: 0
; ScratchSize: 0
; MemoryBound: 0
; FloatMode: 240
; IeeeMode: 1
; LDSByteSize: 0 bytes/workgroup (compile time only)
; SGPRBlocks: 0
; VGPRBlocks: 0
; NumSGPRsForWavesPerEU: 1
; NumVGPRsForWavesPerEU: 1
; Occupancy: 16
; WaveLimiterHint : 0
; COMPUTE_PGM_RSRC2:SCRATCH_EN: 0
; COMPUTE_PGM_RSRC2:USER_SGPR: 6
; COMPUTE_PGM_RSRC2:TRAP_HANDLER: 0
; COMPUTE_PGM_RSRC2:TGID_X_EN: 1
; COMPUTE_PGM_RSRC2:TGID_Y_EN: 0
; COMPUTE_PGM_RSRC2:TGID_Z_EN: 0
; COMPUTE_PGM_RSRC2:TIDIG_COMP_CNT: 0
	.section	.text._ZN7rocprim17ROCPRIM_400000_NS6detail17trampoline_kernelINS0_14default_configENS1_38merge_sort_block_merge_config_selectorIiiEEZZNS1_27merge_sort_block_merge_implIS3_N6thrust23THRUST_200600_302600_NS6detail15normal_iteratorINS8_10device_ptrIiEEEESD_jNS1_19radix_merge_compareILb1ELb0EiNS0_19identity_decomposerEEEEE10hipError_tT0_T1_T2_jT3_P12ihipStream_tbPNSt15iterator_traitsISI_E10value_typeEPNSO_ISJ_E10value_typeEPSK_NS1_7vsmem_tEENKUlT_SI_SJ_SK_E_clISD_PiSD_S10_EESH_SX_SI_SJ_SK_EUlSX_E0_NS1_11comp_targetILNS1_3genE9ELNS1_11target_archE1100ELNS1_3gpuE3ELNS1_3repE0EEENS1_38merge_mergepath_config_static_selectorELNS0_4arch9wavefront6targetE0EEEvSJ_,"axG",@progbits,_ZN7rocprim17ROCPRIM_400000_NS6detail17trampoline_kernelINS0_14default_configENS1_38merge_sort_block_merge_config_selectorIiiEEZZNS1_27merge_sort_block_merge_implIS3_N6thrust23THRUST_200600_302600_NS6detail15normal_iteratorINS8_10device_ptrIiEEEESD_jNS1_19radix_merge_compareILb1ELb0EiNS0_19identity_decomposerEEEEE10hipError_tT0_T1_T2_jT3_P12ihipStream_tbPNSt15iterator_traitsISI_E10value_typeEPNSO_ISJ_E10value_typeEPSK_NS1_7vsmem_tEENKUlT_SI_SJ_SK_E_clISD_PiSD_S10_EESH_SX_SI_SJ_SK_EUlSX_E0_NS1_11comp_targetILNS1_3genE9ELNS1_11target_archE1100ELNS1_3gpuE3ELNS1_3repE0EEENS1_38merge_mergepath_config_static_selectorELNS0_4arch9wavefront6targetE0EEEvSJ_,comdat
	.protected	_ZN7rocprim17ROCPRIM_400000_NS6detail17trampoline_kernelINS0_14default_configENS1_38merge_sort_block_merge_config_selectorIiiEEZZNS1_27merge_sort_block_merge_implIS3_N6thrust23THRUST_200600_302600_NS6detail15normal_iteratorINS8_10device_ptrIiEEEESD_jNS1_19radix_merge_compareILb1ELb0EiNS0_19identity_decomposerEEEEE10hipError_tT0_T1_T2_jT3_P12ihipStream_tbPNSt15iterator_traitsISI_E10value_typeEPNSO_ISJ_E10value_typeEPSK_NS1_7vsmem_tEENKUlT_SI_SJ_SK_E_clISD_PiSD_S10_EESH_SX_SI_SJ_SK_EUlSX_E0_NS1_11comp_targetILNS1_3genE9ELNS1_11target_archE1100ELNS1_3gpuE3ELNS1_3repE0EEENS1_38merge_mergepath_config_static_selectorELNS0_4arch9wavefront6targetE0EEEvSJ_ ; -- Begin function _ZN7rocprim17ROCPRIM_400000_NS6detail17trampoline_kernelINS0_14default_configENS1_38merge_sort_block_merge_config_selectorIiiEEZZNS1_27merge_sort_block_merge_implIS3_N6thrust23THRUST_200600_302600_NS6detail15normal_iteratorINS8_10device_ptrIiEEEESD_jNS1_19radix_merge_compareILb1ELb0EiNS0_19identity_decomposerEEEEE10hipError_tT0_T1_T2_jT3_P12ihipStream_tbPNSt15iterator_traitsISI_E10value_typeEPNSO_ISJ_E10value_typeEPSK_NS1_7vsmem_tEENKUlT_SI_SJ_SK_E_clISD_PiSD_S10_EESH_SX_SI_SJ_SK_EUlSX_E0_NS1_11comp_targetILNS1_3genE9ELNS1_11target_archE1100ELNS1_3gpuE3ELNS1_3repE0EEENS1_38merge_mergepath_config_static_selectorELNS0_4arch9wavefront6targetE0EEEvSJ_
	.globl	_ZN7rocprim17ROCPRIM_400000_NS6detail17trampoline_kernelINS0_14default_configENS1_38merge_sort_block_merge_config_selectorIiiEEZZNS1_27merge_sort_block_merge_implIS3_N6thrust23THRUST_200600_302600_NS6detail15normal_iteratorINS8_10device_ptrIiEEEESD_jNS1_19radix_merge_compareILb1ELb0EiNS0_19identity_decomposerEEEEE10hipError_tT0_T1_T2_jT3_P12ihipStream_tbPNSt15iterator_traitsISI_E10value_typeEPNSO_ISJ_E10value_typeEPSK_NS1_7vsmem_tEENKUlT_SI_SJ_SK_E_clISD_PiSD_S10_EESH_SX_SI_SJ_SK_EUlSX_E0_NS1_11comp_targetILNS1_3genE9ELNS1_11target_archE1100ELNS1_3gpuE3ELNS1_3repE0EEENS1_38merge_mergepath_config_static_selectorELNS0_4arch9wavefront6targetE0EEEvSJ_
	.p2align	8
	.type	_ZN7rocprim17ROCPRIM_400000_NS6detail17trampoline_kernelINS0_14default_configENS1_38merge_sort_block_merge_config_selectorIiiEEZZNS1_27merge_sort_block_merge_implIS3_N6thrust23THRUST_200600_302600_NS6detail15normal_iteratorINS8_10device_ptrIiEEEESD_jNS1_19radix_merge_compareILb1ELb0EiNS0_19identity_decomposerEEEEE10hipError_tT0_T1_T2_jT3_P12ihipStream_tbPNSt15iterator_traitsISI_E10value_typeEPNSO_ISJ_E10value_typeEPSK_NS1_7vsmem_tEENKUlT_SI_SJ_SK_E_clISD_PiSD_S10_EESH_SX_SI_SJ_SK_EUlSX_E0_NS1_11comp_targetILNS1_3genE9ELNS1_11target_archE1100ELNS1_3gpuE3ELNS1_3repE0EEENS1_38merge_mergepath_config_static_selectorELNS0_4arch9wavefront6targetE0EEEvSJ_,@function
_ZN7rocprim17ROCPRIM_400000_NS6detail17trampoline_kernelINS0_14default_configENS1_38merge_sort_block_merge_config_selectorIiiEEZZNS1_27merge_sort_block_merge_implIS3_N6thrust23THRUST_200600_302600_NS6detail15normal_iteratorINS8_10device_ptrIiEEEESD_jNS1_19radix_merge_compareILb1ELb0EiNS0_19identity_decomposerEEEEE10hipError_tT0_T1_T2_jT3_P12ihipStream_tbPNSt15iterator_traitsISI_E10value_typeEPNSO_ISJ_E10value_typeEPSK_NS1_7vsmem_tEENKUlT_SI_SJ_SK_E_clISD_PiSD_S10_EESH_SX_SI_SJ_SK_EUlSX_E0_NS1_11comp_targetILNS1_3genE9ELNS1_11target_archE1100ELNS1_3gpuE3ELNS1_3repE0EEENS1_38merge_mergepath_config_static_selectorELNS0_4arch9wavefront6targetE0EEEvSJ_: ; @_ZN7rocprim17ROCPRIM_400000_NS6detail17trampoline_kernelINS0_14default_configENS1_38merge_sort_block_merge_config_selectorIiiEEZZNS1_27merge_sort_block_merge_implIS3_N6thrust23THRUST_200600_302600_NS6detail15normal_iteratorINS8_10device_ptrIiEEEESD_jNS1_19radix_merge_compareILb1ELb0EiNS0_19identity_decomposerEEEEE10hipError_tT0_T1_T2_jT3_P12ihipStream_tbPNSt15iterator_traitsISI_E10value_typeEPNSO_ISJ_E10value_typeEPSK_NS1_7vsmem_tEENKUlT_SI_SJ_SK_E_clISD_PiSD_S10_EESH_SX_SI_SJ_SK_EUlSX_E0_NS1_11comp_targetILNS1_3genE9ELNS1_11target_archE1100ELNS1_3gpuE3ELNS1_3repE0EEENS1_38merge_mergepath_config_static_selectorELNS0_4arch9wavefront6targetE0EEEvSJ_
; %bb.0:
	.section	.rodata,"a",@progbits
	.p2align	6, 0x0
	.amdhsa_kernel _ZN7rocprim17ROCPRIM_400000_NS6detail17trampoline_kernelINS0_14default_configENS1_38merge_sort_block_merge_config_selectorIiiEEZZNS1_27merge_sort_block_merge_implIS3_N6thrust23THRUST_200600_302600_NS6detail15normal_iteratorINS8_10device_ptrIiEEEESD_jNS1_19radix_merge_compareILb1ELb0EiNS0_19identity_decomposerEEEEE10hipError_tT0_T1_T2_jT3_P12ihipStream_tbPNSt15iterator_traitsISI_E10value_typeEPNSO_ISJ_E10value_typeEPSK_NS1_7vsmem_tEENKUlT_SI_SJ_SK_E_clISD_PiSD_S10_EESH_SX_SI_SJ_SK_EUlSX_E0_NS1_11comp_targetILNS1_3genE9ELNS1_11target_archE1100ELNS1_3gpuE3ELNS1_3repE0EEENS1_38merge_mergepath_config_static_selectorELNS0_4arch9wavefront6targetE0EEEvSJ_
		.amdhsa_group_segment_fixed_size 0
		.amdhsa_private_segment_fixed_size 0
		.amdhsa_kernarg_size 64
		.amdhsa_user_sgpr_count 6
		.amdhsa_user_sgpr_private_segment_buffer 1
		.amdhsa_user_sgpr_dispatch_ptr 0
		.amdhsa_user_sgpr_queue_ptr 0
		.amdhsa_user_sgpr_kernarg_segment_ptr 1
		.amdhsa_user_sgpr_dispatch_id 0
		.amdhsa_user_sgpr_flat_scratch_init 0
		.amdhsa_user_sgpr_private_segment_size 0
		.amdhsa_wavefront_size32 1
		.amdhsa_uses_dynamic_stack 0
		.amdhsa_system_sgpr_private_segment_wavefront_offset 0
		.amdhsa_system_sgpr_workgroup_id_x 1
		.amdhsa_system_sgpr_workgroup_id_y 0
		.amdhsa_system_sgpr_workgroup_id_z 0
		.amdhsa_system_sgpr_workgroup_info 0
		.amdhsa_system_vgpr_workitem_id 0
		.amdhsa_next_free_vgpr 1
		.amdhsa_next_free_sgpr 1
		.amdhsa_reserve_vcc 0
		.amdhsa_reserve_flat_scratch 0
		.amdhsa_float_round_mode_32 0
		.amdhsa_float_round_mode_16_64 0
		.amdhsa_float_denorm_mode_32 3
		.amdhsa_float_denorm_mode_16_64 3
		.amdhsa_dx10_clamp 1
		.amdhsa_ieee_mode 1
		.amdhsa_fp16_overflow 0
		.amdhsa_workgroup_processor_mode 1
		.amdhsa_memory_ordered 1
		.amdhsa_forward_progress 1
		.amdhsa_shared_vgpr_count 0
		.amdhsa_exception_fp_ieee_invalid_op 0
		.amdhsa_exception_fp_denorm_src 0
		.amdhsa_exception_fp_ieee_div_zero 0
		.amdhsa_exception_fp_ieee_overflow 0
		.amdhsa_exception_fp_ieee_underflow 0
		.amdhsa_exception_fp_ieee_inexact 0
		.amdhsa_exception_int_div_zero 0
	.end_amdhsa_kernel
	.section	.text._ZN7rocprim17ROCPRIM_400000_NS6detail17trampoline_kernelINS0_14default_configENS1_38merge_sort_block_merge_config_selectorIiiEEZZNS1_27merge_sort_block_merge_implIS3_N6thrust23THRUST_200600_302600_NS6detail15normal_iteratorINS8_10device_ptrIiEEEESD_jNS1_19radix_merge_compareILb1ELb0EiNS0_19identity_decomposerEEEEE10hipError_tT0_T1_T2_jT3_P12ihipStream_tbPNSt15iterator_traitsISI_E10value_typeEPNSO_ISJ_E10value_typeEPSK_NS1_7vsmem_tEENKUlT_SI_SJ_SK_E_clISD_PiSD_S10_EESH_SX_SI_SJ_SK_EUlSX_E0_NS1_11comp_targetILNS1_3genE9ELNS1_11target_archE1100ELNS1_3gpuE3ELNS1_3repE0EEENS1_38merge_mergepath_config_static_selectorELNS0_4arch9wavefront6targetE0EEEvSJ_,"axG",@progbits,_ZN7rocprim17ROCPRIM_400000_NS6detail17trampoline_kernelINS0_14default_configENS1_38merge_sort_block_merge_config_selectorIiiEEZZNS1_27merge_sort_block_merge_implIS3_N6thrust23THRUST_200600_302600_NS6detail15normal_iteratorINS8_10device_ptrIiEEEESD_jNS1_19radix_merge_compareILb1ELb0EiNS0_19identity_decomposerEEEEE10hipError_tT0_T1_T2_jT3_P12ihipStream_tbPNSt15iterator_traitsISI_E10value_typeEPNSO_ISJ_E10value_typeEPSK_NS1_7vsmem_tEENKUlT_SI_SJ_SK_E_clISD_PiSD_S10_EESH_SX_SI_SJ_SK_EUlSX_E0_NS1_11comp_targetILNS1_3genE9ELNS1_11target_archE1100ELNS1_3gpuE3ELNS1_3repE0EEENS1_38merge_mergepath_config_static_selectorELNS0_4arch9wavefront6targetE0EEEvSJ_,comdat
.Lfunc_end923:
	.size	_ZN7rocprim17ROCPRIM_400000_NS6detail17trampoline_kernelINS0_14default_configENS1_38merge_sort_block_merge_config_selectorIiiEEZZNS1_27merge_sort_block_merge_implIS3_N6thrust23THRUST_200600_302600_NS6detail15normal_iteratorINS8_10device_ptrIiEEEESD_jNS1_19radix_merge_compareILb1ELb0EiNS0_19identity_decomposerEEEEE10hipError_tT0_T1_T2_jT3_P12ihipStream_tbPNSt15iterator_traitsISI_E10value_typeEPNSO_ISJ_E10value_typeEPSK_NS1_7vsmem_tEENKUlT_SI_SJ_SK_E_clISD_PiSD_S10_EESH_SX_SI_SJ_SK_EUlSX_E0_NS1_11comp_targetILNS1_3genE9ELNS1_11target_archE1100ELNS1_3gpuE3ELNS1_3repE0EEENS1_38merge_mergepath_config_static_selectorELNS0_4arch9wavefront6targetE0EEEvSJ_, .Lfunc_end923-_ZN7rocprim17ROCPRIM_400000_NS6detail17trampoline_kernelINS0_14default_configENS1_38merge_sort_block_merge_config_selectorIiiEEZZNS1_27merge_sort_block_merge_implIS3_N6thrust23THRUST_200600_302600_NS6detail15normal_iteratorINS8_10device_ptrIiEEEESD_jNS1_19radix_merge_compareILb1ELb0EiNS0_19identity_decomposerEEEEE10hipError_tT0_T1_T2_jT3_P12ihipStream_tbPNSt15iterator_traitsISI_E10value_typeEPNSO_ISJ_E10value_typeEPSK_NS1_7vsmem_tEENKUlT_SI_SJ_SK_E_clISD_PiSD_S10_EESH_SX_SI_SJ_SK_EUlSX_E0_NS1_11comp_targetILNS1_3genE9ELNS1_11target_archE1100ELNS1_3gpuE3ELNS1_3repE0EEENS1_38merge_mergepath_config_static_selectorELNS0_4arch9wavefront6targetE0EEEvSJ_
                                        ; -- End function
	.set _ZN7rocprim17ROCPRIM_400000_NS6detail17trampoline_kernelINS0_14default_configENS1_38merge_sort_block_merge_config_selectorIiiEEZZNS1_27merge_sort_block_merge_implIS3_N6thrust23THRUST_200600_302600_NS6detail15normal_iteratorINS8_10device_ptrIiEEEESD_jNS1_19radix_merge_compareILb1ELb0EiNS0_19identity_decomposerEEEEE10hipError_tT0_T1_T2_jT3_P12ihipStream_tbPNSt15iterator_traitsISI_E10value_typeEPNSO_ISJ_E10value_typeEPSK_NS1_7vsmem_tEENKUlT_SI_SJ_SK_E_clISD_PiSD_S10_EESH_SX_SI_SJ_SK_EUlSX_E0_NS1_11comp_targetILNS1_3genE9ELNS1_11target_archE1100ELNS1_3gpuE3ELNS1_3repE0EEENS1_38merge_mergepath_config_static_selectorELNS0_4arch9wavefront6targetE0EEEvSJ_.num_vgpr, 0
	.set _ZN7rocprim17ROCPRIM_400000_NS6detail17trampoline_kernelINS0_14default_configENS1_38merge_sort_block_merge_config_selectorIiiEEZZNS1_27merge_sort_block_merge_implIS3_N6thrust23THRUST_200600_302600_NS6detail15normal_iteratorINS8_10device_ptrIiEEEESD_jNS1_19radix_merge_compareILb1ELb0EiNS0_19identity_decomposerEEEEE10hipError_tT0_T1_T2_jT3_P12ihipStream_tbPNSt15iterator_traitsISI_E10value_typeEPNSO_ISJ_E10value_typeEPSK_NS1_7vsmem_tEENKUlT_SI_SJ_SK_E_clISD_PiSD_S10_EESH_SX_SI_SJ_SK_EUlSX_E0_NS1_11comp_targetILNS1_3genE9ELNS1_11target_archE1100ELNS1_3gpuE3ELNS1_3repE0EEENS1_38merge_mergepath_config_static_selectorELNS0_4arch9wavefront6targetE0EEEvSJ_.num_agpr, 0
	.set _ZN7rocprim17ROCPRIM_400000_NS6detail17trampoline_kernelINS0_14default_configENS1_38merge_sort_block_merge_config_selectorIiiEEZZNS1_27merge_sort_block_merge_implIS3_N6thrust23THRUST_200600_302600_NS6detail15normal_iteratorINS8_10device_ptrIiEEEESD_jNS1_19radix_merge_compareILb1ELb0EiNS0_19identity_decomposerEEEEE10hipError_tT0_T1_T2_jT3_P12ihipStream_tbPNSt15iterator_traitsISI_E10value_typeEPNSO_ISJ_E10value_typeEPSK_NS1_7vsmem_tEENKUlT_SI_SJ_SK_E_clISD_PiSD_S10_EESH_SX_SI_SJ_SK_EUlSX_E0_NS1_11comp_targetILNS1_3genE9ELNS1_11target_archE1100ELNS1_3gpuE3ELNS1_3repE0EEENS1_38merge_mergepath_config_static_selectorELNS0_4arch9wavefront6targetE0EEEvSJ_.numbered_sgpr, 0
	.set _ZN7rocprim17ROCPRIM_400000_NS6detail17trampoline_kernelINS0_14default_configENS1_38merge_sort_block_merge_config_selectorIiiEEZZNS1_27merge_sort_block_merge_implIS3_N6thrust23THRUST_200600_302600_NS6detail15normal_iteratorINS8_10device_ptrIiEEEESD_jNS1_19radix_merge_compareILb1ELb0EiNS0_19identity_decomposerEEEEE10hipError_tT0_T1_T2_jT3_P12ihipStream_tbPNSt15iterator_traitsISI_E10value_typeEPNSO_ISJ_E10value_typeEPSK_NS1_7vsmem_tEENKUlT_SI_SJ_SK_E_clISD_PiSD_S10_EESH_SX_SI_SJ_SK_EUlSX_E0_NS1_11comp_targetILNS1_3genE9ELNS1_11target_archE1100ELNS1_3gpuE3ELNS1_3repE0EEENS1_38merge_mergepath_config_static_selectorELNS0_4arch9wavefront6targetE0EEEvSJ_.num_named_barrier, 0
	.set _ZN7rocprim17ROCPRIM_400000_NS6detail17trampoline_kernelINS0_14default_configENS1_38merge_sort_block_merge_config_selectorIiiEEZZNS1_27merge_sort_block_merge_implIS3_N6thrust23THRUST_200600_302600_NS6detail15normal_iteratorINS8_10device_ptrIiEEEESD_jNS1_19radix_merge_compareILb1ELb0EiNS0_19identity_decomposerEEEEE10hipError_tT0_T1_T2_jT3_P12ihipStream_tbPNSt15iterator_traitsISI_E10value_typeEPNSO_ISJ_E10value_typeEPSK_NS1_7vsmem_tEENKUlT_SI_SJ_SK_E_clISD_PiSD_S10_EESH_SX_SI_SJ_SK_EUlSX_E0_NS1_11comp_targetILNS1_3genE9ELNS1_11target_archE1100ELNS1_3gpuE3ELNS1_3repE0EEENS1_38merge_mergepath_config_static_selectorELNS0_4arch9wavefront6targetE0EEEvSJ_.private_seg_size, 0
	.set _ZN7rocprim17ROCPRIM_400000_NS6detail17trampoline_kernelINS0_14default_configENS1_38merge_sort_block_merge_config_selectorIiiEEZZNS1_27merge_sort_block_merge_implIS3_N6thrust23THRUST_200600_302600_NS6detail15normal_iteratorINS8_10device_ptrIiEEEESD_jNS1_19radix_merge_compareILb1ELb0EiNS0_19identity_decomposerEEEEE10hipError_tT0_T1_T2_jT3_P12ihipStream_tbPNSt15iterator_traitsISI_E10value_typeEPNSO_ISJ_E10value_typeEPSK_NS1_7vsmem_tEENKUlT_SI_SJ_SK_E_clISD_PiSD_S10_EESH_SX_SI_SJ_SK_EUlSX_E0_NS1_11comp_targetILNS1_3genE9ELNS1_11target_archE1100ELNS1_3gpuE3ELNS1_3repE0EEENS1_38merge_mergepath_config_static_selectorELNS0_4arch9wavefront6targetE0EEEvSJ_.uses_vcc, 0
	.set _ZN7rocprim17ROCPRIM_400000_NS6detail17trampoline_kernelINS0_14default_configENS1_38merge_sort_block_merge_config_selectorIiiEEZZNS1_27merge_sort_block_merge_implIS3_N6thrust23THRUST_200600_302600_NS6detail15normal_iteratorINS8_10device_ptrIiEEEESD_jNS1_19radix_merge_compareILb1ELb0EiNS0_19identity_decomposerEEEEE10hipError_tT0_T1_T2_jT3_P12ihipStream_tbPNSt15iterator_traitsISI_E10value_typeEPNSO_ISJ_E10value_typeEPSK_NS1_7vsmem_tEENKUlT_SI_SJ_SK_E_clISD_PiSD_S10_EESH_SX_SI_SJ_SK_EUlSX_E0_NS1_11comp_targetILNS1_3genE9ELNS1_11target_archE1100ELNS1_3gpuE3ELNS1_3repE0EEENS1_38merge_mergepath_config_static_selectorELNS0_4arch9wavefront6targetE0EEEvSJ_.uses_flat_scratch, 0
	.set _ZN7rocprim17ROCPRIM_400000_NS6detail17trampoline_kernelINS0_14default_configENS1_38merge_sort_block_merge_config_selectorIiiEEZZNS1_27merge_sort_block_merge_implIS3_N6thrust23THRUST_200600_302600_NS6detail15normal_iteratorINS8_10device_ptrIiEEEESD_jNS1_19radix_merge_compareILb1ELb0EiNS0_19identity_decomposerEEEEE10hipError_tT0_T1_T2_jT3_P12ihipStream_tbPNSt15iterator_traitsISI_E10value_typeEPNSO_ISJ_E10value_typeEPSK_NS1_7vsmem_tEENKUlT_SI_SJ_SK_E_clISD_PiSD_S10_EESH_SX_SI_SJ_SK_EUlSX_E0_NS1_11comp_targetILNS1_3genE9ELNS1_11target_archE1100ELNS1_3gpuE3ELNS1_3repE0EEENS1_38merge_mergepath_config_static_selectorELNS0_4arch9wavefront6targetE0EEEvSJ_.has_dyn_sized_stack, 0
	.set _ZN7rocprim17ROCPRIM_400000_NS6detail17trampoline_kernelINS0_14default_configENS1_38merge_sort_block_merge_config_selectorIiiEEZZNS1_27merge_sort_block_merge_implIS3_N6thrust23THRUST_200600_302600_NS6detail15normal_iteratorINS8_10device_ptrIiEEEESD_jNS1_19radix_merge_compareILb1ELb0EiNS0_19identity_decomposerEEEEE10hipError_tT0_T1_T2_jT3_P12ihipStream_tbPNSt15iterator_traitsISI_E10value_typeEPNSO_ISJ_E10value_typeEPSK_NS1_7vsmem_tEENKUlT_SI_SJ_SK_E_clISD_PiSD_S10_EESH_SX_SI_SJ_SK_EUlSX_E0_NS1_11comp_targetILNS1_3genE9ELNS1_11target_archE1100ELNS1_3gpuE3ELNS1_3repE0EEENS1_38merge_mergepath_config_static_selectorELNS0_4arch9wavefront6targetE0EEEvSJ_.has_recursion, 0
	.set _ZN7rocprim17ROCPRIM_400000_NS6detail17trampoline_kernelINS0_14default_configENS1_38merge_sort_block_merge_config_selectorIiiEEZZNS1_27merge_sort_block_merge_implIS3_N6thrust23THRUST_200600_302600_NS6detail15normal_iteratorINS8_10device_ptrIiEEEESD_jNS1_19radix_merge_compareILb1ELb0EiNS0_19identity_decomposerEEEEE10hipError_tT0_T1_T2_jT3_P12ihipStream_tbPNSt15iterator_traitsISI_E10value_typeEPNSO_ISJ_E10value_typeEPSK_NS1_7vsmem_tEENKUlT_SI_SJ_SK_E_clISD_PiSD_S10_EESH_SX_SI_SJ_SK_EUlSX_E0_NS1_11comp_targetILNS1_3genE9ELNS1_11target_archE1100ELNS1_3gpuE3ELNS1_3repE0EEENS1_38merge_mergepath_config_static_selectorELNS0_4arch9wavefront6targetE0EEEvSJ_.has_indirect_call, 0
	.section	.AMDGPU.csdata,"",@progbits
; Kernel info:
; codeLenInByte = 0
; TotalNumSgprs: 0
; NumVgprs: 0
; ScratchSize: 0
; MemoryBound: 0
; FloatMode: 240
; IeeeMode: 1
; LDSByteSize: 0 bytes/workgroup (compile time only)
; SGPRBlocks: 0
; VGPRBlocks: 0
; NumSGPRsForWavesPerEU: 1
; NumVGPRsForWavesPerEU: 1
; Occupancy: 16
; WaveLimiterHint : 0
; COMPUTE_PGM_RSRC2:SCRATCH_EN: 0
; COMPUTE_PGM_RSRC2:USER_SGPR: 6
; COMPUTE_PGM_RSRC2:TRAP_HANDLER: 0
; COMPUTE_PGM_RSRC2:TGID_X_EN: 1
; COMPUTE_PGM_RSRC2:TGID_Y_EN: 0
; COMPUTE_PGM_RSRC2:TGID_Z_EN: 0
; COMPUTE_PGM_RSRC2:TIDIG_COMP_CNT: 0
	.section	.text._ZN7rocprim17ROCPRIM_400000_NS6detail17trampoline_kernelINS0_14default_configENS1_38merge_sort_block_merge_config_selectorIiiEEZZNS1_27merge_sort_block_merge_implIS3_N6thrust23THRUST_200600_302600_NS6detail15normal_iteratorINS8_10device_ptrIiEEEESD_jNS1_19radix_merge_compareILb1ELb0EiNS0_19identity_decomposerEEEEE10hipError_tT0_T1_T2_jT3_P12ihipStream_tbPNSt15iterator_traitsISI_E10value_typeEPNSO_ISJ_E10value_typeEPSK_NS1_7vsmem_tEENKUlT_SI_SJ_SK_E_clISD_PiSD_S10_EESH_SX_SI_SJ_SK_EUlSX_E0_NS1_11comp_targetILNS1_3genE8ELNS1_11target_archE1030ELNS1_3gpuE2ELNS1_3repE0EEENS1_38merge_mergepath_config_static_selectorELNS0_4arch9wavefront6targetE0EEEvSJ_,"axG",@progbits,_ZN7rocprim17ROCPRIM_400000_NS6detail17trampoline_kernelINS0_14default_configENS1_38merge_sort_block_merge_config_selectorIiiEEZZNS1_27merge_sort_block_merge_implIS3_N6thrust23THRUST_200600_302600_NS6detail15normal_iteratorINS8_10device_ptrIiEEEESD_jNS1_19radix_merge_compareILb1ELb0EiNS0_19identity_decomposerEEEEE10hipError_tT0_T1_T2_jT3_P12ihipStream_tbPNSt15iterator_traitsISI_E10value_typeEPNSO_ISJ_E10value_typeEPSK_NS1_7vsmem_tEENKUlT_SI_SJ_SK_E_clISD_PiSD_S10_EESH_SX_SI_SJ_SK_EUlSX_E0_NS1_11comp_targetILNS1_3genE8ELNS1_11target_archE1030ELNS1_3gpuE2ELNS1_3repE0EEENS1_38merge_mergepath_config_static_selectorELNS0_4arch9wavefront6targetE0EEEvSJ_,comdat
	.protected	_ZN7rocprim17ROCPRIM_400000_NS6detail17trampoline_kernelINS0_14default_configENS1_38merge_sort_block_merge_config_selectorIiiEEZZNS1_27merge_sort_block_merge_implIS3_N6thrust23THRUST_200600_302600_NS6detail15normal_iteratorINS8_10device_ptrIiEEEESD_jNS1_19radix_merge_compareILb1ELb0EiNS0_19identity_decomposerEEEEE10hipError_tT0_T1_T2_jT3_P12ihipStream_tbPNSt15iterator_traitsISI_E10value_typeEPNSO_ISJ_E10value_typeEPSK_NS1_7vsmem_tEENKUlT_SI_SJ_SK_E_clISD_PiSD_S10_EESH_SX_SI_SJ_SK_EUlSX_E0_NS1_11comp_targetILNS1_3genE8ELNS1_11target_archE1030ELNS1_3gpuE2ELNS1_3repE0EEENS1_38merge_mergepath_config_static_selectorELNS0_4arch9wavefront6targetE0EEEvSJ_ ; -- Begin function _ZN7rocprim17ROCPRIM_400000_NS6detail17trampoline_kernelINS0_14default_configENS1_38merge_sort_block_merge_config_selectorIiiEEZZNS1_27merge_sort_block_merge_implIS3_N6thrust23THRUST_200600_302600_NS6detail15normal_iteratorINS8_10device_ptrIiEEEESD_jNS1_19radix_merge_compareILb1ELb0EiNS0_19identity_decomposerEEEEE10hipError_tT0_T1_T2_jT3_P12ihipStream_tbPNSt15iterator_traitsISI_E10value_typeEPNSO_ISJ_E10value_typeEPSK_NS1_7vsmem_tEENKUlT_SI_SJ_SK_E_clISD_PiSD_S10_EESH_SX_SI_SJ_SK_EUlSX_E0_NS1_11comp_targetILNS1_3genE8ELNS1_11target_archE1030ELNS1_3gpuE2ELNS1_3repE0EEENS1_38merge_mergepath_config_static_selectorELNS0_4arch9wavefront6targetE0EEEvSJ_
	.globl	_ZN7rocprim17ROCPRIM_400000_NS6detail17trampoline_kernelINS0_14default_configENS1_38merge_sort_block_merge_config_selectorIiiEEZZNS1_27merge_sort_block_merge_implIS3_N6thrust23THRUST_200600_302600_NS6detail15normal_iteratorINS8_10device_ptrIiEEEESD_jNS1_19radix_merge_compareILb1ELb0EiNS0_19identity_decomposerEEEEE10hipError_tT0_T1_T2_jT3_P12ihipStream_tbPNSt15iterator_traitsISI_E10value_typeEPNSO_ISJ_E10value_typeEPSK_NS1_7vsmem_tEENKUlT_SI_SJ_SK_E_clISD_PiSD_S10_EESH_SX_SI_SJ_SK_EUlSX_E0_NS1_11comp_targetILNS1_3genE8ELNS1_11target_archE1030ELNS1_3gpuE2ELNS1_3repE0EEENS1_38merge_mergepath_config_static_selectorELNS0_4arch9wavefront6targetE0EEEvSJ_
	.p2align	8
	.type	_ZN7rocprim17ROCPRIM_400000_NS6detail17trampoline_kernelINS0_14default_configENS1_38merge_sort_block_merge_config_selectorIiiEEZZNS1_27merge_sort_block_merge_implIS3_N6thrust23THRUST_200600_302600_NS6detail15normal_iteratorINS8_10device_ptrIiEEEESD_jNS1_19radix_merge_compareILb1ELb0EiNS0_19identity_decomposerEEEEE10hipError_tT0_T1_T2_jT3_P12ihipStream_tbPNSt15iterator_traitsISI_E10value_typeEPNSO_ISJ_E10value_typeEPSK_NS1_7vsmem_tEENKUlT_SI_SJ_SK_E_clISD_PiSD_S10_EESH_SX_SI_SJ_SK_EUlSX_E0_NS1_11comp_targetILNS1_3genE8ELNS1_11target_archE1030ELNS1_3gpuE2ELNS1_3repE0EEENS1_38merge_mergepath_config_static_selectorELNS0_4arch9wavefront6targetE0EEEvSJ_,@function
_ZN7rocprim17ROCPRIM_400000_NS6detail17trampoline_kernelINS0_14default_configENS1_38merge_sort_block_merge_config_selectorIiiEEZZNS1_27merge_sort_block_merge_implIS3_N6thrust23THRUST_200600_302600_NS6detail15normal_iteratorINS8_10device_ptrIiEEEESD_jNS1_19radix_merge_compareILb1ELb0EiNS0_19identity_decomposerEEEEE10hipError_tT0_T1_T2_jT3_P12ihipStream_tbPNSt15iterator_traitsISI_E10value_typeEPNSO_ISJ_E10value_typeEPSK_NS1_7vsmem_tEENKUlT_SI_SJ_SK_E_clISD_PiSD_S10_EESH_SX_SI_SJ_SK_EUlSX_E0_NS1_11comp_targetILNS1_3genE8ELNS1_11target_archE1030ELNS1_3gpuE2ELNS1_3repE0EEENS1_38merge_mergepath_config_static_selectorELNS0_4arch9wavefront6targetE0EEEvSJ_: ; @_ZN7rocprim17ROCPRIM_400000_NS6detail17trampoline_kernelINS0_14default_configENS1_38merge_sort_block_merge_config_selectorIiiEEZZNS1_27merge_sort_block_merge_implIS3_N6thrust23THRUST_200600_302600_NS6detail15normal_iteratorINS8_10device_ptrIiEEEESD_jNS1_19radix_merge_compareILb1ELb0EiNS0_19identity_decomposerEEEEE10hipError_tT0_T1_T2_jT3_P12ihipStream_tbPNSt15iterator_traitsISI_E10value_typeEPNSO_ISJ_E10value_typeEPSK_NS1_7vsmem_tEENKUlT_SI_SJ_SK_E_clISD_PiSD_S10_EESH_SX_SI_SJ_SK_EUlSX_E0_NS1_11comp_targetILNS1_3genE8ELNS1_11target_archE1030ELNS1_3gpuE2ELNS1_3repE0EEENS1_38merge_mergepath_config_static_selectorELNS0_4arch9wavefront6targetE0EEEvSJ_
; %bb.0:
	s_clause 0x1
	s_load_dwordx2 s[0:1], s[4:5], 0x40
	s_load_dword s2, s[4:5], 0x30
	s_waitcnt lgkmcnt(0)
	s_mul_i32 s1, s1, s8
	s_add_i32 s1, s1, s7
	s_mul_i32 s0, s1, s0
	s_add_i32 s0, s0, s6
	s_cmp_ge_u32 s0, s2
	s_cbranch_scc1 .LBB924_34
; %bb.1:
	s_clause 0x1
	s_load_dwordx8 s[8:15], s[4:5], 0x10
	s_load_dwordx2 s[2:3], s[4:5], 0x38
	s_mov_b32 s1, 0
	s_load_dwordx2 s[22:23], s[4:5], 0x8
	s_mov_b32 s17, s1
	v_lshlrev_b32_e32 v3, 2, v0
                                        ; implicit-def: $vgpr1_vgpr2
	s_waitcnt lgkmcnt(0)
	s_lshr_b32 s24, s14, 10
	s_cmp_lg_u32 s0, s24
	s_cselect_b32 s18, -1, 0
	s_lshl_b64 s[6:7], s[0:1], 2
	s_add_u32 s2, s2, s6
	s_addc_u32 s3, s3, s7
	s_load_dwordx2 s[6:7], s[2:3], 0x0
	s_lshr_b32 s2, s15, 9
	s_and_b32 s2, s2, 0x7ffffe
	s_sub_i32 s3, 0, s2
	s_lshl_b32 s2, s0, 10
	s_and_b32 s4, s0, s3
	s_or_b32 s3, s0, s3
	s_lshl_b32 s5, s4, 11
	s_lshl_b32 s4, s4, 10
	s_add_i32 s5, s5, s15
	s_sub_i32 s16, s2, s4
	s_sub_i32 s4, s5, s4
	s_add_i32 s5, s5, s16
	s_min_u32 s19, s14, s4
	s_add_i32 s4, s4, s15
	s_waitcnt lgkmcnt(0)
	s_sub_i32 s15, s5, s6
	s_sub_i32 s5, s5, s7
	s_min_u32 s16, s14, s15
	s_addk_i32 s5, 0x400
	s_cmp_eq_u32 s3, -1
	s_cselect_b32 s19, s19, s7
	s_mov_b32 s7, s1
	s_cselect_b32 s3, s4, s5
	s_lshl_b64 s[4:5], s[6:7], 2
	s_min_u32 s15, s3, s14
	s_sub_i32 s3, s19, s6
	s_add_u32 s20, s22, s4
	s_addc_u32 s21, s23, s5
	s_lshl_b64 s[6:7], s[16:17], 2
	s_add_u32 s17, s22, s6
	s_addc_u32 s19, s23, s7
	s_cmp_eq_u32 s0, s24
	s_mov_b32 s0, -1
	s_cbranch_scc0 .LBB924_7
; %bb.2:
	s_andn2_b32 vcc_lo, exec_lo, s0
	s_sub_i32 s15, s15, s16
	s_cbranch_vccz .LBB924_8
.LBB924_3:
                                        ; implicit-def: $vgpr4
	s_and_saveexec_b32 s0, s1
	s_cbranch_execz .LBB924_5
.LBB924_4:
	global_load_dword v4, v[1:2], off
.LBB924_5:
	s_or_b32 exec_lo, exec_lo, s0
	v_mov_b32_e32 v2, 0
	s_add_u32 s16, s10, s4
	s_addc_u32 s17, s11, s5
	s_add_u32 s5, s10, s6
	s_addc_u32 s6, s11, s7
	s_andn2_b32 vcc_lo, exec_lo, s18
	s_waitcnt vmcnt(0)
	ds_write_b32 v3, v4
	s_cbranch_vccnz .LBB924_11
; %bb.6:
	v_sub_co_u32 v1, vcc_lo, v0, s3
	v_add_co_u32 v5, s0, s16, v3
	v_add_co_ci_u32_e64 v6, null, s17, 0, s0
	v_lshlrev_b64 v[1:2], 2, v[1:2]
	s_add_i32 s1, s15, s3
	s_mov_b32 s4, -1
	v_add_co_u32 v1, s0, s5, v1
	v_add_co_ci_u32_e64 v2, null, s6, v2, s0
	v_cndmask_b32_e32 v1, v1, v5, vcc_lo
	v_cndmask_b32_e32 v2, v2, v6, vcc_lo
	s_cbranch_execz .LBB924_12
	s_branch .LBB924_15
.LBB924_7:
	v_sub_co_u32 v1, vcc_lo, v0, s3
	v_mov_b32_e32 v2, 0
	v_add_co_u32 v4, s0, s20, v3
	v_add_co_ci_u32_e64 v5, null, s21, 0, s0
	v_lshlrev_b64 v[1:2], 2, v[1:2]
	s_mov_b32 s1, -1
	v_add_co_u32 v1, s0, s17, v1
	v_add_co_ci_u32_e64 v2, null, s19, v2, s0
	v_cndmask_b32_e32 v1, v1, v4, vcc_lo
	v_cndmask_b32_e32 v2, v2, v5, vcc_lo
	s_sub_i32 s15, s15, s16
	s_cbranch_execnz .LBB924_3
.LBB924_8:
	s_add_i32 s0, s15, s3
	s_mov_b32 s16, exec_lo
                                        ; implicit-def: $vgpr1_vgpr2
	v_cmpx_gt_u32_e64 s0, v0
	s_cbranch_execz .LBB924_10
; %bb.9:
	v_sub_co_u32 v1, vcc_lo, v0, s3
	v_mov_b32_e32 v2, 0
	v_add_co_u32 v4, s0, s20, v3
	v_add_co_ci_u32_e64 v5, null, s21, 0, s0
	v_lshlrev_b64 v[1:2], 2, v[1:2]
	s_or_b32 s1, s1, exec_lo
	v_add_co_u32 v1, s0, s17, v1
	v_add_co_ci_u32_e64 v2, null, s19, v2, s0
	v_cndmask_b32_e32 v1, v1, v4, vcc_lo
	v_cndmask_b32_e32 v2, v2, v5, vcc_lo
.LBB924_10:
	s_or_b32 exec_lo, exec_lo, s16
                                        ; implicit-def: $vgpr4
	s_and_saveexec_b32 s0, s1
	s_cbranch_execnz .LBB924_4
	s_branch .LBB924_5
.LBB924_11:
	s_mov_b32 s4, 0
                                        ; implicit-def: $vgpr1_vgpr2
                                        ; implicit-def: $sgpr1
.LBB924_12:
	s_add_i32 s1, s15, s3
	s_mov_b32 s7, exec_lo
                                        ; implicit-def: $vgpr1_vgpr2
	v_cmpx_gt_u32_e64 s1, v0
	s_cbranch_execz .LBB924_14
; %bb.13:
	v_sub_co_u32 v1, vcc_lo, v0, s3
	v_mov_b32_e32 v2, 0
	v_add_co_u32 v5, s0, s16, v3
	v_add_co_ci_u32_e64 v6, null, s17, 0, s0
	v_lshlrev_b64 v[1:2], 2, v[1:2]
	s_or_b32 s4, s4, exec_lo
	v_add_co_u32 v1, s0, s5, v1
	v_add_co_ci_u32_e64 v2, null, s6, v2, s0
	v_cndmask_b32_e32 v1, v1, v5, vcc_lo
	v_cndmask_b32_e32 v2, v2, v6, vcc_lo
.LBB924_14:
	s_or_b32 exec_lo, exec_lo, s7
.LBB924_15:
	v_mov_b32_e32 v6, s1
                                        ; implicit-def: $vgpr5
	s_and_saveexec_b32 s0, s4
	s_cbranch_execz .LBB924_17
; %bb.16:
	global_load_dword v5, v[1:2], off
	v_mov_b32_e32 v6, s1
.LBB924_17:
	s_or_b32 exec_lo, exec_lo, s0
	v_min_u32_e32 v2, v6, v0
	s_mov_b32 s0, exec_lo
	s_waitcnt vmcnt(0) lgkmcnt(0)
	s_barrier
	buffer_gl0_inv
	v_sub_nc_u32_e64 v1, v2, s15 clamp
	v_min_u32_e32 v7, s3, v2
	v_cmpx_lt_u32_e64 v1, v7
	s_cbranch_execz .LBB924_21
; %bb.18:
	v_lshlrev_b32_e32 v8, 2, v2
	s_mov_b32 s1, 0
	v_lshl_add_u32 v8, s3, 2, v8
	.p2align	6
.LBB924_19:                             ; =>This Inner Loop Header: Depth=1
	v_add_nc_u32_e32 v9, v7, v1
	v_lshrrev_b32_e32 v9, 1, v9
	v_not_b32_e32 v10, v9
	v_lshlrev_b32_e32 v11, 2, v9
	v_add_nc_u32_e32 v12, 1, v9
	v_lshl_add_u32 v10, v10, 2, v8
	ds_read_b32 v11, v11
	ds_read_b32 v10, v10
	s_waitcnt lgkmcnt(0)
	v_cmp_gt_i32_e32 vcc_lo, v10, v11
	v_cndmask_b32_e32 v7, v7, v9, vcc_lo
	v_cndmask_b32_e32 v1, v12, v1, vcc_lo
	v_cmp_ge_u32_e32 vcc_lo, v1, v7
	s_or_b32 s1, vcc_lo, s1
	s_andn2_b32 exec_lo, exec_lo, s1
	s_cbranch_execnz .LBB924_19
; %bb.20:
	s_or_b32 exec_lo, exec_lo, s1
.LBB924_21:
	s_or_b32 exec_lo, exec_lo, s0
	v_sub_nc_u32_e32 v2, v2, v1
	v_cmp_ge_u32_e32 vcc_lo, s3, v1
	v_mov_b32_e32 v7, 0
	v_add_nc_u32_e32 v2, s3, v2
	v_cmp_le_u32_e64 s0, v2, v6
	s_or_b32 s0, vcc_lo, s0
	s_and_saveexec_b32 s4, s0
	s_cbranch_execz .LBB924_27
; %bb.22:
	v_cmp_gt_u32_e32 vcc_lo, s3, v1
                                        ; implicit-def: $vgpr4
	s_and_saveexec_b32 s0, vcc_lo
; %bb.23:
	v_lshlrev_b32_e32 v4, 2, v1
	ds_read_b32 v4, v4
; %bb.24:
	s_or_b32 exec_lo, exec_lo, s0
	v_cmp_ge_u32_e64 s0, v2, v6
	v_cmp_lt_u32_e64 s1, v2, v6
                                        ; implicit-def: $vgpr6
	s_and_saveexec_b32 s3, s1
; %bb.25:
	v_lshlrev_b32_e32 v6, 2, v2
	ds_read_b32 v6, v6
; %bb.26:
	s_or_b32 exec_lo, exec_lo, s3
	s_waitcnt lgkmcnt(0)
	v_cmp_le_i32_e64 s1, v6, v4
	s_and_b32 s1, vcc_lo, s1
	s_or_b32 vcc_lo, s0, s1
	v_cndmask_b32_e32 v7, v2, v1, vcc_lo
	v_cndmask_b32_e32 v4, v6, v4, vcc_lo
.LBB924_27:
	s_or_b32 exec_lo, exec_lo, s4
	v_lshlrev_b32_e32 v1, 2, v7
	s_barrier
	buffer_gl0_inv
	ds_write_b32 v3, v5
	s_waitcnt lgkmcnt(0)
	s_barrier
	buffer_gl0_inv
	ds_read_b32 v1, v1
	s_mov_b32 s3, 0
	s_and_b32 vcc_lo, exec_lo, s18
	s_mov_b32 s0, -1
	s_waitcnt lgkmcnt(0)
	s_barrier
	buffer_gl0_inv
	s_barrier
	buffer_gl0_inv
	ds_write_b32 v3, v4
	s_waitcnt lgkmcnt(0)
	s_cbranch_vccz .LBB924_29
; %bb.28:
	s_barrier
	buffer_gl0_inv
	ds_read_b32 v2, v3
	s_lshl_b64 s[0:1], s[2:3], 2
	s_add_u32 s4, s8, s0
	s_addc_u32 s5, s9, s1
	s_waitcnt lgkmcnt(0)
	global_store_dword v3, v2, s[4:5]
	s_waitcnt_vscnt null, 0x0
	s_barrier
	buffer_gl0_inv
	ds_write_b32 v3, v1
	s_waitcnt lgkmcnt(0)
	s_barrier
	buffer_gl0_inv
	ds_read_b32 v2, v3
	s_add_u32 s4, s12, s0
	s_addc_u32 s5, s13, s1
	s_mov_b32 s0, s3
	s_waitcnt lgkmcnt(0)
	global_store_dword v3, v2, s[4:5]
.LBB924_29:
	s_andn2_b32 vcc_lo, exec_lo, s0
	s_cbranch_vccnz .LBB924_34
; %bb.30:
	s_sub_i32 s0, s14, s2
	s_barrier
	v_cmp_gt_u32_e32 vcc_lo, s0, v0
	s_waitcnt_vscnt null, 0x0
	buffer_gl0_inv
	s_and_saveexec_b32 s0, vcc_lo
	s_cbranch_execz .LBB924_32
; %bb.31:
	ds_read_b32 v0, v3
	s_lshl_b64 s[4:5], s[2:3], 2
	s_add_u32 s4, s8, s4
	s_addc_u32 s5, s9, s5
	s_waitcnt lgkmcnt(0)
	global_store_dword v3, v0, s[4:5]
.LBB924_32:
	s_or_b32 exec_lo, exec_lo, s0
	s_waitcnt_vscnt null, 0x0
	s_barrier
	buffer_gl0_inv
	ds_write_b32 v3, v1
	s_waitcnt lgkmcnt(0)
	s_barrier
	buffer_gl0_inv
	s_and_saveexec_b32 s0, vcc_lo
	s_cbranch_execz .LBB924_34
; %bb.33:
	ds_read_b32 v0, v3
	s_lshl_b64 s[0:1], s[2:3], 2
	s_add_u32 s0, s12, s0
	s_addc_u32 s1, s13, s1
	s_waitcnt lgkmcnt(0)
	global_store_dword v3, v0, s[0:1]
.LBB924_34:
	s_endpgm
	.section	.rodata,"a",@progbits
	.p2align	6, 0x0
	.amdhsa_kernel _ZN7rocprim17ROCPRIM_400000_NS6detail17trampoline_kernelINS0_14default_configENS1_38merge_sort_block_merge_config_selectorIiiEEZZNS1_27merge_sort_block_merge_implIS3_N6thrust23THRUST_200600_302600_NS6detail15normal_iteratorINS8_10device_ptrIiEEEESD_jNS1_19radix_merge_compareILb1ELb0EiNS0_19identity_decomposerEEEEE10hipError_tT0_T1_T2_jT3_P12ihipStream_tbPNSt15iterator_traitsISI_E10value_typeEPNSO_ISJ_E10value_typeEPSK_NS1_7vsmem_tEENKUlT_SI_SJ_SK_E_clISD_PiSD_S10_EESH_SX_SI_SJ_SK_EUlSX_E0_NS1_11comp_targetILNS1_3genE8ELNS1_11target_archE1030ELNS1_3gpuE2ELNS1_3repE0EEENS1_38merge_mergepath_config_static_selectorELNS0_4arch9wavefront6targetE0EEEvSJ_
		.amdhsa_group_segment_fixed_size 4112
		.amdhsa_private_segment_fixed_size 0
		.amdhsa_kernarg_size 320
		.amdhsa_user_sgpr_count 6
		.amdhsa_user_sgpr_private_segment_buffer 1
		.amdhsa_user_sgpr_dispatch_ptr 0
		.amdhsa_user_sgpr_queue_ptr 0
		.amdhsa_user_sgpr_kernarg_segment_ptr 1
		.amdhsa_user_sgpr_dispatch_id 0
		.amdhsa_user_sgpr_flat_scratch_init 0
		.amdhsa_user_sgpr_private_segment_size 0
		.amdhsa_wavefront_size32 1
		.amdhsa_uses_dynamic_stack 0
		.amdhsa_system_sgpr_private_segment_wavefront_offset 0
		.amdhsa_system_sgpr_workgroup_id_x 1
		.amdhsa_system_sgpr_workgroup_id_y 1
		.amdhsa_system_sgpr_workgroup_id_z 1
		.amdhsa_system_sgpr_workgroup_info 0
		.amdhsa_system_vgpr_workitem_id 0
		.amdhsa_next_free_vgpr 13
		.amdhsa_next_free_sgpr 25
		.amdhsa_reserve_vcc 1
		.amdhsa_reserve_flat_scratch 0
		.amdhsa_float_round_mode_32 0
		.amdhsa_float_round_mode_16_64 0
		.amdhsa_float_denorm_mode_32 3
		.amdhsa_float_denorm_mode_16_64 3
		.amdhsa_dx10_clamp 1
		.amdhsa_ieee_mode 1
		.amdhsa_fp16_overflow 0
		.amdhsa_workgroup_processor_mode 1
		.amdhsa_memory_ordered 1
		.amdhsa_forward_progress 1
		.amdhsa_shared_vgpr_count 0
		.amdhsa_exception_fp_ieee_invalid_op 0
		.amdhsa_exception_fp_denorm_src 0
		.amdhsa_exception_fp_ieee_div_zero 0
		.amdhsa_exception_fp_ieee_overflow 0
		.amdhsa_exception_fp_ieee_underflow 0
		.amdhsa_exception_fp_ieee_inexact 0
		.amdhsa_exception_int_div_zero 0
	.end_amdhsa_kernel
	.section	.text._ZN7rocprim17ROCPRIM_400000_NS6detail17trampoline_kernelINS0_14default_configENS1_38merge_sort_block_merge_config_selectorIiiEEZZNS1_27merge_sort_block_merge_implIS3_N6thrust23THRUST_200600_302600_NS6detail15normal_iteratorINS8_10device_ptrIiEEEESD_jNS1_19radix_merge_compareILb1ELb0EiNS0_19identity_decomposerEEEEE10hipError_tT0_T1_T2_jT3_P12ihipStream_tbPNSt15iterator_traitsISI_E10value_typeEPNSO_ISJ_E10value_typeEPSK_NS1_7vsmem_tEENKUlT_SI_SJ_SK_E_clISD_PiSD_S10_EESH_SX_SI_SJ_SK_EUlSX_E0_NS1_11comp_targetILNS1_3genE8ELNS1_11target_archE1030ELNS1_3gpuE2ELNS1_3repE0EEENS1_38merge_mergepath_config_static_selectorELNS0_4arch9wavefront6targetE0EEEvSJ_,"axG",@progbits,_ZN7rocprim17ROCPRIM_400000_NS6detail17trampoline_kernelINS0_14default_configENS1_38merge_sort_block_merge_config_selectorIiiEEZZNS1_27merge_sort_block_merge_implIS3_N6thrust23THRUST_200600_302600_NS6detail15normal_iteratorINS8_10device_ptrIiEEEESD_jNS1_19radix_merge_compareILb1ELb0EiNS0_19identity_decomposerEEEEE10hipError_tT0_T1_T2_jT3_P12ihipStream_tbPNSt15iterator_traitsISI_E10value_typeEPNSO_ISJ_E10value_typeEPSK_NS1_7vsmem_tEENKUlT_SI_SJ_SK_E_clISD_PiSD_S10_EESH_SX_SI_SJ_SK_EUlSX_E0_NS1_11comp_targetILNS1_3genE8ELNS1_11target_archE1030ELNS1_3gpuE2ELNS1_3repE0EEENS1_38merge_mergepath_config_static_selectorELNS0_4arch9wavefront6targetE0EEEvSJ_,comdat
.Lfunc_end924:
	.size	_ZN7rocprim17ROCPRIM_400000_NS6detail17trampoline_kernelINS0_14default_configENS1_38merge_sort_block_merge_config_selectorIiiEEZZNS1_27merge_sort_block_merge_implIS3_N6thrust23THRUST_200600_302600_NS6detail15normal_iteratorINS8_10device_ptrIiEEEESD_jNS1_19radix_merge_compareILb1ELb0EiNS0_19identity_decomposerEEEEE10hipError_tT0_T1_T2_jT3_P12ihipStream_tbPNSt15iterator_traitsISI_E10value_typeEPNSO_ISJ_E10value_typeEPSK_NS1_7vsmem_tEENKUlT_SI_SJ_SK_E_clISD_PiSD_S10_EESH_SX_SI_SJ_SK_EUlSX_E0_NS1_11comp_targetILNS1_3genE8ELNS1_11target_archE1030ELNS1_3gpuE2ELNS1_3repE0EEENS1_38merge_mergepath_config_static_selectorELNS0_4arch9wavefront6targetE0EEEvSJ_, .Lfunc_end924-_ZN7rocprim17ROCPRIM_400000_NS6detail17trampoline_kernelINS0_14default_configENS1_38merge_sort_block_merge_config_selectorIiiEEZZNS1_27merge_sort_block_merge_implIS3_N6thrust23THRUST_200600_302600_NS6detail15normal_iteratorINS8_10device_ptrIiEEEESD_jNS1_19radix_merge_compareILb1ELb0EiNS0_19identity_decomposerEEEEE10hipError_tT0_T1_T2_jT3_P12ihipStream_tbPNSt15iterator_traitsISI_E10value_typeEPNSO_ISJ_E10value_typeEPSK_NS1_7vsmem_tEENKUlT_SI_SJ_SK_E_clISD_PiSD_S10_EESH_SX_SI_SJ_SK_EUlSX_E0_NS1_11comp_targetILNS1_3genE8ELNS1_11target_archE1030ELNS1_3gpuE2ELNS1_3repE0EEENS1_38merge_mergepath_config_static_selectorELNS0_4arch9wavefront6targetE0EEEvSJ_
                                        ; -- End function
	.set _ZN7rocprim17ROCPRIM_400000_NS6detail17trampoline_kernelINS0_14default_configENS1_38merge_sort_block_merge_config_selectorIiiEEZZNS1_27merge_sort_block_merge_implIS3_N6thrust23THRUST_200600_302600_NS6detail15normal_iteratorINS8_10device_ptrIiEEEESD_jNS1_19radix_merge_compareILb1ELb0EiNS0_19identity_decomposerEEEEE10hipError_tT0_T1_T2_jT3_P12ihipStream_tbPNSt15iterator_traitsISI_E10value_typeEPNSO_ISJ_E10value_typeEPSK_NS1_7vsmem_tEENKUlT_SI_SJ_SK_E_clISD_PiSD_S10_EESH_SX_SI_SJ_SK_EUlSX_E0_NS1_11comp_targetILNS1_3genE8ELNS1_11target_archE1030ELNS1_3gpuE2ELNS1_3repE0EEENS1_38merge_mergepath_config_static_selectorELNS0_4arch9wavefront6targetE0EEEvSJ_.num_vgpr, 13
	.set _ZN7rocprim17ROCPRIM_400000_NS6detail17trampoline_kernelINS0_14default_configENS1_38merge_sort_block_merge_config_selectorIiiEEZZNS1_27merge_sort_block_merge_implIS3_N6thrust23THRUST_200600_302600_NS6detail15normal_iteratorINS8_10device_ptrIiEEEESD_jNS1_19radix_merge_compareILb1ELb0EiNS0_19identity_decomposerEEEEE10hipError_tT0_T1_T2_jT3_P12ihipStream_tbPNSt15iterator_traitsISI_E10value_typeEPNSO_ISJ_E10value_typeEPSK_NS1_7vsmem_tEENKUlT_SI_SJ_SK_E_clISD_PiSD_S10_EESH_SX_SI_SJ_SK_EUlSX_E0_NS1_11comp_targetILNS1_3genE8ELNS1_11target_archE1030ELNS1_3gpuE2ELNS1_3repE0EEENS1_38merge_mergepath_config_static_selectorELNS0_4arch9wavefront6targetE0EEEvSJ_.num_agpr, 0
	.set _ZN7rocprim17ROCPRIM_400000_NS6detail17trampoline_kernelINS0_14default_configENS1_38merge_sort_block_merge_config_selectorIiiEEZZNS1_27merge_sort_block_merge_implIS3_N6thrust23THRUST_200600_302600_NS6detail15normal_iteratorINS8_10device_ptrIiEEEESD_jNS1_19radix_merge_compareILb1ELb0EiNS0_19identity_decomposerEEEEE10hipError_tT0_T1_T2_jT3_P12ihipStream_tbPNSt15iterator_traitsISI_E10value_typeEPNSO_ISJ_E10value_typeEPSK_NS1_7vsmem_tEENKUlT_SI_SJ_SK_E_clISD_PiSD_S10_EESH_SX_SI_SJ_SK_EUlSX_E0_NS1_11comp_targetILNS1_3genE8ELNS1_11target_archE1030ELNS1_3gpuE2ELNS1_3repE0EEENS1_38merge_mergepath_config_static_selectorELNS0_4arch9wavefront6targetE0EEEvSJ_.numbered_sgpr, 25
	.set _ZN7rocprim17ROCPRIM_400000_NS6detail17trampoline_kernelINS0_14default_configENS1_38merge_sort_block_merge_config_selectorIiiEEZZNS1_27merge_sort_block_merge_implIS3_N6thrust23THRUST_200600_302600_NS6detail15normal_iteratorINS8_10device_ptrIiEEEESD_jNS1_19radix_merge_compareILb1ELb0EiNS0_19identity_decomposerEEEEE10hipError_tT0_T1_T2_jT3_P12ihipStream_tbPNSt15iterator_traitsISI_E10value_typeEPNSO_ISJ_E10value_typeEPSK_NS1_7vsmem_tEENKUlT_SI_SJ_SK_E_clISD_PiSD_S10_EESH_SX_SI_SJ_SK_EUlSX_E0_NS1_11comp_targetILNS1_3genE8ELNS1_11target_archE1030ELNS1_3gpuE2ELNS1_3repE0EEENS1_38merge_mergepath_config_static_selectorELNS0_4arch9wavefront6targetE0EEEvSJ_.num_named_barrier, 0
	.set _ZN7rocprim17ROCPRIM_400000_NS6detail17trampoline_kernelINS0_14default_configENS1_38merge_sort_block_merge_config_selectorIiiEEZZNS1_27merge_sort_block_merge_implIS3_N6thrust23THRUST_200600_302600_NS6detail15normal_iteratorINS8_10device_ptrIiEEEESD_jNS1_19radix_merge_compareILb1ELb0EiNS0_19identity_decomposerEEEEE10hipError_tT0_T1_T2_jT3_P12ihipStream_tbPNSt15iterator_traitsISI_E10value_typeEPNSO_ISJ_E10value_typeEPSK_NS1_7vsmem_tEENKUlT_SI_SJ_SK_E_clISD_PiSD_S10_EESH_SX_SI_SJ_SK_EUlSX_E0_NS1_11comp_targetILNS1_3genE8ELNS1_11target_archE1030ELNS1_3gpuE2ELNS1_3repE0EEENS1_38merge_mergepath_config_static_selectorELNS0_4arch9wavefront6targetE0EEEvSJ_.private_seg_size, 0
	.set _ZN7rocprim17ROCPRIM_400000_NS6detail17trampoline_kernelINS0_14default_configENS1_38merge_sort_block_merge_config_selectorIiiEEZZNS1_27merge_sort_block_merge_implIS3_N6thrust23THRUST_200600_302600_NS6detail15normal_iteratorINS8_10device_ptrIiEEEESD_jNS1_19radix_merge_compareILb1ELb0EiNS0_19identity_decomposerEEEEE10hipError_tT0_T1_T2_jT3_P12ihipStream_tbPNSt15iterator_traitsISI_E10value_typeEPNSO_ISJ_E10value_typeEPSK_NS1_7vsmem_tEENKUlT_SI_SJ_SK_E_clISD_PiSD_S10_EESH_SX_SI_SJ_SK_EUlSX_E0_NS1_11comp_targetILNS1_3genE8ELNS1_11target_archE1030ELNS1_3gpuE2ELNS1_3repE0EEENS1_38merge_mergepath_config_static_selectorELNS0_4arch9wavefront6targetE0EEEvSJ_.uses_vcc, 1
	.set _ZN7rocprim17ROCPRIM_400000_NS6detail17trampoline_kernelINS0_14default_configENS1_38merge_sort_block_merge_config_selectorIiiEEZZNS1_27merge_sort_block_merge_implIS3_N6thrust23THRUST_200600_302600_NS6detail15normal_iteratorINS8_10device_ptrIiEEEESD_jNS1_19radix_merge_compareILb1ELb0EiNS0_19identity_decomposerEEEEE10hipError_tT0_T1_T2_jT3_P12ihipStream_tbPNSt15iterator_traitsISI_E10value_typeEPNSO_ISJ_E10value_typeEPSK_NS1_7vsmem_tEENKUlT_SI_SJ_SK_E_clISD_PiSD_S10_EESH_SX_SI_SJ_SK_EUlSX_E0_NS1_11comp_targetILNS1_3genE8ELNS1_11target_archE1030ELNS1_3gpuE2ELNS1_3repE0EEENS1_38merge_mergepath_config_static_selectorELNS0_4arch9wavefront6targetE0EEEvSJ_.uses_flat_scratch, 0
	.set _ZN7rocprim17ROCPRIM_400000_NS6detail17trampoline_kernelINS0_14default_configENS1_38merge_sort_block_merge_config_selectorIiiEEZZNS1_27merge_sort_block_merge_implIS3_N6thrust23THRUST_200600_302600_NS6detail15normal_iteratorINS8_10device_ptrIiEEEESD_jNS1_19radix_merge_compareILb1ELb0EiNS0_19identity_decomposerEEEEE10hipError_tT0_T1_T2_jT3_P12ihipStream_tbPNSt15iterator_traitsISI_E10value_typeEPNSO_ISJ_E10value_typeEPSK_NS1_7vsmem_tEENKUlT_SI_SJ_SK_E_clISD_PiSD_S10_EESH_SX_SI_SJ_SK_EUlSX_E0_NS1_11comp_targetILNS1_3genE8ELNS1_11target_archE1030ELNS1_3gpuE2ELNS1_3repE0EEENS1_38merge_mergepath_config_static_selectorELNS0_4arch9wavefront6targetE0EEEvSJ_.has_dyn_sized_stack, 0
	.set _ZN7rocprim17ROCPRIM_400000_NS6detail17trampoline_kernelINS0_14default_configENS1_38merge_sort_block_merge_config_selectorIiiEEZZNS1_27merge_sort_block_merge_implIS3_N6thrust23THRUST_200600_302600_NS6detail15normal_iteratorINS8_10device_ptrIiEEEESD_jNS1_19radix_merge_compareILb1ELb0EiNS0_19identity_decomposerEEEEE10hipError_tT0_T1_T2_jT3_P12ihipStream_tbPNSt15iterator_traitsISI_E10value_typeEPNSO_ISJ_E10value_typeEPSK_NS1_7vsmem_tEENKUlT_SI_SJ_SK_E_clISD_PiSD_S10_EESH_SX_SI_SJ_SK_EUlSX_E0_NS1_11comp_targetILNS1_3genE8ELNS1_11target_archE1030ELNS1_3gpuE2ELNS1_3repE0EEENS1_38merge_mergepath_config_static_selectorELNS0_4arch9wavefront6targetE0EEEvSJ_.has_recursion, 0
	.set _ZN7rocprim17ROCPRIM_400000_NS6detail17trampoline_kernelINS0_14default_configENS1_38merge_sort_block_merge_config_selectorIiiEEZZNS1_27merge_sort_block_merge_implIS3_N6thrust23THRUST_200600_302600_NS6detail15normal_iteratorINS8_10device_ptrIiEEEESD_jNS1_19radix_merge_compareILb1ELb0EiNS0_19identity_decomposerEEEEE10hipError_tT0_T1_T2_jT3_P12ihipStream_tbPNSt15iterator_traitsISI_E10value_typeEPNSO_ISJ_E10value_typeEPSK_NS1_7vsmem_tEENKUlT_SI_SJ_SK_E_clISD_PiSD_S10_EESH_SX_SI_SJ_SK_EUlSX_E0_NS1_11comp_targetILNS1_3genE8ELNS1_11target_archE1030ELNS1_3gpuE2ELNS1_3repE0EEENS1_38merge_mergepath_config_static_selectorELNS0_4arch9wavefront6targetE0EEEvSJ_.has_indirect_call, 0
	.section	.AMDGPU.csdata,"",@progbits
; Kernel info:
; codeLenInByte = 1360
; TotalNumSgprs: 27
; NumVgprs: 13
; ScratchSize: 0
; MemoryBound: 0
; FloatMode: 240
; IeeeMode: 1
; LDSByteSize: 4112 bytes/workgroup (compile time only)
; SGPRBlocks: 0
; VGPRBlocks: 1
; NumSGPRsForWavesPerEU: 27
; NumVGPRsForWavesPerEU: 13
; Occupancy: 16
; WaveLimiterHint : 0
; COMPUTE_PGM_RSRC2:SCRATCH_EN: 0
; COMPUTE_PGM_RSRC2:USER_SGPR: 6
; COMPUTE_PGM_RSRC2:TRAP_HANDLER: 0
; COMPUTE_PGM_RSRC2:TGID_X_EN: 1
; COMPUTE_PGM_RSRC2:TGID_Y_EN: 1
; COMPUTE_PGM_RSRC2:TGID_Z_EN: 1
; COMPUTE_PGM_RSRC2:TIDIG_COMP_CNT: 0
	.section	.text._ZN7rocprim17ROCPRIM_400000_NS6detail17trampoline_kernelINS0_14default_configENS1_38merge_sort_block_merge_config_selectorIiiEEZZNS1_27merge_sort_block_merge_implIS3_N6thrust23THRUST_200600_302600_NS6detail15normal_iteratorINS8_10device_ptrIiEEEESD_jNS1_19radix_merge_compareILb1ELb0EiNS0_19identity_decomposerEEEEE10hipError_tT0_T1_T2_jT3_P12ihipStream_tbPNSt15iterator_traitsISI_E10value_typeEPNSO_ISJ_E10value_typeEPSK_NS1_7vsmem_tEENKUlT_SI_SJ_SK_E_clISD_PiSD_S10_EESH_SX_SI_SJ_SK_EUlSX_E1_NS1_11comp_targetILNS1_3genE0ELNS1_11target_archE4294967295ELNS1_3gpuE0ELNS1_3repE0EEENS1_36merge_oddeven_config_static_selectorELNS0_4arch9wavefront6targetE0EEEvSJ_,"axG",@progbits,_ZN7rocprim17ROCPRIM_400000_NS6detail17trampoline_kernelINS0_14default_configENS1_38merge_sort_block_merge_config_selectorIiiEEZZNS1_27merge_sort_block_merge_implIS3_N6thrust23THRUST_200600_302600_NS6detail15normal_iteratorINS8_10device_ptrIiEEEESD_jNS1_19radix_merge_compareILb1ELb0EiNS0_19identity_decomposerEEEEE10hipError_tT0_T1_T2_jT3_P12ihipStream_tbPNSt15iterator_traitsISI_E10value_typeEPNSO_ISJ_E10value_typeEPSK_NS1_7vsmem_tEENKUlT_SI_SJ_SK_E_clISD_PiSD_S10_EESH_SX_SI_SJ_SK_EUlSX_E1_NS1_11comp_targetILNS1_3genE0ELNS1_11target_archE4294967295ELNS1_3gpuE0ELNS1_3repE0EEENS1_36merge_oddeven_config_static_selectorELNS0_4arch9wavefront6targetE0EEEvSJ_,comdat
	.protected	_ZN7rocprim17ROCPRIM_400000_NS6detail17trampoline_kernelINS0_14default_configENS1_38merge_sort_block_merge_config_selectorIiiEEZZNS1_27merge_sort_block_merge_implIS3_N6thrust23THRUST_200600_302600_NS6detail15normal_iteratorINS8_10device_ptrIiEEEESD_jNS1_19radix_merge_compareILb1ELb0EiNS0_19identity_decomposerEEEEE10hipError_tT0_T1_T2_jT3_P12ihipStream_tbPNSt15iterator_traitsISI_E10value_typeEPNSO_ISJ_E10value_typeEPSK_NS1_7vsmem_tEENKUlT_SI_SJ_SK_E_clISD_PiSD_S10_EESH_SX_SI_SJ_SK_EUlSX_E1_NS1_11comp_targetILNS1_3genE0ELNS1_11target_archE4294967295ELNS1_3gpuE0ELNS1_3repE0EEENS1_36merge_oddeven_config_static_selectorELNS0_4arch9wavefront6targetE0EEEvSJ_ ; -- Begin function _ZN7rocprim17ROCPRIM_400000_NS6detail17trampoline_kernelINS0_14default_configENS1_38merge_sort_block_merge_config_selectorIiiEEZZNS1_27merge_sort_block_merge_implIS3_N6thrust23THRUST_200600_302600_NS6detail15normal_iteratorINS8_10device_ptrIiEEEESD_jNS1_19radix_merge_compareILb1ELb0EiNS0_19identity_decomposerEEEEE10hipError_tT0_T1_T2_jT3_P12ihipStream_tbPNSt15iterator_traitsISI_E10value_typeEPNSO_ISJ_E10value_typeEPSK_NS1_7vsmem_tEENKUlT_SI_SJ_SK_E_clISD_PiSD_S10_EESH_SX_SI_SJ_SK_EUlSX_E1_NS1_11comp_targetILNS1_3genE0ELNS1_11target_archE4294967295ELNS1_3gpuE0ELNS1_3repE0EEENS1_36merge_oddeven_config_static_selectorELNS0_4arch9wavefront6targetE0EEEvSJ_
	.globl	_ZN7rocprim17ROCPRIM_400000_NS6detail17trampoline_kernelINS0_14default_configENS1_38merge_sort_block_merge_config_selectorIiiEEZZNS1_27merge_sort_block_merge_implIS3_N6thrust23THRUST_200600_302600_NS6detail15normal_iteratorINS8_10device_ptrIiEEEESD_jNS1_19radix_merge_compareILb1ELb0EiNS0_19identity_decomposerEEEEE10hipError_tT0_T1_T2_jT3_P12ihipStream_tbPNSt15iterator_traitsISI_E10value_typeEPNSO_ISJ_E10value_typeEPSK_NS1_7vsmem_tEENKUlT_SI_SJ_SK_E_clISD_PiSD_S10_EESH_SX_SI_SJ_SK_EUlSX_E1_NS1_11comp_targetILNS1_3genE0ELNS1_11target_archE4294967295ELNS1_3gpuE0ELNS1_3repE0EEENS1_36merge_oddeven_config_static_selectorELNS0_4arch9wavefront6targetE0EEEvSJ_
	.p2align	8
	.type	_ZN7rocprim17ROCPRIM_400000_NS6detail17trampoline_kernelINS0_14default_configENS1_38merge_sort_block_merge_config_selectorIiiEEZZNS1_27merge_sort_block_merge_implIS3_N6thrust23THRUST_200600_302600_NS6detail15normal_iteratorINS8_10device_ptrIiEEEESD_jNS1_19radix_merge_compareILb1ELb0EiNS0_19identity_decomposerEEEEE10hipError_tT0_T1_T2_jT3_P12ihipStream_tbPNSt15iterator_traitsISI_E10value_typeEPNSO_ISJ_E10value_typeEPSK_NS1_7vsmem_tEENKUlT_SI_SJ_SK_E_clISD_PiSD_S10_EESH_SX_SI_SJ_SK_EUlSX_E1_NS1_11comp_targetILNS1_3genE0ELNS1_11target_archE4294967295ELNS1_3gpuE0ELNS1_3repE0EEENS1_36merge_oddeven_config_static_selectorELNS0_4arch9wavefront6targetE0EEEvSJ_,@function
_ZN7rocprim17ROCPRIM_400000_NS6detail17trampoline_kernelINS0_14default_configENS1_38merge_sort_block_merge_config_selectorIiiEEZZNS1_27merge_sort_block_merge_implIS3_N6thrust23THRUST_200600_302600_NS6detail15normal_iteratorINS8_10device_ptrIiEEEESD_jNS1_19radix_merge_compareILb1ELb0EiNS0_19identity_decomposerEEEEE10hipError_tT0_T1_T2_jT3_P12ihipStream_tbPNSt15iterator_traitsISI_E10value_typeEPNSO_ISJ_E10value_typeEPSK_NS1_7vsmem_tEENKUlT_SI_SJ_SK_E_clISD_PiSD_S10_EESH_SX_SI_SJ_SK_EUlSX_E1_NS1_11comp_targetILNS1_3genE0ELNS1_11target_archE4294967295ELNS1_3gpuE0ELNS1_3repE0EEENS1_36merge_oddeven_config_static_selectorELNS0_4arch9wavefront6targetE0EEEvSJ_: ; @_ZN7rocprim17ROCPRIM_400000_NS6detail17trampoline_kernelINS0_14default_configENS1_38merge_sort_block_merge_config_selectorIiiEEZZNS1_27merge_sort_block_merge_implIS3_N6thrust23THRUST_200600_302600_NS6detail15normal_iteratorINS8_10device_ptrIiEEEESD_jNS1_19radix_merge_compareILb1ELb0EiNS0_19identity_decomposerEEEEE10hipError_tT0_T1_T2_jT3_P12ihipStream_tbPNSt15iterator_traitsISI_E10value_typeEPNSO_ISJ_E10value_typeEPSK_NS1_7vsmem_tEENKUlT_SI_SJ_SK_E_clISD_PiSD_S10_EESH_SX_SI_SJ_SK_EUlSX_E1_NS1_11comp_targetILNS1_3genE0ELNS1_11target_archE4294967295ELNS1_3gpuE0ELNS1_3repE0EEENS1_36merge_oddeven_config_static_selectorELNS0_4arch9wavefront6targetE0EEEvSJ_
; %bb.0:
	.section	.rodata,"a",@progbits
	.p2align	6, 0x0
	.amdhsa_kernel _ZN7rocprim17ROCPRIM_400000_NS6detail17trampoline_kernelINS0_14default_configENS1_38merge_sort_block_merge_config_selectorIiiEEZZNS1_27merge_sort_block_merge_implIS3_N6thrust23THRUST_200600_302600_NS6detail15normal_iteratorINS8_10device_ptrIiEEEESD_jNS1_19radix_merge_compareILb1ELb0EiNS0_19identity_decomposerEEEEE10hipError_tT0_T1_T2_jT3_P12ihipStream_tbPNSt15iterator_traitsISI_E10value_typeEPNSO_ISJ_E10value_typeEPSK_NS1_7vsmem_tEENKUlT_SI_SJ_SK_E_clISD_PiSD_S10_EESH_SX_SI_SJ_SK_EUlSX_E1_NS1_11comp_targetILNS1_3genE0ELNS1_11target_archE4294967295ELNS1_3gpuE0ELNS1_3repE0EEENS1_36merge_oddeven_config_static_selectorELNS0_4arch9wavefront6targetE0EEEvSJ_
		.amdhsa_group_segment_fixed_size 0
		.amdhsa_private_segment_fixed_size 0
		.amdhsa_kernarg_size 48
		.amdhsa_user_sgpr_count 6
		.amdhsa_user_sgpr_private_segment_buffer 1
		.amdhsa_user_sgpr_dispatch_ptr 0
		.amdhsa_user_sgpr_queue_ptr 0
		.amdhsa_user_sgpr_kernarg_segment_ptr 1
		.amdhsa_user_sgpr_dispatch_id 0
		.amdhsa_user_sgpr_flat_scratch_init 0
		.amdhsa_user_sgpr_private_segment_size 0
		.amdhsa_wavefront_size32 1
		.amdhsa_uses_dynamic_stack 0
		.amdhsa_system_sgpr_private_segment_wavefront_offset 0
		.amdhsa_system_sgpr_workgroup_id_x 1
		.amdhsa_system_sgpr_workgroup_id_y 0
		.amdhsa_system_sgpr_workgroup_id_z 0
		.amdhsa_system_sgpr_workgroup_info 0
		.amdhsa_system_vgpr_workitem_id 0
		.amdhsa_next_free_vgpr 1
		.amdhsa_next_free_sgpr 1
		.amdhsa_reserve_vcc 0
		.amdhsa_reserve_flat_scratch 0
		.amdhsa_float_round_mode_32 0
		.amdhsa_float_round_mode_16_64 0
		.amdhsa_float_denorm_mode_32 3
		.amdhsa_float_denorm_mode_16_64 3
		.amdhsa_dx10_clamp 1
		.amdhsa_ieee_mode 1
		.amdhsa_fp16_overflow 0
		.amdhsa_workgroup_processor_mode 1
		.amdhsa_memory_ordered 1
		.amdhsa_forward_progress 1
		.amdhsa_shared_vgpr_count 0
		.amdhsa_exception_fp_ieee_invalid_op 0
		.amdhsa_exception_fp_denorm_src 0
		.amdhsa_exception_fp_ieee_div_zero 0
		.amdhsa_exception_fp_ieee_overflow 0
		.amdhsa_exception_fp_ieee_underflow 0
		.amdhsa_exception_fp_ieee_inexact 0
		.amdhsa_exception_int_div_zero 0
	.end_amdhsa_kernel
	.section	.text._ZN7rocprim17ROCPRIM_400000_NS6detail17trampoline_kernelINS0_14default_configENS1_38merge_sort_block_merge_config_selectorIiiEEZZNS1_27merge_sort_block_merge_implIS3_N6thrust23THRUST_200600_302600_NS6detail15normal_iteratorINS8_10device_ptrIiEEEESD_jNS1_19radix_merge_compareILb1ELb0EiNS0_19identity_decomposerEEEEE10hipError_tT0_T1_T2_jT3_P12ihipStream_tbPNSt15iterator_traitsISI_E10value_typeEPNSO_ISJ_E10value_typeEPSK_NS1_7vsmem_tEENKUlT_SI_SJ_SK_E_clISD_PiSD_S10_EESH_SX_SI_SJ_SK_EUlSX_E1_NS1_11comp_targetILNS1_3genE0ELNS1_11target_archE4294967295ELNS1_3gpuE0ELNS1_3repE0EEENS1_36merge_oddeven_config_static_selectorELNS0_4arch9wavefront6targetE0EEEvSJ_,"axG",@progbits,_ZN7rocprim17ROCPRIM_400000_NS6detail17trampoline_kernelINS0_14default_configENS1_38merge_sort_block_merge_config_selectorIiiEEZZNS1_27merge_sort_block_merge_implIS3_N6thrust23THRUST_200600_302600_NS6detail15normal_iteratorINS8_10device_ptrIiEEEESD_jNS1_19radix_merge_compareILb1ELb0EiNS0_19identity_decomposerEEEEE10hipError_tT0_T1_T2_jT3_P12ihipStream_tbPNSt15iterator_traitsISI_E10value_typeEPNSO_ISJ_E10value_typeEPSK_NS1_7vsmem_tEENKUlT_SI_SJ_SK_E_clISD_PiSD_S10_EESH_SX_SI_SJ_SK_EUlSX_E1_NS1_11comp_targetILNS1_3genE0ELNS1_11target_archE4294967295ELNS1_3gpuE0ELNS1_3repE0EEENS1_36merge_oddeven_config_static_selectorELNS0_4arch9wavefront6targetE0EEEvSJ_,comdat
.Lfunc_end925:
	.size	_ZN7rocprim17ROCPRIM_400000_NS6detail17trampoline_kernelINS0_14default_configENS1_38merge_sort_block_merge_config_selectorIiiEEZZNS1_27merge_sort_block_merge_implIS3_N6thrust23THRUST_200600_302600_NS6detail15normal_iteratorINS8_10device_ptrIiEEEESD_jNS1_19radix_merge_compareILb1ELb0EiNS0_19identity_decomposerEEEEE10hipError_tT0_T1_T2_jT3_P12ihipStream_tbPNSt15iterator_traitsISI_E10value_typeEPNSO_ISJ_E10value_typeEPSK_NS1_7vsmem_tEENKUlT_SI_SJ_SK_E_clISD_PiSD_S10_EESH_SX_SI_SJ_SK_EUlSX_E1_NS1_11comp_targetILNS1_3genE0ELNS1_11target_archE4294967295ELNS1_3gpuE0ELNS1_3repE0EEENS1_36merge_oddeven_config_static_selectorELNS0_4arch9wavefront6targetE0EEEvSJ_, .Lfunc_end925-_ZN7rocprim17ROCPRIM_400000_NS6detail17trampoline_kernelINS0_14default_configENS1_38merge_sort_block_merge_config_selectorIiiEEZZNS1_27merge_sort_block_merge_implIS3_N6thrust23THRUST_200600_302600_NS6detail15normal_iteratorINS8_10device_ptrIiEEEESD_jNS1_19radix_merge_compareILb1ELb0EiNS0_19identity_decomposerEEEEE10hipError_tT0_T1_T2_jT3_P12ihipStream_tbPNSt15iterator_traitsISI_E10value_typeEPNSO_ISJ_E10value_typeEPSK_NS1_7vsmem_tEENKUlT_SI_SJ_SK_E_clISD_PiSD_S10_EESH_SX_SI_SJ_SK_EUlSX_E1_NS1_11comp_targetILNS1_3genE0ELNS1_11target_archE4294967295ELNS1_3gpuE0ELNS1_3repE0EEENS1_36merge_oddeven_config_static_selectorELNS0_4arch9wavefront6targetE0EEEvSJ_
                                        ; -- End function
	.set _ZN7rocprim17ROCPRIM_400000_NS6detail17trampoline_kernelINS0_14default_configENS1_38merge_sort_block_merge_config_selectorIiiEEZZNS1_27merge_sort_block_merge_implIS3_N6thrust23THRUST_200600_302600_NS6detail15normal_iteratorINS8_10device_ptrIiEEEESD_jNS1_19radix_merge_compareILb1ELb0EiNS0_19identity_decomposerEEEEE10hipError_tT0_T1_T2_jT3_P12ihipStream_tbPNSt15iterator_traitsISI_E10value_typeEPNSO_ISJ_E10value_typeEPSK_NS1_7vsmem_tEENKUlT_SI_SJ_SK_E_clISD_PiSD_S10_EESH_SX_SI_SJ_SK_EUlSX_E1_NS1_11comp_targetILNS1_3genE0ELNS1_11target_archE4294967295ELNS1_3gpuE0ELNS1_3repE0EEENS1_36merge_oddeven_config_static_selectorELNS0_4arch9wavefront6targetE0EEEvSJ_.num_vgpr, 0
	.set _ZN7rocprim17ROCPRIM_400000_NS6detail17trampoline_kernelINS0_14default_configENS1_38merge_sort_block_merge_config_selectorIiiEEZZNS1_27merge_sort_block_merge_implIS3_N6thrust23THRUST_200600_302600_NS6detail15normal_iteratorINS8_10device_ptrIiEEEESD_jNS1_19radix_merge_compareILb1ELb0EiNS0_19identity_decomposerEEEEE10hipError_tT0_T1_T2_jT3_P12ihipStream_tbPNSt15iterator_traitsISI_E10value_typeEPNSO_ISJ_E10value_typeEPSK_NS1_7vsmem_tEENKUlT_SI_SJ_SK_E_clISD_PiSD_S10_EESH_SX_SI_SJ_SK_EUlSX_E1_NS1_11comp_targetILNS1_3genE0ELNS1_11target_archE4294967295ELNS1_3gpuE0ELNS1_3repE0EEENS1_36merge_oddeven_config_static_selectorELNS0_4arch9wavefront6targetE0EEEvSJ_.num_agpr, 0
	.set _ZN7rocprim17ROCPRIM_400000_NS6detail17trampoline_kernelINS0_14default_configENS1_38merge_sort_block_merge_config_selectorIiiEEZZNS1_27merge_sort_block_merge_implIS3_N6thrust23THRUST_200600_302600_NS6detail15normal_iteratorINS8_10device_ptrIiEEEESD_jNS1_19radix_merge_compareILb1ELb0EiNS0_19identity_decomposerEEEEE10hipError_tT0_T1_T2_jT3_P12ihipStream_tbPNSt15iterator_traitsISI_E10value_typeEPNSO_ISJ_E10value_typeEPSK_NS1_7vsmem_tEENKUlT_SI_SJ_SK_E_clISD_PiSD_S10_EESH_SX_SI_SJ_SK_EUlSX_E1_NS1_11comp_targetILNS1_3genE0ELNS1_11target_archE4294967295ELNS1_3gpuE0ELNS1_3repE0EEENS1_36merge_oddeven_config_static_selectorELNS0_4arch9wavefront6targetE0EEEvSJ_.numbered_sgpr, 0
	.set _ZN7rocprim17ROCPRIM_400000_NS6detail17trampoline_kernelINS0_14default_configENS1_38merge_sort_block_merge_config_selectorIiiEEZZNS1_27merge_sort_block_merge_implIS3_N6thrust23THRUST_200600_302600_NS6detail15normal_iteratorINS8_10device_ptrIiEEEESD_jNS1_19radix_merge_compareILb1ELb0EiNS0_19identity_decomposerEEEEE10hipError_tT0_T1_T2_jT3_P12ihipStream_tbPNSt15iterator_traitsISI_E10value_typeEPNSO_ISJ_E10value_typeEPSK_NS1_7vsmem_tEENKUlT_SI_SJ_SK_E_clISD_PiSD_S10_EESH_SX_SI_SJ_SK_EUlSX_E1_NS1_11comp_targetILNS1_3genE0ELNS1_11target_archE4294967295ELNS1_3gpuE0ELNS1_3repE0EEENS1_36merge_oddeven_config_static_selectorELNS0_4arch9wavefront6targetE0EEEvSJ_.num_named_barrier, 0
	.set _ZN7rocprim17ROCPRIM_400000_NS6detail17trampoline_kernelINS0_14default_configENS1_38merge_sort_block_merge_config_selectorIiiEEZZNS1_27merge_sort_block_merge_implIS3_N6thrust23THRUST_200600_302600_NS6detail15normal_iteratorINS8_10device_ptrIiEEEESD_jNS1_19radix_merge_compareILb1ELb0EiNS0_19identity_decomposerEEEEE10hipError_tT0_T1_T2_jT3_P12ihipStream_tbPNSt15iterator_traitsISI_E10value_typeEPNSO_ISJ_E10value_typeEPSK_NS1_7vsmem_tEENKUlT_SI_SJ_SK_E_clISD_PiSD_S10_EESH_SX_SI_SJ_SK_EUlSX_E1_NS1_11comp_targetILNS1_3genE0ELNS1_11target_archE4294967295ELNS1_3gpuE0ELNS1_3repE0EEENS1_36merge_oddeven_config_static_selectorELNS0_4arch9wavefront6targetE0EEEvSJ_.private_seg_size, 0
	.set _ZN7rocprim17ROCPRIM_400000_NS6detail17trampoline_kernelINS0_14default_configENS1_38merge_sort_block_merge_config_selectorIiiEEZZNS1_27merge_sort_block_merge_implIS3_N6thrust23THRUST_200600_302600_NS6detail15normal_iteratorINS8_10device_ptrIiEEEESD_jNS1_19radix_merge_compareILb1ELb0EiNS0_19identity_decomposerEEEEE10hipError_tT0_T1_T2_jT3_P12ihipStream_tbPNSt15iterator_traitsISI_E10value_typeEPNSO_ISJ_E10value_typeEPSK_NS1_7vsmem_tEENKUlT_SI_SJ_SK_E_clISD_PiSD_S10_EESH_SX_SI_SJ_SK_EUlSX_E1_NS1_11comp_targetILNS1_3genE0ELNS1_11target_archE4294967295ELNS1_3gpuE0ELNS1_3repE0EEENS1_36merge_oddeven_config_static_selectorELNS0_4arch9wavefront6targetE0EEEvSJ_.uses_vcc, 0
	.set _ZN7rocprim17ROCPRIM_400000_NS6detail17trampoline_kernelINS0_14default_configENS1_38merge_sort_block_merge_config_selectorIiiEEZZNS1_27merge_sort_block_merge_implIS3_N6thrust23THRUST_200600_302600_NS6detail15normal_iteratorINS8_10device_ptrIiEEEESD_jNS1_19radix_merge_compareILb1ELb0EiNS0_19identity_decomposerEEEEE10hipError_tT0_T1_T2_jT3_P12ihipStream_tbPNSt15iterator_traitsISI_E10value_typeEPNSO_ISJ_E10value_typeEPSK_NS1_7vsmem_tEENKUlT_SI_SJ_SK_E_clISD_PiSD_S10_EESH_SX_SI_SJ_SK_EUlSX_E1_NS1_11comp_targetILNS1_3genE0ELNS1_11target_archE4294967295ELNS1_3gpuE0ELNS1_3repE0EEENS1_36merge_oddeven_config_static_selectorELNS0_4arch9wavefront6targetE0EEEvSJ_.uses_flat_scratch, 0
	.set _ZN7rocprim17ROCPRIM_400000_NS6detail17trampoline_kernelINS0_14default_configENS1_38merge_sort_block_merge_config_selectorIiiEEZZNS1_27merge_sort_block_merge_implIS3_N6thrust23THRUST_200600_302600_NS6detail15normal_iteratorINS8_10device_ptrIiEEEESD_jNS1_19radix_merge_compareILb1ELb0EiNS0_19identity_decomposerEEEEE10hipError_tT0_T1_T2_jT3_P12ihipStream_tbPNSt15iterator_traitsISI_E10value_typeEPNSO_ISJ_E10value_typeEPSK_NS1_7vsmem_tEENKUlT_SI_SJ_SK_E_clISD_PiSD_S10_EESH_SX_SI_SJ_SK_EUlSX_E1_NS1_11comp_targetILNS1_3genE0ELNS1_11target_archE4294967295ELNS1_3gpuE0ELNS1_3repE0EEENS1_36merge_oddeven_config_static_selectorELNS0_4arch9wavefront6targetE0EEEvSJ_.has_dyn_sized_stack, 0
	.set _ZN7rocprim17ROCPRIM_400000_NS6detail17trampoline_kernelINS0_14default_configENS1_38merge_sort_block_merge_config_selectorIiiEEZZNS1_27merge_sort_block_merge_implIS3_N6thrust23THRUST_200600_302600_NS6detail15normal_iteratorINS8_10device_ptrIiEEEESD_jNS1_19radix_merge_compareILb1ELb0EiNS0_19identity_decomposerEEEEE10hipError_tT0_T1_T2_jT3_P12ihipStream_tbPNSt15iterator_traitsISI_E10value_typeEPNSO_ISJ_E10value_typeEPSK_NS1_7vsmem_tEENKUlT_SI_SJ_SK_E_clISD_PiSD_S10_EESH_SX_SI_SJ_SK_EUlSX_E1_NS1_11comp_targetILNS1_3genE0ELNS1_11target_archE4294967295ELNS1_3gpuE0ELNS1_3repE0EEENS1_36merge_oddeven_config_static_selectorELNS0_4arch9wavefront6targetE0EEEvSJ_.has_recursion, 0
	.set _ZN7rocprim17ROCPRIM_400000_NS6detail17trampoline_kernelINS0_14default_configENS1_38merge_sort_block_merge_config_selectorIiiEEZZNS1_27merge_sort_block_merge_implIS3_N6thrust23THRUST_200600_302600_NS6detail15normal_iteratorINS8_10device_ptrIiEEEESD_jNS1_19radix_merge_compareILb1ELb0EiNS0_19identity_decomposerEEEEE10hipError_tT0_T1_T2_jT3_P12ihipStream_tbPNSt15iterator_traitsISI_E10value_typeEPNSO_ISJ_E10value_typeEPSK_NS1_7vsmem_tEENKUlT_SI_SJ_SK_E_clISD_PiSD_S10_EESH_SX_SI_SJ_SK_EUlSX_E1_NS1_11comp_targetILNS1_3genE0ELNS1_11target_archE4294967295ELNS1_3gpuE0ELNS1_3repE0EEENS1_36merge_oddeven_config_static_selectorELNS0_4arch9wavefront6targetE0EEEvSJ_.has_indirect_call, 0
	.section	.AMDGPU.csdata,"",@progbits
; Kernel info:
; codeLenInByte = 0
; TotalNumSgprs: 0
; NumVgprs: 0
; ScratchSize: 0
; MemoryBound: 0
; FloatMode: 240
; IeeeMode: 1
; LDSByteSize: 0 bytes/workgroup (compile time only)
; SGPRBlocks: 0
; VGPRBlocks: 0
; NumSGPRsForWavesPerEU: 1
; NumVGPRsForWavesPerEU: 1
; Occupancy: 16
; WaveLimiterHint : 0
; COMPUTE_PGM_RSRC2:SCRATCH_EN: 0
; COMPUTE_PGM_RSRC2:USER_SGPR: 6
; COMPUTE_PGM_RSRC2:TRAP_HANDLER: 0
; COMPUTE_PGM_RSRC2:TGID_X_EN: 1
; COMPUTE_PGM_RSRC2:TGID_Y_EN: 0
; COMPUTE_PGM_RSRC2:TGID_Z_EN: 0
; COMPUTE_PGM_RSRC2:TIDIG_COMP_CNT: 0
	.section	.text._ZN7rocprim17ROCPRIM_400000_NS6detail17trampoline_kernelINS0_14default_configENS1_38merge_sort_block_merge_config_selectorIiiEEZZNS1_27merge_sort_block_merge_implIS3_N6thrust23THRUST_200600_302600_NS6detail15normal_iteratorINS8_10device_ptrIiEEEESD_jNS1_19radix_merge_compareILb1ELb0EiNS0_19identity_decomposerEEEEE10hipError_tT0_T1_T2_jT3_P12ihipStream_tbPNSt15iterator_traitsISI_E10value_typeEPNSO_ISJ_E10value_typeEPSK_NS1_7vsmem_tEENKUlT_SI_SJ_SK_E_clISD_PiSD_S10_EESH_SX_SI_SJ_SK_EUlSX_E1_NS1_11comp_targetILNS1_3genE10ELNS1_11target_archE1201ELNS1_3gpuE5ELNS1_3repE0EEENS1_36merge_oddeven_config_static_selectorELNS0_4arch9wavefront6targetE0EEEvSJ_,"axG",@progbits,_ZN7rocprim17ROCPRIM_400000_NS6detail17trampoline_kernelINS0_14default_configENS1_38merge_sort_block_merge_config_selectorIiiEEZZNS1_27merge_sort_block_merge_implIS3_N6thrust23THRUST_200600_302600_NS6detail15normal_iteratorINS8_10device_ptrIiEEEESD_jNS1_19radix_merge_compareILb1ELb0EiNS0_19identity_decomposerEEEEE10hipError_tT0_T1_T2_jT3_P12ihipStream_tbPNSt15iterator_traitsISI_E10value_typeEPNSO_ISJ_E10value_typeEPSK_NS1_7vsmem_tEENKUlT_SI_SJ_SK_E_clISD_PiSD_S10_EESH_SX_SI_SJ_SK_EUlSX_E1_NS1_11comp_targetILNS1_3genE10ELNS1_11target_archE1201ELNS1_3gpuE5ELNS1_3repE0EEENS1_36merge_oddeven_config_static_selectorELNS0_4arch9wavefront6targetE0EEEvSJ_,comdat
	.protected	_ZN7rocprim17ROCPRIM_400000_NS6detail17trampoline_kernelINS0_14default_configENS1_38merge_sort_block_merge_config_selectorIiiEEZZNS1_27merge_sort_block_merge_implIS3_N6thrust23THRUST_200600_302600_NS6detail15normal_iteratorINS8_10device_ptrIiEEEESD_jNS1_19radix_merge_compareILb1ELb0EiNS0_19identity_decomposerEEEEE10hipError_tT0_T1_T2_jT3_P12ihipStream_tbPNSt15iterator_traitsISI_E10value_typeEPNSO_ISJ_E10value_typeEPSK_NS1_7vsmem_tEENKUlT_SI_SJ_SK_E_clISD_PiSD_S10_EESH_SX_SI_SJ_SK_EUlSX_E1_NS1_11comp_targetILNS1_3genE10ELNS1_11target_archE1201ELNS1_3gpuE5ELNS1_3repE0EEENS1_36merge_oddeven_config_static_selectorELNS0_4arch9wavefront6targetE0EEEvSJ_ ; -- Begin function _ZN7rocprim17ROCPRIM_400000_NS6detail17trampoline_kernelINS0_14default_configENS1_38merge_sort_block_merge_config_selectorIiiEEZZNS1_27merge_sort_block_merge_implIS3_N6thrust23THRUST_200600_302600_NS6detail15normal_iteratorINS8_10device_ptrIiEEEESD_jNS1_19radix_merge_compareILb1ELb0EiNS0_19identity_decomposerEEEEE10hipError_tT0_T1_T2_jT3_P12ihipStream_tbPNSt15iterator_traitsISI_E10value_typeEPNSO_ISJ_E10value_typeEPSK_NS1_7vsmem_tEENKUlT_SI_SJ_SK_E_clISD_PiSD_S10_EESH_SX_SI_SJ_SK_EUlSX_E1_NS1_11comp_targetILNS1_3genE10ELNS1_11target_archE1201ELNS1_3gpuE5ELNS1_3repE0EEENS1_36merge_oddeven_config_static_selectorELNS0_4arch9wavefront6targetE0EEEvSJ_
	.globl	_ZN7rocprim17ROCPRIM_400000_NS6detail17trampoline_kernelINS0_14default_configENS1_38merge_sort_block_merge_config_selectorIiiEEZZNS1_27merge_sort_block_merge_implIS3_N6thrust23THRUST_200600_302600_NS6detail15normal_iteratorINS8_10device_ptrIiEEEESD_jNS1_19radix_merge_compareILb1ELb0EiNS0_19identity_decomposerEEEEE10hipError_tT0_T1_T2_jT3_P12ihipStream_tbPNSt15iterator_traitsISI_E10value_typeEPNSO_ISJ_E10value_typeEPSK_NS1_7vsmem_tEENKUlT_SI_SJ_SK_E_clISD_PiSD_S10_EESH_SX_SI_SJ_SK_EUlSX_E1_NS1_11comp_targetILNS1_3genE10ELNS1_11target_archE1201ELNS1_3gpuE5ELNS1_3repE0EEENS1_36merge_oddeven_config_static_selectorELNS0_4arch9wavefront6targetE0EEEvSJ_
	.p2align	8
	.type	_ZN7rocprim17ROCPRIM_400000_NS6detail17trampoline_kernelINS0_14default_configENS1_38merge_sort_block_merge_config_selectorIiiEEZZNS1_27merge_sort_block_merge_implIS3_N6thrust23THRUST_200600_302600_NS6detail15normal_iteratorINS8_10device_ptrIiEEEESD_jNS1_19radix_merge_compareILb1ELb0EiNS0_19identity_decomposerEEEEE10hipError_tT0_T1_T2_jT3_P12ihipStream_tbPNSt15iterator_traitsISI_E10value_typeEPNSO_ISJ_E10value_typeEPSK_NS1_7vsmem_tEENKUlT_SI_SJ_SK_E_clISD_PiSD_S10_EESH_SX_SI_SJ_SK_EUlSX_E1_NS1_11comp_targetILNS1_3genE10ELNS1_11target_archE1201ELNS1_3gpuE5ELNS1_3repE0EEENS1_36merge_oddeven_config_static_selectorELNS0_4arch9wavefront6targetE0EEEvSJ_,@function
_ZN7rocprim17ROCPRIM_400000_NS6detail17trampoline_kernelINS0_14default_configENS1_38merge_sort_block_merge_config_selectorIiiEEZZNS1_27merge_sort_block_merge_implIS3_N6thrust23THRUST_200600_302600_NS6detail15normal_iteratorINS8_10device_ptrIiEEEESD_jNS1_19radix_merge_compareILb1ELb0EiNS0_19identity_decomposerEEEEE10hipError_tT0_T1_T2_jT3_P12ihipStream_tbPNSt15iterator_traitsISI_E10value_typeEPNSO_ISJ_E10value_typeEPSK_NS1_7vsmem_tEENKUlT_SI_SJ_SK_E_clISD_PiSD_S10_EESH_SX_SI_SJ_SK_EUlSX_E1_NS1_11comp_targetILNS1_3genE10ELNS1_11target_archE1201ELNS1_3gpuE5ELNS1_3repE0EEENS1_36merge_oddeven_config_static_selectorELNS0_4arch9wavefront6targetE0EEEvSJ_: ; @_ZN7rocprim17ROCPRIM_400000_NS6detail17trampoline_kernelINS0_14default_configENS1_38merge_sort_block_merge_config_selectorIiiEEZZNS1_27merge_sort_block_merge_implIS3_N6thrust23THRUST_200600_302600_NS6detail15normal_iteratorINS8_10device_ptrIiEEEESD_jNS1_19radix_merge_compareILb1ELb0EiNS0_19identity_decomposerEEEEE10hipError_tT0_T1_T2_jT3_P12ihipStream_tbPNSt15iterator_traitsISI_E10value_typeEPNSO_ISJ_E10value_typeEPSK_NS1_7vsmem_tEENKUlT_SI_SJ_SK_E_clISD_PiSD_S10_EESH_SX_SI_SJ_SK_EUlSX_E1_NS1_11comp_targetILNS1_3genE10ELNS1_11target_archE1201ELNS1_3gpuE5ELNS1_3repE0EEENS1_36merge_oddeven_config_static_selectorELNS0_4arch9wavefront6targetE0EEEvSJ_
; %bb.0:
	.section	.rodata,"a",@progbits
	.p2align	6, 0x0
	.amdhsa_kernel _ZN7rocprim17ROCPRIM_400000_NS6detail17trampoline_kernelINS0_14default_configENS1_38merge_sort_block_merge_config_selectorIiiEEZZNS1_27merge_sort_block_merge_implIS3_N6thrust23THRUST_200600_302600_NS6detail15normal_iteratorINS8_10device_ptrIiEEEESD_jNS1_19radix_merge_compareILb1ELb0EiNS0_19identity_decomposerEEEEE10hipError_tT0_T1_T2_jT3_P12ihipStream_tbPNSt15iterator_traitsISI_E10value_typeEPNSO_ISJ_E10value_typeEPSK_NS1_7vsmem_tEENKUlT_SI_SJ_SK_E_clISD_PiSD_S10_EESH_SX_SI_SJ_SK_EUlSX_E1_NS1_11comp_targetILNS1_3genE10ELNS1_11target_archE1201ELNS1_3gpuE5ELNS1_3repE0EEENS1_36merge_oddeven_config_static_selectorELNS0_4arch9wavefront6targetE0EEEvSJ_
		.amdhsa_group_segment_fixed_size 0
		.amdhsa_private_segment_fixed_size 0
		.amdhsa_kernarg_size 48
		.amdhsa_user_sgpr_count 6
		.amdhsa_user_sgpr_private_segment_buffer 1
		.amdhsa_user_sgpr_dispatch_ptr 0
		.amdhsa_user_sgpr_queue_ptr 0
		.amdhsa_user_sgpr_kernarg_segment_ptr 1
		.amdhsa_user_sgpr_dispatch_id 0
		.amdhsa_user_sgpr_flat_scratch_init 0
		.amdhsa_user_sgpr_private_segment_size 0
		.amdhsa_wavefront_size32 1
		.amdhsa_uses_dynamic_stack 0
		.amdhsa_system_sgpr_private_segment_wavefront_offset 0
		.amdhsa_system_sgpr_workgroup_id_x 1
		.amdhsa_system_sgpr_workgroup_id_y 0
		.amdhsa_system_sgpr_workgroup_id_z 0
		.amdhsa_system_sgpr_workgroup_info 0
		.amdhsa_system_vgpr_workitem_id 0
		.amdhsa_next_free_vgpr 1
		.amdhsa_next_free_sgpr 1
		.amdhsa_reserve_vcc 0
		.amdhsa_reserve_flat_scratch 0
		.amdhsa_float_round_mode_32 0
		.amdhsa_float_round_mode_16_64 0
		.amdhsa_float_denorm_mode_32 3
		.amdhsa_float_denorm_mode_16_64 3
		.amdhsa_dx10_clamp 1
		.amdhsa_ieee_mode 1
		.amdhsa_fp16_overflow 0
		.amdhsa_workgroup_processor_mode 1
		.amdhsa_memory_ordered 1
		.amdhsa_forward_progress 1
		.amdhsa_shared_vgpr_count 0
		.amdhsa_exception_fp_ieee_invalid_op 0
		.amdhsa_exception_fp_denorm_src 0
		.amdhsa_exception_fp_ieee_div_zero 0
		.amdhsa_exception_fp_ieee_overflow 0
		.amdhsa_exception_fp_ieee_underflow 0
		.amdhsa_exception_fp_ieee_inexact 0
		.amdhsa_exception_int_div_zero 0
	.end_amdhsa_kernel
	.section	.text._ZN7rocprim17ROCPRIM_400000_NS6detail17trampoline_kernelINS0_14default_configENS1_38merge_sort_block_merge_config_selectorIiiEEZZNS1_27merge_sort_block_merge_implIS3_N6thrust23THRUST_200600_302600_NS6detail15normal_iteratorINS8_10device_ptrIiEEEESD_jNS1_19radix_merge_compareILb1ELb0EiNS0_19identity_decomposerEEEEE10hipError_tT0_T1_T2_jT3_P12ihipStream_tbPNSt15iterator_traitsISI_E10value_typeEPNSO_ISJ_E10value_typeEPSK_NS1_7vsmem_tEENKUlT_SI_SJ_SK_E_clISD_PiSD_S10_EESH_SX_SI_SJ_SK_EUlSX_E1_NS1_11comp_targetILNS1_3genE10ELNS1_11target_archE1201ELNS1_3gpuE5ELNS1_3repE0EEENS1_36merge_oddeven_config_static_selectorELNS0_4arch9wavefront6targetE0EEEvSJ_,"axG",@progbits,_ZN7rocprim17ROCPRIM_400000_NS6detail17trampoline_kernelINS0_14default_configENS1_38merge_sort_block_merge_config_selectorIiiEEZZNS1_27merge_sort_block_merge_implIS3_N6thrust23THRUST_200600_302600_NS6detail15normal_iteratorINS8_10device_ptrIiEEEESD_jNS1_19radix_merge_compareILb1ELb0EiNS0_19identity_decomposerEEEEE10hipError_tT0_T1_T2_jT3_P12ihipStream_tbPNSt15iterator_traitsISI_E10value_typeEPNSO_ISJ_E10value_typeEPSK_NS1_7vsmem_tEENKUlT_SI_SJ_SK_E_clISD_PiSD_S10_EESH_SX_SI_SJ_SK_EUlSX_E1_NS1_11comp_targetILNS1_3genE10ELNS1_11target_archE1201ELNS1_3gpuE5ELNS1_3repE0EEENS1_36merge_oddeven_config_static_selectorELNS0_4arch9wavefront6targetE0EEEvSJ_,comdat
.Lfunc_end926:
	.size	_ZN7rocprim17ROCPRIM_400000_NS6detail17trampoline_kernelINS0_14default_configENS1_38merge_sort_block_merge_config_selectorIiiEEZZNS1_27merge_sort_block_merge_implIS3_N6thrust23THRUST_200600_302600_NS6detail15normal_iteratorINS8_10device_ptrIiEEEESD_jNS1_19radix_merge_compareILb1ELb0EiNS0_19identity_decomposerEEEEE10hipError_tT0_T1_T2_jT3_P12ihipStream_tbPNSt15iterator_traitsISI_E10value_typeEPNSO_ISJ_E10value_typeEPSK_NS1_7vsmem_tEENKUlT_SI_SJ_SK_E_clISD_PiSD_S10_EESH_SX_SI_SJ_SK_EUlSX_E1_NS1_11comp_targetILNS1_3genE10ELNS1_11target_archE1201ELNS1_3gpuE5ELNS1_3repE0EEENS1_36merge_oddeven_config_static_selectorELNS0_4arch9wavefront6targetE0EEEvSJ_, .Lfunc_end926-_ZN7rocprim17ROCPRIM_400000_NS6detail17trampoline_kernelINS0_14default_configENS1_38merge_sort_block_merge_config_selectorIiiEEZZNS1_27merge_sort_block_merge_implIS3_N6thrust23THRUST_200600_302600_NS6detail15normal_iteratorINS8_10device_ptrIiEEEESD_jNS1_19radix_merge_compareILb1ELb0EiNS0_19identity_decomposerEEEEE10hipError_tT0_T1_T2_jT3_P12ihipStream_tbPNSt15iterator_traitsISI_E10value_typeEPNSO_ISJ_E10value_typeEPSK_NS1_7vsmem_tEENKUlT_SI_SJ_SK_E_clISD_PiSD_S10_EESH_SX_SI_SJ_SK_EUlSX_E1_NS1_11comp_targetILNS1_3genE10ELNS1_11target_archE1201ELNS1_3gpuE5ELNS1_3repE0EEENS1_36merge_oddeven_config_static_selectorELNS0_4arch9wavefront6targetE0EEEvSJ_
                                        ; -- End function
	.set _ZN7rocprim17ROCPRIM_400000_NS6detail17trampoline_kernelINS0_14default_configENS1_38merge_sort_block_merge_config_selectorIiiEEZZNS1_27merge_sort_block_merge_implIS3_N6thrust23THRUST_200600_302600_NS6detail15normal_iteratorINS8_10device_ptrIiEEEESD_jNS1_19radix_merge_compareILb1ELb0EiNS0_19identity_decomposerEEEEE10hipError_tT0_T1_T2_jT3_P12ihipStream_tbPNSt15iterator_traitsISI_E10value_typeEPNSO_ISJ_E10value_typeEPSK_NS1_7vsmem_tEENKUlT_SI_SJ_SK_E_clISD_PiSD_S10_EESH_SX_SI_SJ_SK_EUlSX_E1_NS1_11comp_targetILNS1_3genE10ELNS1_11target_archE1201ELNS1_3gpuE5ELNS1_3repE0EEENS1_36merge_oddeven_config_static_selectorELNS0_4arch9wavefront6targetE0EEEvSJ_.num_vgpr, 0
	.set _ZN7rocprim17ROCPRIM_400000_NS6detail17trampoline_kernelINS0_14default_configENS1_38merge_sort_block_merge_config_selectorIiiEEZZNS1_27merge_sort_block_merge_implIS3_N6thrust23THRUST_200600_302600_NS6detail15normal_iteratorINS8_10device_ptrIiEEEESD_jNS1_19radix_merge_compareILb1ELb0EiNS0_19identity_decomposerEEEEE10hipError_tT0_T1_T2_jT3_P12ihipStream_tbPNSt15iterator_traitsISI_E10value_typeEPNSO_ISJ_E10value_typeEPSK_NS1_7vsmem_tEENKUlT_SI_SJ_SK_E_clISD_PiSD_S10_EESH_SX_SI_SJ_SK_EUlSX_E1_NS1_11comp_targetILNS1_3genE10ELNS1_11target_archE1201ELNS1_3gpuE5ELNS1_3repE0EEENS1_36merge_oddeven_config_static_selectorELNS0_4arch9wavefront6targetE0EEEvSJ_.num_agpr, 0
	.set _ZN7rocprim17ROCPRIM_400000_NS6detail17trampoline_kernelINS0_14default_configENS1_38merge_sort_block_merge_config_selectorIiiEEZZNS1_27merge_sort_block_merge_implIS3_N6thrust23THRUST_200600_302600_NS6detail15normal_iteratorINS8_10device_ptrIiEEEESD_jNS1_19radix_merge_compareILb1ELb0EiNS0_19identity_decomposerEEEEE10hipError_tT0_T1_T2_jT3_P12ihipStream_tbPNSt15iterator_traitsISI_E10value_typeEPNSO_ISJ_E10value_typeEPSK_NS1_7vsmem_tEENKUlT_SI_SJ_SK_E_clISD_PiSD_S10_EESH_SX_SI_SJ_SK_EUlSX_E1_NS1_11comp_targetILNS1_3genE10ELNS1_11target_archE1201ELNS1_3gpuE5ELNS1_3repE0EEENS1_36merge_oddeven_config_static_selectorELNS0_4arch9wavefront6targetE0EEEvSJ_.numbered_sgpr, 0
	.set _ZN7rocprim17ROCPRIM_400000_NS6detail17trampoline_kernelINS0_14default_configENS1_38merge_sort_block_merge_config_selectorIiiEEZZNS1_27merge_sort_block_merge_implIS3_N6thrust23THRUST_200600_302600_NS6detail15normal_iteratorINS8_10device_ptrIiEEEESD_jNS1_19radix_merge_compareILb1ELb0EiNS0_19identity_decomposerEEEEE10hipError_tT0_T1_T2_jT3_P12ihipStream_tbPNSt15iterator_traitsISI_E10value_typeEPNSO_ISJ_E10value_typeEPSK_NS1_7vsmem_tEENKUlT_SI_SJ_SK_E_clISD_PiSD_S10_EESH_SX_SI_SJ_SK_EUlSX_E1_NS1_11comp_targetILNS1_3genE10ELNS1_11target_archE1201ELNS1_3gpuE5ELNS1_3repE0EEENS1_36merge_oddeven_config_static_selectorELNS0_4arch9wavefront6targetE0EEEvSJ_.num_named_barrier, 0
	.set _ZN7rocprim17ROCPRIM_400000_NS6detail17trampoline_kernelINS0_14default_configENS1_38merge_sort_block_merge_config_selectorIiiEEZZNS1_27merge_sort_block_merge_implIS3_N6thrust23THRUST_200600_302600_NS6detail15normal_iteratorINS8_10device_ptrIiEEEESD_jNS1_19radix_merge_compareILb1ELb0EiNS0_19identity_decomposerEEEEE10hipError_tT0_T1_T2_jT3_P12ihipStream_tbPNSt15iterator_traitsISI_E10value_typeEPNSO_ISJ_E10value_typeEPSK_NS1_7vsmem_tEENKUlT_SI_SJ_SK_E_clISD_PiSD_S10_EESH_SX_SI_SJ_SK_EUlSX_E1_NS1_11comp_targetILNS1_3genE10ELNS1_11target_archE1201ELNS1_3gpuE5ELNS1_3repE0EEENS1_36merge_oddeven_config_static_selectorELNS0_4arch9wavefront6targetE0EEEvSJ_.private_seg_size, 0
	.set _ZN7rocprim17ROCPRIM_400000_NS6detail17trampoline_kernelINS0_14default_configENS1_38merge_sort_block_merge_config_selectorIiiEEZZNS1_27merge_sort_block_merge_implIS3_N6thrust23THRUST_200600_302600_NS6detail15normal_iteratorINS8_10device_ptrIiEEEESD_jNS1_19radix_merge_compareILb1ELb0EiNS0_19identity_decomposerEEEEE10hipError_tT0_T1_T2_jT3_P12ihipStream_tbPNSt15iterator_traitsISI_E10value_typeEPNSO_ISJ_E10value_typeEPSK_NS1_7vsmem_tEENKUlT_SI_SJ_SK_E_clISD_PiSD_S10_EESH_SX_SI_SJ_SK_EUlSX_E1_NS1_11comp_targetILNS1_3genE10ELNS1_11target_archE1201ELNS1_3gpuE5ELNS1_3repE0EEENS1_36merge_oddeven_config_static_selectorELNS0_4arch9wavefront6targetE0EEEvSJ_.uses_vcc, 0
	.set _ZN7rocprim17ROCPRIM_400000_NS6detail17trampoline_kernelINS0_14default_configENS1_38merge_sort_block_merge_config_selectorIiiEEZZNS1_27merge_sort_block_merge_implIS3_N6thrust23THRUST_200600_302600_NS6detail15normal_iteratorINS8_10device_ptrIiEEEESD_jNS1_19radix_merge_compareILb1ELb0EiNS0_19identity_decomposerEEEEE10hipError_tT0_T1_T2_jT3_P12ihipStream_tbPNSt15iterator_traitsISI_E10value_typeEPNSO_ISJ_E10value_typeEPSK_NS1_7vsmem_tEENKUlT_SI_SJ_SK_E_clISD_PiSD_S10_EESH_SX_SI_SJ_SK_EUlSX_E1_NS1_11comp_targetILNS1_3genE10ELNS1_11target_archE1201ELNS1_3gpuE5ELNS1_3repE0EEENS1_36merge_oddeven_config_static_selectorELNS0_4arch9wavefront6targetE0EEEvSJ_.uses_flat_scratch, 0
	.set _ZN7rocprim17ROCPRIM_400000_NS6detail17trampoline_kernelINS0_14default_configENS1_38merge_sort_block_merge_config_selectorIiiEEZZNS1_27merge_sort_block_merge_implIS3_N6thrust23THRUST_200600_302600_NS6detail15normal_iteratorINS8_10device_ptrIiEEEESD_jNS1_19radix_merge_compareILb1ELb0EiNS0_19identity_decomposerEEEEE10hipError_tT0_T1_T2_jT3_P12ihipStream_tbPNSt15iterator_traitsISI_E10value_typeEPNSO_ISJ_E10value_typeEPSK_NS1_7vsmem_tEENKUlT_SI_SJ_SK_E_clISD_PiSD_S10_EESH_SX_SI_SJ_SK_EUlSX_E1_NS1_11comp_targetILNS1_3genE10ELNS1_11target_archE1201ELNS1_3gpuE5ELNS1_3repE0EEENS1_36merge_oddeven_config_static_selectorELNS0_4arch9wavefront6targetE0EEEvSJ_.has_dyn_sized_stack, 0
	.set _ZN7rocprim17ROCPRIM_400000_NS6detail17trampoline_kernelINS0_14default_configENS1_38merge_sort_block_merge_config_selectorIiiEEZZNS1_27merge_sort_block_merge_implIS3_N6thrust23THRUST_200600_302600_NS6detail15normal_iteratorINS8_10device_ptrIiEEEESD_jNS1_19radix_merge_compareILb1ELb0EiNS0_19identity_decomposerEEEEE10hipError_tT0_T1_T2_jT3_P12ihipStream_tbPNSt15iterator_traitsISI_E10value_typeEPNSO_ISJ_E10value_typeEPSK_NS1_7vsmem_tEENKUlT_SI_SJ_SK_E_clISD_PiSD_S10_EESH_SX_SI_SJ_SK_EUlSX_E1_NS1_11comp_targetILNS1_3genE10ELNS1_11target_archE1201ELNS1_3gpuE5ELNS1_3repE0EEENS1_36merge_oddeven_config_static_selectorELNS0_4arch9wavefront6targetE0EEEvSJ_.has_recursion, 0
	.set _ZN7rocprim17ROCPRIM_400000_NS6detail17trampoline_kernelINS0_14default_configENS1_38merge_sort_block_merge_config_selectorIiiEEZZNS1_27merge_sort_block_merge_implIS3_N6thrust23THRUST_200600_302600_NS6detail15normal_iteratorINS8_10device_ptrIiEEEESD_jNS1_19radix_merge_compareILb1ELb0EiNS0_19identity_decomposerEEEEE10hipError_tT0_T1_T2_jT3_P12ihipStream_tbPNSt15iterator_traitsISI_E10value_typeEPNSO_ISJ_E10value_typeEPSK_NS1_7vsmem_tEENKUlT_SI_SJ_SK_E_clISD_PiSD_S10_EESH_SX_SI_SJ_SK_EUlSX_E1_NS1_11comp_targetILNS1_3genE10ELNS1_11target_archE1201ELNS1_3gpuE5ELNS1_3repE0EEENS1_36merge_oddeven_config_static_selectorELNS0_4arch9wavefront6targetE0EEEvSJ_.has_indirect_call, 0
	.section	.AMDGPU.csdata,"",@progbits
; Kernel info:
; codeLenInByte = 0
; TotalNumSgprs: 0
; NumVgprs: 0
; ScratchSize: 0
; MemoryBound: 0
; FloatMode: 240
; IeeeMode: 1
; LDSByteSize: 0 bytes/workgroup (compile time only)
; SGPRBlocks: 0
; VGPRBlocks: 0
; NumSGPRsForWavesPerEU: 1
; NumVGPRsForWavesPerEU: 1
; Occupancy: 16
; WaveLimiterHint : 0
; COMPUTE_PGM_RSRC2:SCRATCH_EN: 0
; COMPUTE_PGM_RSRC2:USER_SGPR: 6
; COMPUTE_PGM_RSRC2:TRAP_HANDLER: 0
; COMPUTE_PGM_RSRC2:TGID_X_EN: 1
; COMPUTE_PGM_RSRC2:TGID_Y_EN: 0
; COMPUTE_PGM_RSRC2:TGID_Z_EN: 0
; COMPUTE_PGM_RSRC2:TIDIG_COMP_CNT: 0
	.section	.text._ZN7rocprim17ROCPRIM_400000_NS6detail17trampoline_kernelINS0_14default_configENS1_38merge_sort_block_merge_config_selectorIiiEEZZNS1_27merge_sort_block_merge_implIS3_N6thrust23THRUST_200600_302600_NS6detail15normal_iteratorINS8_10device_ptrIiEEEESD_jNS1_19radix_merge_compareILb1ELb0EiNS0_19identity_decomposerEEEEE10hipError_tT0_T1_T2_jT3_P12ihipStream_tbPNSt15iterator_traitsISI_E10value_typeEPNSO_ISJ_E10value_typeEPSK_NS1_7vsmem_tEENKUlT_SI_SJ_SK_E_clISD_PiSD_S10_EESH_SX_SI_SJ_SK_EUlSX_E1_NS1_11comp_targetILNS1_3genE5ELNS1_11target_archE942ELNS1_3gpuE9ELNS1_3repE0EEENS1_36merge_oddeven_config_static_selectorELNS0_4arch9wavefront6targetE0EEEvSJ_,"axG",@progbits,_ZN7rocprim17ROCPRIM_400000_NS6detail17trampoline_kernelINS0_14default_configENS1_38merge_sort_block_merge_config_selectorIiiEEZZNS1_27merge_sort_block_merge_implIS3_N6thrust23THRUST_200600_302600_NS6detail15normal_iteratorINS8_10device_ptrIiEEEESD_jNS1_19radix_merge_compareILb1ELb0EiNS0_19identity_decomposerEEEEE10hipError_tT0_T1_T2_jT3_P12ihipStream_tbPNSt15iterator_traitsISI_E10value_typeEPNSO_ISJ_E10value_typeEPSK_NS1_7vsmem_tEENKUlT_SI_SJ_SK_E_clISD_PiSD_S10_EESH_SX_SI_SJ_SK_EUlSX_E1_NS1_11comp_targetILNS1_3genE5ELNS1_11target_archE942ELNS1_3gpuE9ELNS1_3repE0EEENS1_36merge_oddeven_config_static_selectorELNS0_4arch9wavefront6targetE0EEEvSJ_,comdat
	.protected	_ZN7rocprim17ROCPRIM_400000_NS6detail17trampoline_kernelINS0_14default_configENS1_38merge_sort_block_merge_config_selectorIiiEEZZNS1_27merge_sort_block_merge_implIS3_N6thrust23THRUST_200600_302600_NS6detail15normal_iteratorINS8_10device_ptrIiEEEESD_jNS1_19radix_merge_compareILb1ELb0EiNS0_19identity_decomposerEEEEE10hipError_tT0_T1_T2_jT3_P12ihipStream_tbPNSt15iterator_traitsISI_E10value_typeEPNSO_ISJ_E10value_typeEPSK_NS1_7vsmem_tEENKUlT_SI_SJ_SK_E_clISD_PiSD_S10_EESH_SX_SI_SJ_SK_EUlSX_E1_NS1_11comp_targetILNS1_3genE5ELNS1_11target_archE942ELNS1_3gpuE9ELNS1_3repE0EEENS1_36merge_oddeven_config_static_selectorELNS0_4arch9wavefront6targetE0EEEvSJ_ ; -- Begin function _ZN7rocprim17ROCPRIM_400000_NS6detail17trampoline_kernelINS0_14default_configENS1_38merge_sort_block_merge_config_selectorIiiEEZZNS1_27merge_sort_block_merge_implIS3_N6thrust23THRUST_200600_302600_NS6detail15normal_iteratorINS8_10device_ptrIiEEEESD_jNS1_19radix_merge_compareILb1ELb0EiNS0_19identity_decomposerEEEEE10hipError_tT0_T1_T2_jT3_P12ihipStream_tbPNSt15iterator_traitsISI_E10value_typeEPNSO_ISJ_E10value_typeEPSK_NS1_7vsmem_tEENKUlT_SI_SJ_SK_E_clISD_PiSD_S10_EESH_SX_SI_SJ_SK_EUlSX_E1_NS1_11comp_targetILNS1_3genE5ELNS1_11target_archE942ELNS1_3gpuE9ELNS1_3repE0EEENS1_36merge_oddeven_config_static_selectorELNS0_4arch9wavefront6targetE0EEEvSJ_
	.globl	_ZN7rocprim17ROCPRIM_400000_NS6detail17trampoline_kernelINS0_14default_configENS1_38merge_sort_block_merge_config_selectorIiiEEZZNS1_27merge_sort_block_merge_implIS3_N6thrust23THRUST_200600_302600_NS6detail15normal_iteratorINS8_10device_ptrIiEEEESD_jNS1_19radix_merge_compareILb1ELb0EiNS0_19identity_decomposerEEEEE10hipError_tT0_T1_T2_jT3_P12ihipStream_tbPNSt15iterator_traitsISI_E10value_typeEPNSO_ISJ_E10value_typeEPSK_NS1_7vsmem_tEENKUlT_SI_SJ_SK_E_clISD_PiSD_S10_EESH_SX_SI_SJ_SK_EUlSX_E1_NS1_11comp_targetILNS1_3genE5ELNS1_11target_archE942ELNS1_3gpuE9ELNS1_3repE0EEENS1_36merge_oddeven_config_static_selectorELNS0_4arch9wavefront6targetE0EEEvSJ_
	.p2align	8
	.type	_ZN7rocprim17ROCPRIM_400000_NS6detail17trampoline_kernelINS0_14default_configENS1_38merge_sort_block_merge_config_selectorIiiEEZZNS1_27merge_sort_block_merge_implIS3_N6thrust23THRUST_200600_302600_NS6detail15normal_iteratorINS8_10device_ptrIiEEEESD_jNS1_19radix_merge_compareILb1ELb0EiNS0_19identity_decomposerEEEEE10hipError_tT0_T1_T2_jT3_P12ihipStream_tbPNSt15iterator_traitsISI_E10value_typeEPNSO_ISJ_E10value_typeEPSK_NS1_7vsmem_tEENKUlT_SI_SJ_SK_E_clISD_PiSD_S10_EESH_SX_SI_SJ_SK_EUlSX_E1_NS1_11comp_targetILNS1_3genE5ELNS1_11target_archE942ELNS1_3gpuE9ELNS1_3repE0EEENS1_36merge_oddeven_config_static_selectorELNS0_4arch9wavefront6targetE0EEEvSJ_,@function
_ZN7rocprim17ROCPRIM_400000_NS6detail17trampoline_kernelINS0_14default_configENS1_38merge_sort_block_merge_config_selectorIiiEEZZNS1_27merge_sort_block_merge_implIS3_N6thrust23THRUST_200600_302600_NS6detail15normal_iteratorINS8_10device_ptrIiEEEESD_jNS1_19radix_merge_compareILb1ELb0EiNS0_19identity_decomposerEEEEE10hipError_tT0_T1_T2_jT3_P12ihipStream_tbPNSt15iterator_traitsISI_E10value_typeEPNSO_ISJ_E10value_typeEPSK_NS1_7vsmem_tEENKUlT_SI_SJ_SK_E_clISD_PiSD_S10_EESH_SX_SI_SJ_SK_EUlSX_E1_NS1_11comp_targetILNS1_3genE5ELNS1_11target_archE942ELNS1_3gpuE9ELNS1_3repE0EEENS1_36merge_oddeven_config_static_selectorELNS0_4arch9wavefront6targetE0EEEvSJ_: ; @_ZN7rocprim17ROCPRIM_400000_NS6detail17trampoline_kernelINS0_14default_configENS1_38merge_sort_block_merge_config_selectorIiiEEZZNS1_27merge_sort_block_merge_implIS3_N6thrust23THRUST_200600_302600_NS6detail15normal_iteratorINS8_10device_ptrIiEEEESD_jNS1_19radix_merge_compareILb1ELb0EiNS0_19identity_decomposerEEEEE10hipError_tT0_T1_T2_jT3_P12ihipStream_tbPNSt15iterator_traitsISI_E10value_typeEPNSO_ISJ_E10value_typeEPSK_NS1_7vsmem_tEENKUlT_SI_SJ_SK_E_clISD_PiSD_S10_EESH_SX_SI_SJ_SK_EUlSX_E1_NS1_11comp_targetILNS1_3genE5ELNS1_11target_archE942ELNS1_3gpuE9ELNS1_3repE0EEENS1_36merge_oddeven_config_static_selectorELNS0_4arch9wavefront6targetE0EEEvSJ_
; %bb.0:
	.section	.rodata,"a",@progbits
	.p2align	6, 0x0
	.amdhsa_kernel _ZN7rocprim17ROCPRIM_400000_NS6detail17trampoline_kernelINS0_14default_configENS1_38merge_sort_block_merge_config_selectorIiiEEZZNS1_27merge_sort_block_merge_implIS3_N6thrust23THRUST_200600_302600_NS6detail15normal_iteratorINS8_10device_ptrIiEEEESD_jNS1_19radix_merge_compareILb1ELb0EiNS0_19identity_decomposerEEEEE10hipError_tT0_T1_T2_jT3_P12ihipStream_tbPNSt15iterator_traitsISI_E10value_typeEPNSO_ISJ_E10value_typeEPSK_NS1_7vsmem_tEENKUlT_SI_SJ_SK_E_clISD_PiSD_S10_EESH_SX_SI_SJ_SK_EUlSX_E1_NS1_11comp_targetILNS1_3genE5ELNS1_11target_archE942ELNS1_3gpuE9ELNS1_3repE0EEENS1_36merge_oddeven_config_static_selectorELNS0_4arch9wavefront6targetE0EEEvSJ_
		.amdhsa_group_segment_fixed_size 0
		.amdhsa_private_segment_fixed_size 0
		.amdhsa_kernarg_size 48
		.amdhsa_user_sgpr_count 6
		.amdhsa_user_sgpr_private_segment_buffer 1
		.amdhsa_user_sgpr_dispatch_ptr 0
		.amdhsa_user_sgpr_queue_ptr 0
		.amdhsa_user_sgpr_kernarg_segment_ptr 1
		.amdhsa_user_sgpr_dispatch_id 0
		.amdhsa_user_sgpr_flat_scratch_init 0
		.amdhsa_user_sgpr_private_segment_size 0
		.amdhsa_wavefront_size32 1
		.amdhsa_uses_dynamic_stack 0
		.amdhsa_system_sgpr_private_segment_wavefront_offset 0
		.amdhsa_system_sgpr_workgroup_id_x 1
		.amdhsa_system_sgpr_workgroup_id_y 0
		.amdhsa_system_sgpr_workgroup_id_z 0
		.amdhsa_system_sgpr_workgroup_info 0
		.amdhsa_system_vgpr_workitem_id 0
		.amdhsa_next_free_vgpr 1
		.amdhsa_next_free_sgpr 1
		.amdhsa_reserve_vcc 0
		.amdhsa_reserve_flat_scratch 0
		.amdhsa_float_round_mode_32 0
		.amdhsa_float_round_mode_16_64 0
		.amdhsa_float_denorm_mode_32 3
		.amdhsa_float_denorm_mode_16_64 3
		.amdhsa_dx10_clamp 1
		.amdhsa_ieee_mode 1
		.amdhsa_fp16_overflow 0
		.amdhsa_workgroup_processor_mode 1
		.amdhsa_memory_ordered 1
		.amdhsa_forward_progress 1
		.amdhsa_shared_vgpr_count 0
		.amdhsa_exception_fp_ieee_invalid_op 0
		.amdhsa_exception_fp_denorm_src 0
		.amdhsa_exception_fp_ieee_div_zero 0
		.amdhsa_exception_fp_ieee_overflow 0
		.amdhsa_exception_fp_ieee_underflow 0
		.amdhsa_exception_fp_ieee_inexact 0
		.amdhsa_exception_int_div_zero 0
	.end_amdhsa_kernel
	.section	.text._ZN7rocprim17ROCPRIM_400000_NS6detail17trampoline_kernelINS0_14default_configENS1_38merge_sort_block_merge_config_selectorIiiEEZZNS1_27merge_sort_block_merge_implIS3_N6thrust23THRUST_200600_302600_NS6detail15normal_iteratorINS8_10device_ptrIiEEEESD_jNS1_19radix_merge_compareILb1ELb0EiNS0_19identity_decomposerEEEEE10hipError_tT0_T1_T2_jT3_P12ihipStream_tbPNSt15iterator_traitsISI_E10value_typeEPNSO_ISJ_E10value_typeEPSK_NS1_7vsmem_tEENKUlT_SI_SJ_SK_E_clISD_PiSD_S10_EESH_SX_SI_SJ_SK_EUlSX_E1_NS1_11comp_targetILNS1_3genE5ELNS1_11target_archE942ELNS1_3gpuE9ELNS1_3repE0EEENS1_36merge_oddeven_config_static_selectorELNS0_4arch9wavefront6targetE0EEEvSJ_,"axG",@progbits,_ZN7rocprim17ROCPRIM_400000_NS6detail17trampoline_kernelINS0_14default_configENS1_38merge_sort_block_merge_config_selectorIiiEEZZNS1_27merge_sort_block_merge_implIS3_N6thrust23THRUST_200600_302600_NS6detail15normal_iteratorINS8_10device_ptrIiEEEESD_jNS1_19radix_merge_compareILb1ELb0EiNS0_19identity_decomposerEEEEE10hipError_tT0_T1_T2_jT3_P12ihipStream_tbPNSt15iterator_traitsISI_E10value_typeEPNSO_ISJ_E10value_typeEPSK_NS1_7vsmem_tEENKUlT_SI_SJ_SK_E_clISD_PiSD_S10_EESH_SX_SI_SJ_SK_EUlSX_E1_NS1_11comp_targetILNS1_3genE5ELNS1_11target_archE942ELNS1_3gpuE9ELNS1_3repE0EEENS1_36merge_oddeven_config_static_selectorELNS0_4arch9wavefront6targetE0EEEvSJ_,comdat
.Lfunc_end927:
	.size	_ZN7rocprim17ROCPRIM_400000_NS6detail17trampoline_kernelINS0_14default_configENS1_38merge_sort_block_merge_config_selectorIiiEEZZNS1_27merge_sort_block_merge_implIS3_N6thrust23THRUST_200600_302600_NS6detail15normal_iteratorINS8_10device_ptrIiEEEESD_jNS1_19radix_merge_compareILb1ELb0EiNS0_19identity_decomposerEEEEE10hipError_tT0_T1_T2_jT3_P12ihipStream_tbPNSt15iterator_traitsISI_E10value_typeEPNSO_ISJ_E10value_typeEPSK_NS1_7vsmem_tEENKUlT_SI_SJ_SK_E_clISD_PiSD_S10_EESH_SX_SI_SJ_SK_EUlSX_E1_NS1_11comp_targetILNS1_3genE5ELNS1_11target_archE942ELNS1_3gpuE9ELNS1_3repE0EEENS1_36merge_oddeven_config_static_selectorELNS0_4arch9wavefront6targetE0EEEvSJ_, .Lfunc_end927-_ZN7rocprim17ROCPRIM_400000_NS6detail17trampoline_kernelINS0_14default_configENS1_38merge_sort_block_merge_config_selectorIiiEEZZNS1_27merge_sort_block_merge_implIS3_N6thrust23THRUST_200600_302600_NS6detail15normal_iteratorINS8_10device_ptrIiEEEESD_jNS1_19radix_merge_compareILb1ELb0EiNS0_19identity_decomposerEEEEE10hipError_tT0_T1_T2_jT3_P12ihipStream_tbPNSt15iterator_traitsISI_E10value_typeEPNSO_ISJ_E10value_typeEPSK_NS1_7vsmem_tEENKUlT_SI_SJ_SK_E_clISD_PiSD_S10_EESH_SX_SI_SJ_SK_EUlSX_E1_NS1_11comp_targetILNS1_3genE5ELNS1_11target_archE942ELNS1_3gpuE9ELNS1_3repE0EEENS1_36merge_oddeven_config_static_selectorELNS0_4arch9wavefront6targetE0EEEvSJ_
                                        ; -- End function
	.set _ZN7rocprim17ROCPRIM_400000_NS6detail17trampoline_kernelINS0_14default_configENS1_38merge_sort_block_merge_config_selectorIiiEEZZNS1_27merge_sort_block_merge_implIS3_N6thrust23THRUST_200600_302600_NS6detail15normal_iteratorINS8_10device_ptrIiEEEESD_jNS1_19radix_merge_compareILb1ELb0EiNS0_19identity_decomposerEEEEE10hipError_tT0_T1_T2_jT3_P12ihipStream_tbPNSt15iterator_traitsISI_E10value_typeEPNSO_ISJ_E10value_typeEPSK_NS1_7vsmem_tEENKUlT_SI_SJ_SK_E_clISD_PiSD_S10_EESH_SX_SI_SJ_SK_EUlSX_E1_NS1_11comp_targetILNS1_3genE5ELNS1_11target_archE942ELNS1_3gpuE9ELNS1_3repE0EEENS1_36merge_oddeven_config_static_selectorELNS0_4arch9wavefront6targetE0EEEvSJ_.num_vgpr, 0
	.set _ZN7rocprim17ROCPRIM_400000_NS6detail17trampoline_kernelINS0_14default_configENS1_38merge_sort_block_merge_config_selectorIiiEEZZNS1_27merge_sort_block_merge_implIS3_N6thrust23THRUST_200600_302600_NS6detail15normal_iteratorINS8_10device_ptrIiEEEESD_jNS1_19radix_merge_compareILb1ELb0EiNS0_19identity_decomposerEEEEE10hipError_tT0_T1_T2_jT3_P12ihipStream_tbPNSt15iterator_traitsISI_E10value_typeEPNSO_ISJ_E10value_typeEPSK_NS1_7vsmem_tEENKUlT_SI_SJ_SK_E_clISD_PiSD_S10_EESH_SX_SI_SJ_SK_EUlSX_E1_NS1_11comp_targetILNS1_3genE5ELNS1_11target_archE942ELNS1_3gpuE9ELNS1_3repE0EEENS1_36merge_oddeven_config_static_selectorELNS0_4arch9wavefront6targetE0EEEvSJ_.num_agpr, 0
	.set _ZN7rocprim17ROCPRIM_400000_NS6detail17trampoline_kernelINS0_14default_configENS1_38merge_sort_block_merge_config_selectorIiiEEZZNS1_27merge_sort_block_merge_implIS3_N6thrust23THRUST_200600_302600_NS6detail15normal_iteratorINS8_10device_ptrIiEEEESD_jNS1_19radix_merge_compareILb1ELb0EiNS0_19identity_decomposerEEEEE10hipError_tT0_T1_T2_jT3_P12ihipStream_tbPNSt15iterator_traitsISI_E10value_typeEPNSO_ISJ_E10value_typeEPSK_NS1_7vsmem_tEENKUlT_SI_SJ_SK_E_clISD_PiSD_S10_EESH_SX_SI_SJ_SK_EUlSX_E1_NS1_11comp_targetILNS1_3genE5ELNS1_11target_archE942ELNS1_3gpuE9ELNS1_3repE0EEENS1_36merge_oddeven_config_static_selectorELNS0_4arch9wavefront6targetE0EEEvSJ_.numbered_sgpr, 0
	.set _ZN7rocprim17ROCPRIM_400000_NS6detail17trampoline_kernelINS0_14default_configENS1_38merge_sort_block_merge_config_selectorIiiEEZZNS1_27merge_sort_block_merge_implIS3_N6thrust23THRUST_200600_302600_NS6detail15normal_iteratorINS8_10device_ptrIiEEEESD_jNS1_19radix_merge_compareILb1ELb0EiNS0_19identity_decomposerEEEEE10hipError_tT0_T1_T2_jT3_P12ihipStream_tbPNSt15iterator_traitsISI_E10value_typeEPNSO_ISJ_E10value_typeEPSK_NS1_7vsmem_tEENKUlT_SI_SJ_SK_E_clISD_PiSD_S10_EESH_SX_SI_SJ_SK_EUlSX_E1_NS1_11comp_targetILNS1_3genE5ELNS1_11target_archE942ELNS1_3gpuE9ELNS1_3repE0EEENS1_36merge_oddeven_config_static_selectorELNS0_4arch9wavefront6targetE0EEEvSJ_.num_named_barrier, 0
	.set _ZN7rocprim17ROCPRIM_400000_NS6detail17trampoline_kernelINS0_14default_configENS1_38merge_sort_block_merge_config_selectorIiiEEZZNS1_27merge_sort_block_merge_implIS3_N6thrust23THRUST_200600_302600_NS6detail15normal_iteratorINS8_10device_ptrIiEEEESD_jNS1_19radix_merge_compareILb1ELb0EiNS0_19identity_decomposerEEEEE10hipError_tT0_T1_T2_jT3_P12ihipStream_tbPNSt15iterator_traitsISI_E10value_typeEPNSO_ISJ_E10value_typeEPSK_NS1_7vsmem_tEENKUlT_SI_SJ_SK_E_clISD_PiSD_S10_EESH_SX_SI_SJ_SK_EUlSX_E1_NS1_11comp_targetILNS1_3genE5ELNS1_11target_archE942ELNS1_3gpuE9ELNS1_3repE0EEENS1_36merge_oddeven_config_static_selectorELNS0_4arch9wavefront6targetE0EEEvSJ_.private_seg_size, 0
	.set _ZN7rocprim17ROCPRIM_400000_NS6detail17trampoline_kernelINS0_14default_configENS1_38merge_sort_block_merge_config_selectorIiiEEZZNS1_27merge_sort_block_merge_implIS3_N6thrust23THRUST_200600_302600_NS6detail15normal_iteratorINS8_10device_ptrIiEEEESD_jNS1_19radix_merge_compareILb1ELb0EiNS0_19identity_decomposerEEEEE10hipError_tT0_T1_T2_jT3_P12ihipStream_tbPNSt15iterator_traitsISI_E10value_typeEPNSO_ISJ_E10value_typeEPSK_NS1_7vsmem_tEENKUlT_SI_SJ_SK_E_clISD_PiSD_S10_EESH_SX_SI_SJ_SK_EUlSX_E1_NS1_11comp_targetILNS1_3genE5ELNS1_11target_archE942ELNS1_3gpuE9ELNS1_3repE0EEENS1_36merge_oddeven_config_static_selectorELNS0_4arch9wavefront6targetE0EEEvSJ_.uses_vcc, 0
	.set _ZN7rocprim17ROCPRIM_400000_NS6detail17trampoline_kernelINS0_14default_configENS1_38merge_sort_block_merge_config_selectorIiiEEZZNS1_27merge_sort_block_merge_implIS3_N6thrust23THRUST_200600_302600_NS6detail15normal_iteratorINS8_10device_ptrIiEEEESD_jNS1_19radix_merge_compareILb1ELb0EiNS0_19identity_decomposerEEEEE10hipError_tT0_T1_T2_jT3_P12ihipStream_tbPNSt15iterator_traitsISI_E10value_typeEPNSO_ISJ_E10value_typeEPSK_NS1_7vsmem_tEENKUlT_SI_SJ_SK_E_clISD_PiSD_S10_EESH_SX_SI_SJ_SK_EUlSX_E1_NS1_11comp_targetILNS1_3genE5ELNS1_11target_archE942ELNS1_3gpuE9ELNS1_3repE0EEENS1_36merge_oddeven_config_static_selectorELNS0_4arch9wavefront6targetE0EEEvSJ_.uses_flat_scratch, 0
	.set _ZN7rocprim17ROCPRIM_400000_NS6detail17trampoline_kernelINS0_14default_configENS1_38merge_sort_block_merge_config_selectorIiiEEZZNS1_27merge_sort_block_merge_implIS3_N6thrust23THRUST_200600_302600_NS6detail15normal_iteratorINS8_10device_ptrIiEEEESD_jNS1_19radix_merge_compareILb1ELb0EiNS0_19identity_decomposerEEEEE10hipError_tT0_T1_T2_jT3_P12ihipStream_tbPNSt15iterator_traitsISI_E10value_typeEPNSO_ISJ_E10value_typeEPSK_NS1_7vsmem_tEENKUlT_SI_SJ_SK_E_clISD_PiSD_S10_EESH_SX_SI_SJ_SK_EUlSX_E1_NS1_11comp_targetILNS1_3genE5ELNS1_11target_archE942ELNS1_3gpuE9ELNS1_3repE0EEENS1_36merge_oddeven_config_static_selectorELNS0_4arch9wavefront6targetE0EEEvSJ_.has_dyn_sized_stack, 0
	.set _ZN7rocprim17ROCPRIM_400000_NS6detail17trampoline_kernelINS0_14default_configENS1_38merge_sort_block_merge_config_selectorIiiEEZZNS1_27merge_sort_block_merge_implIS3_N6thrust23THRUST_200600_302600_NS6detail15normal_iteratorINS8_10device_ptrIiEEEESD_jNS1_19radix_merge_compareILb1ELb0EiNS0_19identity_decomposerEEEEE10hipError_tT0_T1_T2_jT3_P12ihipStream_tbPNSt15iterator_traitsISI_E10value_typeEPNSO_ISJ_E10value_typeEPSK_NS1_7vsmem_tEENKUlT_SI_SJ_SK_E_clISD_PiSD_S10_EESH_SX_SI_SJ_SK_EUlSX_E1_NS1_11comp_targetILNS1_3genE5ELNS1_11target_archE942ELNS1_3gpuE9ELNS1_3repE0EEENS1_36merge_oddeven_config_static_selectorELNS0_4arch9wavefront6targetE0EEEvSJ_.has_recursion, 0
	.set _ZN7rocprim17ROCPRIM_400000_NS6detail17trampoline_kernelINS0_14default_configENS1_38merge_sort_block_merge_config_selectorIiiEEZZNS1_27merge_sort_block_merge_implIS3_N6thrust23THRUST_200600_302600_NS6detail15normal_iteratorINS8_10device_ptrIiEEEESD_jNS1_19radix_merge_compareILb1ELb0EiNS0_19identity_decomposerEEEEE10hipError_tT0_T1_T2_jT3_P12ihipStream_tbPNSt15iterator_traitsISI_E10value_typeEPNSO_ISJ_E10value_typeEPSK_NS1_7vsmem_tEENKUlT_SI_SJ_SK_E_clISD_PiSD_S10_EESH_SX_SI_SJ_SK_EUlSX_E1_NS1_11comp_targetILNS1_3genE5ELNS1_11target_archE942ELNS1_3gpuE9ELNS1_3repE0EEENS1_36merge_oddeven_config_static_selectorELNS0_4arch9wavefront6targetE0EEEvSJ_.has_indirect_call, 0
	.section	.AMDGPU.csdata,"",@progbits
; Kernel info:
; codeLenInByte = 0
; TotalNumSgprs: 0
; NumVgprs: 0
; ScratchSize: 0
; MemoryBound: 0
; FloatMode: 240
; IeeeMode: 1
; LDSByteSize: 0 bytes/workgroup (compile time only)
; SGPRBlocks: 0
; VGPRBlocks: 0
; NumSGPRsForWavesPerEU: 1
; NumVGPRsForWavesPerEU: 1
; Occupancy: 16
; WaveLimiterHint : 0
; COMPUTE_PGM_RSRC2:SCRATCH_EN: 0
; COMPUTE_PGM_RSRC2:USER_SGPR: 6
; COMPUTE_PGM_RSRC2:TRAP_HANDLER: 0
; COMPUTE_PGM_RSRC2:TGID_X_EN: 1
; COMPUTE_PGM_RSRC2:TGID_Y_EN: 0
; COMPUTE_PGM_RSRC2:TGID_Z_EN: 0
; COMPUTE_PGM_RSRC2:TIDIG_COMP_CNT: 0
	.section	.text._ZN7rocprim17ROCPRIM_400000_NS6detail17trampoline_kernelINS0_14default_configENS1_38merge_sort_block_merge_config_selectorIiiEEZZNS1_27merge_sort_block_merge_implIS3_N6thrust23THRUST_200600_302600_NS6detail15normal_iteratorINS8_10device_ptrIiEEEESD_jNS1_19radix_merge_compareILb1ELb0EiNS0_19identity_decomposerEEEEE10hipError_tT0_T1_T2_jT3_P12ihipStream_tbPNSt15iterator_traitsISI_E10value_typeEPNSO_ISJ_E10value_typeEPSK_NS1_7vsmem_tEENKUlT_SI_SJ_SK_E_clISD_PiSD_S10_EESH_SX_SI_SJ_SK_EUlSX_E1_NS1_11comp_targetILNS1_3genE4ELNS1_11target_archE910ELNS1_3gpuE8ELNS1_3repE0EEENS1_36merge_oddeven_config_static_selectorELNS0_4arch9wavefront6targetE0EEEvSJ_,"axG",@progbits,_ZN7rocprim17ROCPRIM_400000_NS6detail17trampoline_kernelINS0_14default_configENS1_38merge_sort_block_merge_config_selectorIiiEEZZNS1_27merge_sort_block_merge_implIS3_N6thrust23THRUST_200600_302600_NS6detail15normal_iteratorINS8_10device_ptrIiEEEESD_jNS1_19radix_merge_compareILb1ELb0EiNS0_19identity_decomposerEEEEE10hipError_tT0_T1_T2_jT3_P12ihipStream_tbPNSt15iterator_traitsISI_E10value_typeEPNSO_ISJ_E10value_typeEPSK_NS1_7vsmem_tEENKUlT_SI_SJ_SK_E_clISD_PiSD_S10_EESH_SX_SI_SJ_SK_EUlSX_E1_NS1_11comp_targetILNS1_3genE4ELNS1_11target_archE910ELNS1_3gpuE8ELNS1_3repE0EEENS1_36merge_oddeven_config_static_selectorELNS0_4arch9wavefront6targetE0EEEvSJ_,comdat
	.protected	_ZN7rocprim17ROCPRIM_400000_NS6detail17trampoline_kernelINS0_14default_configENS1_38merge_sort_block_merge_config_selectorIiiEEZZNS1_27merge_sort_block_merge_implIS3_N6thrust23THRUST_200600_302600_NS6detail15normal_iteratorINS8_10device_ptrIiEEEESD_jNS1_19radix_merge_compareILb1ELb0EiNS0_19identity_decomposerEEEEE10hipError_tT0_T1_T2_jT3_P12ihipStream_tbPNSt15iterator_traitsISI_E10value_typeEPNSO_ISJ_E10value_typeEPSK_NS1_7vsmem_tEENKUlT_SI_SJ_SK_E_clISD_PiSD_S10_EESH_SX_SI_SJ_SK_EUlSX_E1_NS1_11comp_targetILNS1_3genE4ELNS1_11target_archE910ELNS1_3gpuE8ELNS1_3repE0EEENS1_36merge_oddeven_config_static_selectorELNS0_4arch9wavefront6targetE0EEEvSJ_ ; -- Begin function _ZN7rocprim17ROCPRIM_400000_NS6detail17trampoline_kernelINS0_14default_configENS1_38merge_sort_block_merge_config_selectorIiiEEZZNS1_27merge_sort_block_merge_implIS3_N6thrust23THRUST_200600_302600_NS6detail15normal_iteratorINS8_10device_ptrIiEEEESD_jNS1_19radix_merge_compareILb1ELb0EiNS0_19identity_decomposerEEEEE10hipError_tT0_T1_T2_jT3_P12ihipStream_tbPNSt15iterator_traitsISI_E10value_typeEPNSO_ISJ_E10value_typeEPSK_NS1_7vsmem_tEENKUlT_SI_SJ_SK_E_clISD_PiSD_S10_EESH_SX_SI_SJ_SK_EUlSX_E1_NS1_11comp_targetILNS1_3genE4ELNS1_11target_archE910ELNS1_3gpuE8ELNS1_3repE0EEENS1_36merge_oddeven_config_static_selectorELNS0_4arch9wavefront6targetE0EEEvSJ_
	.globl	_ZN7rocprim17ROCPRIM_400000_NS6detail17trampoline_kernelINS0_14default_configENS1_38merge_sort_block_merge_config_selectorIiiEEZZNS1_27merge_sort_block_merge_implIS3_N6thrust23THRUST_200600_302600_NS6detail15normal_iteratorINS8_10device_ptrIiEEEESD_jNS1_19radix_merge_compareILb1ELb0EiNS0_19identity_decomposerEEEEE10hipError_tT0_T1_T2_jT3_P12ihipStream_tbPNSt15iterator_traitsISI_E10value_typeEPNSO_ISJ_E10value_typeEPSK_NS1_7vsmem_tEENKUlT_SI_SJ_SK_E_clISD_PiSD_S10_EESH_SX_SI_SJ_SK_EUlSX_E1_NS1_11comp_targetILNS1_3genE4ELNS1_11target_archE910ELNS1_3gpuE8ELNS1_3repE0EEENS1_36merge_oddeven_config_static_selectorELNS0_4arch9wavefront6targetE0EEEvSJ_
	.p2align	8
	.type	_ZN7rocprim17ROCPRIM_400000_NS6detail17trampoline_kernelINS0_14default_configENS1_38merge_sort_block_merge_config_selectorIiiEEZZNS1_27merge_sort_block_merge_implIS3_N6thrust23THRUST_200600_302600_NS6detail15normal_iteratorINS8_10device_ptrIiEEEESD_jNS1_19radix_merge_compareILb1ELb0EiNS0_19identity_decomposerEEEEE10hipError_tT0_T1_T2_jT3_P12ihipStream_tbPNSt15iterator_traitsISI_E10value_typeEPNSO_ISJ_E10value_typeEPSK_NS1_7vsmem_tEENKUlT_SI_SJ_SK_E_clISD_PiSD_S10_EESH_SX_SI_SJ_SK_EUlSX_E1_NS1_11comp_targetILNS1_3genE4ELNS1_11target_archE910ELNS1_3gpuE8ELNS1_3repE0EEENS1_36merge_oddeven_config_static_selectorELNS0_4arch9wavefront6targetE0EEEvSJ_,@function
_ZN7rocprim17ROCPRIM_400000_NS6detail17trampoline_kernelINS0_14default_configENS1_38merge_sort_block_merge_config_selectorIiiEEZZNS1_27merge_sort_block_merge_implIS3_N6thrust23THRUST_200600_302600_NS6detail15normal_iteratorINS8_10device_ptrIiEEEESD_jNS1_19radix_merge_compareILb1ELb0EiNS0_19identity_decomposerEEEEE10hipError_tT0_T1_T2_jT3_P12ihipStream_tbPNSt15iterator_traitsISI_E10value_typeEPNSO_ISJ_E10value_typeEPSK_NS1_7vsmem_tEENKUlT_SI_SJ_SK_E_clISD_PiSD_S10_EESH_SX_SI_SJ_SK_EUlSX_E1_NS1_11comp_targetILNS1_3genE4ELNS1_11target_archE910ELNS1_3gpuE8ELNS1_3repE0EEENS1_36merge_oddeven_config_static_selectorELNS0_4arch9wavefront6targetE0EEEvSJ_: ; @_ZN7rocprim17ROCPRIM_400000_NS6detail17trampoline_kernelINS0_14default_configENS1_38merge_sort_block_merge_config_selectorIiiEEZZNS1_27merge_sort_block_merge_implIS3_N6thrust23THRUST_200600_302600_NS6detail15normal_iteratorINS8_10device_ptrIiEEEESD_jNS1_19radix_merge_compareILb1ELb0EiNS0_19identity_decomposerEEEEE10hipError_tT0_T1_T2_jT3_P12ihipStream_tbPNSt15iterator_traitsISI_E10value_typeEPNSO_ISJ_E10value_typeEPSK_NS1_7vsmem_tEENKUlT_SI_SJ_SK_E_clISD_PiSD_S10_EESH_SX_SI_SJ_SK_EUlSX_E1_NS1_11comp_targetILNS1_3genE4ELNS1_11target_archE910ELNS1_3gpuE8ELNS1_3repE0EEENS1_36merge_oddeven_config_static_selectorELNS0_4arch9wavefront6targetE0EEEvSJ_
; %bb.0:
	.section	.rodata,"a",@progbits
	.p2align	6, 0x0
	.amdhsa_kernel _ZN7rocprim17ROCPRIM_400000_NS6detail17trampoline_kernelINS0_14default_configENS1_38merge_sort_block_merge_config_selectorIiiEEZZNS1_27merge_sort_block_merge_implIS3_N6thrust23THRUST_200600_302600_NS6detail15normal_iteratorINS8_10device_ptrIiEEEESD_jNS1_19radix_merge_compareILb1ELb0EiNS0_19identity_decomposerEEEEE10hipError_tT0_T1_T2_jT3_P12ihipStream_tbPNSt15iterator_traitsISI_E10value_typeEPNSO_ISJ_E10value_typeEPSK_NS1_7vsmem_tEENKUlT_SI_SJ_SK_E_clISD_PiSD_S10_EESH_SX_SI_SJ_SK_EUlSX_E1_NS1_11comp_targetILNS1_3genE4ELNS1_11target_archE910ELNS1_3gpuE8ELNS1_3repE0EEENS1_36merge_oddeven_config_static_selectorELNS0_4arch9wavefront6targetE0EEEvSJ_
		.amdhsa_group_segment_fixed_size 0
		.amdhsa_private_segment_fixed_size 0
		.amdhsa_kernarg_size 48
		.amdhsa_user_sgpr_count 6
		.amdhsa_user_sgpr_private_segment_buffer 1
		.amdhsa_user_sgpr_dispatch_ptr 0
		.amdhsa_user_sgpr_queue_ptr 0
		.amdhsa_user_sgpr_kernarg_segment_ptr 1
		.amdhsa_user_sgpr_dispatch_id 0
		.amdhsa_user_sgpr_flat_scratch_init 0
		.amdhsa_user_sgpr_private_segment_size 0
		.amdhsa_wavefront_size32 1
		.amdhsa_uses_dynamic_stack 0
		.amdhsa_system_sgpr_private_segment_wavefront_offset 0
		.amdhsa_system_sgpr_workgroup_id_x 1
		.amdhsa_system_sgpr_workgroup_id_y 0
		.amdhsa_system_sgpr_workgroup_id_z 0
		.amdhsa_system_sgpr_workgroup_info 0
		.amdhsa_system_vgpr_workitem_id 0
		.amdhsa_next_free_vgpr 1
		.amdhsa_next_free_sgpr 1
		.amdhsa_reserve_vcc 0
		.amdhsa_reserve_flat_scratch 0
		.amdhsa_float_round_mode_32 0
		.amdhsa_float_round_mode_16_64 0
		.amdhsa_float_denorm_mode_32 3
		.amdhsa_float_denorm_mode_16_64 3
		.amdhsa_dx10_clamp 1
		.amdhsa_ieee_mode 1
		.amdhsa_fp16_overflow 0
		.amdhsa_workgroup_processor_mode 1
		.amdhsa_memory_ordered 1
		.amdhsa_forward_progress 1
		.amdhsa_shared_vgpr_count 0
		.amdhsa_exception_fp_ieee_invalid_op 0
		.amdhsa_exception_fp_denorm_src 0
		.amdhsa_exception_fp_ieee_div_zero 0
		.amdhsa_exception_fp_ieee_overflow 0
		.amdhsa_exception_fp_ieee_underflow 0
		.amdhsa_exception_fp_ieee_inexact 0
		.amdhsa_exception_int_div_zero 0
	.end_amdhsa_kernel
	.section	.text._ZN7rocprim17ROCPRIM_400000_NS6detail17trampoline_kernelINS0_14default_configENS1_38merge_sort_block_merge_config_selectorIiiEEZZNS1_27merge_sort_block_merge_implIS3_N6thrust23THRUST_200600_302600_NS6detail15normal_iteratorINS8_10device_ptrIiEEEESD_jNS1_19radix_merge_compareILb1ELb0EiNS0_19identity_decomposerEEEEE10hipError_tT0_T1_T2_jT3_P12ihipStream_tbPNSt15iterator_traitsISI_E10value_typeEPNSO_ISJ_E10value_typeEPSK_NS1_7vsmem_tEENKUlT_SI_SJ_SK_E_clISD_PiSD_S10_EESH_SX_SI_SJ_SK_EUlSX_E1_NS1_11comp_targetILNS1_3genE4ELNS1_11target_archE910ELNS1_3gpuE8ELNS1_3repE0EEENS1_36merge_oddeven_config_static_selectorELNS0_4arch9wavefront6targetE0EEEvSJ_,"axG",@progbits,_ZN7rocprim17ROCPRIM_400000_NS6detail17trampoline_kernelINS0_14default_configENS1_38merge_sort_block_merge_config_selectorIiiEEZZNS1_27merge_sort_block_merge_implIS3_N6thrust23THRUST_200600_302600_NS6detail15normal_iteratorINS8_10device_ptrIiEEEESD_jNS1_19radix_merge_compareILb1ELb0EiNS0_19identity_decomposerEEEEE10hipError_tT0_T1_T2_jT3_P12ihipStream_tbPNSt15iterator_traitsISI_E10value_typeEPNSO_ISJ_E10value_typeEPSK_NS1_7vsmem_tEENKUlT_SI_SJ_SK_E_clISD_PiSD_S10_EESH_SX_SI_SJ_SK_EUlSX_E1_NS1_11comp_targetILNS1_3genE4ELNS1_11target_archE910ELNS1_3gpuE8ELNS1_3repE0EEENS1_36merge_oddeven_config_static_selectorELNS0_4arch9wavefront6targetE0EEEvSJ_,comdat
.Lfunc_end928:
	.size	_ZN7rocprim17ROCPRIM_400000_NS6detail17trampoline_kernelINS0_14default_configENS1_38merge_sort_block_merge_config_selectorIiiEEZZNS1_27merge_sort_block_merge_implIS3_N6thrust23THRUST_200600_302600_NS6detail15normal_iteratorINS8_10device_ptrIiEEEESD_jNS1_19radix_merge_compareILb1ELb0EiNS0_19identity_decomposerEEEEE10hipError_tT0_T1_T2_jT3_P12ihipStream_tbPNSt15iterator_traitsISI_E10value_typeEPNSO_ISJ_E10value_typeEPSK_NS1_7vsmem_tEENKUlT_SI_SJ_SK_E_clISD_PiSD_S10_EESH_SX_SI_SJ_SK_EUlSX_E1_NS1_11comp_targetILNS1_3genE4ELNS1_11target_archE910ELNS1_3gpuE8ELNS1_3repE0EEENS1_36merge_oddeven_config_static_selectorELNS0_4arch9wavefront6targetE0EEEvSJ_, .Lfunc_end928-_ZN7rocprim17ROCPRIM_400000_NS6detail17trampoline_kernelINS0_14default_configENS1_38merge_sort_block_merge_config_selectorIiiEEZZNS1_27merge_sort_block_merge_implIS3_N6thrust23THRUST_200600_302600_NS6detail15normal_iteratorINS8_10device_ptrIiEEEESD_jNS1_19radix_merge_compareILb1ELb0EiNS0_19identity_decomposerEEEEE10hipError_tT0_T1_T2_jT3_P12ihipStream_tbPNSt15iterator_traitsISI_E10value_typeEPNSO_ISJ_E10value_typeEPSK_NS1_7vsmem_tEENKUlT_SI_SJ_SK_E_clISD_PiSD_S10_EESH_SX_SI_SJ_SK_EUlSX_E1_NS1_11comp_targetILNS1_3genE4ELNS1_11target_archE910ELNS1_3gpuE8ELNS1_3repE0EEENS1_36merge_oddeven_config_static_selectorELNS0_4arch9wavefront6targetE0EEEvSJ_
                                        ; -- End function
	.set _ZN7rocprim17ROCPRIM_400000_NS6detail17trampoline_kernelINS0_14default_configENS1_38merge_sort_block_merge_config_selectorIiiEEZZNS1_27merge_sort_block_merge_implIS3_N6thrust23THRUST_200600_302600_NS6detail15normal_iteratorINS8_10device_ptrIiEEEESD_jNS1_19radix_merge_compareILb1ELb0EiNS0_19identity_decomposerEEEEE10hipError_tT0_T1_T2_jT3_P12ihipStream_tbPNSt15iterator_traitsISI_E10value_typeEPNSO_ISJ_E10value_typeEPSK_NS1_7vsmem_tEENKUlT_SI_SJ_SK_E_clISD_PiSD_S10_EESH_SX_SI_SJ_SK_EUlSX_E1_NS1_11comp_targetILNS1_3genE4ELNS1_11target_archE910ELNS1_3gpuE8ELNS1_3repE0EEENS1_36merge_oddeven_config_static_selectorELNS0_4arch9wavefront6targetE0EEEvSJ_.num_vgpr, 0
	.set _ZN7rocprim17ROCPRIM_400000_NS6detail17trampoline_kernelINS0_14default_configENS1_38merge_sort_block_merge_config_selectorIiiEEZZNS1_27merge_sort_block_merge_implIS3_N6thrust23THRUST_200600_302600_NS6detail15normal_iteratorINS8_10device_ptrIiEEEESD_jNS1_19radix_merge_compareILb1ELb0EiNS0_19identity_decomposerEEEEE10hipError_tT0_T1_T2_jT3_P12ihipStream_tbPNSt15iterator_traitsISI_E10value_typeEPNSO_ISJ_E10value_typeEPSK_NS1_7vsmem_tEENKUlT_SI_SJ_SK_E_clISD_PiSD_S10_EESH_SX_SI_SJ_SK_EUlSX_E1_NS1_11comp_targetILNS1_3genE4ELNS1_11target_archE910ELNS1_3gpuE8ELNS1_3repE0EEENS1_36merge_oddeven_config_static_selectorELNS0_4arch9wavefront6targetE0EEEvSJ_.num_agpr, 0
	.set _ZN7rocprim17ROCPRIM_400000_NS6detail17trampoline_kernelINS0_14default_configENS1_38merge_sort_block_merge_config_selectorIiiEEZZNS1_27merge_sort_block_merge_implIS3_N6thrust23THRUST_200600_302600_NS6detail15normal_iteratorINS8_10device_ptrIiEEEESD_jNS1_19radix_merge_compareILb1ELb0EiNS0_19identity_decomposerEEEEE10hipError_tT0_T1_T2_jT3_P12ihipStream_tbPNSt15iterator_traitsISI_E10value_typeEPNSO_ISJ_E10value_typeEPSK_NS1_7vsmem_tEENKUlT_SI_SJ_SK_E_clISD_PiSD_S10_EESH_SX_SI_SJ_SK_EUlSX_E1_NS1_11comp_targetILNS1_3genE4ELNS1_11target_archE910ELNS1_3gpuE8ELNS1_3repE0EEENS1_36merge_oddeven_config_static_selectorELNS0_4arch9wavefront6targetE0EEEvSJ_.numbered_sgpr, 0
	.set _ZN7rocprim17ROCPRIM_400000_NS6detail17trampoline_kernelINS0_14default_configENS1_38merge_sort_block_merge_config_selectorIiiEEZZNS1_27merge_sort_block_merge_implIS3_N6thrust23THRUST_200600_302600_NS6detail15normal_iteratorINS8_10device_ptrIiEEEESD_jNS1_19radix_merge_compareILb1ELb0EiNS0_19identity_decomposerEEEEE10hipError_tT0_T1_T2_jT3_P12ihipStream_tbPNSt15iterator_traitsISI_E10value_typeEPNSO_ISJ_E10value_typeEPSK_NS1_7vsmem_tEENKUlT_SI_SJ_SK_E_clISD_PiSD_S10_EESH_SX_SI_SJ_SK_EUlSX_E1_NS1_11comp_targetILNS1_3genE4ELNS1_11target_archE910ELNS1_3gpuE8ELNS1_3repE0EEENS1_36merge_oddeven_config_static_selectorELNS0_4arch9wavefront6targetE0EEEvSJ_.num_named_barrier, 0
	.set _ZN7rocprim17ROCPRIM_400000_NS6detail17trampoline_kernelINS0_14default_configENS1_38merge_sort_block_merge_config_selectorIiiEEZZNS1_27merge_sort_block_merge_implIS3_N6thrust23THRUST_200600_302600_NS6detail15normal_iteratorINS8_10device_ptrIiEEEESD_jNS1_19radix_merge_compareILb1ELb0EiNS0_19identity_decomposerEEEEE10hipError_tT0_T1_T2_jT3_P12ihipStream_tbPNSt15iterator_traitsISI_E10value_typeEPNSO_ISJ_E10value_typeEPSK_NS1_7vsmem_tEENKUlT_SI_SJ_SK_E_clISD_PiSD_S10_EESH_SX_SI_SJ_SK_EUlSX_E1_NS1_11comp_targetILNS1_3genE4ELNS1_11target_archE910ELNS1_3gpuE8ELNS1_3repE0EEENS1_36merge_oddeven_config_static_selectorELNS0_4arch9wavefront6targetE0EEEvSJ_.private_seg_size, 0
	.set _ZN7rocprim17ROCPRIM_400000_NS6detail17trampoline_kernelINS0_14default_configENS1_38merge_sort_block_merge_config_selectorIiiEEZZNS1_27merge_sort_block_merge_implIS3_N6thrust23THRUST_200600_302600_NS6detail15normal_iteratorINS8_10device_ptrIiEEEESD_jNS1_19radix_merge_compareILb1ELb0EiNS0_19identity_decomposerEEEEE10hipError_tT0_T1_T2_jT3_P12ihipStream_tbPNSt15iterator_traitsISI_E10value_typeEPNSO_ISJ_E10value_typeEPSK_NS1_7vsmem_tEENKUlT_SI_SJ_SK_E_clISD_PiSD_S10_EESH_SX_SI_SJ_SK_EUlSX_E1_NS1_11comp_targetILNS1_3genE4ELNS1_11target_archE910ELNS1_3gpuE8ELNS1_3repE0EEENS1_36merge_oddeven_config_static_selectorELNS0_4arch9wavefront6targetE0EEEvSJ_.uses_vcc, 0
	.set _ZN7rocprim17ROCPRIM_400000_NS6detail17trampoline_kernelINS0_14default_configENS1_38merge_sort_block_merge_config_selectorIiiEEZZNS1_27merge_sort_block_merge_implIS3_N6thrust23THRUST_200600_302600_NS6detail15normal_iteratorINS8_10device_ptrIiEEEESD_jNS1_19radix_merge_compareILb1ELb0EiNS0_19identity_decomposerEEEEE10hipError_tT0_T1_T2_jT3_P12ihipStream_tbPNSt15iterator_traitsISI_E10value_typeEPNSO_ISJ_E10value_typeEPSK_NS1_7vsmem_tEENKUlT_SI_SJ_SK_E_clISD_PiSD_S10_EESH_SX_SI_SJ_SK_EUlSX_E1_NS1_11comp_targetILNS1_3genE4ELNS1_11target_archE910ELNS1_3gpuE8ELNS1_3repE0EEENS1_36merge_oddeven_config_static_selectorELNS0_4arch9wavefront6targetE0EEEvSJ_.uses_flat_scratch, 0
	.set _ZN7rocprim17ROCPRIM_400000_NS6detail17trampoline_kernelINS0_14default_configENS1_38merge_sort_block_merge_config_selectorIiiEEZZNS1_27merge_sort_block_merge_implIS3_N6thrust23THRUST_200600_302600_NS6detail15normal_iteratorINS8_10device_ptrIiEEEESD_jNS1_19radix_merge_compareILb1ELb0EiNS0_19identity_decomposerEEEEE10hipError_tT0_T1_T2_jT3_P12ihipStream_tbPNSt15iterator_traitsISI_E10value_typeEPNSO_ISJ_E10value_typeEPSK_NS1_7vsmem_tEENKUlT_SI_SJ_SK_E_clISD_PiSD_S10_EESH_SX_SI_SJ_SK_EUlSX_E1_NS1_11comp_targetILNS1_3genE4ELNS1_11target_archE910ELNS1_3gpuE8ELNS1_3repE0EEENS1_36merge_oddeven_config_static_selectorELNS0_4arch9wavefront6targetE0EEEvSJ_.has_dyn_sized_stack, 0
	.set _ZN7rocprim17ROCPRIM_400000_NS6detail17trampoline_kernelINS0_14default_configENS1_38merge_sort_block_merge_config_selectorIiiEEZZNS1_27merge_sort_block_merge_implIS3_N6thrust23THRUST_200600_302600_NS6detail15normal_iteratorINS8_10device_ptrIiEEEESD_jNS1_19radix_merge_compareILb1ELb0EiNS0_19identity_decomposerEEEEE10hipError_tT0_T1_T2_jT3_P12ihipStream_tbPNSt15iterator_traitsISI_E10value_typeEPNSO_ISJ_E10value_typeEPSK_NS1_7vsmem_tEENKUlT_SI_SJ_SK_E_clISD_PiSD_S10_EESH_SX_SI_SJ_SK_EUlSX_E1_NS1_11comp_targetILNS1_3genE4ELNS1_11target_archE910ELNS1_3gpuE8ELNS1_3repE0EEENS1_36merge_oddeven_config_static_selectorELNS0_4arch9wavefront6targetE0EEEvSJ_.has_recursion, 0
	.set _ZN7rocprim17ROCPRIM_400000_NS6detail17trampoline_kernelINS0_14default_configENS1_38merge_sort_block_merge_config_selectorIiiEEZZNS1_27merge_sort_block_merge_implIS3_N6thrust23THRUST_200600_302600_NS6detail15normal_iteratorINS8_10device_ptrIiEEEESD_jNS1_19radix_merge_compareILb1ELb0EiNS0_19identity_decomposerEEEEE10hipError_tT0_T1_T2_jT3_P12ihipStream_tbPNSt15iterator_traitsISI_E10value_typeEPNSO_ISJ_E10value_typeEPSK_NS1_7vsmem_tEENKUlT_SI_SJ_SK_E_clISD_PiSD_S10_EESH_SX_SI_SJ_SK_EUlSX_E1_NS1_11comp_targetILNS1_3genE4ELNS1_11target_archE910ELNS1_3gpuE8ELNS1_3repE0EEENS1_36merge_oddeven_config_static_selectorELNS0_4arch9wavefront6targetE0EEEvSJ_.has_indirect_call, 0
	.section	.AMDGPU.csdata,"",@progbits
; Kernel info:
; codeLenInByte = 0
; TotalNumSgprs: 0
; NumVgprs: 0
; ScratchSize: 0
; MemoryBound: 0
; FloatMode: 240
; IeeeMode: 1
; LDSByteSize: 0 bytes/workgroup (compile time only)
; SGPRBlocks: 0
; VGPRBlocks: 0
; NumSGPRsForWavesPerEU: 1
; NumVGPRsForWavesPerEU: 1
; Occupancy: 16
; WaveLimiterHint : 0
; COMPUTE_PGM_RSRC2:SCRATCH_EN: 0
; COMPUTE_PGM_RSRC2:USER_SGPR: 6
; COMPUTE_PGM_RSRC2:TRAP_HANDLER: 0
; COMPUTE_PGM_RSRC2:TGID_X_EN: 1
; COMPUTE_PGM_RSRC2:TGID_Y_EN: 0
; COMPUTE_PGM_RSRC2:TGID_Z_EN: 0
; COMPUTE_PGM_RSRC2:TIDIG_COMP_CNT: 0
	.section	.text._ZN7rocprim17ROCPRIM_400000_NS6detail17trampoline_kernelINS0_14default_configENS1_38merge_sort_block_merge_config_selectorIiiEEZZNS1_27merge_sort_block_merge_implIS3_N6thrust23THRUST_200600_302600_NS6detail15normal_iteratorINS8_10device_ptrIiEEEESD_jNS1_19radix_merge_compareILb1ELb0EiNS0_19identity_decomposerEEEEE10hipError_tT0_T1_T2_jT3_P12ihipStream_tbPNSt15iterator_traitsISI_E10value_typeEPNSO_ISJ_E10value_typeEPSK_NS1_7vsmem_tEENKUlT_SI_SJ_SK_E_clISD_PiSD_S10_EESH_SX_SI_SJ_SK_EUlSX_E1_NS1_11comp_targetILNS1_3genE3ELNS1_11target_archE908ELNS1_3gpuE7ELNS1_3repE0EEENS1_36merge_oddeven_config_static_selectorELNS0_4arch9wavefront6targetE0EEEvSJ_,"axG",@progbits,_ZN7rocprim17ROCPRIM_400000_NS6detail17trampoline_kernelINS0_14default_configENS1_38merge_sort_block_merge_config_selectorIiiEEZZNS1_27merge_sort_block_merge_implIS3_N6thrust23THRUST_200600_302600_NS6detail15normal_iteratorINS8_10device_ptrIiEEEESD_jNS1_19radix_merge_compareILb1ELb0EiNS0_19identity_decomposerEEEEE10hipError_tT0_T1_T2_jT3_P12ihipStream_tbPNSt15iterator_traitsISI_E10value_typeEPNSO_ISJ_E10value_typeEPSK_NS1_7vsmem_tEENKUlT_SI_SJ_SK_E_clISD_PiSD_S10_EESH_SX_SI_SJ_SK_EUlSX_E1_NS1_11comp_targetILNS1_3genE3ELNS1_11target_archE908ELNS1_3gpuE7ELNS1_3repE0EEENS1_36merge_oddeven_config_static_selectorELNS0_4arch9wavefront6targetE0EEEvSJ_,comdat
	.protected	_ZN7rocprim17ROCPRIM_400000_NS6detail17trampoline_kernelINS0_14default_configENS1_38merge_sort_block_merge_config_selectorIiiEEZZNS1_27merge_sort_block_merge_implIS3_N6thrust23THRUST_200600_302600_NS6detail15normal_iteratorINS8_10device_ptrIiEEEESD_jNS1_19radix_merge_compareILb1ELb0EiNS0_19identity_decomposerEEEEE10hipError_tT0_T1_T2_jT3_P12ihipStream_tbPNSt15iterator_traitsISI_E10value_typeEPNSO_ISJ_E10value_typeEPSK_NS1_7vsmem_tEENKUlT_SI_SJ_SK_E_clISD_PiSD_S10_EESH_SX_SI_SJ_SK_EUlSX_E1_NS1_11comp_targetILNS1_3genE3ELNS1_11target_archE908ELNS1_3gpuE7ELNS1_3repE0EEENS1_36merge_oddeven_config_static_selectorELNS0_4arch9wavefront6targetE0EEEvSJ_ ; -- Begin function _ZN7rocprim17ROCPRIM_400000_NS6detail17trampoline_kernelINS0_14default_configENS1_38merge_sort_block_merge_config_selectorIiiEEZZNS1_27merge_sort_block_merge_implIS3_N6thrust23THRUST_200600_302600_NS6detail15normal_iteratorINS8_10device_ptrIiEEEESD_jNS1_19radix_merge_compareILb1ELb0EiNS0_19identity_decomposerEEEEE10hipError_tT0_T1_T2_jT3_P12ihipStream_tbPNSt15iterator_traitsISI_E10value_typeEPNSO_ISJ_E10value_typeEPSK_NS1_7vsmem_tEENKUlT_SI_SJ_SK_E_clISD_PiSD_S10_EESH_SX_SI_SJ_SK_EUlSX_E1_NS1_11comp_targetILNS1_3genE3ELNS1_11target_archE908ELNS1_3gpuE7ELNS1_3repE0EEENS1_36merge_oddeven_config_static_selectorELNS0_4arch9wavefront6targetE0EEEvSJ_
	.globl	_ZN7rocprim17ROCPRIM_400000_NS6detail17trampoline_kernelINS0_14default_configENS1_38merge_sort_block_merge_config_selectorIiiEEZZNS1_27merge_sort_block_merge_implIS3_N6thrust23THRUST_200600_302600_NS6detail15normal_iteratorINS8_10device_ptrIiEEEESD_jNS1_19radix_merge_compareILb1ELb0EiNS0_19identity_decomposerEEEEE10hipError_tT0_T1_T2_jT3_P12ihipStream_tbPNSt15iterator_traitsISI_E10value_typeEPNSO_ISJ_E10value_typeEPSK_NS1_7vsmem_tEENKUlT_SI_SJ_SK_E_clISD_PiSD_S10_EESH_SX_SI_SJ_SK_EUlSX_E1_NS1_11comp_targetILNS1_3genE3ELNS1_11target_archE908ELNS1_3gpuE7ELNS1_3repE0EEENS1_36merge_oddeven_config_static_selectorELNS0_4arch9wavefront6targetE0EEEvSJ_
	.p2align	8
	.type	_ZN7rocprim17ROCPRIM_400000_NS6detail17trampoline_kernelINS0_14default_configENS1_38merge_sort_block_merge_config_selectorIiiEEZZNS1_27merge_sort_block_merge_implIS3_N6thrust23THRUST_200600_302600_NS6detail15normal_iteratorINS8_10device_ptrIiEEEESD_jNS1_19radix_merge_compareILb1ELb0EiNS0_19identity_decomposerEEEEE10hipError_tT0_T1_T2_jT3_P12ihipStream_tbPNSt15iterator_traitsISI_E10value_typeEPNSO_ISJ_E10value_typeEPSK_NS1_7vsmem_tEENKUlT_SI_SJ_SK_E_clISD_PiSD_S10_EESH_SX_SI_SJ_SK_EUlSX_E1_NS1_11comp_targetILNS1_3genE3ELNS1_11target_archE908ELNS1_3gpuE7ELNS1_3repE0EEENS1_36merge_oddeven_config_static_selectorELNS0_4arch9wavefront6targetE0EEEvSJ_,@function
_ZN7rocprim17ROCPRIM_400000_NS6detail17trampoline_kernelINS0_14default_configENS1_38merge_sort_block_merge_config_selectorIiiEEZZNS1_27merge_sort_block_merge_implIS3_N6thrust23THRUST_200600_302600_NS6detail15normal_iteratorINS8_10device_ptrIiEEEESD_jNS1_19radix_merge_compareILb1ELb0EiNS0_19identity_decomposerEEEEE10hipError_tT0_T1_T2_jT3_P12ihipStream_tbPNSt15iterator_traitsISI_E10value_typeEPNSO_ISJ_E10value_typeEPSK_NS1_7vsmem_tEENKUlT_SI_SJ_SK_E_clISD_PiSD_S10_EESH_SX_SI_SJ_SK_EUlSX_E1_NS1_11comp_targetILNS1_3genE3ELNS1_11target_archE908ELNS1_3gpuE7ELNS1_3repE0EEENS1_36merge_oddeven_config_static_selectorELNS0_4arch9wavefront6targetE0EEEvSJ_: ; @_ZN7rocprim17ROCPRIM_400000_NS6detail17trampoline_kernelINS0_14default_configENS1_38merge_sort_block_merge_config_selectorIiiEEZZNS1_27merge_sort_block_merge_implIS3_N6thrust23THRUST_200600_302600_NS6detail15normal_iteratorINS8_10device_ptrIiEEEESD_jNS1_19radix_merge_compareILb1ELb0EiNS0_19identity_decomposerEEEEE10hipError_tT0_T1_T2_jT3_P12ihipStream_tbPNSt15iterator_traitsISI_E10value_typeEPNSO_ISJ_E10value_typeEPSK_NS1_7vsmem_tEENKUlT_SI_SJ_SK_E_clISD_PiSD_S10_EESH_SX_SI_SJ_SK_EUlSX_E1_NS1_11comp_targetILNS1_3genE3ELNS1_11target_archE908ELNS1_3gpuE7ELNS1_3repE0EEENS1_36merge_oddeven_config_static_selectorELNS0_4arch9wavefront6targetE0EEEvSJ_
; %bb.0:
	.section	.rodata,"a",@progbits
	.p2align	6, 0x0
	.amdhsa_kernel _ZN7rocprim17ROCPRIM_400000_NS6detail17trampoline_kernelINS0_14default_configENS1_38merge_sort_block_merge_config_selectorIiiEEZZNS1_27merge_sort_block_merge_implIS3_N6thrust23THRUST_200600_302600_NS6detail15normal_iteratorINS8_10device_ptrIiEEEESD_jNS1_19radix_merge_compareILb1ELb0EiNS0_19identity_decomposerEEEEE10hipError_tT0_T1_T2_jT3_P12ihipStream_tbPNSt15iterator_traitsISI_E10value_typeEPNSO_ISJ_E10value_typeEPSK_NS1_7vsmem_tEENKUlT_SI_SJ_SK_E_clISD_PiSD_S10_EESH_SX_SI_SJ_SK_EUlSX_E1_NS1_11comp_targetILNS1_3genE3ELNS1_11target_archE908ELNS1_3gpuE7ELNS1_3repE0EEENS1_36merge_oddeven_config_static_selectorELNS0_4arch9wavefront6targetE0EEEvSJ_
		.amdhsa_group_segment_fixed_size 0
		.amdhsa_private_segment_fixed_size 0
		.amdhsa_kernarg_size 48
		.amdhsa_user_sgpr_count 6
		.amdhsa_user_sgpr_private_segment_buffer 1
		.amdhsa_user_sgpr_dispatch_ptr 0
		.amdhsa_user_sgpr_queue_ptr 0
		.amdhsa_user_sgpr_kernarg_segment_ptr 1
		.amdhsa_user_sgpr_dispatch_id 0
		.amdhsa_user_sgpr_flat_scratch_init 0
		.amdhsa_user_sgpr_private_segment_size 0
		.amdhsa_wavefront_size32 1
		.amdhsa_uses_dynamic_stack 0
		.amdhsa_system_sgpr_private_segment_wavefront_offset 0
		.amdhsa_system_sgpr_workgroup_id_x 1
		.amdhsa_system_sgpr_workgroup_id_y 0
		.amdhsa_system_sgpr_workgroup_id_z 0
		.amdhsa_system_sgpr_workgroup_info 0
		.amdhsa_system_vgpr_workitem_id 0
		.amdhsa_next_free_vgpr 1
		.amdhsa_next_free_sgpr 1
		.amdhsa_reserve_vcc 0
		.amdhsa_reserve_flat_scratch 0
		.amdhsa_float_round_mode_32 0
		.amdhsa_float_round_mode_16_64 0
		.amdhsa_float_denorm_mode_32 3
		.amdhsa_float_denorm_mode_16_64 3
		.amdhsa_dx10_clamp 1
		.amdhsa_ieee_mode 1
		.amdhsa_fp16_overflow 0
		.amdhsa_workgroup_processor_mode 1
		.amdhsa_memory_ordered 1
		.amdhsa_forward_progress 1
		.amdhsa_shared_vgpr_count 0
		.amdhsa_exception_fp_ieee_invalid_op 0
		.amdhsa_exception_fp_denorm_src 0
		.amdhsa_exception_fp_ieee_div_zero 0
		.amdhsa_exception_fp_ieee_overflow 0
		.amdhsa_exception_fp_ieee_underflow 0
		.amdhsa_exception_fp_ieee_inexact 0
		.amdhsa_exception_int_div_zero 0
	.end_amdhsa_kernel
	.section	.text._ZN7rocprim17ROCPRIM_400000_NS6detail17trampoline_kernelINS0_14default_configENS1_38merge_sort_block_merge_config_selectorIiiEEZZNS1_27merge_sort_block_merge_implIS3_N6thrust23THRUST_200600_302600_NS6detail15normal_iteratorINS8_10device_ptrIiEEEESD_jNS1_19radix_merge_compareILb1ELb0EiNS0_19identity_decomposerEEEEE10hipError_tT0_T1_T2_jT3_P12ihipStream_tbPNSt15iterator_traitsISI_E10value_typeEPNSO_ISJ_E10value_typeEPSK_NS1_7vsmem_tEENKUlT_SI_SJ_SK_E_clISD_PiSD_S10_EESH_SX_SI_SJ_SK_EUlSX_E1_NS1_11comp_targetILNS1_3genE3ELNS1_11target_archE908ELNS1_3gpuE7ELNS1_3repE0EEENS1_36merge_oddeven_config_static_selectorELNS0_4arch9wavefront6targetE0EEEvSJ_,"axG",@progbits,_ZN7rocprim17ROCPRIM_400000_NS6detail17trampoline_kernelINS0_14default_configENS1_38merge_sort_block_merge_config_selectorIiiEEZZNS1_27merge_sort_block_merge_implIS3_N6thrust23THRUST_200600_302600_NS6detail15normal_iteratorINS8_10device_ptrIiEEEESD_jNS1_19radix_merge_compareILb1ELb0EiNS0_19identity_decomposerEEEEE10hipError_tT0_T1_T2_jT3_P12ihipStream_tbPNSt15iterator_traitsISI_E10value_typeEPNSO_ISJ_E10value_typeEPSK_NS1_7vsmem_tEENKUlT_SI_SJ_SK_E_clISD_PiSD_S10_EESH_SX_SI_SJ_SK_EUlSX_E1_NS1_11comp_targetILNS1_3genE3ELNS1_11target_archE908ELNS1_3gpuE7ELNS1_3repE0EEENS1_36merge_oddeven_config_static_selectorELNS0_4arch9wavefront6targetE0EEEvSJ_,comdat
.Lfunc_end929:
	.size	_ZN7rocprim17ROCPRIM_400000_NS6detail17trampoline_kernelINS0_14default_configENS1_38merge_sort_block_merge_config_selectorIiiEEZZNS1_27merge_sort_block_merge_implIS3_N6thrust23THRUST_200600_302600_NS6detail15normal_iteratorINS8_10device_ptrIiEEEESD_jNS1_19radix_merge_compareILb1ELb0EiNS0_19identity_decomposerEEEEE10hipError_tT0_T1_T2_jT3_P12ihipStream_tbPNSt15iterator_traitsISI_E10value_typeEPNSO_ISJ_E10value_typeEPSK_NS1_7vsmem_tEENKUlT_SI_SJ_SK_E_clISD_PiSD_S10_EESH_SX_SI_SJ_SK_EUlSX_E1_NS1_11comp_targetILNS1_3genE3ELNS1_11target_archE908ELNS1_3gpuE7ELNS1_3repE0EEENS1_36merge_oddeven_config_static_selectorELNS0_4arch9wavefront6targetE0EEEvSJ_, .Lfunc_end929-_ZN7rocprim17ROCPRIM_400000_NS6detail17trampoline_kernelINS0_14default_configENS1_38merge_sort_block_merge_config_selectorIiiEEZZNS1_27merge_sort_block_merge_implIS3_N6thrust23THRUST_200600_302600_NS6detail15normal_iteratorINS8_10device_ptrIiEEEESD_jNS1_19radix_merge_compareILb1ELb0EiNS0_19identity_decomposerEEEEE10hipError_tT0_T1_T2_jT3_P12ihipStream_tbPNSt15iterator_traitsISI_E10value_typeEPNSO_ISJ_E10value_typeEPSK_NS1_7vsmem_tEENKUlT_SI_SJ_SK_E_clISD_PiSD_S10_EESH_SX_SI_SJ_SK_EUlSX_E1_NS1_11comp_targetILNS1_3genE3ELNS1_11target_archE908ELNS1_3gpuE7ELNS1_3repE0EEENS1_36merge_oddeven_config_static_selectorELNS0_4arch9wavefront6targetE0EEEvSJ_
                                        ; -- End function
	.set _ZN7rocprim17ROCPRIM_400000_NS6detail17trampoline_kernelINS0_14default_configENS1_38merge_sort_block_merge_config_selectorIiiEEZZNS1_27merge_sort_block_merge_implIS3_N6thrust23THRUST_200600_302600_NS6detail15normal_iteratorINS8_10device_ptrIiEEEESD_jNS1_19radix_merge_compareILb1ELb0EiNS0_19identity_decomposerEEEEE10hipError_tT0_T1_T2_jT3_P12ihipStream_tbPNSt15iterator_traitsISI_E10value_typeEPNSO_ISJ_E10value_typeEPSK_NS1_7vsmem_tEENKUlT_SI_SJ_SK_E_clISD_PiSD_S10_EESH_SX_SI_SJ_SK_EUlSX_E1_NS1_11comp_targetILNS1_3genE3ELNS1_11target_archE908ELNS1_3gpuE7ELNS1_3repE0EEENS1_36merge_oddeven_config_static_selectorELNS0_4arch9wavefront6targetE0EEEvSJ_.num_vgpr, 0
	.set _ZN7rocprim17ROCPRIM_400000_NS6detail17trampoline_kernelINS0_14default_configENS1_38merge_sort_block_merge_config_selectorIiiEEZZNS1_27merge_sort_block_merge_implIS3_N6thrust23THRUST_200600_302600_NS6detail15normal_iteratorINS8_10device_ptrIiEEEESD_jNS1_19radix_merge_compareILb1ELb0EiNS0_19identity_decomposerEEEEE10hipError_tT0_T1_T2_jT3_P12ihipStream_tbPNSt15iterator_traitsISI_E10value_typeEPNSO_ISJ_E10value_typeEPSK_NS1_7vsmem_tEENKUlT_SI_SJ_SK_E_clISD_PiSD_S10_EESH_SX_SI_SJ_SK_EUlSX_E1_NS1_11comp_targetILNS1_3genE3ELNS1_11target_archE908ELNS1_3gpuE7ELNS1_3repE0EEENS1_36merge_oddeven_config_static_selectorELNS0_4arch9wavefront6targetE0EEEvSJ_.num_agpr, 0
	.set _ZN7rocprim17ROCPRIM_400000_NS6detail17trampoline_kernelINS0_14default_configENS1_38merge_sort_block_merge_config_selectorIiiEEZZNS1_27merge_sort_block_merge_implIS3_N6thrust23THRUST_200600_302600_NS6detail15normal_iteratorINS8_10device_ptrIiEEEESD_jNS1_19radix_merge_compareILb1ELb0EiNS0_19identity_decomposerEEEEE10hipError_tT0_T1_T2_jT3_P12ihipStream_tbPNSt15iterator_traitsISI_E10value_typeEPNSO_ISJ_E10value_typeEPSK_NS1_7vsmem_tEENKUlT_SI_SJ_SK_E_clISD_PiSD_S10_EESH_SX_SI_SJ_SK_EUlSX_E1_NS1_11comp_targetILNS1_3genE3ELNS1_11target_archE908ELNS1_3gpuE7ELNS1_3repE0EEENS1_36merge_oddeven_config_static_selectorELNS0_4arch9wavefront6targetE0EEEvSJ_.numbered_sgpr, 0
	.set _ZN7rocprim17ROCPRIM_400000_NS6detail17trampoline_kernelINS0_14default_configENS1_38merge_sort_block_merge_config_selectorIiiEEZZNS1_27merge_sort_block_merge_implIS3_N6thrust23THRUST_200600_302600_NS6detail15normal_iteratorINS8_10device_ptrIiEEEESD_jNS1_19radix_merge_compareILb1ELb0EiNS0_19identity_decomposerEEEEE10hipError_tT0_T1_T2_jT3_P12ihipStream_tbPNSt15iterator_traitsISI_E10value_typeEPNSO_ISJ_E10value_typeEPSK_NS1_7vsmem_tEENKUlT_SI_SJ_SK_E_clISD_PiSD_S10_EESH_SX_SI_SJ_SK_EUlSX_E1_NS1_11comp_targetILNS1_3genE3ELNS1_11target_archE908ELNS1_3gpuE7ELNS1_3repE0EEENS1_36merge_oddeven_config_static_selectorELNS0_4arch9wavefront6targetE0EEEvSJ_.num_named_barrier, 0
	.set _ZN7rocprim17ROCPRIM_400000_NS6detail17trampoline_kernelINS0_14default_configENS1_38merge_sort_block_merge_config_selectorIiiEEZZNS1_27merge_sort_block_merge_implIS3_N6thrust23THRUST_200600_302600_NS6detail15normal_iteratorINS8_10device_ptrIiEEEESD_jNS1_19radix_merge_compareILb1ELb0EiNS0_19identity_decomposerEEEEE10hipError_tT0_T1_T2_jT3_P12ihipStream_tbPNSt15iterator_traitsISI_E10value_typeEPNSO_ISJ_E10value_typeEPSK_NS1_7vsmem_tEENKUlT_SI_SJ_SK_E_clISD_PiSD_S10_EESH_SX_SI_SJ_SK_EUlSX_E1_NS1_11comp_targetILNS1_3genE3ELNS1_11target_archE908ELNS1_3gpuE7ELNS1_3repE0EEENS1_36merge_oddeven_config_static_selectorELNS0_4arch9wavefront6targetE0EEEvSJ_.private_seg_size, 0
	.set _ZN7rocprim17ROCPRIM_400000_NS6detail17trampoline_kernelINS0_14default_configENS1_38merge_sort_block_merge_config_selectorIiiEEZZNS1_27merge_sort_block_merge_implIS3_N6thrust23THRUST_200600_302600_NS6detail15normal_iteratorINS8_10device_ptrIiEEEESD_jNS1_19radix_merge_compareILb1ELb0EiNS0_19identity_decomposerEEEEE10hipError_tT0_T1_T2_jT3_P12ihipStream_tbPNSt15iterator_traitsISI_E10value_typeEPNSO_ISJ_E10value_typeEPSK_NS1_7vsmem_tEENKUlT_SI_SJ_SK_E_clISD_PiSD_S10_EESH_SX_SI_SJ_SK_EUlSX_E1_NS1_11comp_targetILNS1_3genE3ELNS1_11target_archE908ELNS1_3gpuE7ELNS1_3repE0EEENS1_36merge_oddeven_config_static_selectorELNS0_4arch9wavefront6targetE0EEEvSJ_.uses_vcc, 0
	.set _ZN7rocprim17ROCPRIM_400000_NS6detail17trampoline_kernelINS0_14default_configENS1_38merge_sort_block_merge_config_selectorIiiEEZZNS1_27merge_sort_block_merge_implIS3_N6thrust23THRUST_200600_302600_NS6detail15normal_iteratorINS8_10device_ptrIiEEEESD_jNS1_19radix_merge_compareILb1ELb0EiNS0_19identity_decomposerEEEEE10hipError_tT0_T1_T2_jT3_P12ihipStream_tbPNSt15iterator_traitsISI_E10value_typeEPNSO_ISJ_E10value_typeEPSK_NS1_7vsmem_tEENKUlT_SI_SJ_SK_E_clISD_PiSD_S10_EESH_SX_SI_SJ_SK_EUlSX_E1_NS1_11comp_targetILNS1_3genE3ELNS1_11target_archE908ELNS1_3gpuE7ELNS1_3repE0EEENS1_36merge_oddeven_config_static_selectorELNS0_4arch9wavefront6targetE0EEEvSJ_.uses_flat_scratch, 0
	.set _ZN7rocprim17ROCPRIM_400000_NS6detail17trampoline_kernelINS0_14default_configENS1_38merge_sort_block_merge_config_selectorIiiEEZZNS1_27merge_sort_block_merge_implIS3_N6thrust23THRUST_200600_302600_NS6detail15normal_iteratorINS8_10device_ptrIiEEEESD_jNS1_19radix_merge_compareILb1ELb0EiNS0_19identity_decomposerEEEEE10hipError_tT0_T1_T2_jT3_P12ihipStream_tbPNSt15iterator_traitsISI_E10value_typeEPNSO_ISJ_E10value_typeEPSK_NS1_7vsmem_tEENKUlT_SI_SJ_SK_E_clISD_PiSD_S10_EESH_SX_SI_SJ_SK_EUlSX_E1_NS1_11comp_targetILNS1_3genE3ELNS1_11target_archE908ELNS1_3gpuE7ELNS1_3repE0EEENS1_36merge_oddeven_config_static_selectorELNS0_4arch9wavefront6targetE0EEEvSJ_.has_dyn_sized_stack, 0
	.set _ZN7rocprim17ROCPRIM_400000_NS6detail17trampoline_kernelINS0_14default_configENS1_38merge_sort_block_merge_config_selectorIiiEEZZNS1_27merge_sort_block_merge_implIS3_N6thrust23THRUST_200600_302600_NS6detail15normal_iteratorINS8_10device_ptrIiEEEESD_jNS1_19radix_merge_compareILb1ELb0EiNS0_19identity_decomposerEEEEE10hipError_tT0_T1_T2_jT3_P12ihipStream_tbPNSt15iterator_traitsISI_E10value_typeEPNSO_ISJ_E10value_typeEPSK_NS1_7vsmem_tEENKUlT_SI_SJ_SK_E_clISD_PiSD_S10_EESH_SX_SI_SJ_SK_EUlSX_E1_NS1_11comp_targetILNS1_3genE3ELNS1_11target_archE908ELNS1_3gpuE7ELNS1_3repE0EEENS1_36merge_oddeven_config_static_selectorELNS0_4arch9wavefront6targetE0EEEvSJ_.has_recursion, 0
	.set _ZN7rocprim17ROCPRIM_400000_NS6detail17trampoline_kernelINS0_14default_configENS1_38merge_sort_block_merge_config_selectorIiiEEZZNS1_27merge_sort_block_merge_implIS3_N6thrust23THRUST_200600_302600_NS6detail15normal_iteratorINS8_10device_ptrIiEEEESD_jNS1_19radix_merge_compareILb1ELb0EiNS0_19identity_decomposerEEEEE10hipError_tT0_T1_T2_jT3_P12ihipStream_tbPNSt15iterator_traitsISI_E10value_typeEPNSO_ISJ_E10value_typeEPSK_NS1_7vsmem_tEENKUlT_SI_SJ_SK_E_clISD_PiSD_S10_EESH_SX_SI_SJ_SK_EUlSX_E1_NS1_11comp_targetILNS1_3genE3ELNS1_11target_archE908ELNS1_3gpuE7ELNS1_3repE0EEENS1_36merge_oddeven_config_static_selectorELNS0_4arch9wavefront6targetE0EEEvSJ_.has_indirect_call, 0
	.section	.AMDGPU.csdata,"",@progbits
; Kernel info:
; codeLenInByte = 0
; TotalNumSgprs: 0
; NumVgprs: 0
; ScratchSize: 0
; MemoryBound: 0
; FloatMode: 240
; IeeeMode: 1
; LDSByteSize: 0 bytes/workgroup (compile time only)
; SGPRBlocks: 0
; VGPRBlocks: 0
; NumSGPRsForWavesPerEU: 1
; NumVGPRsForWavesPerEU: 1
; Occupancy: 16
; WaveLimiterHint : 0
; COMPUTE_PGM_RSRC2:SCRATCH_EN: 0
; COMPUTE_PGM_RSRC2:USER_SGPR: 6
; COMPUTE_PGM_RSRC2:TRAP_HANDLER: 0
; COMPUTE_PGM_RSRC2:TGID_X_EN: 1
; COMPUTE_PGM_RSRC2:TGID_Y_EN: 0
; COMPUTE_PGM_RSRC2:TGID_Z_EN: 0
; COMPUTE_PGM_RSRC2:TIDIG_COMP_CNT: 0
	.section	.text._ZN7rocprim17ROCPRIM_400000_NS6detail17trampoline_kernelINS0_14default_configENS1_38merge_sort_block_merge_config_selectorIiiEEZZNS1_27merge_sort_block_merge_implIS3_N6thrust23THRUST_200600_302600_NS6detail15normal_iteratorINS8_10device_ptrIiEEEESD_jNS1_19radix_merge_compareILb1ELb0EiNS0_19identity_decomposerEEEEE10hipError_tT0_T1_T2_jT3_P12ihipStream_tbPNSt15iterator_traitsISI_E10value_typeEPNSO_ISJ_E10value_typeEPSK_NS1_7vsmem_tEENKUlT_SI_SJ_SK_E_clISD_PiSD_S10_EESH_SX_SI_SJ_SK_EUlSX_E1_NS1_11comp_targetILNS1_3genE2ELNS1_11target_archE906ELNS1_3gpuE6ELNS1_3repE0EEENS1_36merge_oddeven_config_static_selectorELNS0_4arch9wavefront6targetE0EEEvSJ_,"axG",@progbits,_ZN7rocprim17ROCPRIM_400000_NS6detail17trampoline_kernelINS0_14default_configENS1_38merge_sort_block_merge_config_selectorIiiEEZZNS1_27merge_sort_block_merge_implIS3_N6thrust23THRUST_200600_302600_NS6detail15normal_iteratorINS8_10device_ptrIiEEEESD_jNS1_19radix_merge_compareILb1ELb0EiNS0_19identity_decomposerEEEEE10hipError_tT0_T1_T2_jT3_P12ihipStream_tbPNSt15iterator_traitsISI_E10value_typeEPNSO_ISJ_E10value_typeEPSK_NS1_7vsmem_tEENKUlT_SI_SJ_SK_E_clISD_PiSD_S10_EESH_SX_SI_SJ_SK_EUlSX_E1_NS1_11comp_targetILNS1_3genE2ELNS1_11target_archE906ELNS1_3gpuE6ELNS1_3repE0EEENS1_36merge_oddeven_config_static_selectorELNS0_4arch9wavefront6targetE0EEEvSJ_,comdat
	.protected	_ZN7rocprim17ROCPRIM_400000_NS6detail17trampoline_kernelINS0_14default_configENS1_38merge_sort_block_merge_config_selectorIiiEEZZNS1_27merge_sort_block_merge_implIS3_N6thrust23THRUST_200600_302600_NS6detail15normal_iteratorINS8_10device_ptrIiEEEESD_jNS1_19radix_merge_compareILb1ELb0EiNS0_19identity_decomposerEEEEE10hipError_tT0_T1_T2_jT3_P12ihipStream_tbPNSt15iterator_traitsISI_E10value_typeEPNSO_ISJ_E10value_typeEPSK_NS1_7vsmem_tEENKUlT_SI_SJ_SK_E_clISD_PiSD_S10_EESH_SX_SI_SJ_SK_EUlSX_E1_NS1_11comp_targetILNS1_3genE2ELNS1_11target_archE906ELNS1_3gpuE6ELNS1_3repE0EEENS1_36merge_oddeven_config_static_selectorELNS0_4arch9wavefront6targetE0EEEvSJ_ ; -- Begin function _ZN7rocprim17ROCPRIM_400000_NS6detail17trampoline_kernelINS0_14default_configENS1_38merge_sort_block_merge_config_selectorIiiEEZZNS1_27merge_sort_block_merge_implIS3_N6thrust23THRUST_200600_302600_NS6detail15normal_iteratorINS8_10device_ptrIiEEEESD_jNS1_19radix_merge_compareILb1ELb0EiNS0_19identity_decomposerEEEEE10hipError_tT0_T1_T2_jT3_P12ihipStream_tbPNSt15iterator_traitsISI_E10value_typeEPNSO_ISJ_E10value_typeEPSK_NS1_7vsmem_tEENKUlT_SI_SJ_SK_E_clISD_PiSD_S10_EESH_SX_SI_SJ_SK_EUlSX_E1_NS1_11comp_targetILNS1_3genE2ELNS1_11target_archE906ELNS1_3gpuE6ELNS1_3repE0EEENS1_36merge_oddeven_config_static_selectorELNS0_4arch9wavefront6targetE0EEEvSJ_
	.globl	_ZN7rocprim17ROCPRIM_400000_NS6detail17trampoline_kernelINS0_14default_configENS1_38merge_sort_block_merge_config_selectorIiiEEZZNS1_27merge_sort_block_merge_implIS3_N6thrust23THRUST_200600_302600_NS6detail15normal_iteratorINS8_10device_ptrIiEEEESD_jNS1_19radix_merge_compareILb1ELb0EiNS0_19identity_decomposerEEEEE10hipError_tT0_T1_T2_jT3_P12ihipStream_tbPNSt15iterator_traitsISI_E10value_typeEPNSO_ISJ_E10value_typeEPSK_NS1_7vsmem_tEENKUlT_SI_SJ_SK_E_clISD_PiSD_S10_EESH_SX_SI_SJ_SK_EUlSX_E1_NS1_11comp_targetILNS1_3genE2ELNS1_11target_archE906ELNS1_3gpuE6ELNS1_3repE0EEENS1_36merge_oddeven_config_static_selectorELNS0_4arch9wavefront6targetE0EEEvSJ_
	.p2align	8
	.type	_ZN7rocprim17ROCPRIM_400000_NS6detail17trampoline_kernelINS0_14default_configENS1_38merge_sort_block_merge_config_selectorIiiEEZZNS1_27merge_sort_block_merge_implIS3_N6thrust23THRUST_200600_302600_NS6detail15normal_iteratorINS8_10device_ptrIiEEEESD_jNS1_19radix_merge_compareILb1ELb0EiNS0_19identity_decomposerEEEEE10hipError_tT0_T1_T2_jT3_P12ihipStream_tbPNSt15iterator_traitsISI_E10value_typeEPNSO_ISJ_E10value_typeEPSK_NS1_7vsmem_tEENKUlT_SI_SJ_SK_E_clISD_PiSD_S10_EESH_SX_SI_SJ_SK_EUlSX_E1_NS1_11comp_targetILNS1_3genE2ELNS1_11target_archE906ELNS1_3gpuE6ELNS1_3repE0EEENS1_36merge_oddeven_config_static_selectorELNS0_4arch9wavefront6targetE0EEEvSJ_,@function
_ZN7rocprim17ROCPRIM_400000_NS6detail17trampoline_kernelINS0_14default_configENS1_38merge_sort_block_merge_config_selectorIiiEEZZNS1_27merge_sort_block_merge_implIS3_N6thrust23THRUST_200600_302600_NS6detail15normal_iteratorINS8_10device_ptrIiEEEESD_jNS1_19radix_merge_compareILb1ELb0EiNS0_19identity_decomposerEEEEE10hipError_tT0_T1_T2_jT3_P12ihipStream_tbPNSt15iterator_traitsISI_E10value_typeEPNSO_ISJ_E10value_typeEPSK_NS1_7vsmem_tEENKUlT_SI_SJ_SK_E_clISD_PiSD_S10_EESH_SX_SI_SJ_SK_EUlSX_E1_NS1_11comp_targetILNS1_3genE2ELNS1_11target_archE906ELNS1_3gpuE6ELNS1_3repE0EEENS1_36merge_oddeven_config_static_selectorELNS0_4arch9wavefront6targetE0EEEvSJ_: ; @_ZN7rocprim17ROCPRIM_400000_NS6detail17trampoline_kernelINS0_14default_configENS1_38merge_sort_block_merge_config_selectorIiiEEZZNS1_27merge_sort_block_merge_implIS3_N6thrust23THRUST_200600_302600_NS6detail15normal_iteratorINS8_10device_ptrIiEEEESD_jNS1_19radix_merge_compareILb1ELb0EiNS0_19identity_decomposerEEEEE10hipError_tT0_T1_T2_jT3_P12ihipStream_tbPNSt15iterator_traitsISI_E10value_typeEPNSO_ISJ_E10value_typeEPSK_NS1_7vsmem_tEENKUlT_SI_SJ_SK_E_clISD_PiSD_S10_EESH_SX_SI_SJ_SK_EUlSX_E1_NS1_11comp_targetILNS1_3genE2ELNS1_11target_archE906ELNS1_3gpuE6ELNS1_3repE0EEENS1_36merge_oddeven_config_static_selectorELNS0_4arch9wavefront6targetE0EEEvSJ_
; %bb.0:
	.section	.rodata,"a",@progbits
	.p2align	6, 0x0
	.amdhsa_kernel _ZN7rocprim17ROCPRIM_400000_NS6detail17trampoline_kernelINS0_14default_configENS1_38merge_sort_block_merge_config_selectorIiiEEZZNS1_27merge_sort_block_merge_implIS3_N6thrust23THRUST_200600_302600_NS6detail15normal_iteratorINS8_10device_ptrIiEEEESD_jNS1_19radix_merge_compareILb1ELb0EiNS0_19identity_decomposerEEEEE10hipError_tT0_T1_T2_jT3_P12ihipStream_tbPNSt15iterator_traitsISI_E10value_typeEPNSO_ISJ_E10value_typeEPSK_NS1_7vsmem_tEENKUlT_SI_SJ_SK_E_clISD_PiSD_S10_EESH_SX_SI_SJ_SK_EUlSX_E1_NS1_11comp_targetILNS1_3genE2ELNS1_11target_archE906ELNS1_3gpuE6ELNS1_3repE0EEENS1_36merge_oddeven_config_static_selectorELNS0_4arch9wavefront6targetE0EEEvSJ_
		.amdhsa_group_segment_fixed_size 0
		.amdhsa_private_segment_fixed_size 0
		.amdhsa_kernarg_size 48
		.amdhsa_user_sgpr_count 6
		.amdhsa_user_sgpr_private_segment_buffer 1
		.amdhsa_user_sgpr_dispatch_ptr 0
		.amdhsa_user_sgpr_queue_ptr 0
		.amdhsa_user_sgpr_kernarg_segment_ptr 1
		.amdhsa_user_sgpr_dispatch_id 0
		.amdhsa_user_sgpr_flat_scratch_init 0
		.amdhsa_user_sgpr_private_segment_size 0
		.amdhsa_wavefront_size32 1
		.amdhsa_uses_dynamic_stack 0
		.amdhsa_system_sgpr_private_segment_wavefront_offset 0
		.amdhsa_system_sgpr_workgroup_id_x 1
		.amdhsa_system_sgpr_workgroup_id_y 0
		.amdhsa_system_sgpr_workgroup_id_z 0
		.amdhsa_system_sgpr_workgroup_info 0
		.amdhsa_system_vgpr_workitem_id 0
		.amdhsa_next_free_vgpr 1
		.amdhsa_next_free_sgpr 1
		.amdhsa_reserve_vcc 0
		.amdhsa_reserve_flat_scratch 0
		.amdhsa_float_round_mode_32 0
		.amdhsa_float_round_mode_16_64 0
		.amdhsa_float_denorm_mode_32 3
		.amdhsa_float_denorm_mode_16_64 3
		.amdhsa_dx10_clamp 1
		.amdhsa_ieee_mode 1
		.amdhsa_fp16_overflow 0
		.amdhsa_workgroup_processor_mode 1
		.amdhsa_memory_ordered 1
		.amdhsa_forward_progress 1
		.amdhsa_shared_vgpr_count 0
		.amdhsa_exception_fp_ieee_invalid_op 0
		.amdhsa_exception_fp_denorm_src 0
		.amdhsa_exception_fp_ieee_div_zero 0
		.amdhsa_exception_fp_ieee_overflow 0
		.amdhsa_exception_fp_ieee_underflow 0
		.amdhsa_exception_fp_ieee_inexact 0
		.amdhsa_exception_int_div_zero 0
	.end_amdhsa_kernel
	.section	.text._ZN7rocprim17ROCPRIM_400000_NS6detail17trampoline_kernelINS0_14default_configENS1_38merge_sort_block_merge_config_selectorIiiEEZZNS1_27merge_sort_block_merge_implIS3_N6thrust23THRUST_200600_302600_NS6detail15normal_iteratorINS8_10device_ptrIiEEEESD_jNS1_19radix_merge_compareILb1ELb0EiNS0_19identity_decomposerEEEEE10hipError_tT0_T1_T2_jT3_P12ihipStream_tbPNSt15iterator_traitsISI_E10value_typeEPNSO_ISJ_E10value_typeEPSK_NS1_7vsmem_tEENKUlT_SI_SJ_SK_E_clISD_PiSD_S10_EESH_SX_SI_SJ_SK_EUlSX_E1_NS1_11comp_targetILNS1_3genE2ELNS1_11target_archE906ELNS1_3gpuE6ELNS1_3repE0EEENS1_36merge_oddeven_config_static_selectorELNS0_4arch9wavefront6targetE0EEEvSJ_,"axG",@progbits,_ZN7rocprim17ROCPRIM_400000_NS6detail17trampoline_kernelINS0_14default_configENS1_38merge_sort_block_merge_config_selectorIiiEEZZNS1_27merge_sort_block_merge_implIS3_N6thrust23THRUST_200600_302600_NS6detail15normal_iteratorINS8_10device_ptrIiEEEESD_jNS1_19radix_merge_compareILb1ELb0EiNS0_19identity_decomposerEEEEE10hipError_tT0_T1_T2_jT3_P12ihipStream_tbPNSt15iterator_traitsISI_E10value_typeEPNSO_ISJ_E10value_typeEPSK_NS1_7vsmem_tEENKUlT_SI_SJ_SK_E_clISD_PiSD_S10_EESH_SX_SI_SJ_SK_EUlSX_E1_NS1_11comp_targetILNS1_3genE2ELNS1_11target_archE906ELNS1_3gpuE6ELNS1_3repE0EEENS1_36merge_oddeven_config_static_selectorELNS0_4arch9wavefront6targetE0EEEvSJ_,comdat
.Lfunc_end930:
	.size	_ZN7rocprim17ROCPRIM_400000_NS6detail17trampoline_kernelINS0_14default_configENS1_38merge_sort_block_merge_config_selectorIiiEEZZNS1_27merge_sort_block_merge_implIS3_N6thrust23THRUST_200600_302600_NS6detail15normal_iteratorINS8_10device_ptrIiEEEESD_jNS1_19radix_merge_compareILb1ELb0EiNS0_19identity_decomposerEEEEE10hipError_tT0_T1_T2_jT3_P12ihipStream_tbPNSt15iterator_traitsISI_E10value_typeEPNSO_ISJ_E10value_typeEPSK_NS1_7vsmem_tEENKUlT_SI_SJ_SK_E_clISD_PiSD_S10_EESH_SX_SI_SJ_SK_EUlSX_E1_NS1_11comp_targetILNS1_3genE2ELNS1_11target_archE906ELNS1_3gpuE6ELNS1_3repE0EEENS1_36merge_oddeven_config_static_selectorELNS0_4arch9wavefront6targetE0EEEvSJ_, .Lfunc_end930-_ZN7rocprim17ROCPRIM_400000_NS6detail17trampoline_kernelINS0_14default_configENS1_38merge_sort_block_merge_config_selectorIiiEEZZNS1_27merge_sort_block_merge_implIS3_N6thrust23THRUST_200600_302600_NS6detail15normal_iteratorINS8_10device_ptrIiEEEESD_jNS1_19radix_merge_compareILb1ELb0EiNS0_19identity_decomposerEEEEE10hipError_tT0_T1_T2_jT3_P12ihipStream_tbPNSt15iterator_traitsISI_E10value_typeEPNSO_ISJ_E10value_typeEPSK_NS1_7vsmem_tEENKUlT_SI_SJ_SK_E_clISD_PiSD_S10_EESH_SX_SI_SJ_SK_EUlSX_E1_NS1_11comp_targetILNS1_3genE2ELNS1_11target_archE906ELNS1_3gpuE6ELNS1_3repE0EEENS1_36merge_oddeven_config_static_selectorELNS0_4arch9wavefront6targetE0EEEvSJ_
                                        ; -- End function
	.set _ZN7rocprim17ROCPRIM_400000_NS6detail17trampoline_kernelINS0_14default_configENS1_38merge_sort_block_merge_config_selectorIiiEEZZNS1_27merge_sort_block_merge_implIS3_N6thrust23THRUST_200600_302600_NS6detail15normal_iteratorINS8_10device_ptrIiEEEESD_jNS1_19radix_merge_compareILb1ELb0EiNS0_19identity_decomposerEEEEE10hipError_tT0_T1_T2_jT3_P12ihipStream_tbPNSt15iterator_traitsISI_E10value_typeEPNSO_ISJ_E10value_typeEPSK_NS1_7vsmem_tEENKUlT_SI_SJ_SK_E_clISD_PiSD_S10_EESH_SX_SI_SJ_SK_EUlSX_E1_NS1_11comp_targetILNS1_3genE2ELNS1_11target_archE906ELNS1_3gpuE6ELNS1_3repE0EEENS1_36merge_oddeven_config_static_selectorELNS0_4arch9wavefront6targetE0EEEvSJ_.num_vgpr, 0
	.set _ZN7rocprim17ROCPRIM_400000_NS6detail17trampoline_kernelINS0_14default_configENS1_38merge_sort_block_merge_config_selectorIiiEEZZNS1_27merge_sort_block_merge_implIS3_N6thrust23THRUST_200600_302600_NS6detail15normal_iteratorINS8_10device_ptrIiEEEESD_jNS1_19radix_merge_compareILb1ELb0EiNS0_19identity_decomposerEEEEE10hipError_tT0_T1_T2_jT3_P12ihipStream_tbPNSt15iterator_traitsISI_E10value_typeEPNSO_ISJ_E10value_typeEPSK_NS1_7vsmem_tEENKUlT_SI_SJ_SK_E_clISD_PiSD_S10_EESH_SX_SI_SJ_SK_EUlSX_E1_NS1_11comp_targetILNS1_3genE2ELNS1_11target_archE906ELNS1_3gpuE6ELNS1_3repE0EEENS1_36merge_oddeven_config_static_selectorELNS0_4arch9wavefront6targetE0EEEvSJ_.num_agpr, 0
	.set _ZN7rocprim17ROCPRIM_400000_NS6detail17trampoline_kernelINS0_14default_configENS1_38merge_sort_block_merge_config_selectorIiiEEZZNS1_27merge_sort_block_merge_implIS3_N6thrust23THRUST_200600_302600_NS6detail15normal_iteratorINS8_10device_ptrIiEEEESD_jNS1_19radix_merge_compareILb1ELb0EiNS0_19identity_decomposerEEEEE10hipError_tT0_T1_T2_jT3_P12ihipStream_tbPNSt15iterator_traitsISI_E10value_typeEPNSO_ISJ_E10value_typeEPSK_NS1_7vsmem_tEENKUlT_SI_SJ_SK_E_clISD_PiSD_S10_EESH_SX_SI_SJ_SK_EUlSX_E1_NS1_11comp_targetILNS1_3genE2ELNS1_11target_archE906ELNS1_3gpuE6ELNS1_3repE0EEENS1_36merge_oddeven_config_static_selectorELNS0_4arch9wavefront6targetE0EEEvSJ_.numbered_sgpr, 0
	.set _ZN7rocprim17ROCPRIM_400000_NS6detail17trampoline_kernelINS0_14default_configENS1_38merge_sort_block_merge_config_selectorIiiEEZZNS1_27merge_sort_block_merge_implIS3_N6thrust23THRUST_200600_302600_NS6detail15normal_iteratorINS8_10device_ptrIiEEEESD_jNS1_19radix_merge_compareILb1ELb0EiNS0_19identity_decomposerEEEEE10hipError_tT0_T1_T2_jT3_P12ihipStream_tbPNSt15iterator_traitsISI_E10value_typeEPNSO_ISJ_E10value_typeEPSK_NS1_7vsmem_tEENKUlT_SI_SJ_SK_E_clISD_PiSD_S10_EESH_SX_SI_SJ_SK_EUlSX_E1_NS1_11comp_targetILNS1_3genE2ELNS1_11target_archE906ELNS1_3gpuE6ELNS1_3repE0EEENS1_36merge_oddeven_config_static_selectorELNS0_4arch9wavefront6targetE0EEEvSJ_.num_named_barrier, 0
	.set _ZN7rocprim17ROCPRIM_400000_NS6detail17trampoline_kernelINS0_14default_configENS1_38merge_sort_block_merge_config_selectorIiiEEZZNS1_27merge_sort_block_merge_implIS3_N6thrust23THRUST_200600_302600_NS6detail15normal_iteratorINS8_10device_ptrIiEEEESD_jNS1_19radix_merge_compareILb1ELb0EiNS0_19identity_decomposerEEEEE10hipError_tT0_T1_T2_jT3_P12ihipStream_tbPNSt15iterator_traitsISI_E10value_typeEPNSO_ISJ_E10value_typeEPSK_NS1_7vsmem_tEENKUlT_SI_SJ_SK_E_clISD_PiSD_S10_EESH_SX_SI_SJ_SK_EUlSX_E1_NS1_11comp_targetILNS1_3genE2ELNS1_11target_archE906ELNS1_3gpuE6ELNS1_3repE0EEENS1_36merge_oddeven_config_static_selectorELNS0_4arch9wavefront6targetE0EEEvSJ_.private_seg_size, 0
	.set _ZN7rocprim17ROCPRIM_400000_NS6detail17trampoline_kernelINS0_14default_configENS1_38merge_sort_block_merge_config_selectorIiiEEZZNS1_27merge_sort_block_merge_implIS3_N6thrust23THRUST_200600_302600_NS6detail15normal_iteratorINS8_10device_ptrIiEEEESD_jNS1_19radix_merge_compareILb1ELb0EiNS0_19identity_decomposerEEEEE10hipError_tT0_T1_T2_jT3_P12ihipStream_tbPNSt15iterator_traitsISI_E10value_typeEPNSO_ISJ_E10value_typeEPSK_NS1_7vsmem_tEENKUlT_SI_SJ_SK_E_clISD_PiSD_S10_EESH_SX_SI_SJ_SK_EUlSX_E1_NS1_11comp_targetILNS1_3genE2ELNS1_11target_archE906ELNS1_3gpuE6ELNS1_3repE0EEENS1_36merge_oddeven_config_static_selectorELNS0_4arch9wavefront6targetE0EEEvSJ_.uses_vcc, 0
	.set _ZN7rocprim17ROCPRIM_400000_NS6detail17trampoline_kernelINS0_14default_configENS1_38merge_sort_block_merge_config_selectorIiiEEZZNS1_27merge_sort_block_merge_implIS3_N6thrust23THRUST_200600_302600_NS6detail15normal_iteratorINS8_10device_ptrIiEEEESD_jNS1_19radix_merge_compareILb1ELb0EiNS0_19identity_decomposerEEEEE10hipError_tT0_T1_T2_jT3_P12ihipStream_tbPNSt15iterator_traitsISI_E10value_typeEPNSO_ISJ_E10value_typeEPSK_NS1_7vsmem_tEENKUlT_SI_SJ_SK_E_clISD_PiSD_S10_EESH_SX_SI_SJ_SK_EUlSX_E1_NS1_11comp_targetILNS1_3genE2ELNS1_11target_archE906ELNS1_3gpuE6ELNS1_3repE0EEENS1_36merge_oddeven_config_static_selectorELNS0_4arch9wavefront6targetE0EEEvSJ_.uses_flat_scratch, 0
	.set _ZN7rocprim17ROCPRIM_400000_NS6detail17trampoline_kernelINS0_14default_configENS1_38merge_sort_block_merge_config_selectorIiiEEZZNS1_27merge_sort_block_merge_implIS3_N6thrust23THRUST_200600_302600_NS6detail15normal_iteratorINS8_10device_ptrIiEEEESD_jNS1_19radix_merge_compareILb1ELb0EiNS0_19identity_decomposerEEEEE10hipError_tT0_T1_T2_jT3_P12ihipStream_tbPNSt15iterator_traitsISI_E10value_typeEPNSO_ISJ_E10value_typeEPSK_NS1_7vsmem_tEENKUlT_SI_SJ_SK_E_clISD_PiSD_S10_EESH_SX_SI_SJ_SK_EUlSX_E1_NS1_11comp_targetILNS1_3genE2ELNS1_11target_archE906ELNS1_3gpuE6ELNS1_3repE0EEENS1_36merge_oddeven_config_static_selectorELNS0_4arch9wavefront6targetE0EEEvSJ_.has_dyn_sized_stack, 0
	.set _ZN7rocprim17ROCPRIM_400000_NS6detail17trampoline_kernelINS0_14default_configENS1_38merge_sort_block_merge_config_selectorIiiEEZZNS1_27merge_sort_block_merge_implIS3_N6thrust23THRUST_200600_302600_NS6detail15normal_iteratorINS8_10device_ptrIiEEEESD_jNS1_19radix_merge_compareILb1ELb0EiNS0_19identity_decomposerEEEEE10hipError_tT0_T1_T2_jT3_P12ihipStream_tbPNSt15iterator_traitsISI_E10value_typeEPNSO_ISJ_E10value_typeEPSK_NS1_7vsmem_tEENKUlT_SI_SJ_SK_E_clISD_PiSD_S10_EESH_SX_SI_SJ_SK_EUlSX_E1_NS1_11comp_targetILNS1_3genE2ELNS1_11target_archE906ELNS1_3gpuE6ELNS1_3repE0EEENS1_36merge_oddeven_config_static_selectorELNS0_4arch9wavefront6targetE0EEEvSJ_.has_recursion, 0
	.set _ZN7rocprim17ROCPRIM_400000_NS6detail17trampoline_kernelINS0_14default_configENS1_38merge_sort_block_merge_config_selectorIiiEEZZNS1_27merge_sort_block_merge_implIS3_N6thrust23THRUST_200600_302600_NS6detail15normal_iteratorINS8_10device_ptrIiEEEESD_jNS1_19radix_merge_compareILb1ELb0EiNS0_19identity_decomposerEEEEE10hipError_tT0_T1_T2_jT3_P12ihipStream_tbPNSt15iterator_traitsISI_E10value_typeEPNSO_ISJ_E10value_typeEPSK_NS1_7vsmem_tEENKUlT_SI_SJ_SK_E_clISD_PiSD_S10_EESH_SX_SI_SJ_SK_EUlSX_E1_NS1_11comp_targetILNS1_3genE2ELNS1_11target_archE906ELNS1_3gpuE6ELNS1_3repE0EEENS1_36merge_oddeven_config_static_selectorELNS0_4arch9wavefront6targetE0EEEvSJ_.has_indirect_call, 0
	.section	.AMDGPU.csdata,"",@progbits
; Kernel info:
; codeLenInByte = 0
; TotalNumSgprs: 0
; NumVgprs: 0
; ScratchSize: 0
; MemoryBound: 0
; FloatMode: 240
; IeeeMode: 1
; LDSByteSize: 0 bytes/workgroup (compile time only)
; SGPRBlocks: 0
; VGPRBlocks: 0
; NumSGPRsForWavesPerEU: 1
; NumVGPRsForWavesPerEU: 1
; Occupancy: 16
; WaveLimiterHint : 0
; COMPUTE_PGM_RSRC2:SCRATCH_EN: 0
; COMPUTE_PGM_RSRC2:USER_SGPR: 6
; COMPUTE_PGM_RSRC2:TRAP_HANDLER: 0
; COMPUTE_PGM_RSRC2:TGID_X_EN: 1
; COMPUTE_PGM_RSRC2:TGID_Y_EN: 0
; COMPUTE_PGM_RSRC2:TGID_Z_EN: 0
; COMPUTE_PGM_RSRC2:TIDIG_COMP_CNT: 0
	.section	.text._ZN7rocprim17ROCPRIM_400000_NS6detail17trampoline_kernelINS0_14default_configENS1_38merge_sort_block_merge_config_selectorIiiEEZZNS1_27merge_sort_block_merge_implIS3_N6thrust23THRUST_200600_302600_NS6detail15normal_iteratorINS8_10device_ptrIiEEEESD_jNS1_19radix_merge_compareILb1ELb0EiNS0_19identity_decomposerEEEEE10hipError_tT0_T1_T2_jT3_P12ihipStream_tbPNSt15iterator_traitsISI_E10value_typeEPNSO_ISJ_E10value_typeEPSK_NS1_7vsmem_tEENKUlT_SI_SJ_SK_E_clISD_PiSD_S10_EESH_SX_SI_SJ_SK_EUlSX_E1_NS1_11comp_targetILNS1_3genE9ELNS1_11target_archE1100ELNS1_3gpuE3ELNS1_3repE0EEENS1_36merge_oddeven_config_static_selectorELNS0_4arch9wavefront6targetE0EEEvSJ_,"axG",@progbits,_ZN7rocprim17ROCPRIM_400000_NS6detail17trampoline_kernelINS0_14default_configENS1_38merge_sort_block_merge_config_selectorIiiEEZZNS1_27merge_sort_block_merge_implIS3_N6thrust23THRUST_200600_302600_NS6detail15normal_iteratorINS8_10device_ptrIiEEEESD_jNS1_19radix_merge_compareILb1ELb0EiNS0_19identity_decomposerEEEEE10hipError_tT0_T1_T2_jT3_P12ihipStream_tbPNSt15iterator_traitsISI_E10value_typeEPNSO_ISJ_E10value_typeEPSK_NS1_7vsmem_tEENKUlT_SI_SJ_SK_E_clISD_PiSD_S10_EESH_SX_SI_SJ_SK_EUlSX_E1_NS1_11comp_targetILNS1_3genE9ELNS1_11target_archE1100ELNS1_3gpuE3ELNS1_3repE0EEENS1_36merge_oddeven_config_static_selectorELNS0_4arch9wavefront6targetE0EEEvSJ_,comdat
	.protected	_ZN7rocprim17ROCPRIM_400000_NS6detail17trampoline_kernelINS0_14default_configENS1_38merge_sort_block_merge_config_selectorIiiEEZZNS1_27merge_sort_block_merge_implIS3_N6thrust23THRUST_200600_302600_NS6detail15normal_iteratorINS8_10device_ptrIiEEEESD_jNS1_19radix_merge_compareILb1ELb0EiNS0_19identity_decomposerEEEEE10hipError_tT0_T1_T2_jT3_P12ihipStream_tbPNSt15iterator_traitsISI_E10value_typeEPNSO_ISJ_E10value_typeEPSK_NS1_7vsmem_tEENKUlT_SI_SJ_SK_E_clISD_PiSD_S10_EESH_SX_SI_SJ_SK_EUlSX_E1_NS1_11comp_targetILNS1_3genE9ELNS1_11target_archE1100ELNS1_3gpuE3ELNS1_3repE0EEENS1_36merge_oddeven_config_static_selectorELNS0_4arch9wavefront6targetE0EEEvSJ_ ; -- Begin function _ZN7rocprim17ROCPRIM_400000_NS6detail17trampoline_kernelINS0_14default_configENS1_38merge_sort_block_merge_config_selectorIiiEEZZNS1_27merge_sort_block_merge_implIS3_N6thrust23THRUST_200600_302600_NS6detail15normal_iteratorINS8_10device_ptrIiEEEESD_jNS1_19radix_merge_compareILb1ELb0EiNS0_19identity_decomposerEEEEE10hipError_tT0_T1_T2_jT3_P12ihipStream_tbPNSt15iterator_traitsISI_E10value_typeEPNSO_ISJ_E10value_typeEPSK_NS1_7vsmem_tEENKUlT_SI_SJ_SK_E_clISD_PiSD_S10_EESH_SX_SI_SJ_SK_EUlSX_E1_NS1_11comp_targetILNS1_3genE9ELNS1_11target_archE1100ELNS1_3gpuE3ELNS1_3repE0EEENS1_36merge_oddeven_config_static_selectorELNS0_4arch9wavefront6targetE0EEEvSJ_
	.globl	_ZN7rocprim17ROCPRIM_400000_NS6detail17trampoline_kernelINS0_14default_configENS1_38merge_sort_block_merge_config_selectorIiiEEZZNS1_27merge_sort_block_merge_implIS3_N6thrust23THRUST_200600_302600_NS6detail15normal_iteratorINS8_10device_ptrIiEEEESD_jNS1_19radix_merge_compareILb1ELb0EiNS0_19identity_decomposerEEEEE10hipError_tT0_T1_T2_jT3_P12ihipStream_tbPNSt15iterator_traitsISI_E10value_typeEPNSO_ISJ_E10value_typeEPSK_NS1_7vsmem_tEENKUlT_SI_SJ_SK_E_clISD_PiSD_S10_EESH_SX_SI_SJ_SK_EUlSX_E1_NS1_11comp_targetILNS1_3genE9ELNS1_11target_archE1100ELNS1_3gpuE3ELNS1_3repE0EEENS1_36merge_oddeven_config_static_selectorELNS0_4arch9wavefront6targetE0EEEvSJ_
	.p2align	8
	.type	_ZN7rocprim17ROCPRIM_400000_NS6detail17trampoline_kernelINS0_14default_configENS1_38merge_sort_block_merge_config_selectorIiiEEZZNS1_27merge_sort_block_merge_implIS3_N6thrust23THRUST_200600_302600_NS6detail15normal_iteratorINS8_10device_ptrIiEEEESD_jNS1_19radix_merge_compareILb1ELb0EiNS0_19identity_decomposerEEEEE10hipError_tT0_T1_T2_jT3_P12ihipStream_tbPNSt15iterator_traitsISI_E10value_typeEPNSO_ISJ_E10value_typeEPSK_NS1_7vsmem_tEENKUlT_SI_SJ_SK_E_clISD_PiSD_S10_EESH_SX_SI_SJ_SK_EUlSX_E1_NS1_11comp_targetILNS1_3genE9ELNS1_11target_archE1100ELNS1_3gpuE3ELNS1_3repE0EEENS1_36merge_oddeven_config_static_selectorELNS0_4arch9wavefront6targetE0EEEvSJ_,@function
_ZN7rocprim17ROCPRIM_400000_NS6detail17trampoline_kernelINS0_14default_configENS1_38merge_sort_block_merge_config_selectorIiiEEZZNS1_27merge_sort_block_merge_implIS3_N6thrust23THRUST_200600_302600_NS6detail15normal_iteratorINS8_10device_ptrIiEEEESD_jNS1_19radix_merge_compareILb1ELb0EiNS0_19identity_decomposerEEEEE10hipError_tT0_T1_T2_jT3_P12ihipStream_tbPNSt15iterator_traitsISI_E10value_typeEPNSO_ISJ_E10value_typeEPSK_NS1_7vsmem_tEENKUlT_SI_SJ_SK_E_clISD_PiSD_S10_EESH_SX_SI_SJ_SK_EUlSX_E1_NS1_11comp_targetILNS1_3genE9ELNS1_11target_archE1100ELNS1_3gpuE3ELNS1_3repE0EEENS1_36merge_oddeven_config_static_selectorELNS0_4arch9wavefront6targetE0EEEvSJ_: ; @_ZN7rocprim17ROCPRIM_400000_NS6detail17trampoline_kernelINS0_14default_configENS1_38merge_sort_block_merge_config_selectorIiiEEZZNS1_27merge_sort_block_merge_implIS3_N6thrust23THRUST_200600_302600_NS6detail15normal_iteratorINS8_10device_ptrIiEEEESD_jNS1_19radix_merge_compareILb1ELb0EiNS0_19identity_decomposerEEEEE10hipError_tT0_T1_T2_jT3_P12ihipStream_tbPNSt15iterator_traitsISI_E10value_typeEPNSO_ISJ_E10value_typeEPSK_NS1_7vsmem_tEENKUlT_SI_SJ_SK_E_clISD_PiSD_S10_EESH_SX_SI_SJ_SK_EUlSX_E1_NS1_11comp_targetILNS1_3genE9ELNS1_11target_archE1100ELNS1_3gpuE3ELNS1_3repE0EEENS1_36merge_oddeven_config_static_selectorELNS0_4arch9wavefront6targetE0EEEvSJ_
; %bb.0:
	.section	.rodata,"a",@progbits
	.p2align	6, 0x0
	.amdhsa_kernel _ZN7rocprim17ROCPRIM_400000_NS6detail17trampoline_kernelINS0_14default_configENS1_38merge_sort_block_merge_config_selectorIiiEEZZNS1_27merge_sort_block_merge_implIS3_N6thrust23THRUST_200600_302600_NS6detail15normal_iteratorINS8_10device_ptrIiEEEESD_jNS1_19radix_merge_compareILb1ELb0EiNS0_19identity_decomposerEEEEE10hipError_tT0_T1_T2_jT3_P12ihipStream_tbPNSt15iterator_traitsISI_E10value_typeEPNSO_ISJ_E10value_typeEPSK_NS1_7vsmem_tEENKUlT_SI_SJ_SK_E_clISD_PiSD_S10_EESH_SX_SI_SJ_SK_EUlSX_E1_NS1_11comp_targetILNS1_3genE9ELNS1_11target_archE1100ELNS1_3gpuE3ELNS1_3repE0EEENS1_36merge_oddeven_config_static_selectorELNS0_4arch9wavefront6targetE0EEEvSJ_
		.amdhsa_group_segment_fixed_size 0
		.amdhsa_private_segment_fixed_size 0
		.amdhsa_kernarg_size 48
		.amdhsa_user_sgpr_count 6
		.amdhsa_user_sgpr_private_segment_buffer 1
		.amdhsa_user_sgpr_dispatch_ptr 0
		.amdhsa_user_sgpr_queue_ptr 0
		.amdhsa_user_sgpr_kernarg_segment_ptr 1
		.amdhsa_user_sgpr_dispatch_id 0
		.amdhsa_user_sgpr_flat_scratch_init 0
		.amdhsa_user_sgpr_private_segment_size 0
		.amdhsa_wavefront_size32 1
		.amdhsa_uses_dynamic_stack 0
		.amdhsa_system_sgpr_private_segment_wavefront_offset 0
		.amdhsa_system_sgpr_workgroup_id_x 1
		.amdhsa_system_sgpr_workgroup_id_y 0
		.amdhsa_system_sgpr_workgroup_id_z 0
		.amdhsa_system_sgpr_workgroup_info 0
		.amdhsa_system_vgpr_workitem_id 0
		.amdhsa_next_free_vgpr 1
		.amdhsa_next_free_sgpr 1
		.amdhsa_reserve_vcc 0
		.amdhsa_reserve_flat_scratch 0
		.amdhsa_float_round_mode_32 0
		.amdhsa_float_round_mode_16_64 0
		.amdhsa_float_denorm_mode_32 3
		.amdhsa_float_denorm_mode_16_64 3
		.amdhsa_dx10_clamp 1
		.amdhsa_ieee_mode 1
		.amdhsa_fp16_overflow 0
		.amdhsa_workgroup_processor_mode 1
		.amdhsa_memory_ordered 1
		.amdhsa_forward_progress 1
		.amdhsa_shared_vgpr_count 0
		.amdhsa_exception_fp_ieee_invalid_op 0
		.amdhsa_exception_fp_denorm_src 0
		.amdhsa_exception_fp_ieee_div_zero 0
		.amdhsa_exception_fp_ieee_overflow 0
		.amdhsa_exception_fp_ieee_underflow 0
		.amdhsa_exception_fp_ieee_inexact 0
		.amdhsa_exception_int_div_zero 0
	.end_amdhsa_kernel
	.section	.text._ZN7rocprim17ROCPRIM_400000_NS6detail17trampoline_kernelINS0_14default_configENS1_38merge_sort_block_merge_config_selectorIiiEEZZNS1_27merge_sort_block_merge_implIS3_N6thrust23THRUST_200600_302600_NS6detail15normal_iteratorINS8_10device_ptrIiEEEESD_jNS1_19radix_merge_compareILb1ELb0EiNS0_19identity_decomposerEEEEE10hipError_tT0_T1_T2_jT3_P12ihipStream_tbPNSt15iterator_traitsISI_E10value_typeEPNSO_ISJ_E10value_typeEPSK_NS1_7vsmem_tEENKUlT_SI_SJ_SK_E_clISD_PiSD_S10_EESH_SX_SI_SJ_SK_EUlSX_E1_NS1_11comp_targetILNS1_3genE9ELNS1_11target_archE1100ELNS1_3gpuE3ELNS1_3repE0EEENS1_36merge_oddeven_config_static_selectorELNS0_4arch9wavefront6targetE0EEEvSJ_,"axG",@progbits,_ZN7rocprim17ROCPRIM_400000_NS6detail17trampoline_kernelINS0_14default_configENS1_38merge_sort_block_merge_config_selectorIiiEEZZNS1_27merge_sort_block_merge_implIS3_N6thrust23THRUST_200600_302600_NS6detail15normal_iteratorINS8_10device_ptrIiEEEESD_jNS1_19radix_merge_compareILb1ELb0EiNS0_19identity_decomposerEEEEE10hipError_tT0_T1_T2_jT3_P12ihipStream_tbPNSt15iterator_traitsISI_E10value_typeEPNSO_ISJ_E10value_typeEPSK_NS1_7vsmem_tEENKUlT_SI_SJ_SK_E_clISD_PiSD_S10_EESH_SX_SI_SJ_SK_EUlSX_E1_NS1_11comp_targetILNS1_3genE9ELNS1_11target_archE1100ELNS1_3gpuE3ELNS1_3repE0EEENS1_36merge_oddeven_config_static_selectorELNS0_4arch9wavefront6targetE0EEEvSJ_,comdat
.Lfunc_end931:
	.size	_ZN7rocprim17ROCPRIM_400000_NS6detail17trampoline_kernelINS0_14default_configENS1_38merge_sort_block_merge_config_selectorIiiEEZZNS1_27merge_sort_block_merge_implIS3_N6thrust23THRUST_200600_302600_NS6detail15normal_iteratorINS8_10device_ptrIiEEEESD_jNS1_19radix_merge_compareILb1ELb0EiNS0_19identity_decomposerEEEEE10hipError_tT0_T1_T2_jT3_P12ihipStream_tbPNSt15iterator_traitsISI_E10value_typeEPNSO_ISJ_E10value_typeEPSK_NS1_7vsmem_tEENKUlT_SI_SJ_SK_E_clISD_PiSD_S10_EESH_SX_SI_SJ_SK_EUlSX_E1_NS1_11comp_targetILNS1_3genE9ELNS1_11target_archE1100ELNS1_3gpuE3ELNS1_3repE0EEENS1_36merge_oddeven_config_static_selectorELNS0_4arch9wavefront6targetE0EEEvSJ_, .Lfunc_end931-_ZN7rocprim17ROCPRIM_400000_NS6detail17trampoline_kernelINS0_14default_configENS1_38merge_sort_block_merge_config_selectorIiiEEZZNS1_27merge_sort_block_merge_implIS3_N6thrust23THRUST_200600_302600_NS6detail15normal_iteratorINS8_10device_ptrIiEEEESD_jNS1_19radix_merge_compareILb1ELb0EiNS0_19identity_decomposerEEEEE10hipError_tT0_T1_T2_jT3_P12ihipStream_tbPNSt15iterator_traitsISI_E10value_typeEPNSO_ISJ_E10value_typeEPSK_NS1_7vsmem_tEENKUlT_SI_SJ_SK_E_clISD_PiSD_S10_EESH_SX_SI_SJ_SK_EUlSX_E1_NS1_11comp_targetILNS1_3genE9ELNS1_11target_archE1100ELNS1_3gpuE3ELNS1_3repE0EEENS1_36merge_oddeven_config_static_selectorELNS0_4arch9wavefront6targetE0EEEvSJ_
                                        ; -- End function
	.set _ZN7rocprim17ROCPRIM_400000_NS6detail17trampoline_kernelINS0_14default_configENS1_38merge_sort_block_merge_config_selectorIiiEEZZNS1_27merge_sort_block_merge_implIS3_N6thrust23THRUST_200600_302600_NS6detail15normal_iteratorINS8_10device_ptrIiEEEESD_jNS1_19radix_merge_compareILb1ELb0EiNS0_19identity_decomposerEEEEE10hipError_tT0_T1_T2_jT3_P12ihipStream_tbPNSt15iterator_traitsISI_E10value_typeEPNSO_ISJ_E10value_typeEPSK_NS1_7vsmem_tEENKUlT_SI_SJ_SK_E_clISD_PiSD_S10_EESH_SX_SI_SJ_SK_EUlSX_E1_NS1_11comp_targetILNS1_3genE9ELNS1_11target_archE1100ELNS1_3gpuE3ELNS1_3repE0EEENS1_36merge_oddeven_config_static_selectorELNS0_4arch9wavefront6targetE0EEEvSJ_.num_vgpr, 0
	.set _ZN7rocprim17ROCPRIM_400000_NS6detail17trampoline_kernelINS0_14default_configENS1_38merge_sort_block_merge_config_selectorIiiEEZZNS1_27merge_sort_block_merge_implIS3_N6thrust23THRUST_200600_302600_NS6detail15normal_iteratorINS8_10device_ptrIiEEEESD_jNS1_19radix_merge_compareILb1ELb0EiNS0_19identity_decomposerEEEEE10hipError_tT0_T1_T2_jT3_P12ihipStream_tbPNSt15iterator_traitsISI_E10value_typeEPNSO_ISJ_E10value_typeEPSK_NS1_7vsmem_tEENKUlT_SI_SJ_SK_E_clISD_PiSD_S10_EESH_SX_SI_SJ_SK_EUlSX_E1_NS1_11comp_targetILNS1_3genE9ELNS1_11target_archE1100ELNS1_3gpuE3ELNS1_3repE0EEENS1_36merge_oddeven_config_static_selectorELNS0_4arch9wavefront6targetE0EEEvSJ_.num_agpr, 0
	.set _ZN7rocprim17ROCPRIM_400000_NS6detail17trampoline_kernelINS0_14default_configENS1_38merge_sort_block_merge_config_selectorIiiEEZZNS1_27merge_sort_block_merge_implIS3_N6thrust23THRUST_200600_302600_NS6detail15normal_iteratorINS8_10device_ptrIiEEEESD_jNS1_19radix_merge_compareILb1ELb0EiNS0_19identity_decomposerEEEEE10hipError_tT0_T1_T2_jT3_P12ihipStream_tbPNSt15iterator_traitsISI_E10value_typeEPNSO_ISJ_E10value_typeEPSK_NS1_7vsmem_tEENKUlT_SI_SJ_SK_E_clISD_PiSD_S10_EESH_SX_SI_SJ_SK_EUlSX_E1_NS1_11comp_targetILNS1_3genE9ELNS1_11target_archE1100ELNS1_3gpuE3ELNS1_3repE0EEENS1_36merge_oddeven_config_static_selectorELNS0_4arch9wavefront6targetE0EEEvSJ_.numbered_sgpr, 0
	.set _ZN7rocprim17ROCPRIM_400000_NS6detail17trampoline_kernelINS0_14default_configENS1_38merge_sort_block_merge_config_selectorIiiEEZZNS1_27merge_sort_block_merge_implIS3_N6thrust23THRUST_200600_302600_NS6detail15normal_iteratorINS8_10device_ptrIiEEEESD_jNS1_19radix_merge_compareILb1ELb0EiNS0_19identity_decomposerEEEEE10hipError_tT0_T1_T2_jT3_P12ihipStream_tbPNSt15iterator_traitsISI_E10value_typeEPNSO_ISJ_E10value_typeEPSK_NS1_7vsmem_tEENKUlT_SI_SJ_SK_E_clISD_PiSD_S10_EESH_SX_SI_SJ_SK_EUlSX_E1_NS1_11comp_targetILNS1_3genE9ELNS1_11target_archE1100ELNS1_3gpuE3ELNS1_3repE0EEENS1_36merge_oddeven_config_static_selectorELNS0_4arch9wavefront6targetE0EEEvSJ_.num_named_barrier, 0
	.set _ZN7rocprim17ROCPRIM_400000_NS6detail17trampoline_kernelINS0_14default_configENS1_38merge_sort_block_merge_config_selectorIiiEEZZNS1_27merge_sort_block_merge_implIS3_N6thrust23THRUST_200600_302600_NS6detail15normal_iteratorINS8_10device_ptrIiEEEESD_jNS1_19radix_merge_compareILb1ELb0EiNS0_19identity_decomposerEEEEE10hipError_tT0_T1_T2_jT3_P12ihipStream_tbPNSt15iterator_traitsISI_E10value_typeEPNSO_ISJ_E10value_typeEPSK_NS1_7vsmem_tEENKUlT_SI_SJ_SK_E_clISD_PiSD_S10_EESH_SX_SI_SJ_SK_EUlSX_E1_NS1_11comp_targetILNS1_3genE9ELNS1_11target_archE1100ELNS1_3gpuE3ELNS1_3repE0EEENS1_36merge_oddeven_config_static_selectorELNS0_4arch9wavefront6targetE0EEEvSJ_.private_seg_size, 0
	.set _ZN7rocprim17ROCPRIM_400000_NS6detail17trampoline_kernelINS0_14default_configENS1_38merge_sort_block_merge_config_selectorIiiEEZZNS1_27merge_sort_block_merge_implIS3_N6thrust23THRUST_200600_302600_NS6detail15normal_iteratorINS8_10device_ptrIiEEEESD_jNS1_19radix_merge_compareILb1ELb0EiNS0_19identity_decomposerEEEEE10hipError_tT0_T1_T2_jT3_P12ihipStream_tbPNSt15iterator_traitsISI_E10value_typeEPNSO_ISJ_E10value_typeEPSK_NS1_7vsmem_tEENKUlT_SI_SJ_SK_E_clISD_PiSD_S10_EESH_SX_SI_SJ_SK_EUlSX_E1_NS1_11comp_targetILNS1_3genE9ELNS1_11target_archE1100ELNS1_3gpuE3ELNS1_3repE0EEENS1_36merge_oddeven_config_static_selectorELNS0_4arch9wavefront6targetE0EEEvSJ_.uses_vcc, 0
	.set _ZN7rocprim17ROCPRIM_400000_NS6detail17trampoline_kernelINS0_14default_configENS1_38merge_sort_block_merge_config_selectorIiiEEZZNS1_27merge_sort_block_merge_implIS3_N6thrust23THRUST_200600_302600_NS6detail15normal_iteratorINS8_10device_ptrIiEEEESD_jNS1_19radix_merge_compareILb1ELb0EiNS0_19identity_decomposerEEEEE10hipError_tT0_T1_T2_jT3_P12ihipStream_tbPNSt15iterator_traitsISI_E10value_typeEPNSO_ISJ_E10value_typeEPSK_NS1_7vsmem_tEENKUlT_SI_SJ_SK_E_clISD_PiSD_S10_EESH_SX_SI_SJ_SK_EUlSX_E1_NS1_11comp_targetILNS1_3genE9ELNS1_11target_archE1100ELNS1_3gpuE3ELNS1_3repE0EEENS1_36merge_oddeven_config_static_selectorELNS0_4arch9wavefront6targetE0EEEvSJ_.uses_flat_scratch, 0
	.set _ZN7rocprim17ROCPRIM_400000_NS6detail17trampoline_kernelINS0_14default_configENS1_38merge_sort_block_merge_config_selectorIiiEEZZNS1_27merge_sort_block_merge_implIS3_N6thrust23THRUST_200600_302600_NS6detail15normal_iteratorINS8_10device_ptrIiEEEESD_jNS1_19radix_merge_compareILb1ELb0EiNS0_19identity_decomposerEEEEE10hipError_tT0_T1_T2_jT3_P12ihipStream_tbPNSt15iterator_traitsISI_E10value_typeEPNSO_ISJ_E10value_typeEPSK_NS1_7vsmem_tEENKUlT_SI_SJ_SK_E_clISD_PiSD_S10_EESH_SX_SI_SJ_SK_EUlSX_E1_NS1_11comp_targetILNS1_3genE9ELNS1_11target_archE1100ELNS1_3gpuE3ELNS1_3repE0EEENS1_36merge_oddeven_config_static_selectorELNS0_4arch9wavefront6targetE0EEEvSJ_.has_dyn_sized_stack, 0
	.set _ZN7rocprim17ROCPRIM_400000_NS6detail17trampoline_kernelINS0_14default_configENS1_38merge_sort_block_merge_config_selectorIiiEEZZNS1_27merge_sort_block_merge_implIS3_N6thrust23THRUST_200600_302600_NS6detail15normal_iteratorINS8_10device_ptrIiEEEESD_jNS1_19radix_merge_compareILb1ELb0EiNS0_19identity_decomposerEEEEE10hipError_tT0_T1_T2_jT3_P12ihipStream_tbPNSt15iterator_traitsISI_E10value_typeEPNSO_ISJ_E10value_typeEPSK_NS1_7vsmem_tEENKUlT_SI_SJ_SK_E_clISD_PiSD_S10_EESH_SX_SI_SJ_SK_EUlSX_E1_NS1_11comp_targetILNS1_3genE9ELNS1_11target_archE1100ELNS1_3gpuE3ELNS1_3repE0EEENS1_36merge_oddeven_config_static_selectorELNS0_4arch9wavefront6targetE0EEEvSJ_.has_recursion, 0
	.set _ZN7rocprim17ROCPRIM_400000_NS6detail17trampoline_kernelINS0_14default_configENS1_38merge_sort_block_merge_config_selectorIiiEEZZNS1_27merge_sort_block_merge_implIS3_N6thrust23THRUST_200600_302600_NS6detail15normal_iteratorINS8_10device_ptrIiEEEESD_jNS1_19radix_merge_compareILb1ELb0EiNS0_19identity_decomposerEEEEE10hipError_tT0_T1_T2_jT3_P12ihipStream_tbPNSt15iterator_traitsISI_E10value_typeEPNSO_ISJ_E10value_typeEPSK_NS1_7vsmem_tEENKUlT_SI_SJ_SK_E_clISD_PiSD_S10_EESH_SX_SI_SJ_SK_EUlSX_E1_NS1_11comp_targetILNS1_3genE9ELNS1_11target_archE1100ELNS1_3gpuE3ELNS1_3repE0EEENS1_36merge_oddeven_config_static_selectorELNS0_4arch9wavefront6targetE0EEEvSJ_.has_indirect_call, 0
	.section	.AMDGPU.csdata,"",@progbits
; Kernel info:
; codeLenInByte = 0
; TotalNumSgprs: 0
; NumVgprs: 0
; ScratchSize: 0
; MemoryBound: 0
; FloatMode: 240
; IeeeMode: 1
; LDSByteSize: 0 bytes/workgroup (compile time only)
; SGPRBlocks: 0
; VGPRBlocks: 0
; NumSGPRsForWavesPerEU: 1
; NumVGPRsForWavesPerEU: 1
; Occupancy: 16
; WaveLimiterHint : 0
; COMPUTE_PGM_RSRC2:SCRATCH_EN: 0
; COMPUTE_PGM_RSRC2:USER_SGPR: 6
; COMPUTE_PGM_RSRC2:TRAP_HANDLER: 0
; COMPUTE_PGM_RSRC2:TGID_X_EN: 1
; COMPUTE_PGM_RSRC2:TGID_Y_EN: 0
; COMPUTE_PGM_RSRC2:TGID_Z_EN: 0
; COMPUTE_PGM_RSRC2:TIDIG_COMP_CNT: 0
	.section	.text._ZN7rocprim17ROCPRIM_400000_NS6detail17trampoline_kernelINS0_14default_configENS1_38merge_sort_block_merge_config_selectorIiiEEZZNS1_27merge_sort_block_merge_implIS3_N6thrust23THRUST_200600_302600_NS6detail15normal_iteratorINS8_10device_ptrIiEEEESD_jNS1_19radix_merge_compareILb1ELb0EiNS0_19identity_decomposerEEEEE10hipError_tT0_T1_T2_jT3_P12ihipStream_tbPNSt15iterator_traitsISI_E10value_typeEPNSO_ISJ_E10value_typeEPSK_NS1_7vsmem_tEENKUlT_SI_SJ_SK_E_clISD_PiSD_S10_EESH_SX_SI_SJ_SK_EUlSX_E1_NS1_11comp_targetILNS1_3genE8ELNS1_11target_archE1030ELNS1_3gpuE2ELNS1_3repE0EEENS1_36merge_oddeven_config_static_selectorELNS0_4arch9wavefront6targetE0EEEvSJ_,"axG",@progbits,_ZN7rocprim17ROCPRIM_400000_NS6detail17trampoline_kernelINS0_14default_configENS1_38merge_sort_block_merge_config_selectorIiiEEZZNS1_27merge_sort_block_merge_implIS3_N6thrust23THRUST_200600_302600_NS6detail15normal_iteratorINS8_10device_ptrIiEEEESD_jNS1_19radix_merge_compareILb1ELb0EiNS0_19identity_decomposerEEEEE10hipError_tT0_T1_T2_jT3_P12ihipStream_tbPNSt15iterator_traitsISI_E10value_typeEPNSO_ISJ_E10value_typeEPSK_NS1_7vsmem_tEENKUlT_SI_SJ_SK_E_clISD_PiSD_S10_EESH_SX_SI_SJ_SK_EUlSX_E1_NS1_11comp_targetILNS1_3genE8ELNS1_11target_archE1030ELNS1_3gpuE2ELNS1_3repE0EEENS1_36merge_oddeven_config_static_selectorELNS0_4arch9wavefront6targetE0EEEvSJ_,comdat
	.protected	_ZN7rocprim17ROCPRIM_400000_NS6detail17trampoline_kernelINS0_14default_configENS1_38merge_sort_block_merge_config_selectorIiiEEZZNS1_27merge_sort_block_merge_implIS3_N6thrust23THRUST_200600_302600_NS6detail15normal_iteratorINS8_10device_ptrIiEEEESD_jNS1_19radix_merge_compareILb1ELb0EiNS0_19identity_decomposerEEEEE10hipError_tT0_T1_T2_jT3_P12ihipStream_tbPNSt15iterator_traitsISI_E10value_typeEPNSO_ISJ_E10value_typeEPSK_NS1_7vsmem_tEENKUlT_SI_SJ_SK_E_clISD_PiSD_S10_EESH_SX_SI_SJ_SK_EUlSX_E1_NS1_11comp_targetILNS1_3genE8ELNS1_11target_archE1030ELNS1_3gpuE2ELNS1_3repE0EEENS1_36merge_oddeven_config_static_selectorELNS0_4arch9wavefront6targetE0EEEvSJ_ ; -- Begin function _ZN7rocprim17ROCPRIM_400000_NS6detail17trampoline_kernelINS0_14default_configENS1_38merge_sort_block_merge_config_selectorIiiEEZZNS1_27merge_sort_block_merge_implIS3_N6thrust23THRUST_200600_302600_NS6detail15normal_iteratorINS8_10device_ptrIiEEEESD_jNS1_19radix_merge_compareILb1ELb0EiNS0_19identity_decomposerEEEEE10hipError_tT0_T1_T2_jT3_P12ihipStream_tbPNSt15iterator_traitsISI_E10value_typeEPNSO_ISJ_E10value_typeEPSK_NS1_7vsmem_tEENKUlT_SI_SJ_SK_E_clISD_PiSD_S10_EESH_SX_SI_SJ_SK_EUlSX_E1_NS1_11comp_targetILNS1_3genE8ELNS1_11target_archE1030ELNS1_3gpuE2ELNS1_3repE0EEENS1_36merge_oddeven_config_static_selectorELNS0_4arch9wavefront6targetE0EEEvSJ_
	.globl	_ZN7rocprim17ROCPRIM_400000_NS6detail17trampoline_kernelINS0_14default_configENS1_38merge_sort_block_merge_config_selectorIiiEEZZNS1_27merge_sort_block_merge_implIS3_N6thrust23THRUST_200600_302600_NS6detail15normal_iteratorINS8_10device_ptrIiEEEESD_jNS1_19radix_merge_compareILb1ELb0EiNS0_19identity_decomposerEEEEE10hipError_tT0_T1_T2_jT3_P12ihipStream_tbPNSt15iterator_traitsISI_E10value_typeEPNSO_ISJ_E10value_typeEPSK_NS1_7vsmem_tEENKUlT_SI_SJ_SK_E_clISD_PiSD_S10_EESH_SX_SI_SJ_SK_EUlSX_E1_NS1_11comp_targetILNS1_3genE8ELNS1_11target_archE1030ELNS1_3gpuE2ELNS1_3repE0EEENS1_36merge_oddeven_config_static_selectorELNS0_4arch9wavefront6targetE0EEEvSJ_
	.p2align	8
	.type	_ZN7rocprim17ROCPRIM_400000_NS6detail17trampoline_kernelINS0_14default_configENS1_38merge_sort_block_merge_config_selectorIiiEEZZNS1_27merge_sort_block_merge_implIS3_N6thrust23THRUST_200600_302600_NS6detail15normal_iteratorINS8_10device_ptrIiEEEESD_jNS1_19radix_merge_compareILb1ELb0EiNS0_19identity_decomposerEEEEE10hipError_tT0_T1_T2_jT3_P12ihipStream_tbPNSt15iterator_traitsISI_E10value_typeEPNSO_ISJ_E10value_typeEPSK_NS1_7vsmem_tEENKUlT_SI_SJ_SK_E_clISD_PiSD_S10_EESH_SX_SI_SJ_SK_EUlSX_E1_NS1_11comp_targetILNS1_3genE8ELNS1_11target_archE1030ELNS1_3gpuE2ELNS1_3repE0EEENS1_36merge_oddeven_config_static_selectorELNS0_4arch9wavefront6targetE0EEEvSJ_,@function
_ZN7rocprim17ROCPRIM_400000_NS6detail17trampoline_kernelINS0_14default_configENS1_38merge_sort_block_merge_config_selectorIiiEEZZNS1_27merge_sort_block_merge_implIS3_N6thrust23THRUST_200600_302600_NS6detail15normal_iteratorINS8_10device_ptrIiEEEESD_jNS1_19radix_merge_compareILb1ELb0EiNS0_19identity_decomposerEEEEE10hipError_tT0_T1_T2_jT3_P12ihipStream_tbPNSt15iterator_traitsISI_E10value_typeEPNSO_ISJ_E10value_typeEPSK_NS1_7vsmem_tEENKUlT_SI_SJ_SK_E_clISD_PiSD_S10_EESH_SX_SI_SJ_SK_EUlSX_E1_NS1_11comp_targetILNS1_3genE8ELNS1_11target_archE1030ELNS1_3gpuE2ELNS1_3repE0EEENS1_36merge_oddeven_config_static_selectorELNS0_4arch9wavefront6targetE0EEEvSJ_: ; @_ZN7rocprim17ROCPRIM_400000_NS6detail17trampoline_kernelINS0_14default_configENS1_38merge_sort_block_merge_config_selectorIiiEEZZNS1_27merge_sort_block_merge_implIS3_N6thrust23THRUST_200600_302600_NS6detail15normal_iteratorINS8_10device_ptrIiEEEESD_jNS1_19radix_merge_compareILb1ELb0EiNS0_19identity_decomposerEEEEE10hipError_tT0_T1_T2_jT3_P12ihipStream_tbPNSt15iterator_traitsISI_E10value_typeEPNSO_ISJ_E10value_typeEPSK_NS1_7vsmem_tEENKUlT_SI_SJ_SK_E_clISD_PiSD_S10_EESH_SX_SI_SJ_SK_EUlSX_E1_NS1_11comp_targetILNS1_3genE8ELNS1_11target_archE1030ELNS1_3gpuE2ELNS1_3repE0EEENS1_36merge_oddeven_config_static_selectorELNS0_4arch9wavefront6targetE0EEEvSJ_
; %bb.0:
	s_load_dword s7, s[4:5], 0x20
	s_waitcnt lgkmcnt(0)
	s_lshr_b32 s0, s7, 8
	s_cmp_eq_u32 s6, s0
	s_cselect_b32 s16, -1, 0
	s_cmp_lg_u32 s6, s0
	s_cselect_b32 s0, -1, 0
	s_lshl_b32 s2, s6, 8
	s_sub_i32 s1, s7, s2
	v_cmp_gt_u32_e64 s1, s1, v0
	s_or_b32 s0, s0, s1
	s_and_saveexec_b32 s3, s0
	s_cbranch_execz .LBB932_24
; %bb.1:
	s_load_dwordx8 s[8:15], s[4:5], 0x0
	s_mov_b32 s3, 0
	v_lshlrev_b32_e32 v1, 2, v0
	s_lshl_b64 s[18:19], s[2:3], 2
	s_load_dword s4, s[4:5], 0x24
	v_add_nc_u32_e32 v0, s2, v0
	s_mov_b32 s2, -1
	s_waitcnt lgkmcnt(0)
	s_add_u32 s20, s8, s18
	s_addc_u32 s21, s9, s19
	s_add_u32 s12, s12, s18
	s_addc_u32 s13, s13, s19
	s_lshr_b32 s0, s4, 8
	s_clause 0x1
	global_load_dword v2, v1, s[12:13]
	global_load_dword v3, v1, s[20:21]
	s_sub_i32 s3, 0, s0
	s_and_b32 s3, s6, s3
	s_and_b32 s0, s3, s0
	s_lshl_b32 s5, s3, 8
	s_sub_i32 s3, 0, s4
	s_cmp_eq_u32 s0, 0
	s_cselect_b32 s0, -1, 0
	s_and_b32 s6, s0, exec_lo
	s_cselect_b32 s3, s4, s3
	s_add_i32 s3, s3, s5
	s_cmp_gt_u32 s7, s3
	s_cbranch_scc1 .LBB932_9
; %bb.2:
	s_and_b32 vcc_lo, exec_lo, s16
	s_cbranch_vccz .LBB932_6
; %bb.3:
	s_mov_b32 s2, exec_lo
	v_cmpx_gt_u32_e64 s7, v0
	s_cbranch_execz .LBB932_5
; %bb.4:
	v_mov_b32_e32 v1, 0
	v_lshlrev_b64 v[4:5], 2, v[0:1]
	v_add_co_u32 v6, vcc_lo, s10, v4
	v_add_co_ci_u32_e64 v7, null, s11, v5, vcc_lo
	v_add_co_u32 v4, vcc_lo, s14, v4
	v_add_co_ci_u32_e64 v5, null, s15, v5, vcc_lo
	s_waitcnt vmcnt(0)
	global_store_dword v[6:7], v3, off
	global_store_dword v[4:5], v2, off
.LBB932_5:
	s_or_b32 exec_lo, exec_lo, s2
	s_mov_b32 s2, 0
.LBB932_6:
	s_andn2_b32 vcc_lo, exec_lo, s2
	s_cbranch_vccnz .LBB932_8
; %bb.7:
	v_mov_b32_e32 v1, 0
	v_lshlrev_b64 v[4:5], 2, v[0:1]
	v_add_co_u32 v6, vcc_lo, s10, v4
	v_add_co_ci_u32_e64 v7, null, s11, v5, vcc_lo
	v_add_co_u32 v4, vcc_lo, s14, v4
	v_add_co_ci_u32_e64 v5, null, s15, v5, vcc_lo
	s_waitcnt vmcnt(0)
	global_store_dword v[6:7], v3, off
	global_store_dword v[4:5], v2, off
.LBB932_8:
	s_mov_b32 s2, 0
.LBB932_9:
	s_andn2_b32 vcc_lo, exec_lo, s2
	s_cbranch_vccnz .LBB932_24
; %bb.10:
	s_min_u32 s2, s3, s7
	s_andn2_b32 vcc_lo, exec_lo, s16
	s_add_i32 s6, s5, s2
	s_min_u32 s5, s5, s2
	v_subrev_nc_u32_e32 v0, s6, v0
	s_add_i32 s4, s2, s4
	s_min_u32 s4, s4, s7
	v_add_nc_u32_e32 v4, s5, v0
	s_mov_b32 s5, -1
	s_cbranch_vccnz .LBB932_18
; %bb.11:
	s_and_saveexec_b32 s5, s1
	s_cbranch_execz .LBB932_17
; %bb.12:
	v_mov_b32_e32 v5, s2
	s_cmp_ge_u32 s3, s4
	s_cbranch_scc1 .LBB932_16
; %bb.13:
	v_mov_b32_e32 v6, s4
	v_mov_b32_e32 v5, s2
	;; [unrolled: 1-line block ×3, first 2 shown]
	s_mov_b32 s1, 0
	.p2align	6
.LBB932_14:                             ; =>This Inner Loop Header: Depth=1
	v_add_nc_u32_e32 v0, v5, v6
	v_lshrrev_b32_e32 v0, 1, v0
	v_lshlrev_b64 v[7:8], 2, v[0:1]
	v_add_co_u32 v7, vcc_lo, s8, v7
	v_add_co_ci_u32_e64 v8, null, s9, v8, vcc_lo
	global_load_dword v7, v[7:8], off
	s_waitcnt vmcnt(0)
	v_cmp_gt_i32_e32 vcc_lo, v7, v3
	v_cndmask_b32_e64 v8, 0, 1, vcc_lo
	v_cmp_le_i32_e32 vcc_lo, v3, v7
	v_cndmask_b32_e64 v7, 0, 1, vcc_lo
	v_cndmask_b32_e64 v7, v7, v8, s0
	v_add_nc_u32_e32 v8, 1, v0
	v_and_b32_e32 v7, 1, v7
	v_cmp_eq_u32_e32 vcc_lo, 1, v7
	v_cndmask_b32_e32 v6, v0, v6, vcc_lo
	v_cndmask_b32_e32 v5, v5, v8, vcc_lo
	v_cmp_ge_u32_e32 vcc_lo, v5, v6
	s_or_b32 s1, vcc_lo, s1
	s_andn2_b32 exec_lo, exec_lo, s1
	s_cbranch_execnz .LBB932_14
; %bb.15:
	s_or_b32 exec_lo, exec_lo, s1
.LBB932_16:
	v_add_nc_u32_e32 v0, v5, v4
	v_mov_b32_e32 v1, 0
	v_lshlrev_b64 v[0:1], 2, v[0:1]
	v_add_co_u32 v5, vcc_lo, s10, v0
	v_add_co_ci_u32_e64 v6, null, s11, v1, vcc_lo
	v_add_co_u32 v0, vcc_lo, s14, v0
	v_add_co_ci_u32_e64 v1, null, s15, v1, vcc_lo
	s_waitcnt vmcnt(0)
	global_store_dword v[5:6], v3, off
	global_store_dword v[0:1], v2, off
.LBB932_17:
	s_or_b32 exec_lo, exec_lo, s5
	s_mov_b32 s5, 0
.LBB932_18:
	s_andn2_b32 vcc_lo, exec_lo, s5
	s_cbranch_vccnz .LBB932_24
; %bb.19:
	v_mov_b32_e32 v5, s2
	s_cmp_ge_u32 s3, s4
	s_cbranch_scc1 .LBB932_23
; %bb.20:
	v_mov_b32_e32 v6, s4
	v_mov_b32_e32 v5, s2
	;; [unrolled: 1-line block ×3, first 2 shown]
	s_mov_b32 s1, 0
	.p2align	6
.LBB932_21:                             ; =>This Inner Loop Header: Depth=1
	v_add_nc_u32_e32 v0, v5, v6
	v_lshrrev_b32_e32 v0, 1, v0
	v_lshlrev_b64 v[7:8], 2, v[0:1]
	v_add_co_u32 v7, vcc_lo, s8, v7
	v_add_co_ci_u32_e64 v8, null, s9, v8, vcc_lo
	global_load_dword v7, v[7:8], off
	s_waitcnt vmcnt(0)
	v_cmp_gt_i32_e32 vcc_lo, v7, v3
	v_cndmask_b32_e64 v8, 0, 1, vcc_lo
	v_cmp_le_i32_e32 vcc_lo, v3, v7
	v_cndmask_b32_e64 v7, 0, 1, vcc_lo
	v_cndmask_b32_e64 v7, v7, v8, s0
	v_add_nc_u32_e32 v8, 1, v0
	v_and_b32_e32 v7, 1, v7
	v_cmp_eq_u32_e32 vcc_lo, 1, v7
	v_cndmask_b32_e32 v6, v0, v6, vcc_lo
	v_cndmask_b32_e32 v5, v5, v8, vcc_lo
	v_cmp_ge_u32_e32 vcc_lo, v5, v6
	s_or_b32 s1, vcc_lo, s1
	s_andn2_b32 exec_lo, exec_lo, s1
	s_cbranch_execnz .LBB932_21
; %bb.22:
	s_or_b32 exec_lo, exec_lo, s1
.LBB932_23:
	v_add_nc_u32_e32 v0, v5, v4
	v_mov_b32_e32 v1, 0
	v_lshlrev_b64 v[0:1], 2, v[0:1]
	v_add_co_u32 v4, vcc_lo, s10, v0
	v_add_co_ci_u32_e64 v5, null, s11, v1, vcc_lo
	v_add_co_u32 v0, vcc_lo, s14, v0
	v_add_co_ci_u32_e64 v1, null, s15, v1, vcc_lo
	s_waitcnt vmcnt(0)
	global_store_dword v[4:5], v3, off
	global_store_dword v[0:1], v2, off
.LBB932_24:
	s_endpgm
	.section	.rodata,"a",@progbits
	.p2align	6, 0x0
	.amdhsa_kernel _ZN7rocprim17ROCPRIM_400000_NS6detail17trampoline_kernelINS0_14default_configENS1_38merge_sort_block_merge_config_selectorIiiEEZZNS1_27merge_sort_block_merge_implIS3_N6thrust23THRUST_200600_302600_NS6detail15normal_iteratorINS8_10device_ptrIiEEEESD_jNS1_19radix_merge_compareILb1ELb0EiNS0_19identity_decomposerEEEEE10hipError_tT0_T1_T2_jT3_P12ihipStream_tbPNSt15iterator_traitsISI_E10value_typeEPNSO_ISJ_E10value_typeEPSK_NS1_7vsmem_tEENKUlT_SI_SJ_SK_E_clISD_PiSD_S10_EESH_SX_SI_SJ_SK_EUlSX_E1_NS1_11comp_targetILNS1_3genE8ELNS1_11target_archE1030ELNS1_3gpuE2ELNS1_3repE0EEENS1_36merge_oddeven_config_static_selectorELNS0_4arch9wavefront6targetE0EEEvSJ_
		.amdhsa_group_segment_fixed_size 0
		.amdhsa_private_segment_fixed_size 0
		.amdhsa_kernarg_size 48
		.amdhsa_user_sgpr_count 6
		.amdhsa_user_sgpr_private_segment_buffer 1
		.amdhsa_user_sgpr_dispatch_ptr 0
		.amdhsa_user_sgpr_queue_ptr 0
		.amdhsa_user_sgpr_kernarg_segment_ptr 1
		.amdhsa_user_sgpr_dispatch_id 0
		.amdhsa_user_sgpr_flat_scratch_init 0
		.amdhsa_user_sgpr_private_segment_size 0
		.amdhsa_wavefront_size32 1
		.amdhsa_uses_dynamic_stack 0
		.amdhsa_system_sgpr_private_segment_wavefront_offset 0
		.amdhsa_system_sgpr_workgroup_id_x 1
		.amdhsa_system_sgpr_workgroup_id_y 0
		.amdhsa_system_sgpr_workgroup_id_z 0
		.amdhsa_system_sgpr_workgroup_info 0
		.amdhsa_system_vgpr_workitem_id 0
		.amdhsa_next_free_vgpr 9
		.amdhsa_next_free_sgpr 22
		.amdhsa_reserve_vcc 1
		.amdhsa_reserve_flat_scratch 0
		.amdhsa_float_round_mode_32 0
		.amdhsa_float_round_mode_16_64 0
		.amdhsa_float_denorm_mode_32 3
		.amdhsa_float_denorm_mode_16_64 3
		.amdhsa_dx10_clamp 1
		.amdhsa_ieee_mode 1
		.amdhsa_fp16_overflow 0
		.amdhsa_workgroup_processor_mode 1
		.amdhsa_memory_ordered 1
		.amdhsa_forward_progress 1
		.amdhsa_shared_vgpr_count 0
		.amdhsa_exception_fp_ieee_invalid_op 0
		.amdhsa_exception_fp_denorm_src 0
		.amdhsa_exception_fp_ieee_div_zero 0
		.amdhsa_exception_fp_ieee_overflow 0
		.amdhsa_exception_fp_ieee_underflow 0
		.amdhsa_exception_fp_ieee_inexact 0
		.amdhsa_exception_int_div_zero 0
	.end_amdhsa_kernel
	.section	.text._ZN7rocprim17ROCPRIM_400000_NS6detail17trampoline_kernelINS0_14default_configENS1_38merge_sort_block_merge_config_selectorIiiEEZZNS1_27merge_sort_block_merge_implIS3_N6thrust23THRUST_200600_302600_NS6detail15normal_iteratorINS8_10device_ptrIiEEEESD_jNS1_19radix_merge_compareILb1ELb0EiNS0_19identity_decomposerEEEEE10hipError_tT0_T1_T2_jT3_P12ihipStream_tbPNSt15iterator_traitsISI_E10value_typeEPNSO_ISJ_E10value_typeEPSK_NS1_7vsmem_tEENKUlT_SI_SJ_SK_E_clISD_PiSD_S10_EESH_SX_SI_SJ_SK_EUlSX_E1_NS1_11comp_targetILNS1_3genE8ELNS1_11target_archE1030ELNS1_3gpuE2ELNS1_3repE0EEENS1_36merge_oddeven_config_static_selectorELNS0_4arch9wavefront6targetE0EEEvSJ_,"axG",@progbits,_ZN7rocprim17ROCPRIM_400000_NS6detail17trampoline_kernelINS0_14default_configENS1_38merge_sort_block_merge_config_selectorIiiEEZZNS1_27merge_sort_block_merge_implIS3_N6thrust23THRUST_200600_302600_NS6detail15normal_iteratorINS8_10device_ptrIiEEEESD_jNS1_19radix_merge_compareILb1ELb0EiNS0_19identity_decomposerEEEEE10hipError_tT0_T1_T2_jT3_P12ihipStream_tbPNSt15iterator_traitsISI_E10value_typeEPNSO_ISJ_E10value_typeEPSK_NS1_7vsmem_tEENKUlT_SI_SJ_SK_E_clISD_PiSD_S10_EESH_SX_SI_SJ_SK_EUlSX_E1_NS1_11comp_targetILNS1_3genE8ELNS1_11target_archE1030ELNS1_3gpuE2ELNS1_3repE0EEENS1_36merge_oddeven_config_static_selectorELNS0_4arch9wavefront6targetE0EEEvSJ_,comdat
.Lfunc_end932:
	.size	_ZN7rocprim17ROCPRIM_400000_NS6detail17trampoline_kernelINS0_14default_configENS1_38merge_sort_block_merge_config_selectorIiiEEZZNS1_27merge_sort_block_merge_implIS3_N6thrust23THRUST_200600_302600_NS6detail15normal_iteratorINS8_10device_ptrIiEEEESD_jNS1_19radix_merge_compareILb1ELb0EiNS0_19identity_decomposerEEEEE10hipError_tT0_T1_T2_jT3_P12ihipStream_tbPNSt15iterator_traitsISI_E10value_typeEPNSO_ISJ_E10value_typeEPSK_NS1_7vsmem_tEENKUlT_SI_SJ_SK_E_clISD_PiSD_S10_EESH_SX_SI_SJ_SK_EUlSX_E1_NS1_11comp_targetILNS1_3genE8ELNS1_11target_archE1030ELNS1_3gpuE2ELNS1_3repE0EEENS1_36merge_oddeven_config_static_selectorELNS0_4arch9wavefront6targetE0EEEvSJ_, .Lfunc_end932-_ZN7rocprim17ROCPRIM_400000_NS6detail17trampoline_kernelINS0_14default_configENS1_38merge_sort_block_merge_config_selectorIiiEEZZNS1_27merge_sort_block_merge_implIS3_N6thrust23THRUST_200600_302600_NS6detail15normal_iteratorINS8_10device_ptrIiEEEESD_jNS1_19radix_merge_compareILb1ELb0EiNS0_19identity_decomposerEEEEE10hipError_tT0_T1_T2_jT3_P12ihipStream_tbPNSt15iterator_traitsISI_E10value_typeEPNSO_ISJ_E10value_typeEPSK_NS1_7vsmem_tEENKUlT_SI_SJ_SK_E_clISD_PiSD_S10_EESH_SX_SI_SJ_SK_EUlSX_E1_NS1_11comp_targetILNS1_3genE8ELNS1_11target_archE1030ELNS1_3gpuE2ELNS1_3repE0EEENS1_36merge_oddeven_config_static_selectorELNS0_4arch9wavefront6targetE0EEEvSJ_
                                        ; -- End function
	.set _ZN7rocprim17ROCPRIM_400000_NS6detail17trampoline_kernelINS0_14default_configENS1_38merge_sort_block_merge_config_selectorIiiEEZZNS1_27merge_sort_block_merge_implIS3_N6thrust23THRUST_200600_302600_NS6detail15normal_iteratorINS8_10device_ptrIiEEEESD_jNS1_19radix_merge_compareILb1ELb0EiNS0_19identity_decomposerEEEEE10hipError_tT0_T1_T2_jT3_P12ihipStream_tbPNSt15iterator_traitsISI_E10value_typeEPNSO_ISJ_E10value_typeEPSK_NS1_7vsmem_tEENKUlT_SI_SJ_SK_E_clISD_PiSD_S10_EESH_SX_SI_SJ_SK_EUlSX_E1_NS1_11comp_targetILNS1_3genE8ELNS1_11target_archE1030ELNS1_3gpuE2ELNS1_3repE0EEENS1_36merge_oddeven_config_static_selectorELNS0_4arch9wavefront6targetE0EEEvSJ_.num_vgpr, 9
	.set _ZN7rocprim17ROCPRIM_400000_NS6detail17trampoline_kernelINS0_14default_configENS1_38merge_sort_block_merge_config_selectorIiiEEZZNS1_27merge_sort_block_merge_implIS3_N6thrust23THRUST_200600_302600_NS6detail15normal_iteratorINS8_10device_ptrIiEEEESD_jNS1_19radix_merge_compareILb1ELb0EiNS0_19identity_decomposerEEEEE10hipError_tT0_T1_T2_jT3_P12ihipStream_tbPNSt15iterator_traitsISI_E10value_typeEPNSO_ISJ_E10value_typeEPSK_NS1_7vsmem_tEENKUlT_SI_SJ_SK_E_clISD_PiSD_S10_EESH_SX_SI_SJ_SK_EUlSX_E1_NS1_11comp_targetILNS1_3genE8ELNS1_11target_archE1030ELNS1_3gpuE2ELNS1_3repE0EEENS1_36merge_oddeven_config_static_selectorELNS0_4arch9wavefront6targetE0EEEvSJ_.num_agpr, 0
	.set _ZN7rocprim17ROCPRIM_400000_NS6detail17trampoline_kernelINS0_14default_configENS1_38merge_sort_block_merge_config_selectorIiiEEZZNS1_27merge_sort_block_merge_implIS3_N6thrust23THRUST_200600_302600_NS6detail15normal_iteratorINS8_10device_ptrIiEEEESD_jNS1_19radix_merge_compareILb1ELb0EiNS0_19identity_decomposerEEEEE10hipError_tT0_T1_T2_jT3_P12ihipStream_tbPNSt15iterator_traitsISI_E10value_typeEPNSO_ISJ_E10value_typeEPSK_NS1_7vsmem_tEENKUlT_SI_SJ_SK_E_clISD_PiSD_S10_EESH_SX_SI_SJ_SK_EUlSX_E1_NS1_11comp_targetILNS1_3genE8ELNS1_11target_archE1030ELNS1_3gpuE2ELNS1_3repE0EEENS1_36merge_oddeven_config_static_selectorELNS0_4arch9wavefront6targetE0EEEvSJ_.numbered_sgpr, 22
	.set _ZN7rocprim17ROCPRIM_400000_NS6detail17trampoline_kernelINS0_14default_configENS1_38merge_sort_block_merge_config_selectorIiiEEZZNS1_27merge_sort_block_merge_implIS3_N6thrust23THRUST_200600_302600_NS6detail15normal_iteratorINS8_10device_ptrIiEEEESD_jNS1_19radix_merge_compareILb1ELb0EiNS0_19identity_decomposerEEEEE10hipError_tT0_T1_T2_jT3_P12ihipStream_tbPNSt15iterator_traitsISI_E10value_typeEPNSO_ISJ_E10value_typeEPSK_NS1_7vsmem_tEENKUlT_SI_SJ_SK_E_clISD_PiSD_S10_EESH_SX_SI_SJ_SK_EUlSX_E1_NS1_11comp_targetILNS1_3genE8ELNS1_11target_archE1030ELNS1_3gpuE2ELNS1_3repE0EEENS1_36merge_oddeven_config_static_selectorELNS0_4arch9wavefront6targetE0EEEvSJ_.num_named_barrier, 0
	.set _ZN7rocprim17ROCPRIM_400000_NS6detail17trampoline_kernelINS0_14default_configENS1_38merge_sort_block_merge_config_selectorIiiEEZZNS1_27merge_sort_block_merge_implIS3_N6thrust23THRUST_200600_302600_NS6detail15normal_iteratorINS8_10device_ptrIiEEEESD_jNS1_19radix_merge_compareILb1ELb0EiNS0_19identity_decomposerEEEEE10hipError_tT0_T1_T2_jT3_P12ihipStream_tbPNSt15iterator_traitsISI_E10value_typeEPNSO_ISJ_E10value_typeEPSK_NS1_7vsmem_tEENKUlT_SI_SJ_SK_E_clISD_PiSD_S10_EESH_SX_SI_SJ_SK_EUlSX_E1_NS1_11comp_targetILNS1_3genE8ELNS1_11target_archE1030ELNS1_3gpuE2ELNS1_3repE0EEENS1_36merge_oddeven_config_static_selectorELNS0_4arch9wavefront6targetE0EEEvSJ_.private_seg_size, 0
	.set _ZN7rocprim17ROCPRIM_400000_NS6detail17trampoline_kernelINS0_14default_configENS1_38merge_sort_block_merge_config_selectorIiiEEZZNS1_27merge_sort_block_merge_implIS3_N6thrust23THRUST_200600_302600_NS6detail15normal_iteratorINS8_10device_ptrIiEEEESD_jNS1_19radix_merge_compareILb1ELb0EiNS0_19identity_decomposerEEEEE10hipError_tT0_T1_T2_jT3_P12ihipStream_tbPNSt15iterator_traitsISI_E10value_typeEPNSO_ISJ_E10value_typeEPSK_NS1_7vsmem_tEENKUlT_SI_SJ_SK_E_clISD_PiSD_S10_EESH_SX_SI_SJ_SK_EUlSX_E1_NS1_11comp_targetILNS1_3genE8ELNS1_11target_archE1030ELNS1_3gpuE2ELNS1_3repE0EEENS1_36merge_oddeven_config_static_selectorELNS0_4arch9wavefront6targetE0EEEvSJ_.uses_vcc, 1
	.set _ZN7rocprim17ROCPRIM_400000_NS6detail17trampoline_kernelINS0_14default_configENS1_38merge_sort_block_merge_config_selectorIiiEEZZNS1_27merge_sort_block_merge_implIS3_N6thrust23THRUST_200600_302600_NS6detail15normal_iteratorINS8_10device_ptrIiEEEESD_jNS1_19radix_merge_compareILb1ELb0EiNS0_19identity_decomposerEEEEE10hipError_tT0_T1_T2_jT3_P12ihipStream_tbPNSt15iterator_traitsISI_E10value_typeEPNSO_ISJ_E10value_typeEPSK_NS1_7vsmem_tEENKUlT_SI_SJ_SK_E_clISD_PiSD_S10_EESH_SX_SI_SJ_SK_EUlSX_E1_NS1_11comp_targetILNS1_3genE8ELNS1_11target_archE1030ELNS1_3gpuE2ELNS1_3repE0EEENS1_36merge_oddeven_config_static_selectorELNS0_4arch9wavefront6targetE0EEEvSJ_.uses_flat_scratch, 0
	.set _ZN7rocprim17ROCPRIM_400000_NS6detail17trampoline_kernelINS0_14default_configENS1_38merge_sort_block_merge_config_selectorIiiEEZZNS1_27merge_sort_block_merge_implIS3_N6thrust23THRUST_200600_302600_NS6detail15normal_iteratorINS8_10device_ptrIiEEEESD_jNS1_19radix_merge_compareILb1ELb0EiNS0_19identity_decomposerEEEEE10hipError_tT0_T1_T2_jT3_P12ihipStream_tbPNSt15iterator_traitsISI_E10value_typeEPNSO_ISJ_E10value_typeEPSK_NS1_7vsmem_tEENKUlT_SI_SJ_SK_E_clISD_PiSD_S10_EESH_SX_SI_SJ_SK_EUlSX_E1_NS1_11comp_targetILNS1_3genE8ELNS1_11target_archE1030ELNS1_3gpuE2ELNS1_3repE0EEENS1_36merge_oddeven_config_static_selectorELNS0_4arch9wavefront6targetE0EEEvSJ_.has_dyn_sized_stack, 0
	.set _ZN7rocprim17ROCPRIM_400000_NS6detail17trampoline_kernelINS0_14default_configENS1_38merge_sort_block_merge_config_selectorIiiEEZZNS1_27merge_sort_block_merge_implIS3_N6thrust23THRUST_200600_302600_NS6detail15normal_iteratorINS8_10device_ptrIiEEEESD_jNS1_19radix_merge_compareILb1ELb0EiNS0_19identity_decomposerEEEEE10hipError_tT0_T1_T2_jT3_P12ihipStream_tbPNSt15iterator_traitsISI_E10value_typeEPNSO_ISJ_E10value_typeEPSK_NS1_7vsmem_tEENKUlT_SI_SJ_SK_E_clISD_PiSD_S10_EESH_SX_SI_SJ_SK_EUlSX_E1_NS1_11comp_targetILNS1_3genE8ELNS1_11target_archE1030ELNS1_3gpuE2ELNS1_3repE0EEENS1_36merge_oddeven_config_static_selectorELNS0_4arch9wavefront6targetE0EEEvSJ_.has_recursion, 0
	.set _ZN7rocprim17ROCPRIM_400000_NS6detail17trampoline_kernelINS0_14default_configENS1_38merge_sort_block_merge_config_selectorIiiEEZZNS1_27merge_sort_block_merge_implIS3_N6thrust23THRUST_200600_302600_NS6detail15normal_iteratorINS8_10device_ptrIiEEEESD_jNS1_19radix_merge_compareILb1ELb0EiNS0_19identity_decomposerEEEEE10hipError_tT0_T1_T2_jT3_P12ihipStream_tbPNSt15iterator_traitsISI_E10value_typeEPNSO_ISJ_E10value_typeEPSK_NS1_7vsmem_tEENKUlT_SI_SJ_SK_E_clISD_PiSD_S10_EESH_SX_SI_SJ_SK_EUlSX_E1_NS1_11comp_targetILNS1_3genE8ELNS1_11target_archE1030ELNS1_3gpuE2ELNS1_3repE0EEENS1_36merge_oddeven_config_static_selectorELNS0_4arch9wavefront6targetE0EEEvSJ_.has_indirect_call, 0
	.section	.AMDGPU.csdata,"",@progbits
; Kernel info:
; codeLenInByte = 892
; TotalNumSgprs: 24
; NumVgprs: 9
; ScratchSize: 0
; MemoryBound: 0
; FloatMode: 240
; IeeeMode: 1
; LDSByteSize: 0 bytes/workgroup (compile time only)
; SGPRBlocks: 0
; VGPRBlocks: 1
; NumSGPRsForWavesPerEU: 24
; NumVGPRsForWavesPerEU: 9
; Occupancy: 16
; WaveLimiterHint : 0
; COMPUTE_PGM_RSRC2:SCRATCH_EN: 0
; COMPUTE_PGM_RSRC2:USER_SGPR: 6
; COMPUTE_PGM_RSRC2:TRAP_HANDLER: 0
; COMPUTE_PGM_RSRC2:TGID_X_EN: 1
; COMPUTE_PGM_RSRC2:TGID_Y_EN: 0
; COMPUTE_PGM_RSRC2:TGID_Z_EN: 0
; COMPUTE_PGM_RSRC2:TIDIG_COMP_CNT: 0
	.section	.text._ZN7rocprim17ROCPRIM_400000_NS6detail17trampoline_kernelINS0_14default_configENS1_38merge_sort_block_merge_config_selectorIiiEEZZNS1_27merge_sort_block_merge_implIS3_N6thrust23THRUST_200600_302600_NS6detail15normal_iteratorINS8_10device_ptrIiEEEESD_jNS1_19radix_merge_compareILb1ELb1EiNS0_19identity_decomposerEEEEE10hipError_tT0_T1_T2_jT3_P12ihipStream_tbPNSt15iterator_traitsISI_E10value_typeEPNSO_ISJ_E10value_typeEPSK_NS1_7vsmem_tEENKUlT_SI_SJ_SK_E_clIPiSD_S10_SD_EESH_SX_SI_SJ_SK_EUlSX_E_NS1_11comp_targetILNS1_3genE0ELNS1_11target_archE4294967295ELNS1_3gpuE0ELNS1_3repE0EEENS1_48merge_mergepath_partition_config_static_selectorELNS0_4arch9wavefront6targetE0EEEvSJ_,"axG",@progbits,_ZN7rocprim17ROCPRIM_400000_NS6detail17trampoline_kernelINS0_14default_configENS1_38merge_sort_block_merge_config_selectorIiiEEZZNS1_27merge_sort_block_merge_implIS3_N6thrust23THRUST_200600_302600_NS6detail15normal_iteratorINS8_10device_ptrIiEEEESD_jNS1_19radix_merge_compareILb1ELb1EiNS0_19identity_decomposerEEEEE10hipError_tT0_T1_T2_jT3_P12ihipStream_tbPNSt15iterator_traitsISI_E10value_typeEPNSO_ISJ_E10value_typeEPSK_NS1_7vsmem_tEENKUlT_SI_SJ_SK_E_clIPiSD_S10_SD_EESH_SX_SI_SJ_SK_EUlSX_E_NS1_11comp_targetILNS1_3genE0ELNS1_11target_archE4294967295ELNS1_3gpuE0ELNS1_3repE0EEENS1_48merge_mergepath_partition_config_static_selectorELNS0_4arch9wavefront6targetE0EEEvSJ_,comdat
	.protected	_ZN7rocprim17ROCPRIM_400000_NS6detail17trampoline_kernelINS0_14default_configENS1_38merge_sort_block_merge_config_selectorIiiEEZZNS1_27merge_sort_block_merge_implIS3_N6thrust23THRUST_200600_302600_NS6detail15normal_iteratorINS8_10device_ptrIiEEEESD_jNS1_19radix_merge_compareILb1ELb1EiNS0_19identity_decomposerEEEEE10hipError_tT0_T1_T2_jT3_P12ihipStream_tbPNSt15iterator_traitsISI_E10value_typeEPNSO_ISJ_E10value_typeEPSK_NS1_7vsmem_tEENKUlT_SI_SJ_SK_E_clIPiSD_S10_SD_EESH_SX_SI_SJ_SK_EUlSX_E_NS1_11comp_targetILNS1_3genE0ELNS1_11target_archE4294967295ELNS1_3gpuE0ELNS1_3repE0EEENS1_48merge_mergepath_partition_config_static_selectorELNS0_4arch9wavefront6targetE0EEEvSJ_ ; -- Begin function _ZN7rocprim17ROCPRIM_400000_NS6detail17trampoline_kernelINS0_14default_configENS1_38merge_sort_block_merge_config_selectorIiiEEZZNS1_27merge_sort_block_merge_implIS3_N6thrust23THRUST_200600_302600_NS6detail15normal_iteratorINS8_10device_ptrIiEEEESD_jNS1_19radix_merge_compareILb1ELb1EiNS0_19identity_decomposerEEEEE10hipError_tT0_T1_T2_jT3_P12ihipStream_tbPNSt15iterator_traitsISI_E10value_typeEPNSO_ISJ_E10value_typeEPSK_NS1_7vsmem_tEENKUlT_SI_SJ_SK_E_clIPiSD_S10_SD_EESH_SX_SI_SJ_SK_EUlSX_E_NS1_11comp_targetILNS1_3genE0ELNS1_11target_archE4294967295ELNS1_3gpuE0ELNS1_3repE0EEENS1_48merge_mergepath_partition_config_static_selectorELNS0_4arch9wavefront6targetE0EEEvSJ_
	.globl	_ZN7rocprim17ROCPRIM_400000_NS6detail17trampoline_kernelINS0_14default_configENS1_38merge_sort_block_merge_config_selectorIiiEEZZNS1_27merge_sort_block_merge_implIS3_N6thrust23THRUST_200600_302600_NS6detail15normal_iteratorINS8_10device_ptrIiEEEESD_jNS1_19radix_merge_compareILb1ELb1EiNS0_19identity_decomposerEEEEE10hipError_tT0_T1_T2_jT3_P12ihipStream_tbPNSt15iterator_traitsISI_E10value_typeEPNSO_ISJ_E10value_typeEPSK_NS1_7vsmem_tEENKUlT_SI_SJ_SK_E_clIPiSD_S10_SD_EESH_SX_SI_SJ_SK_EUlSX_E_NS1_11comp_targetILNS1_3genE0ELNS1_11target_archE4294967295ELNS1_3gpuE0ELNS1_3repE0EEENS1_48merge_mergepath_partition_config_static_selectorELNS0_4arch9wavefront6targetE0EEEvSJ_
	.p2align	8
	.type	_ZN7rocprim17ROCPRIM_400000_NS6detail17trampoline_kernelINS0_14default_configENS1_38merge_sort_block_merge_config_selectorIiiEEZZNS1_27merge_sort_block_merge_implIS3_N6thrust23THRUST_200600_302600_NS6detail15normal_iteratorINS8_10device_ptrIiEEEESD_jNS1_19radix_merge_compareILb1ELb1EiNS0_19identity_decomposerEEEEE10hipError_tT0_T1_T2_jT3_P12ihipStream_tbPNSt15iterator_traitsISI_E10value_typeEPNSO_ISJ_E10value_typeEPSK_NS1_7vsmem_tEENKUlT_SI_SJ_SK_E_clIPiSD_S10_SD_EESH_SX_SI_SJ_SK_EUlSX_E_NS1_11comp_targetILNS1_3genE0ELNS1_11target_archE4294967295ELNS1_3gpuE0ELNS1_3repE0EEENS1_48merge_mergepath_partition_config_static_selectorELNS0_4arch9wavefront6targetE0EEEvSJ_,@function
_ZN7rocprim17ROCPRIM_400000_NS6detail17trampoline_kernelINS0_14default_configENS1_38merge_sort_block_merge_config_selectorIiiEEZZNS1_27merge_sort_block_merge_implIS3_N6thrust23THRUST_200600_302600_NS6detail15normal_iteratorINS8_10device_ptrIiEEEESD_jNS1_19radix_merge_compareILb1ELb1EiNS0_19identity_decomposerEEEEE10hipError_tT0_T1_T2_jT3_P12ihipStream_tbPNSt15iterator_traitsISI_E10value_typeEPNSO_ISJ_E10value_typeEPSK_NS1_7vsmem_tEENKUlT_SI_SJ_SK_E_clIPiSD_S10_SD_EESH_SX_SI_SJ_SK_EUlSX_E_NS1_11comp_targetILNS1_3genE0ELNS1_11target_archE4294967295ELNS1_3gpuE0ELNS1_3repE0EEENS1_48merge_mergepath_partition_config_static_selectorELNS0_4arch9wavefront6targetE0EEEvSJ_: ; @_ZN7rocprim17ROCPRIM_400000_NS6detail17trampoline_kernelINS0_14default_configENS1_38merge_sort_block_merge_config_selectorIiiEEZZNS1_27merge_sort_block_merge_implIS3_N6thrust23THRUST_200600_302600_NS6detail15normal_iteratorINS8_10device_ptrIiEEEESD_jNS1_19radix_merge_compareILb1ELb1EiNS0_19identity_decomposerEEEEE10hipError_tT0_T1_T2_jT3_P12ihipStream_tbPNSt15iterator_traitsISI_E10value_typeEPNSO_ISJ_E10value_typeEPSK_NS1_7vsmem_tEENKUlT_SI_SJ_SK_E_clIPiSD_S10_SD_EESH_SX_SI_SJ_SK_EUlSX_E_NS1_11comp_targetILNS1_3genE0ELNS1_11target_archE4294967295ELNS1_3gpuE0ELNS1_3repE0EEENS1_48merge_mergepath_partition_config_static_selectorELNS0_4arch9wavefront6targetE0EEEvSJ_
; %bb.0:
	.section	.rodata,"a",@progbits
	.p2align	6, 0x0
	.amdhsa_kernel _ZN7rocprim17ROCPRIM_400000_NS6detail17trampoline_kernelINS0_14default_configENS1_38merge_sort_block_merge_config_selectorIiiEEZZNS1_27merge_sort_block_merge_implIS3_N6thrust23THRUST_200600_302600_NS6detail15normal_iteratorINS8_10device_ptrIiEEEESD_jNS1_19radix_merge_compareILb1ELb1EiNS0_19identity_decomposerEEEEE10hipError_tT0_T1_T2_jT3_P12ihipStream_tbPNSt15iterator_traitsISI_E10value_typeEPNSO_ISJ_E10value_typeEPSK_NS1_7vsmem_tEENKUlT_SI_SJ_SK_E_clIPiSD_S10_SD_EESH_SX_SI_SJ_SK_EUlSX_E_NS1_11comp_targetILNS1_3genE0ELNS1_11target_archE4294967295ELNS1_3gpuE0ELNS1_3repE0EEENS1_48merge_mergepath_partition_config_static_selectorELNS0_4arch9wavefront6targetE0EEEvSJ_
		.amdhsa_group_segment_fixed_size 0
		.amdhsa_private_segment_fixed_size 0
		.amdhsa_kernarg_size 40
		.amdhsa_user_sgpr_count 6
		.amdhsa_user_sgpr_private_segment_buffer 1
		.amdhsa_user_sgpr_dispatch_ptr 0
		.amdhsa_user_sgpr_queue_ptr 0
		.amdhsa_user_sgpr_kernarg_segment_ptr 1
		.amdhsa_user_sgpr_dispatch_id 0
		.amdhsa_user_sgpr_flat_scratch_init 0
		.amdhsa_user_sgpr_private_segment_size 0
		.amdhsa_wavefront_size32 1
		.amdhsa_uses_dynamic_stack 0
		.amdhsa_system_sgpr_private_segment_wavefront_offset 0
		.amdhsa_system_sgpr_workgroup_id_x 1
		.amdhsa_system_sgpr_workgroup_id_y 0
		.amdhsa_system_sgpr_workgroup_id_z 0
		.amdhsa_system_sgpr_workgroup_info 0
		.amdhsa_system_vgpr_workitem_id 0
		.amdhsa_next_free_vgpr 1
		.amdhsa_next_free_sgpr 1
		.amdhsa_reserve_vcc 0
		.amdhsa_reserve_flat_scratch 0
		.amdhsa_float_round_mode_32 0
		.amdhsa_float_round_mode_16_64 0
		.amdhsa_float_denorm_mode_32 3
		.amdhsa_float_denorm_mode_16_64 3
		.amdhsa_dx10_clamp 1
		.amdhsa_ieee_mode 1
		.amdhsa_fp16_overflow 0
		.amdhsa_workgroup_processor_mode 1
		.amdhsa_memory_ordered 1
		.amdhsa_forward_progress 1
		.amdhsa_shared_vgpr_count 0
		.amdhsa_exception_fp_ieee_invalid_op 0
		.amdhsa_exception_fp_denorm_src 0
		.amdhsa_exception_fp_ieee_div_zero 0
		.amdhsa_exception_fp_ieee_overflow 0
		.amdhsa_exception_fp_ieee_underflow 0
		.amdhsa_exception_fp_ieee_inexact 0
		.amdhsa_exception_int_div_zero 0
	.end_amdhsa_kernel
	.section	.text._ZN7rocprim17ROCPRIM_400000_NS6detail17trampoline_kernelINS0_14default_configENS1_38merge_sort_block_merge_config_selectorIiiEEZZNS1_27merge_sort_block_merge_implIS3_N6thrust23THRUST_200600_302600_NS6detail15normal_iteratorINS8_10device_ptrIiEEEESD_jNS1_19radix_merge_compareILb1ELb1EiNS0_19identity_decomposerEEEEE10hipError_tT0_T1_T2_jT3_P12ihipStream_tbPNSt15iterator_traitsISI_E10value_typeEPNSO_ISJ_E10value_typeEPSK_NS1_7vsmem_tEENKUlT_SI_SJ_SK_E_clIPiSD_S10_SD_EESH_SX_SI_SJ_SK_EUlSX_E_NS1_11comp_targetILNS1_3genE0ELNS1_11target_archE4294967295ELNS1_3gpuE0ELNS1_3repE0EEENS1_48merge_mergepath_partition_config_static_selectorELNS0_4arch9wavefront6targetE0EEEvSJ_,"axG",@progbits,_ZN7rocprim17ROCPRIM_400000_NS6detail17trampoline_kernelINS0_14default_configENS1_38merge_sort_block_merge_config_selectorIiiEEZZNS1_27merge_sort_block_merge_implIS3_N6thrust23THRUST_200600_302600_NS6detail15normal_iteratorINS8_10device_ptrIiEEEESD_jNS1_19radix_merge_compareILb1ELb1EiNS0_19identity_decomposerEEEEE10hipError_tT0_T1_T2_jT3_P12ihipStream_tbPNSt15iterator_traitsISI_E10value_typeEPNSO_ISJ_E10value_typeEPSK_NS1_7vsmem_tEENKUlT_SI_SJ_SK_E_clIPiSD_S10_SD_EESH_SX_SI_SJ_SK_EUlSX_E_NS1_11comp_targetILNS1_3genE0ELNS1_11target_archE4294967295ELNS1_3gpuE0ELNS1_3repE0EEENS1_48merge_mergepath_partition_config_static_selectorELNS0_4arch9wavefront6targetE0EEEvSJ_,comdat
.Lfunc_end933:
	.size	_ZN7rocprim17ROCPRIM_400000_NS6detail17trampoline_kernelINS0_14default_configENS1_38merge_sort_block_merge_config_selectorIiiEEZZNS1_27merge_sort_block_merge_implIS3_N6thrust23THRUST_200600_302600_NS6detail15normal_iteratorINS8_10device_ptrIiEEEESD_jNS1_19radix_merge_compareILb1ELb1EiNS0_19identity_decomposerEEEEE10hipError_tT0_T1_T2_jT3_P12ihipStream_tbPNSt15iterator_traitsISI_E10value_typeEPNSO_ISJ_E10value_typeEPSK_NS1_7vsmem_tEENKUlT_SI_SJ_SK_E_clIPiSD_S10_SD_EESH_SX_SI_SJ_SK_EUlSX_E_NS1_11comp_targetILNS1_3genE0ELNS1_11target_archE4294967295ELNS1_3gpuE0ELNS1_3repE0EEENS1_48merge_mergepath_partition_config_static_selectorELNS0_4arch9wavefront6targetE0EEEvSJ_, .Lfunc_end933-_ZN7rocprim17ROCPRIM_400000_NS6detail17trampoline_kernelINS0_14default_configENS1_38merge_sort_block_merge_config_selectorIiiEEZZNS1_27merge_sort_block_merge_implIS3_N6thrust23THRUST_200600_302600_NS6detail15normal_iteratorINS8_10device_ptrIiEEEESD_jNS1_19radix_merge_compareILb1ELb1EiNS0_19identity_decomposerEEEEE10hipError_tT0_T1_T2_jT3_P12ihipStream_tbPNSt15iterator_traitsISI_E10value_typeEPNSO_ISJ_E10value_typeEPSK_NS1_7vsmem_tEENKUlT_SI_SJ_SK_E_clIPiSD_S10_SD_EESH_SX_SI_SJ_SK_EUlSX_E_NS1_11comp_targetILNS1_3genE0ELNS1_11target_archE4294967295ELNS1_3gpuE0ELNS1_3repE0EEENS1_48merge_mergepath_partition_config_static_selectorELNS0_4arch9wavefront6targetE0EEEvSJ_
                                        ; -- End function
	.set _ZN7rocprim17ROCPRIM_400000_NS6detail17trampoline_kernelINS0_14default_configENS1_38merge_sort_block_merge_config_selectorIiiEEZZNS1_27merge_sort_block_merge_implIS3_N6thrust23THRUST_200600_302600_NS6detail15normal_iteratorINS8_10device_ptrIiEEEESD_jNS1_19radix_merge_compareILb1ELb1EiNS0_19identity_decomposerEEEEE10hipError_tT0_T1_T2_jT3_P12ihipStream_tbPNSt15iterator_traitsISI_E10value_typeEPNSO_ISJ_E10value_typeEPSK_NS1_7vsmem_tEENKUlT_SI_SJ_SK_E_clIPiSD_S10_SD_EESH_SX_SI_SJ_SK_EUlSX_E_NS1_11comp_targetILNS1_3genE0ELNS1_11target_archE4294967295ELNS1_3gpuE0ELNS1_3repE0EEENS1_48merge_mergepath_partition_config_static_selectorELNS0_4arch9wavefront6targetE0EEEvSJ_.num_vgpr, 0
	.set _ZN7rocprim17ROCPRIM_400000_NS6detail17trampoline_kernelINS0_14default_configENS1_38merge_sort_block_merge_config_selectorIiiEEZZNS1_27merge_sort_block_merge_implIS3_N6thrust23THRUST_200600_302600_NS6detail15normal_iteratorINS8_10device_ptrIiEEEESD_jNS1_19radix_merge_compareILb1ELb1EiNS0_19identity_decomposerEEEEE10hipError_tT0_T1_T2_jT3_P12ihipStream_tbPNSt15iterator_traitsISI_E10value_typeEPNSO_ISJ_E10value_typeEPSK_NS1_7vsmem_tEENKUlT_SI_SJ_SK_E_clIPiSD_S10_SD_EESH_SX_SI_SJ_SK_EUlSX_E_NS1_11comp_targetILNS1_3genE0ELNS1_11target_archE4294967295ELNS1_3gpuE0ELNS1_3repE0EEENS1_48merge_mergepath_partition_config_static_selectorELNS0_4arch9wavefront6targetE0EEEvSJ_.num_agpr, 0
	.set _ZN7rocprim17ROCPRIM_400000_NS6detail17trampoline_kernelINS0_14default_configENS1_38merge_sort_block_merge_config_selectorIiiEEZZNS1_27merge_sort_block_merge_implIS3_N6thrust23THRUST_200600_302600_NS6detail15normal_iteratorINS8_10device_ptrIiEEEESD_jNS1_19radix_merge_compareILb1ELb1EiNS0_19identity_decomposerEEEEE10hipError_tT0_T1_T2_jT3_P12ihipStream_tbPNSt15iterator_traitsISI_E10value_typeEPNSO_ISJ_E10value_typeEPSK_NS1_7vsmem_tEENKUlT_SI_SJ_SK_E_clIPiSD_S10_SD_EESH_SX_SI_SJ_SK_EUlSX_E_NS1_11comp_targetILNS1_3genE0ELNS1_11target_archE4294967295ELNS1_3gpuE0ELNS1_3repE0EEENS1_48merge_mergepath_partition_config_static_selectorELNS0_4arch9wavefront6targetE0EEEvSJ_.numbered_sgpr, 0
	.set _ZN7rocprim17ROCPRIM_400000_NS6detail17trampoline_kernelINS0_14default_configENS1_38merge_sort_block_merge_config_selectorIiiEEZZNS1_27merge_sort_block_merge_implIS3_N6thrust23THRUST_200600_302600_NS6detail15normal_iteratorINS8_10device_ptrIiEEEESD_jNS1_19radix_merge_compareILb1ELb1EiNS0_19identity_decomposerEEEEE10hipError_tT0_T1_T2_jT3_P12ihipStream_tbPNSt15iterator_traitsISI_E10value_typeEPNSO_ISJ_E10value_typeEPSK_NS1_7vsmem_tEENKUlT_SI_SJ_SK_E_clIPiSD_S10_SD_EESH_SX_SI_SJ_SK_EUlSX_E_NS1_11comp_targetILNS1_3genE0ELNS1_11target_archE4294967295ELNS1_3gpuE0ELNS1_3repE0EEENS1_48merge_mergepath_partition_config_static_selectorELNS0_4arch9wavefront6targetE0EEEvSJ_.num_named_barrier, 0
	.set _ZN7rocprim17ROCPRIM_400000_NS6detail17trampoline_kernelINS0_14default_configENS1_38merge_sort_block_merge_config_selectorIiiEEZZNS1_27merge_sort_block_merge_implIS3_N6thrust23THRUST_200600_302600_NS6detail15normal_iteratorINS8_10device_ptrIiEEEESD_jNS1_19radix_merge_compareILb1ELb1EiNS0_19identity_decomposerEEEEE10hipError_tT0_T1_T2_jT3_P12ihipStream_tbPNSt15iterator_traitsISI_E10value_typeEPNSO_ISJ_E10value_typeEPSK_NS1_7vsmem_tEENKUlT_SI_SJ_SK_E_clIPiSD_S10_SD_EESH_SX_SI_SJ_SK_EUlSX_E_NS1_11comp_targetILNS1_3genE0ELNS1_11target_archE4294967295ELNS1_3gpuE0ELNS1_3repE0EEENS1_48merge_mergepath_partition_config_static_selectorELNS0_4arch9wavefront6targetE0EEEvSJ_.private_seg_size, 0
	.set _ZN7rocprim17ROCPRIM_400000_NS6detail17trampoline_kernelINS0_14default_configENS1_38merge_sort_block_merge_config_selectorIiiEEZZNS1_27merge_sort_block_merge_implIS3_N6thrust23THRUST_200600_302600_NS6detail15normal_iteratorINS8_10device_ptrIiEEEESD_jNS1_19radix_merge_compareILb1ELb1EiNS0_19identity_decomposerEEEEE10hipError_tT0_T1_T2_jT3_P12ihipStream_tbPNSt15iterator_traitsISI_E10value_typeEPNSO_ISJ_E10value_typeEPSK_NS1_7vsmem_tEENKUlT_SI_SJ_SK_E_clIPiSD_S10_SD_EESH_SX_SI_SJ_SK_EUlSX_E_NS1_11comp_targetILNS1_3genE0ELNS1_11target_archE4294967295ELNS1_3gpuE0ELNS1_3repE0EEENS1_48merge_mergepath_partition_config_static_selectorELNS0_4arch9wavefront6targetE0EEEvSJ_.uses_vcc, 0
	.set _ZN7rocprim17ROCPRIM_400000_NS6detail17trampoline_kernelINS0_14default_configENS1_38merge_sort_block_merge_config_selectorIiiEEZZNS1_27merge_sort_block_merge_implIS3_N6thrust23THRUST_200600_302600_NS6detail15normal_iteratorINS8_10device_ptrIiEEEESD_jNS1_19radix_merge_compareILb1ELb1EiNS0_19identity_decomposerEEEEE10hipError_tT0_T1_T2_jT3_P12ihipStream_tbPNSt15iterator_traitsISI_E10value_typeEPNSO_ISJ_E10value_typeEPSK_NS1_7vsmem_tEENKUlT_SI_SJ_SK_E_clIPiSD_S10_SD_EESH_SX_SI_SJ_SK_EUlSX_E_NS1_11comp_targetILNS1_3genE0ELNS1_11target_archE4294967295ELNS1_3gpuE0ELNS1_3repE0EEENS1_48merge_mergepath_partition_config_static_selectorELNS0_4arch9wavefront6targetE0EEEvSJ_.uses_flat_scratch, 0
	.set _ZN7rocprim17ROCPRIM_400000_NS6detail17trampoline_kernelINS0_14default_configENS1_38merge_sort_block_merge_config_selectorIiiEEZZNS1_27merge_sort_block_merge_implIS3_N6thrust23THRUST_200600_302600_NS6detail15normal_iteratorINS8_10device_ptrIiEEEESD_jNS1_19radix_merge_compareILb1ELb1EiNS0_19identity_decomposerEEEEE10hipError_tT0_T1_T2_jT3_P12ihipStream_tbPNSt15iterator_traitsISI_E10value_typeEPNSO_ISJ_E10value_typeEPSK_NS1_7vsmem_tEENKUlT_SI_SJ_SK_E_clIPiSD_S10_SD_EESH_SX_SI_SJ_SK_EUlSX_E_NS1_11comp_targetILNS1_3genE0ELNS1_11target_archE4294967295ELNS1_3gpuE0ELNS1_3repE0EEENS1_48merge_mergepath_partition_config_static_selectorELNS0_4arch9wavefront6targetE0EEEvSJ_.has_dyn_sized_stack, 0
	.set _ZN7rocprim17ROCPRIM_400000_NS6detail17trampoline_kernelINS0_14default_configENS1_38merge_sort_block_merge_config_selectorIiiEEZZNS1_27merge_sort_block_merge_implIS3_N6thrust23THRUST_200600_302600_NS6detail15normal_iteratorINS8_10device_ptrIiEEEESD_jNS1_19radix_merge_compareILb1ELb1EiNS0_19identity_decomposerEEEEE10hipError_tT0_T1_T2_jT3_P12ihipStream_tbPNSt15iterator_traitsISI_E10value_typeEPNSO_ISJ_E10value_typeEPSK_NS1_7vsmem_tEENKUlT_SI_SJ_SK_E_clIPiSD_S10_SD_EESH_SX_SI_SJ_SK_EUlSX_E_NS1_11comp_targetILNS1_3genE0ELNS1_11target_archE4294967295ELNS1_3gpuE0ELNS1_3repE0EEENS1_48merge_mergepath_partition_config_static_selectorELNS0_4arch9wavefront6targetE0EEEvSJ_.has_recursion, 0
	.set _ZN7rocprim17ROCPRIM_400000_NS6detail17trampoline_kernelINS0_14default_configENS1_38merge_sort_block_merge_config_selectorIiiEEZZNS1_27merge_sort_block_merge_implIS3_N6thrust23THRUST_200600_302600_NS6detail15normal_iteratorINS8_10device_ptrIiEEEESD_jNS1_19radix_merge_compareILb1ELb1EiNS0_19identity_decomposerEEEEE10hipError_tT0_T1_T2_jT3_P12ihipStream_tbPNSt15iterator_traitsISI_E10value_typeEPNSO_ISJ_E10value_typeEPSK_NS1_7vsmem_tEENKUlT_SI_SJ_SK_E_clIPiSD_S10_SD_EESH_SX_SI_SJ_SK_EUlSX_E_NS1_11comp_targetILNS1_3genE0ELNS1_11target_archE4294967295ELNS1_3gpuE0ELNS1_3repE0EEENS1_48merge_mergepath_partition_config_static_selectorELNS0_4arch9wavefront6targetE0EEEvSJ_.has_indirect_call, 0
	.section	.AMDGPU.csdata,"",@progbits
; Kernel info:
; codeLenInByte = 0
; TotalNumSgprs: 0
; NumVgprs: 0
; ScratchSize: 0
; MemoryBound: 0
; FloatMode: 240
; IeeeMode: 1
; LDSByteSize: 0 bytes/workgroup (compile time only)
; SGPRBlocks: 0
; VGPRBlocks: 0
; NumSGPRsForWavesPerEU: 1
; NumVGPRsForWavesPerEU: 1
; Occupancy: 16
; WaveLimiterHint : 0
; COMPUTE_PGM_RSRC2:SCRATCH_EN: 0
; COMPUTE_PGM_RSRC2:USER_SGPR: 6
; COMPUTE_PGM_RSRC2:TRAP_HANDLER: 0
; COMPUTE_PGM_RSRC2:TGID_X_EN: 1
; COMPUTE_PGM_RSRC2:TGID_Y_EN: 0
; COMPUTE_PGM_RSRC2:TGID_Z_EN: 0
; COMPUTE_PGM_RSRC2:TIDIG_COMP_CNT: 0
	.section	.text._ZN7rocprim17ROCPRIM_400000_NS6detail17trampoline_kernelINS0_14default_configENS1_38merge_sort_block_merge_config_selectorIiiEEZZNS1_27merge_sort_block_merge_implIS3_N6thrust23THRUST_200600_302600_NS6detail15normal_iteratorINS8_10device_ptrIiEEEESD_jNS1_19radix_merge_compareILb1ELb1EiNS0_19identity_decomposerEEEEE10hipError_tT0_T1_T2_jT3_P12ihipStream_tbPNSt15iterator_traitsISI_E10value_typeEPNSO_ISJ_E10value_typeEPSK_NS1_7vsmem_tEENKUlT_SI_SJ_SK_E_clIPiSD_S10_SD_EESH_SX_SI_SJ_SK_EUlSX_E_NS1_11comp_targetILNS1_3genE10ELNS1_11target_archE1201ELNS1_3gpuE5ELNS1_3repE0EEENS1_48merge_mergepath_partition_config_static_selectorELNS0_4arch9wavefront6targetE0EEEvSJ_,"axG",@progbits,_ZN7rocprim17ROCPRIM_400000_NS6detail17trampoline_kernelINS0_14default_configENS1_38merge_sort_block_merge_config_selectorIiiEEZZNS1_27merge_sort_block_merge_implIS3_N6thrust23THRUST_200600_302600_NS6detail15normal_iteratorINS8_10device_ptrIiEEEESD_jNS1_19radix_merge_compareILb1ELb1EiNS0_19identity_decomposerEEEEE10hipError_tT0_T1_T2_jT3_P12ihipStream_tbPNSt15iterator_traitsISI_E10value_typeEPNSO_ISJ_E10value_typeEPSK_NS1_7vsmem_tEENKUlT_SI_SJ_SK_E_clIPiSD_S10_SD_EESH_SX_SI_SJ_SK_EUlSX_E_NS1_11comp_targetILNS1_3genE10ELNS1_11target_archE1201ELNS1_3gpuE5ELNS1_3repE0EEENS1_48merge_mergepath_partition_config_static_selectorELNS0_4arch9wavefront6targetE0EEEvSJ_,comdat
	.protected	_ZN7rocprim17ROCPRIM_400000_NS6detail17trampoline_kernelINS0_14default_configENS1_38merge_sort_block_merge_config_selectorIiiEEZZNS1_27merge_sort_block_merge_implIS3_N6thrust23THRUST_200600_302600_NS6detail15normal_iteratorINS8_10device_ptrIiEEEESD_jNS1_19radix_merge_compareILb1ELb1EiNS0_19identity_decomposerEEEEE10hipError_tT0_T1_T2_jT3_P12ihipStream_tbPNSt15iterator_traitsISI_E10value_typeEPNSO_ISJ_E10value_typeEPSK_NS1_7vsmem_tEENKUlT_SI_SJ_SK_E_clIPiSD_S10_SD_EESH_SX_SI_SJ_SK_EUlSX_E_NS1_11comp_targetILNS1_3genE10ELNS1_11target_archE1201ELNS1_3gpuE5ELNS1_3repE0EEENS1_48merge_mergepath_partition_config_static_selectorELNS0_4arch9wavefront6targetE0EEEvSJ_ ; -- Begin function _ZN7rocprim17ROCPRIM_400000_NS6detail17trampoline_kernelINS0_14default_configENS1_38merge_sort_block_merge_config_selectorIiiEEZZNS1_27merge_sort_block_merge_implIS3_N6thrust23THRUST_200600_302600_NS6detail15normal_iteratorINS8_10device_ptrIiEEEESD_jNS1_19radix_merge_compareILb1ELb1EiNS0_19identity_decomposerEEEEE10hipError_tT0_T1_T2_jT3_P12ihipStream_tbPNSt15iterator_traitsISI_E10value_typeEPNSO_ISJ_E10value_typeEPSK_NS1_7vsmem_tEENKUlT_SI_SJ_SK_E_clIPiSD_S10_SD_EESH_SX_SI_SJ_SK_EUlSX_E_NS1_11comp_targetILNS1_3genE10ELNS1_11target_archE1201ELNS1_3gpuE5ELNS1_3repE0EEENS1_48merge_mergepath_partition_config_static_selectorELNS0_4arch9wavefront6targetE0EEEvSJ_
	.globl	_ZN7rocprim17ROCPRIM_400000_NS6detail17trampoline_kernelINS0_14default_configENS1_38merge_sort_block_merge_config_selectorIiiEEZZNS1_27merge_sort_block_merge_implIS3_N6thrust23THRUST_200600_302600_NS6detail15normal_iteratorINS8_10device_ptrIiEEEESD_jNS1_19radix_merge_compareILb1ELb1EiNS0_19identity_decomposerEEEEE10hipError_tT0_T1_T2_jT3_P12ihipStream_tbPNSt15iterator_traitsISI_E10value_typeEPNSO_ISJ_E10value_typeEPSK_NS1_7vsmem_tEENKUlT_SI_SJ_SK_E_clIPiSD_S10_SD_EESH_SX_SI_SJ_SK_EUlSX_E_NS1_11comp_targetILNS1_3genE10ELNS1_11target_archE1201ELNS1_3gpuE5ELNS1_3repE0EEENS1_48merge_mergepath_partition_config_static_selectorELNS0_4arch9wavefront6targetE0EEEvSJ_
	.p2align	8
	.type	_ZN7rocprim17ROCPRIM_400000_NS6detail17trampoline_kernelINS0_14default_configENS1_38merge_sort_block_merge_config_selectorIiiEEZZNS1_27merge_sort_block_merge_implIS3_N6thrust23THRUST_200600_302600_NS6detail15normal_iteratorINS8_10device_ptrIiEEEESD_jNS1_19radix_merge_compareILb1ELb1EiNS0_19identity_decomposerEEEEE10hipError_tT0_T1_T2_jT3_P12ihipStream_tbPNSt15iterator_traitsISI_E10value_typeEPNSO_ISJ_E10value_typeEPSK_NS1_7vsmem_tEENKUlT_SI_SJ_SK_E_clIPiSD_S10_SD_EESH_SX_SI_SJ_SK_EUlSX_E_NS1_11comp_targetILNS1_3genE10ELNS1_11target_archE1201ELNS1_3gpuE5ELNS1_3repE0EEENS1_48merge_mergepath_partition_config_static_selectorELNS0_4arch9wavefront6targetE0EEEvSJ_,@function
_ZN7rocprim17ROCPRIM_400000_NS6detail17trampoline_kernelINS0_14default_configENS1_38merge_sort_block_merge_config_selectorIiiEEZZNS1_27merge_sort_block_merge_implIS3_N6thrust23THRUST_200600_302600_NS6detail15normal_iteratorINS8_10device_ptrIiEEEESD_jNS1_19radix_merge_compareILb1ELb1EiNS0_19identity_decomposerEEEEE10hipError_tT0_T1_T2_jT3_P12ihipStream_tbPNSt15iterator_traitsISI_E10value_typeEPNSO_ISJ_E10value_typeEPSK_NS1_7vsmem_tEENKUlT_SI_SJ_SK_E_clIPiSD_S10_SD_EESH_SX_SI_SJ_SK_EUlSX_E_NS1_11comp_targetILNS1_3genE10ELNS1_11target_archE1201ELNS1_3gpuE5ELNS1_3repE0EEENS1_48merge_mergepath_partition_config_static_selectorELNS0_4arch9wavefront6targetE0EEEvSJ_: ; @_ZN7rocprim17ROCPRIM_400000_NS6detail17trampoline_kernelINS0_14default_configENS1_38merge_sort_block_merge_config_selectorIiiEEZZNS1_27merge_sort_block_merge_implIS3_N6thrust23THRUST_200600_302600_NS6detail15normal_iteratorINS8_10device_ptrIiEEEESD_jNS1_19radix_merge_compareILb1ELb1EiNS0_19identity_decomposerEEEEE10hipError_tT0_T1_T2_jT3_P12ihipStream_tbPNSt15iterator_traitsISI_E10value_typeEPNSO_ISJ_E10value_typeEPSK_NS1_7vsmem_tEENKUlT_SI_SJ_SK_E_clIPiSD_S10_SD_EESH_SX_SI_SJ_SK_EUlSX_E_NS1_11comp_targetILNS1_3genE10ELNS1_11target_archE1201ELNS1_3gpuE5ELNS1_3repE0EEENS1_48merge_mergepath_partition_config_static_selectorELNS0_4arch9wavefront6targetE0EEEvSJ_
; %bb.0:
	.section	.rodata,"a",@progbits
	.p2align	6, 0x0
	.amdhsa_kernel _ZN7rocprim17ROCPRIM_400000_NS6detail17trampoline_kernelINS0_14default_configENS1_38merge_sort_block_merge_config_selectorIiiEEZZNS1_27merge_sort_block_merge_implIS3_N6thrust23THRUST_200600_302600_NS6detail15normal_iteratorINS8_10device_ptrIiEEEESD_jNS1_19radix_merge_compareILb1ELb1EiNS0_19identity_decomposerEEEEE10hipError_tT0_T1_T2_jT3_P12ihipStream_tbPNSt15iterator_traitsISI_E10value_typeEPNSO_ISJ_E10value_typeEPSK_NS1_7vsmem_tEENKUlT_SI_SJ_SK_E_clIPiSD_S10_SD_EESH_SX_SI_SJ_SK_EUlSX_E_NS1_11comp_targetILNS1_3genE10ELNS1_11target_archE1201ELNS1_3gpuE5ELNS1_3repE0EEENS1_48merge_mergepath_partition_config_static_selectorELNS0_4arch9wavefront6targetE0EEEvSJ_
		.amdhsa_group_segment_fixed_size 0
		.amdhsa_private_segment_fixed_size 0
		.amdhsa_kernarg_size 40
		.amdhsa_user_sgpr_count 6
		.amdhsa_user_sgpr_private_segment_buffer 1
		.amdhsa_user_sgpr_dispatch_ptr 0
		.amdhsa_user_sgpr_queue_ptr 0
		.amdhsa_user_sgpr_kernarg_segment_ptr 1
		.amdhsa_user_sgpr_dispatch_id 0
		.amdhsa_user_sgpr_flat_scratch_init 0
		.amdhsa_user_sgpr_private_segment_size 0
		.amdhsa_wavefront_size32 1
		.amdhsa_uses_dynamic_stack 0
		.amdhsa_system_sgpr_private_segment_wavefront_offset 0
		.amdhsa_system_sgpr_workgroup_id_x 1
		.amdhsa_system_sgpr_workgroup_id_y 0
		.amdhsa_system_sgpr_workgroup_id_z 0
		.amdhsa_system_sgpr_workgroup_info 0
		.amdhsa_system_vgpr_workitem_id 0
		.amdhsa_next_free_vgpr 1
		.amdhsa_next_free_sgpr 1
		.amdhsa_reserve_vcc 0
		.amdhsa_reserve_flat_scratch 0
		.amdhsa_float_round_mode_32 0
		.amdhsa_float_round_mode_16_64 0
		.amdhsa_float_denorm_mode_32 3
		.amdhsa_float_denorm_mode_16_64 3
		.amdhsa_dx10_clamp 1
		.amdhsa_ieee_mode 1
		.amdhsa_fp16_overflow 0
		.amdhsa_workgroup_processor_mode 1
		.amdhsa_memory_ordered 1
		.amdhsa_forward_progress 1
		.amdhsa_shared_vgpr_count 0
		.amdhsa_exception_fp_ieee_invalid_op 0
		.amdhsa_exception_fp_denorm_src 0
		.amdhsa_exception_fp_ieee_div_zero 0
		.amdhsa_exception_fp_ieee_overflow 0
		.amdhsa_exception_fp_ieee_underflow 0
		.amdhsa_exception_fp_ieee_inexact 0
		.amdhsa_exception_int_div_zero 0
	.end_amdhsa_kernel
	.section	.text._ZN7rocprim17ROCPRIM_400000_NS6detail17trampoline_kernelINS0_14default_configENS1_38merge_sort_block_merge_config_selectorIiiEEZZNS1_27merge_sort_block_merge_implIS3_N6thrust23THRUST_200600_302600_NS6detail15normal_iteratorINS8_10device_ptrIiEEEESD_jNS1_19radix_merge_compareILb1ELb1EiNS0_19identity_decomposerEEEEE10hipError_tT0_T1_T2_jT3_P12ihipStream_tbPNSt15iterator_traitsISI_E10value_typeEPNSO_ISJ_E10value_typeEPSK_NS1_7vsmem_tEENKUlT_SI_SJ_SK_E_clIPiSD_S10_SD_EESH_SX_SI_SJ_SK_EUlSX_E_NS1_11comp_targetILNS1_3genE10ELNS1_11target_archE1201ELNS1_3gpuE5ELNS1_3repE0EEENS1_48merge_mergepath_partition_config_static_selectorELNS0_4arch9wavefront6targetE0EEEvSJ_,"axG",@progbits,_ZN7rocprim17ROCPRIM_400000_NS6detail17trampoline_kernelINS0_14default_configENS1_38merge_sort_block_merge_config_selectorIiiEEZZNS1_27merge_sort_block_merge_implIS3_N6thrust23THRUST_200600_302600_NS6detail15normal_iteratorINS8_10device_ptrIiEEEESD_jNS1_19radix_merge_compareILb1ELb1EiNS0_19identity_decomposerEEEEE10hipError_tT0_T1_T2_jT3_P12ihipStream_tbPNSt15iterator_traitsISI_E10value_typeEPNSO_ISJ_E10value_typeEPSK_NS1_7vsmem_tEENKUlT_SI_SJ_SK_E_clIPiSD_S10_SD_EESH_SX_SI_SJ_SK_EUlSX_E_NS1_11comp_targetILNS1_3genE10ELNS1_11target_archE1201ELNS1_3gpuE5ELNS1_3repE0EEENS1_48merge_mergepath_partition_config_static_selectorELNS0_4arch9wavefront6targetE0EEEvSJ_,comdat
.Lfunc_end934:
	.size	_ZN7rocprim17ROCPRIM_400000_NS6detail17trampoline_kernelINS0_14default_configENS1_38merge_sort_block_merge_config_selectorIiiEEZZNS1_27merge_sort_block_merge_implIS3_N6thrust23THRUST_200600_302600_NS6detail15normal_iteratorINS8_10device_ptrIiEEEESD_jNS1_19radix_merge_compareILb1ELb1EiNS0_19identity_decomposerEEEEE10hipError_tT0_T1_T2_jT3_P12ihipStream_tbPNSt15iterator_traitsISI_E10value_typeEPNSO_ISJ_E10value_typeEPSK_NS1_7vsmem_tEENKUlT_SI_SJ_SK_E_clIPiSD_S10_SD_EESH_SX_SI_SJ_SK_EUlSX_E_NS1_11comp_targetILNS1_3genE10ELNS1_11target_archE1201ELNS1_3gpuE5ELNS1_3repE0EEENS1_48merge_mergepath_partition_config_static_selectorELNS0_4arch9wavefront6targetE0EEEvSJ_, .Lfunc_end934-_ZN7rocprim17ROCPRIM_400000_NS6detail17trampoline_kernelINS0_14default_configENS1_38merge_sort_block_merge_config_selectorIiiEEZZNS1_27merge_sort_block_merge_implIS3_N6thrust23THRUST_200600_302600_NS6detail15normal_iteratorINS8_10device_ptrIiEEEESD_jNS1_19radix_merge_compareILb1ELb1EiNS0_19identity_decomposerEEEEE10hipError_tT0_T1_T2_jT3_P12ihipStream_tbPNSt15iterator_traitsISI_E10value_typeEPNSO_ISJ_E10value_typeEPSK_NS1_7vsmem_tEENKUlT_SI_SJ_SK_E_clIPiSD_S10_SD_EESH_SX_SI_SJ_SK_EUlSX_E_NS1_11comp_targetILNS1_3genE10ELNS1_11target_archE1201ELNS1_3gpuE5ELNS1_3repE0EEENS1_48merge_mergepath_partition_config_static_selectorELNS0_4arch9wavefront6targetE0EEEvSJ_
                                        ; -- End function
	.set _ZN7rocprim17ROCPRIM_400000_NS6detail17trampoline_kernelINS0_14default_configENS1_38merge_sort_block_merge_config_selectorIiiEEZZNS1_27merge_sort_block_merge_implIS3_N6thrust23THRUST_200600_302600_NS6detail15normal_iteratorINS8_10device_ptrIiEEEESD_jNS1_19radix_merge_compareILb1ELb1EiNS0_19identity_decomposerEEEEE10hipError_tT0_T1_T2_jT3_P12ihipStream_tbPNSt15iterator_traitsISI_E10value_typeEPNSO_ISJ_E10value_typeEPSK_NS1_7vsmem_tEENKUlT_SI_SJ_SK_E_clIPiSD_S10_SD_EESH_SX_SI_SJ_SK_EUlSX_E_NS1_11comp_targetILNS1_3genE10ELNS1_11target_archE1201ELNS1_3gpuE5ELNS1_3repE0EEENS1_48merge_mergepath_partition_config_static_selectorELNS0_4arch9wavefront6targetE0EEEvSJ_.num_vgpr, 0
	.set _ZN7rocprim17ROCPRIM_400000_NS6detail17trampoline_kernelINS0_14default_configENS1_38merge_sort_block_merge_config_selectorIiiEEZZNS1_27merge_sort_block_merge_implIS3_N6thrust23THRUST_200600_302600_NS6detail15normal_iteratorINS8_10device_ptrIiEEEESD_jNS1_19radix_merge_compareILb1ELb1EiNS0_19identity_decomposerEEEEE10hipError_tT0_T1_T2_jT3_P12ihipStream_tbPNSt15iterator_traitsISI_E10value_typeEPNSO_ISJ_E10value_typeEPSK_NS1_7vsmem_tEENKUlT_SI_SJ_SK_E_clIPiSD_S10_SD_EESH_SX_SI_SJ_SK_EUlSX_E_NS1_11comp_targetILNS1_3genE10ELNS1_11target_archE1201ELNS1_3gpuE5ELNS1_3repE0EEENS1_48merge_mergepath_partition_config_static_selectorELNS0_4arch9wavefront6targetE0EEEvSJ_.num_agpr, 0
	.set _ZN7rocprim17ROCPRIM_400000_NS6detail17trampoline_kernelINS0_14default_configENS1_38merge_sort_block_merge_config_selectorIiiEEZZNS1_27merge_sort_block_merge_implIS3_N6thrust23THRUST_200600_302600_NS6detail15normal_iteratorINS8_10device_ptrIiEEEESD_jNS1_19radix_merge_compareILb1ELb1EiNS0_19identity_decomposerEEEEE10hipError_tT0_T1_T2_jT3_P12ihipStream_tbPNSt15iterator_traitsISI_E10value_typeEPNSO_ISJ_E10value_typeEPSK_NS1_7vsmem_tEENKUlT_SI_SJ_SK_E_clIPiSD_S10_SD_EESH_SX_SI_SJ_SK_EUlSX_E_NS1_11comp_targetILNS1_3genE10ELNS1_11target_archE1201ELNS1_3gpuE5ELNS1_3repE0EEENS1_48merge_mergepath_partition_config_static_selectorELNS0_4arch9wavefront6targetE0EEEvSJ_.numbered_sgpr, 0
	.set _ZN7rocprim17ROCPRIM_400000_NS6detail17trampoline_kernelINS0_14default_configENS1_38merge_sort_block_merge_config_selectorIiiEEZZNS1_27merge_sort_block_merge_implIS3_N6thrust23THRUST_200600_302600_NS6detail15normal_iteratorINS8_10device_ptrIiEEEESD_jNS1_19radix_merge_compareILb1ELb1EiNS0_19identity_decomposerEEEEE10hipError_tT0_T1_T2_jT3_P12ihipStream_tbPNSt15iterator_traitsISI_E10value_typeEPNSO_ISJ_E10value_typeEPSK_NS1_7vsmem_tEENKUlT_SI_SJ_SK_E_clIPiSD_S10_SD_EESH_SX_SI_SJ_SK_EUlSX_E_NS1_11comp_targetILNS1_3genE10ELNS1_11target_archE1201ELNS1_3gpuE5ELNS1_3repE0EEENS1_48merge_mergepath_partition_config_static_selectorELNS0_4arch9wavefront6targetE0EEEvSJ_.num_named_barrier, 0
	.set _ZN7rocprim17ROCPRIM_400000_NS6detail17trampoline_kernelINS0_14default_configENS1_38merge_sort_block_merge_config_selectorIiiEEZZNS1_27merge_sort_block_merge_implIS3_N6thrust23THRUST_200600_302600_NS6detail15normal_iteratorINS8_10device_ptrIiEEEESD_jNS1_19radix_merge_compareILb1ELb1EiNS0_19identity_decomposerEEEEE10hipError_tT0_T1_T2_jT3_P12ihipStream_tbPNSt15iterator_traitsISI_E10value_typeEPNSO_ISJ_E10value_typeEPSK_NS1_7vsmem_tEENKUlT_SI_SJ_SK_E_clIPiSD_S10_SD_EESH_SX_SI_SJ_SK_EUlSX_E_NS1_11comp_targetILNS1_3genE10ELNS1_11target_archE1201ELNS1_3gpuE5ELNS1_3repE0EEENS1_48merge_mergepath_partition_config_static_selectorELNS0_4arch9wavefront6targetE0EEEvSJ_.private_seg_size, 0
	.set _ZN7rocprim17ROCPRIM_400000_NS6detail17trampoline_kernelINS0_14default_configENS1_38merge_sort_block_merge_config_selectorIiiEEZZNS1_27merge_sort_block_merge_implIS3_N6thrust23THRUST_200600_302600_NS6detail15normal_iteratorINS8_10device_ptrIiEEEESD_jNS1_19radix_merge_compareILb1ELb1EiNS0_19identity_decomposerEEEEE10hipError_tT0_T1_T2_jT3_P12ihipStream_tbPNSt15iterator_traitsISI_E10value_typeEPNSO_ISJ_E10value_typeEPSK_NS1_7vsmem_tEENKUlT_SI_SJ_SK_E_clIPiSD_S10_SD_EESH_SX_SI_SJ_SK_EUlSX_E_NS1_11comp_targetILNS1_3genE10ELNS1_11target_archE1201ELNS1_3gpuE5ELNS1_3repE0EEENS1_48merge_mergepath_partition_config_static_selectorELNS0_4arch9wavefront6targetE0EEEvSJ_.uses_vcc, 0
	.set _ZN7rocprim17ROCPRIM_400000_NS6detail17trampoline_kernelINS0_14default_configENS1_38merge_sort_block_merge_config_selectorIiiEEZZNS1_27merge_sort_block_merge_implIS3_N6thrust23THRUST_200600_302600_NS6detail15normal_iteratorINS8_10device_ptrIiEEEESD_jNS1_19radix_merge_compareILb1ELb1EiNS0_19identity_decomposerEEEEE10hipError_tT0_T1_T2_jT3_P12ihipStream_tbPNSt15iterator_traitsISI_E10value_typeEPNSO_ISJ_E10value_typeEPSK_NS1_7vsmem_tEENKUlT_SI_SJ_SK_E_clIPiSD_S10_SD_EESH_SX_SI_SJ_SK_EUlSX_E_NS1_11comp_targetILNS1_3genE10ELNS1_11target_archE1201ELNS1_3gpuE5ELNS1_3repE0EEENS1_48merge_mergepath_partition_config_static_selectorELNS0_4arch9wavefront6targetE0EEEvSJ_.uses_flat_scratch, 0
	.set _ZN7rocprim17ROCPRIM_400000_NS6detail17trampoline_kernelINS0_14default_configENS1_38merge_sort_block_merge_config_selectorIiiEEZZNS1_27merge_sort_block_merge_implIS3_N6thrust23THRUST_200600_302600_NS6detail15normal_iteratorINS8_10device_ptrIiEEEESD_jNS1_19radix_merge_compareILb1ELb1EiNS0_19identity_decomposerEEEEE10hipError_tT0_T1_T2_jT3_P12ihipStream_tbPNSt15iterator_traitsISI_E10value_typeEPNSO_ISJ_E10value_typeEPSK_NS1_7vsmem_tEENKUlT_SI_SJ_SK_E_clIPiSD_S10_SD_EESH_SX_SI_SJ_SK_EUlSX_E_NS1_11comp_targetILNS1_3genE10ELNS1_11target_archE1201ELNS1_3gpuE5ELNS1_3repE0EEENS1_48merge_mergepath_partition_config_static_selectorELNS0_4arch9wavefront6targetE0EEEvSJ_.has_dyn_sized_stack, 0
	.set _ZN7rocprim17ROCPRIM_400000_NS6detail17trampoline_kernelINS0_14default_configENS1_38merge_sort_block_merge_config_selectorIiiEEZZNS1_27merge_sort_block_merge_implIS3_N6thrust23THRUST_200600_302600_NS6detail15normal_iteratorINS8_10device_ptrIiEEEESD_jNS1_19radix_merge_compareILb1ELb1EiNS0_19identity_decomposerEEEEE10hipError_tT0_T1_T2_jT3_P12ihipStream_tbPNSt15iterator_traitsISI_E10value_typeEPNSO_ISJ_E10value_typeEPSK_NS1_7vsmem_tEENKUlT_SI_SJ_SK_E_clIPiSD_S10_SD_EESH_SX_SI_SJ_SK_EUlSX_E_NS1_11comp_targetILNS1_3genE10ELNS1_11target_archE1201ELNS1_3gpuE5ELNS1_3repE0EEENS1_48merge_mergepath_partition_config_static_selectorELNS0_4arch9wavefront6targetE0EEEvSJ_.has_recursion, 0
	.set _ZN7rocprim17ROCPRIM_400000_NS6detail17trampoline_kernelINS0_14default_configENS1_38merge_sort_block_merge_config_selectorIiiEEZZNS1_27merge_sort_block_merge_implIS3_N6thrust23THRUST_200600_302600_NS6detail15normal_iteratorINS8_10device_ptrIiEEEESD_jNS1_19radix_merge_compareILb1ELb1EiNS0_19identity_decomposerEEEEE10hipError_tT0_T1_T2_jT3_P12ihipStream_tbPNSt15iterator_traitsISI_E10value_typeEPNSO_ISJ_E10value_typeEPSK_NS1_7vsmem_tEENKUlT_SI_SJ_SK_E_clIPiSD_S10_SD_EESH_SX_SI_SJ_SK_EUlSX_E_NS1_11comp_targetILNS1_3genE10ELNS1_11target_archE1201ELNS1_3gpuE5ELNS1_3repE0EEENS1_48merge_mergepath_partition_config_static_selectorELNS0_4arch9wavefront6targetE0EEEvSJ_.has_indirect_call, 0
	.section	.AMDGPU.csdata,"",@progbits
; Kernel info:
; codeLenInByte = 0
; TotalNumSgprs: 0
; NumVgprs: 0
; ScratchSize: 0
; MemoryBound: 0
; FloatMode: 240
; IeeeMode: 1
; LDSByteSize: 0 bytes/workgroup (compile time only)
; SGPRBlocks: 0
; VGPRBlocks: 0
; NumSGPRsForWavesPerEU: 1
; NumVGPRsForWavesPerEU: 1
; Occupancy: 16
; WaveLimiterHint : 0
; COMPUTE_PGM_RSRC2:SCRATCH_EN: 0
; COMPUTE_PGM_RSRC2:USER_SGPR: 6
; COMPUTE_PGM_RSRC2:TRAP_HANDLER: 0
; COMPUTE_PGM_RSRC2:TGID_X_EN: 1
; COMPUTE_PGM_RSRC2:TGID_Y_EN: 0
; COMPUTE_PGM_RSRC2:TGID_Z_EN: 0
; COMPUTE_PGM_RSRC2:TIDIG_COMP_CNT: 0
	.section	.text._ZN7rocprim17ROCPRIM_400000_NS6detail17trampoline_kernelINS0_14default_configENS1_38merge_sort_block_merge_config_selectorIiiEEZZNS1_27merge_sort_block_merge_implIS3_N6thrust23THRUST_200600_302600_NS6detail15normal_iteratorINS8_10device_ptrIiEEEESD_jNS1_19radix_merge_compareILb1ELb1EiNS0_19identity_decomposerEEEEE10hipError_tT0_T1_T2_jT3_P12ihipStream_tbPNSt15iterator_traitsISI_E10value_typeEPNSO_ISJ_E10value_typeEPSK_NS1_7vsmem_tEENKUlT_SI_SJ_SK_E_clIPiSD_S10_SD_EESH_SX_SI_SJ_SK_EUlSX_E_NS1_11comp_targetILNS1_3genE5ELNS1_11target_archE942ELNS1_3gpuE9ELNS1_3repE0EEENS1_48merge_mergepath_partition_config_static_selectorELNS0_4arch9wavefront6targetE0EEEvSJ_,"axG",@progbits,_ZN7rocprim17ROCPRIM_400000_NS6detail17trampoline_kernelINS0_14default_configENS1_38merge_sort_block_merge_config_selectorIiiEEZZNS1_27merge_sort_block_merge_implIS3_N6thrust23THRUST_200600_302600_NS6detail15normal_iteratorINS8_10device_ptrIiEEEESD_jNS1_19radix_merge_compareILb1ELb1EiNS0_19identity_decomposerEEEEE10hipError_tT0_T1_T2_jT3_P12ihipStream_tbPNSt15iterator_traitsISI_E10value_typeEPNSO_ISJ_E10value_typeEPSK_NS1_7vsmem_tEENKUlT_SI_SJ_SK_E_clIPiSD_S10_SD_EESH_SX_SI_SJ_SK_EUlSX_E_NS1_11comp_targetILNS1_3genE5ELNS1_11target_archE942ELNS1_3gpuE9ELNS1_3repE0EEENS1_48merge_mergepath_partition_config_static_selectorELNS0_4arch9wavefront6targetE0EEEvSJ_,comdat
	.protected	_ZN7rocprim17ROCPRIM_400000_NS6detail17trampoline_kernelINS0_14default_configENS1_38merge_sort_block_merge_config_selectorIiiEEZZNS1_27merge_sort_block_merge_implIS3_N6thrust23THRUST_200600_302600_NS6detail15normal_iteratorINS8_10device_ptrIiEEEESD_jNS1_19radix_merge_compareILb1ELb1EiNS0_19identity_decomposerEEEEE10hipError_tT0_T1_T2_jT3_P12ihipStream_tbPNSt15iterator_traitsISI_E10value_typeEPNSO_ISJ_E10value_typeEPSK_NS1_7vsmem_tEENKUlT_SI_SJ_SK_E_clIPiSD_S10_SD_EESH_SX_SI_SJ_SK_EUlSX_E_NS1_11comp_targetILNS1_3genE5ELNS1_11target_archE942ELNS1_3gpuE9ELNS1_3repE0EEENS1_48merge_mergepath_partition_config_static_selectorELNS0_4arch9wavefront6targetE0EEEvSJ_ ; -- Begin function _ZN7rocprim17ROCPRIM_400000_NS6detail17trampoline_kernelINS0_14default_configENS1_38merge_sort_block_merge_config_selectorIiiEEZZNS1_27merge_sort_block_merge_implIS3_N6thrust23THRUST_200600_302600_NS6detail15normal_iteratorINS8_10device_ptrIiEEEESD_jNS1_19radix_merge_compareILb1ELb1EiNS0_19identity_decomposerEEEEE10hipError_tT0_T1_T2_jT3_P12ihipStream_tbPNSt15iterator_traitsISI_E10value_typeEPNSO_ISJ_E10value_typeEPSK_NS1_7vsmem_tEENKUlT_SI_SJ_SK_E_clIPiSD_S10_SD_EESH_SX_SI_SJ_SK_EUlSX_E_NS1_11comp_targetILNS1_3genE5ELNS1_11target_archE942ELNS1_3gpuE9ELNS1_3repE0EEENS1_48merge_mergepath_partition_config_static_selectorELNS0_4arch9wavefront6targetE0EEEvSJ_
	.globl	_ZN7rocprim17ROCPRIM_400000_NS6detail17trampoline_kernelINS0_14default_configENS1_38merge_sort_block_merge_config_selectorIiiEEZZNS1_27merge_sort_block_merge_implIS3_N6thrust23THRUST_200600_302600_NS6detail15normal_iteratorINS8_10device_ptrIiEEEESD_jNS1_19radix_merge_compareILb1ELb1EiNS0_19identity_decomposerEEEEE10hipError_tT0_T1_T2_jT3_P12ihipStream_tbPNSt15iterator_traitsISI_E10value_typeEPNSO_ISJ_E10value_typeEPSK_NS1_7vsmem_tEENKUlT_SI_SJ_SK_E_clIPiSD_S10_SD_EESH_SX_SI_SJ_SK_EUlSX_E_NS1_11comp_targetILNS1_3genE5ELNS1_11target_archE942ELNS1_3gpuE9ELNS1_3repE0EEENS1_48merge_mergepath_partition_config_static_selectorELNS0_4arch9wavefront6targetE0EEEvSJ_
	.p2align	8
	.type	_ZN7rocprim17ROCPRIM_400000_NS6detail17trampoline_kernelINS0_14default_configENS1_38merge_sort_block_merge_config_selectorIiiEEZZNS1_27merge_sort_block_merge_implIS3_N6thrust23THRUST_200600_302600_NS6detail15normal_iteratorINS8_10device_ptrIiEEEESD_jNS1_19radix_merge_compareILb1ELb1EiNS0_19identity_decomposerEEEEE10hipError_tT0_T1_T2_jT3_P12ihipStream_tbPNSt15iterator_traitsISI_E10value_typeEPNSO_ISJ_E10value_typeEPSK_NS1_7vsmem_tEENKUlT_SI_SJ_SK_E_clIPiSD_S10_SD_EESH_SX_SI_SJ_SK_EUlSX_E_NS1_11comp_targetILNS1_3genE5ELNS1_11target_archE942ELNS1_3gpuE9ELNS1_3repE0EEENS1_48merge_mergepath_partition_config_static_selectorELNS0_4arch9wavefront6targetE0EEEvSJ_,@function
_ZN7rocprim17ROCPRIM_400000_NS6detail17trampoline_kernelINS0_14default_configENS1_38merge_sort_block_merge_config_selectorIiiEEZZNS1_27merge_sort_block_merge_implIS3_N6thrust23THRUST_200600_302600_NS6detail15normal_iteratorINS8_10device_ptrIiEEEESD_jNS1_19radix_merge_compareILb1ELb1EiNS0_19identity_decomposerEEEEE10hipError_tT0_T1_T2_jT3_P12ihipStream_tbPNSt15iterator_traitsISI_E10value_typeEPNSO_ISJ_E10value_typeEPSK_NS1_7vsmem_tEENKUlT_SI_SJ_SK_E_clIPiSD_S10_SD_EESH_SX_SI_SJ_SK_EUlSX_E_NS1_11comp_targetILNS1_3genE5ELNS1_11target_archE942ELNS1_3gpuE9ELNS1_3repE0EEENS1_48merge_mergepath_partition_config_static_selectorELNS0_4arch9wavefront6targetE0EEEvSJ_: ; @_ZN7rocprim17ROCPRIM_400000_NS6detail17trampoline_kernelINS0_14default_configENS1_38merge_sort_block_merge_config_selectorIiiEEZZNS1_27merge_sort_block_merge_implIS3_N6thrust23THRUST_200600_302600_NS6detail15normal_iteratorINS8_10device_ptrIiEEEESD_jNS1_19radix_merge_compareILb1ELb1EiNS0_19identity_decomposerEEEEE10hipError_tT0_T1_T2_jT3_P12ihipStream_tbPNSt15iterator_traitsISI_E10value_typeEPNSO_ISJ_E10value_typeEPSK_NS1_7vsmem_tEENKUlT_SI_SJ_SK_E_clIPiSD_S10_SD_EESH_SX_SI_SJ_SK_EUlSX_E_NS1_11comp_targetILNS1_3genE5ELNS1_11target_archE942ELNS1_3gpuE9ELNS1_3repE0EEENS1_48merge_mergepath_partition_config_static_selectorELNS0_4arch9wavefront6targetE0EEEvSJ_
; %bb.0:
	.section	.rodata,"a",@progbits
	.p2align	6, 0x0
	.amdhsa_kernel _ZN7rocprim17ROCPRIM_400000_NS6detail17trampoline_kernelINS0_14default_configENS1_38merge_sort_block_merge_config_selectorIiiEEZZNS1_27merge_sort_block_merge_implIS3_N6thrust23THRUST_200600_302600_NS6detail15normal_iteratorINS8_10device_ptrIiEEEESD_jNS1_19radix_merge_compareILb1ELb1EiNS0_19identity_decomposerEEEEE10hipError_tT0_T1_T2_jT3_P12ihipStream_tbPNSt15iterator_traitsISI_E10value_typeEPNSO_ISJ_E10value_typeEPSK_NS1_7vsmem_tEENKUlT_SI_SJ_SK_E_clIPiSD_S10_SD_EESH_SX_SI_SJ_SK_EUlSX_E_NS1_11comp_targetILNS1_3genE5ELNS1_11target_archE942ELNS1_3gpuE9ELNS1_3repE0EEENS1_48merge_mergepath_partition_config_static_selectorELNS0_4arch9wavefront6targetE0EEEvSJ_
		.amdhsa_group_segment_fixed_size 0
		.amdhsa_private_segment_fixed_size 0
		.amdhsa_kernarg_size 40
		.amdhsa_user_sgpr_count 6
		.amdhsa_user_sgpr_private_segment_buffer 1
		.amdhsa_user_sgpr_dispatch_ptr 0
		.amdhsa_user_sgpr_queue_ptr 0
		.amdhsa_user_sgpr_kernarg_segment_ptr 1
		.amdhsa_user_sgpr_dispatch_id 0
		.amdhsa_user_sgpr_flat_scratch_init 0
		.amdhsa_user_sgpr_private_segment_size 0
		.amdhsa_wavefront_size32 1
		.amdhsa_uses_dynamic_stack 0
		.amdhsa_system_sgpr_private_segment_wavefront_offset 0
		.amdhsa_system_sgpr_workgroup_id_x 1
		.amdhsa_system_sgpr_workgroup_id_y 0
		.amdhsa_system_sgpr_workgroup_id_z 0
		.amdhsa_system_sgpr_workgroup_info 0
		.amdhsa_system_vgpr_workitem_id 0
		.amdhsa_next_free_vgpr 1
		.amdhsa_next_free_sgpr 1
		.amdhsa_reserve_vcc 0
		.amdhsa_reserve_flat_scratch 0
		.amdhsa_float_round_mode_32 0
		.amdhsa_float_round_mode_16_64 0
		.amdhsa_float_denorm_mode_32 3
		.amdhsa_float_denorm_mode_16_64 3
		.amdhsa_dx10_clamp 1
		.amdhsa_ieee_mode 1
		.amdhsa_fp16_overflow 0
		.amdhsa_workgroup_processor_mode 1
		.amdhsa_memory_ordered 1
		.amdhsa_forward_progress 1
		.amdhsa_shared_vgpr_count 0
		.amdhsa_exception_fp_ieee_invalid_op 0
		.amdhsa_exception_fp_denorm_src 0
		.amdhsa_exception_fp_ieee_div_zero 0
		.amdhsa_exception_fp_ieee_overflow 0
		.amdhsa_exception_fp_ieee_underflow 0
		.amdhsa_exception_fp_ieee_inexact 0
		.amdhsa_exception_int_div_zero 0
	.end_amdhsa_kernel
	.section	.text._ZN7rocprim17ROCPRIM_400000_NS6detail17trampoline_kernelINS0_14default_configENS1_38merge_sort_block_merge_config_selectorIiiEEZZNS1_27merge_sort_block_merge_implIS3_N6thrust23THRUST_200600_302600_NS6detail15normal_iteratorINS8_10device_ptrIiEEEESD_jNS1_19radix_merge_compareILb1ELb1EiNS0_19identity_decomposerEEEEE10hipError_tT0_T1_T2_jT3_P12ihipStream_tbPNSt15iterator_traitsISI_E10value_typeEPNSO_ISJ_E10value_typeEPSK_NS1_7vsmem_tEENKUlT_SI_SJ_SK_E_clIPiSD_S10_SD_EESH_SX_SI_SJ_SK_EUlSX_E_NS1_11comp_targetILNS1_3genE5ELNS1_11target_archE942ELNS1_3gpuE9ELNS1_3repE0EEENS1_48merge_mergepath_partition_config_static_selectorELNS0_4arch9wavefront6targetE0EEEvSJ_,"axG",@progbits,_ZN7rocprim17ROCPRIM_400000_NS6detail17trampoline_kernelINS0_14default_configENS1_38merge_sort_block_merge_config_selectorIiiEEZZNS1_27merge_sort_block_merge_implIS3_N6thrust23THRUST_200600_302600_NS6detail15normal_iteratorINS8_10device_ptrIiEEEESD_jNS1_19radix_merge_compareILb1ELb1EiNS0_19identity_decomposerEEEEE10hipError_tT0_T1_T2_jT3_P12ihipStream_tbPNSt15iterator_traitsISI_E10value_typeEPNSO_ISJ_E10value_typeEPSK_NS1_7vsmem_tEENKUlT_SI_SJ_SK_E_clIPiSD_S10_SD_EESH_SX_SI_SJ_SK_EUlSX_E_NS1_11comp_targetILNS1_3genE5ELNS1_11target_archE942ELNS1_3gpuE9ELNS1_3repE0EEENS1_48merge_mergepath_partition_config_static_selectorELNS0_4arch9wavefront6targetE0EEEvSJ_,comdat
.Lfunc_end935:
	.size	_ZN7rocprim17ROCPRIM_400000_NS6detail17trampoline_kernelINS0_14default_configENS1_38merge_sort_block_merge_config_selectorIiiEEZZNS1_27merge_sort_block_merge_implIS3_N6thrust23THRUST_200600_302600_NS6detail15normal_iteratorINS8_10device_ptrIiEEEESD_jNS1_19radix_merge_compareILb1ELb1EiNS0_19identity_decomposerEEEEE10hipError_tT0_T1_T2_jT3_P12ihipStream_tbPNSt15iterator_traitsISI_E10value_typeEPNSO_ISJ_E10value_typeEPSK_NS1_7vsmem_tEENKUlT_SI_SJ_SK_E_clIPiSD_S10_SD_EESH_SX_SI_SJ_SK_EUlSX_E_NS1_11comp_targetILNS1_3genE5ELNS1_11target_archE942ELNS1_3gpuE9ELNS1_3repE0EEENS1_48merge_mergepath_partition_config_static_selectorELNS0_4arch9wavefront6targetE0EEEvSJ_, .Lfunc_end935-_ZN7rocprim17ROCPRIM_400000_NS6detail17trampoline_kernelINS0_14default_configENS1_38merge_sort_block_merge_config_selectorIiiEEZZNS1_27merge_sort_block_merge_implIS3_N6thrust23THRUST_200600_302600_NS6detail15normal_iteratorINS8_10device_ptrIiEEEESD_jNS1_19radix_merge_compareILb1ELb1EiNS0_19identity_decomposerEEEEE10hipError_tT0_T1_T2_jT3_P12ihipStream_tbPNSt15iterator_traitsISI_E10value_typeEPNSO_ISJ_E10value_typeEPSK_NS1_7vsmem_tEENKUlT_SI_SJ_SK_E_clIPiSD_S10_SD_EESH_SX_SI_SJ_SK_EUlSX_E_NS1_11comp_targetILNS1_3genE5ELNS1_11target_archE942ELNS1_3gpuE9ELNS1_3repE0EEENS1_48merge_mergepath_partition_config_static_selectorELNS0_4arch9wavefront6targetE0EEEvSJ_
                                        ; -- End function
	.set _ZN7rocprim17ROCPRIM_400000_NS6detail17trampoline_kernelINS0_14default_configENS1_38merge_sort_block_merge_config_selectorIiiEEZZNS1_27merge_sort_block_merge_implIS3_N6thrust23THRUST_200600_302600_NS6detail15normal_iteratorINS8_10device_ptrIiEEEESD_jNS1_19radix_merge_compareILb1ELb1EiNS0_19identity_decomposerEEEEE10hipError_tT0_T1_T2_jT3_P12ihipStream_tbPNSt15iterator_traitsISI_E10value_typeEPNSO_ISJ_E10value_typeEPSK_NS1_7vsmem_tEENKUlT_SI_SJ_SK_E_clIPiSD_S10_SD_EESH_SX_SI_SJ_SK_EUlSX_E_NS1_11comp_targetILNS1_3genE5ELNS1_11target_archE942ELNS1_3gpuE9ELNS1_3repE0EEENS1_48merge_mergepath_partition_config_static_selectorELNS0_4arch9wavefront6targetE0EEEvSJ_.num_vgpr, 0
	.set _ZN7rocprim17ROCPRIM_400000_NS6detail17trampoline_kernelINS0_14default_configENS1_38merge_sort_block_merge_config_selectorIiiEEZZNS1_27merge_sort_block_merge_implIS3_N6thrust23THRUST_200600_302600_NS6detail15normal_iteratorINS8_10device_ptrIiEEEESD_jNS1_19radix_merge_compareILb1ELb1EiNS0_19identity_decomposerEEEEE10hipError_tT0_T1_T2_jT3_P12ihipStream_tbPNSt15iterator_traitsISI_E10value_typeEPNSO_ISJ_E10value_typeEPSK_NS1_7vsmem_tEENKUlT_SI_SJ_SK_E_clIPiSD_S10_SD_EESH_SX_SI_SJ_SK_EUlSX_E_NS1_11comp_targetILNS1_3genE5ELNS1_11target_archE942ELNS1_3gpuE9ELNS1_3repE0EEENS1_48merge_mergepath_partition_config_static_selectorELNS0_4arch9wavefront6targetE0EEEvSJ_.num_agpr, 0
	.set _ZN7rocprim17ROCPRIM_400000_NS6detail17trampoline_kernelINS0_14default_configENS1_38merge_sort_block_merge_config_selectorIiiEEZZNS1_27merge_sort_block_merge_implIS3_N6thrust23THRUST_200600_302600_NS6detail15normal_iteratorINS8_10device_ptrIiEEEESD_jNS1_19radix_merge_compareILb1ELb1EiNS0_19identity_decomposerEEEEE10hipError_tT0_T1_T2_jT3_P12ihipStream_tbPNSt15iterator_traitsISI_E10value_typeEPNSO_ISJ_E10value_typeEPSK_NS1_7vsmem_tEENKUlT_SI_SJ_SK_E_clIPiSD_S10_SD_EESH_SX_SI_SJ_SK_EUlSX_E_NS1_11comp_targetILNS1_3genE5ELNS1_11target_archE942ELNS1_3gpuE9ELNS1_3repE0EEENS1_48merge_mergepath_partition_config_static_selectorELNS0_4arch9wavefront6targetE0EEEvSJ_.numbered_sgpr, 0
	.set _ZN7rocprim17ROCPRIM_400000_NS6detail17trampoline_kernelINS0_14default_configENS1_38merge_sort_block_merge_config_selectorIiiEEZZNS1_27merge_sort_block_merge_implIS3_N6thrust23THRUST_200600_302600_NS6detail15normal_iteratorINS8_10device_ptrIiEEEESD_jNS1_19radix_merge_compareILb1ELb1EiNS0_19identity_decomposerEEEEE10hipError_tT0_T1_T2_jT3_P12ihipStream_tbPNSt15iterator_traitsISI_E10value_typeEPNSO_ISJ_E10value_typeEPSK_NS1_7vsmem_tEENKUlT_SI_SJ_SK_E_clIPiSD_S10_SD_EESH_SX_SI_SJ_SK_EUlSX_E_NS1_11comp_targetILNS1_3genE5ELNS1_11target_archE942ELNS1_3gpuE9ELNS1_3repE0EEENS1_48merge_mergepath_partition_config_static_selectorELNS0_4arch9wavefront6targetE0EEEvSJ_.num_named_barrier, 0
	.set _ZN7rocprim17ROCPRIM_400000_NS6detail17trampoline_kernelINS0_14default_configENS1_38merge_sort_block_merge_config_selectorIiiEEZZNS1_27merge_sort_block_merge_implIS3_N6thrust23THRUST_200600_302600_NS6detail15normal_iteratorINS8_10device_ptrIiEEEESD_jNS1_19radix_merge_compareILb1ELb1EiNS0_19identity_decomposerEEEEE10hipError_tT0_T1_T2_jT3_P12ihipStream_tbPNSt15iterator_traitsISI_E10value_typeEPNSO_ISJ_E10value_typeEPSK_NS1_7vsmem_tEENKUlT_SI_SJ_SK_E_clIPiSD_S10_SD_EESH_SX_SI_SJ_SK_EUlSX_E_NS1_11comp_targetILNS1_3genE5ELNS1_11target_archE942ELNS1_3gpuE9ELNS1_3repE0EEENS1_48merge_mergepath_partition_config_static_selectorELNS0_4arch9wavefront6targetE0EEEvSJ_.private_seg_size, 0
	.set _ZN7rocprim17ROCPRIM_400000_NS6detail17trampoline_kernelINS0_14default_configENS1_38merge_sort_block_merge_config_selectorIiiEEZZNS1_27merge_sort_block_merge_implIS3_N6thrust23THRUST_200600_302600_NS6detail15normal_iteratorINS8_10device_ptrIiEEEESD_jNS1_19radix_merge_compareILb1ELb1EiNS0_19identity_decomposerEEEEE10hipError_tT0_T1_T2_jT3_P12ihipStream_tbPNSt15iterator_traitsISI_E10value_typeEPNSO_ISJ_E10value_typeEPSK_NS1_7vsmem_tEENKUlT_SI_SJ_SK_E_clIPiSD_S10_SD_EESH_SX_SI_SJ_SK_EUlSX_E_NS1_11comp_targetILNS1_3genE5ELNS1_11target_archE942ELNS1_3gpuE9ELNS1_3repE0EEENS1_48merge_mergepath_partition_config_static_selectorELNS0_4arch9wavefront6targetE0EEEvSJ_.uses_vcc, 0
	.set _ZN7rocprim17ROCPRIM_400000_NS6detail17trampoline_kernelINS0_14default_configENS1_38merge_sort_block_merge_config_selectorIiiEEZZNS1_27merge_sort_block_merge_implIS3_N6thrust23THRUST_200600_302600_NS6detail15normal_iteratorINS8_10device_ptrIiEEEESD_jNS1_19radix_merge_compareILb1ELb1EiNS0_19identity_decomposerEEEEE10hipError_tT0_T1_T2_jT3_P12ihipStream_tbPNSt15iterator_traitsISI_E10value_typeEPNSO_ISJ_E10value_typeEPSK_NS1_7vsmem_tEENKUlT_SI_SJ_SK_E_clIPiSD_S10_SD_EESH_SX_SI_SJ_SK_EUlSX_E_NS1_11comp_targetILNS1_3genE5ELNS1_11target_archE942ELNS1_3gpuE9ELNS1_3repE0EEENS1_48merge_mergepath_partition_config_static_selectorELNS0_4arch9wavefront6targetE0EEEvSJ_.uses_flat_scratch, 0
	.set _ZN7rocprim17ROCPRIM_400000_NS6detail17trampoline_kernelINS0_14default_configENS1_38merge_sort_block_merge_config_selectorIiiEEZZNS1_27merge_sort_block_merge_implIS3_N6thrust23THRUST_200600_302600_NS6detail15normal_iteratorINS8_10device_ptrIiEEEESD_jNS1_19radix_merge_compareILb1ELb1EiNS0_19identity_decomposerEEEEE10hipError_tT0_T1_T2_jT3_P12ihipStream_tbPNSt15iterator_traitsISI_E10value_typeEPNSO_ISJ_E10value_typeEPSK_NS1_7vsmem_tEENKUlT_SI_SJ_SK_E_clIPiSD_S10_SD_EESH_SX_SI_SJ_SK_EUlSX_E_NS1_11comp_targetILNS1_3genE5ELNS1_11target_archE942ELNS1_3gpuE9ELNS1_3repE0EEENS1_48merge_mergepath_partition_config_static_selectorELNS0_4arch9wavefront6targetE0EEEvSJ_.has_dyn_sized_stack, 0
	.set _ZN7rocprim17ROCPRIM_400000_NS6detail17trampoline_kernelINS0_14default_configENS1_38merge_sort_block_merge_config_selectorIiiEEZZNS1_27merge_sort_block_merge_implIS3_N6thrust23THRUST_200600_302600_NS6detail15normal_iteratorINS8_10device_ptrIiEEEESD_jNS1_19radix_merge_compareILb1ELb1EiNS0_19identity_decomposerEEEEE10hipError_tT0_T1_T2_jT3_P12ihipStream_tbPNSt15iterator_traitsISI_E10value_typeEPNSO_ISJ_E10value_typeEPSK_NS1_7vsmem_tEENKUlT_SI_SJ_SK_E_clIPiSD_S10_SD_EESH_SX_SI_SJ_SK_EUlSX_E_NS1_11comp_targetILNS1_3genE5ELNS1_11target_archE942ELNS1_3gpuE9ELNS1_3repE0EEENS1_48merge_mergepath_partition_config_static_selectorELNS0_4arch9wavefront6targetE0EEEvSJ_.has_recursion, 0
	.set _ZN7rocprim17ROCPRIM_400000_NS6detail17trampoline_kernelINS0_14default_configENS1_38merge_sort_block_merge_config_selectorIiiEEZZNS1_27merge_sort_block_merge_implIS3_N6thrust23THRUST_200600_302600_NS6detail15normal_iteratorINS8_10device_ptrIiEEEESD_jNS1_19radix_merge_compareILb1ELb1EiNS0_19identity_decomposerEEEEE10hipError_tT0_T1_T2_jT3_P12ihipStream_tbPNSt15iterator_traitsISI_E10value_typeEPNSO_ISJ_E10value_typeEPSK_NS1_7vsmem_tEENKUlT_SI_SJ_SK_E_clIPiSD_S10_SD_EESH_SX_SI_SJ_SK_EUlSX_E_NS1_11comp_targetILNS1_3genE5ELNS1_11target_archE942ELNS1_3gpuE9ELNS1_3repE0EEENS1_48merge_mergepath_partition_config_static_selectorELNS0_4arch9wavefront6targetE0EEEvSJ_.has_indirect_call, 0
	.section	.AMDGPU.csdata,"",@progbits
; Kernel info:
; codeLenInByte = 0
; TotalNumSgprs: 0
; NumVgprs: 0
; ScratchSize: 0
; MemoryBound: 0
; FloatMode: 240
; IeeeMode: 1
; LDSByteSize: 0 bytes/workgroup (compile time only)
; SGPRBlocks: 0
; VGPRBlocks: 0
; NumSGPRsForWavesPerEU: 1
; NumVGPRsForWavesPerEU: 1
; Occupancy: 16
; WaveLimiterHint : 0
; COMPUTE_PGM_RSRC2:SCRATCH_EN: 0
; COMPUTE_PGM_RSRC2:USER_SGPR: 6
; COMPUTE_PGM_RSRC2:TRAP_HANDLER: 0
; COMPUTE_PGM_RSRC2:TGID_X_EN: 1
; COMPUTE_PGM_RSRC2:TGID_Y_EN: 0
; COMPUTE_PGM_RSRC2:TGID_Z_EN: 0
; COMPUTE_PGM_RSRC2:TIDIG_COMP_CNT: 0
	.section	.text._ZN7rocprim17ROCPRIM_400000_NS6detail17trampoline_kernelINS0_14default_configENS1_38merge_sort_block_merge_config_selectorIiiEEZZNS1_27merge_sort_block_merge_implIS3_N6thrust23THRUST_200600_302600_NS6detail15normal_iteratorINS8_10device_ptrIiEEEESD_jNS1_19radix_merge_compareILb1ELb1EiNS0_19identity_decomposerEEEEE10hipError_tT0_T1_T2_jT3_P12ihipStream_tbPNSt15iterator_traitsISI_E10value_typeEPNSO_ISJ_E10value_typeEPSK_NS1_7vsmem_tEENKUlT_SI_SJ_SK_E_clIPiSD_S10_SD_EESH_SX_SI_SJ_SK_EUlSX_E_NS1_11comp_targetILNS1_3genE4ELNS1_11target_archE910ELNS1_3gpuE8ELNS1_3repE0EEENS1_48merge_mergepath_partition_config_static_selectorELNS0_4arch9wavefront6targetE0EEEvSJ_,"axG",@progbits,_ZN7rocprim17ROCPRIM_400000_NS6detail17trampoline_kernelINS0_14default_configENS1_38merge_sort_block_merge_config_selectorIiiEEZZNS1_27merge_sort_block_merge_implIS3_N6thrust23THRUST_200600_302600_NS6detail15normal_iteratorINS8_10device_ptrIiEEEESD_jNS1_19radix_merge_compareILb1ELb1EiNS0_19identity_decomposerEEEEE10hipError_tT0_T1_T2_jT3_P12ihipStream_tbPNSt15iterator_traitsISI_E10value_typeEPNSO_ISJ_E10value_typeEPSK_NS1_7vsmem_tEENKUlT_SI_SJ_SK_E_clIPiSD_S10_SD_EESH_SX_SI_SJ_SK_EUlSX_E_NS1_11comp_targetILNS1_3genE4ELNS1_11target_archE910ELNS1_3gpuE8ELNS1_3repE0EEENS1_48merge_mergepath_partition_config_static_selectorELNS0_4arch9wavefront6targetE0EEEvSJ_,comdat
	.protected	_ZN7rocprim17ROCPRIM_400000_NS6detail17trampoline_kernelINS0_14default_configENS1_38merge_sort_block_merge_config_selectorIiiEEZZNS1_27merge_sort_block_merge_implIS3_N6thrust23THRUST_200600_302600_NS6detail15normal_iteratorINS8_10device_ptrIiEEEESD_jNS1_19radix_merge_compareILb1ELb1EiNS0_19identity_decomposerEEEEE10hipError_tT0_T1_T2_jT3_P12ihipStream_tbPNSt15iterator_traitsISI_E10value_typeEPNSO_ISJ_E10value_typeEPSK_NS1_7vsmem_tEENKUlT_SI_SJ_SK_E_clIPiSD_S10_SD_EESH_SX_SI_SJ_SK_EUlSX_E_NS1_11comp_targetILNS1_3genE4ELNS1_11target_archE910ELNS1_3gpuE8ELNS1_3repE0EEENS1_48merge_mergepath_partition_config_static_selectorELNS0_4arch9wavefront6targetE0EEEvSJ_ ; -- Begin function _ZN7rocprim17ROCPRIM_400000_NS6detail17trampoline_kernelINS0_14default_configENS1_38merge_sort_block_merge_config_selectorIiiEEZZNS1_27merge_sort_block_merge_implIS3_N6thrust23THRUST_200600_302600_NS6detail15normal_iteratorINS8_10device_ptrIiEEEESD_jNS1_19radix_merge_compareILb1ELb1EiNS0_19identity_decomposerEEEEE10hipError_tT0_T1_T2_jT3_P12ihipStream_tbPNSt15iterator_traitsISI_E10value_typeEPNSO_ISJ_E10value_typeEPSK_NS1_7vsmem_tEENKUlT_SI_SJ_SK_E_clIPiSD_S10_SD_EESH_SX_SI_SJ_SK_EUlSX_E_NS1_11comp_targetILNS1_3genE4ELNS1_11target_archE910ELNS1_3gpuE8ELNS1_3repE0EEENS1_48merge_mergepath_partition_config_static_selectorELNS0_4arch9wavefront6targetE0EEEvSJ_
	.globl	_ZN7rocprim17ROCPRIM_400000_NS6detail17trampoline_kernelINS0_14default_configENS1_38merge_sort_block_merge_config_selectorIiiEEZZNS1_27merge_sort_block_merge_implIS3_N6thrust23THRUST_200600_302600_NS6detail15normal_iteratorINS8_10device_ptrIiEEEESD_jNS1_19radix_merge_compareILb1ELb1EiNS0_19identity_decomposerEEEEE10hipError_tT0_T1_T2_jT3_P12ihipStream_tbPNSt15iterator_traitsISI_E10value_typeEPNSO_ISJ_E10value_typeEPSK_NS1_7vsmem_tEENKUlT_SI_SJ_SK_E_clIPiSD_S10_SD_EESH_SX_SI_SJ_SK_EUlSX_E_NS1_11comp_targetILNS1_3genE4ELNS1_11target_archE910ELNS1_3gpuE8ELNS1_3repE0EEENS1_48merge_mergepath_partition_config_static_selectorELNS0_4arch9wavefront6targetE0EEEvSJ_
	.p2align	8
	.type	_ZN7rocprim17ROCPRIM_400000_NS6detail17trampoline_kernelINS0_14default_configENS1_38merge_sort_block_merge_config_selectorIiiEEZZNS1_27merge_sort_block_merge_implIS3_N6thrust23THRUST_200600_302600_NS6detail15normal_iteratorINS8_10device_ptrIiEEEESD_jNS1_19radix_merge_compareILb1ELb1EiNS0_19identity_decomposerEEEEE10hipError_tT0_T1_T2_jT3_P12ihipStream_tbPNSt15iterator_traitsISI_E10value_typeEPNSO_ISJ_E10value_typeEPSK_NS1_7vsmem_tEENKUlT_SI_SJ_SK_E_clIPiSD_S10_SD_EESH_SX_SI_SJ_SK_EUlSX_E_NS1_11comp_targetILNS1_3genE4ELNS1_11target_archE910ELNS1_3gpuE8ELNS1_3repE0EEENS1_48merge_mergepath_partition_config_static_selectorELNS0_4arch9wavefront6targetE0EEEvSJ_,@function
_ZN7rocprim17ROCPRIM_400000_NS6detail17trampoline_kernelINS0_14default_configENS1_38merge_sort_block_merge_config_selectorIiiEEZZNS1_27merge_sort_block_merge_implIS3_N6thrust23THRUST_200600_302600_NS6detail15normal_iteratorINS8_10device_ptrIiEEEESD_jNS1_19radix_merge_compareILb1ELb1EiNS0_19identity_decomposerEEEEE10hipError_tT0_T1_T2_jT3_P12ihipStream_tbPNSt15iterator_traitsISI_E10value_typeEPNSO_ISJ_E10value_typeEPSK_NS1_7vsmem_tEENKUlT_SI_SJ_SK_E_clIPiSD_S10_SD_EESH_SX_SI_SJ_SK_EUlSX_E_NS1_11comp_targetILNS1_3genE4ELNS1_11target_archE910ELNS1_3gpuE8ELNS1_3repE0EEENS1_48merge_mergepath_partition_config_static_selectorELNS0_4arch9wavefront6targetE0EEEvSJ_: ; @_ZN7rocprim17ROCPRIM_400000_NS6detail17trampoline_kernelINS0_14default_configENS1_38merge_sort_block_merge_config_selectorIiiEEZZNS1_27merge_sort_block_merge_implIS3_N6thrust23THRUST_200600_302600_NS6detail15normal_iteratorINS8_10device_ptrIiEEEESD_jNS1_19radix_merge_compareILb1ELb1EiNS0_19identity_decomposerEEEEE10hipError_tT0_T1_T2_jT3_P12ihipStream_tbPNSt15iterator_traitsISI_E10value_typeEPNSO_ISJ_E10value_typeEPSK_NS1_7vsmem_tEENKUlT_SI_SJ_SK_E_clIPiSD_S10_SD_EESH_SX_SI_SJ_SK_EUlSX_E_NS1_11comp_targetILNS1_3genE4ELNS1_11target_archE910ELNS1_3gpuE8ELNS1_3repE0EEENS1_48merge_mergepath_partition_config_static_selectorELNS0_4arch9wavefront6targetE0EEEvSJ_
; %bb.0:
	.section	.rodata,"a",@progbits
	.p2align	6, 0x0
	.amdhsa_kernel _ZN7rocprim17ROCPRIM_400000_NS6detail17trampoline_kernelINS0_14default_configENS1_38merge_sort_block_merge_config_selectorIiiEEZZNS1_27merge_sort_block_merge_implIS3_N6thrust23THRUST_200600_302600_NS6detail15normal_iteratorINS8_10device_ptrIiEEEESD_jNS1_19radix_merge_compareILb1ELb1EiNS0_19identity_decomposerEEEEE10hipError_tT0_T1_T2_jT3_P12ihipStream_tbPNSt15iterator_traitsISI_E10value_typeEPNSO_ISJ_E10value_typeEPSK_NS1_7vsmem_tEENKUlT_SI_SJ_SK_E_clIPiSD_S10_SD_EESH_SX_SI_SJ_SK_EUlSX_E_NS1_11comp_targetILNS1_3genE4ELNS1_11target_archE910ELNS1_3gpuE8ELNS1_3repE0EEENS1_48merge_mergepath_partition_config_static_selectorELNS0_4arch9wavefront6targetE0EEEvSJ_
		.amdhsa_group_segment_fixed_size 0
		.amdhsa_private_segment_fixed_size 0
		.amdhsa_kernarg_size 40
		.amdhsa_user_sgpr_count 6
		.amdhsa_user_sgpr_private_segment_buffer 1
		.amdhsa_user_sgpr_dispatch_ptr 0
		.amdhsa_user_sgpr_queue_ptr 0
		.amdhsa_user_sgpr_kernarg_segment_ptr 1
		.amdhsa_user_sgpr_dispatch_id 0
		.amdhsa_user_sgpr_flat_scratch_init 0
		.amdhsa_user_sgpr_private_segment_size 0
		.amdhsa_wavefront_size32 1
		.amdhsa_uses_dynamic_stack 0
		.amdhsa_system_sgpr_private_segment_wavefront_offset 0
		.amdhsa_system_sgpr_workgroup_id_x 1
		.amdhsa_system_sgpr_workgroup_id_y 0
		.amdhsa_system_sgpr_workgroup_id_z 0
		.amdhsa_system_sgpr_workgroup_info 0
		.amdhsa_system_vgpr_workitem_id 0
		.amdhsa_next_free_vgpr 1
		.amdhsa_next_free_sgpr 1
		.amdhsa_reserve_vcc 0
		.amdhsa_reserve_flat_scratch 0
		.amdhsa_float_round_mode_32 0
		.amdhsa_float_round_mode_16_64 0
		.amdhsa_float_denorm_mode_32 3
		.amdhsa_float_denorm_mode_16_64 3
		.amdhsa_dx10_clamp 1
		.amdhsa_ieee_mode 1
		.amdhsa_fp16_overflow 0
		.amdhsa_workgroup_processor_mode 1
		.amdhsa_memory_ordered 1
		.amdhsa_forward_progress 1
		.amdhsa_shared_vgpr_count 0
		.amdhsa_exception_fp_ieee_invalid_op 0
		.amdhsa_exception_fp_denorm_src 0
		.amdhsa_exception_fp_ieee_div_zero 0
		.amdhsa_exception_fp_ieee_overflow 0
		.amdhsa_exception_fp_ieee_underflow 0
		.amdhsa_exception_fp_ieee_inexact 0
		.amdhsa_exception_int_div_zero 0
	.end_amdhsa_kernel
	.section	.text._ZN7rocprim17ROCPRIM_400000_NS6detail17trampoline_kernelINS0_14default_configENS1_38merge_sort_block_merge_config_selectorIiiEEZZNS1_27merge_sort_block_merge_implIS3_N6thrust23THRUST_200600_302600_NS6detail15normal_iteratorINS8_10device_ptrIiEEEESD_jNS1_19radix_merge_compareILb1ELb1EiNS0_19identity_decomposerEEEEE10hipError_tT0_T1_T2_jT3_P12ihipStream_tbPNSt15iterator_traitsISI_E10value_typeEPNSO_ISJ_E10value_typeEPSK_NS1_7vsmem_tEENKUlT_SI_SJ_SK_E_clIPiSD_S10_SD_EESH_SX_SI_SJ_SK_EUlSX_E_NS1_11comp_targetILNS1_3genE4ELNS1_11target_archE910ELNS1_3gpuE8ELNS1_3repE0EEENS1_48merge_mergepath_partition_config_static_selectorELNS0_4arch9wavefront6targetE0EEEvSJ_,"axG",@progbits,_ZN7rocprim17ROCPRIM_400000_NS6detail17trampoline_kernelINS0_14default_configENS1_38merge_sort_block_merge_config_selectorIiiEEZZNS1_27merge_sort_block_merge_implIS3_N6thrust23THRUST_200600_302600_NS6detail15normal_iteratorINS8_10device_ptrIiEEEESD_jNS1_19radix_merge_compareILb1ELb1EiNS0_19identity_decomposerEEEEE10hipError_tT0_T1_T2_jT3_P12ihipStream_tbPNSt15iterator_traitsISI_E10value_typeEPNSO_ISJ_E10value_typeEPSK_NS1_7vsmem_tEENKUlT_SI_SJ_SK_E_clIPiSD_S10_SD_EESH_SX_SI_SJ_SK_EUlSX_E_NS1_11comp_targetILNS1_3genE4ELNS1_11target_archE910ELNS1_3gpuE8ELNS1_3repE0EEENS1_48merge_mergepath_partition_config_static_selectorELNS0_4arch9wavefront6targetE0EEEvSJ_,comdat
.Lfunc_end936:
	.size	_ZN7rocprim17ROCPRIM_400000_NS6detail17trampoline_kernelINS0_14default_configENS1_38merge_sort_block_merge_config_selectorIiiEEZZNS1_27merge_sort_block_merge_implIS3_N6thrust23THRUST_200600_302600_NS6detail15normal_iteratorINS8_10device_ptrIiEEEESD_jNS1_19radix_merge_compareILb1ELb1EiNS0_19identity_decomposerEEEEE10hipError_tT0_T1_T2_jT3_P12ihipStream_tbPNSt15iterator_traitsISI_E10value_typeEPNSO_ISJ_E10value_typeEPSK_NS1_7vsmem_tEENKUlT_SI_SJ_SK_E_clIPiSD_S10_SD_EESH_SX_SI_SJ_SK_EUlSX_E_NS1_11comp_targetILNS1_3genE4ELNS1_11target_archE910ELNS1_3gpuE8ELNS1_3repE0EEENS1_48merge_mergepath_partition_config_static_selectorELNS0_4arch9wavefront6targetE0EEEvSJ_, .Lfunc_end936-_ZN7rocprim17ROCPRIM_400000_NS6detail17trampoline_kernelINS0_14default_configENS1_38merge_sort_block_merge_config_selectorIiiEEZZNS1_27merge_sort_block_merge_implIS3_N6thrust23THRUST_200600_302600_NS6detail15normal_iteratorINS8_10device_ptrIiEEEESD_jNS1_19radix_merge_compareILb1ELb1EiNS0_19identity_decomposerEEEEE10hipError_tT0_T1_T2_jT3_P12ihipStream_tbPNSt15iterator_traitsISI_E10value_typeEPNSO_ISJ_E10value_typeEPSK_NS1_7vsmem_tEENKUlT_SI_SJ_SK_E_clIPiSD_S10_SD_EESH_SX_SI_SJ_SK_EUlSX_E_NS1_11comp_targetILNS1_3genE4ELNS1_11target_archE910ELNS1_3gpuE8ELNS1_3repE0EEENS1_48merge_mergepath_partition_config_static_selectorELNS0_4arch9wavefront6targetE0EEEvSJ_
                                        ; -- End function
	.set _ZN7rocprim17ROCPRIM_400000_NS6detail17trampoline_kernelINS0_14default_configENS1_38merge_sort_block_merge_config_selectorIiiEEZZNS1_27merge_sort_block_merge_implIS3_N6thrust23THRUST_200600_302600_NS6detail15normal_iteratorINS8_10device_ptrIiEEEESD_jNS1_19radix_merge_compareILb1ELb1EiNS0_19identity_decomposerEEEEE10hipError_tT0_T1_T2_jT3_P12ihipStream_tbPNSt15iterator_traitsISI_E10value_typeEPNSO_ISJ_E10value_typeEPSK_NS1_7vsmem_tEENKUlT_SI_SJ_SK_E_clIPiSD_S10_SD_EESH_SX_SI_SJ_SK_EUlSX_E_NS1_11comp_targetILNS1_3genE4ELNS1_11target_archE910ELNS1_3gpuE8ELNS1_3repE0EEENS1_48merge_mergepath_partition_config_static_selectorELNS0_4arch9wavefront6targetE0EEEvSJ_.num_vgpr, 0
	.set _ZN7rocprim17ROCPRIM_400000_NS6detail17trampoline_kernelINS0_14default_configENS1_38merge_sort_block_merge_config_selectorIiiEEZZNS1_27merge_sort_block_merge_implIS3_N6thrust23THRUST_200600_302600_NS6detail15normal_iteratorINS8_10device_ptrIiEEEESD_jNS1_19radix_merge_compareILb1ELb1EiNS0_19identity_decomposerEEEEE10hipError_tT0_T1_T2_jT3_P12ihipStream_tbPNSt15iterator_traitsISI_E10value_typeEPNSO_ISJ_E10value_typeEPSK_NS1_7vsmem_tEENKUlT_SI_SJ_SK_E_clIPiSD_S10_SD_EESH_SX_SI_SJ_SK_EUlSX_E_NS1_11comp_targetILNS1_3genE4ELNS1_11target_archE910ELNS1_3gpuE8ELNS1_3repE0EEENS1_48merge_mergepath_partition_config_static_selectorELNS0_4arch9wavefront6targetE0EEEvSJ_.num_agpr, 0
	.set _ZN7rocprim17ROCPRIM_400000_NS6detail17trampoline_kernelINS0_14default_configENS1_38merge_sort_block_merge_config_selectorIiiEEZZNS1_27merge_sort_block_merge_implIS3_N6thrust23THRUST_200600_302600_NS6detail15normal_iteratorINS8_10device_ptrIiEEEESD_jNS1_19radix_merge_compareILb1ELb1EiNS0_19identity_decomposerEEEEE10hipError_tT0_T1_T2_jT3_P12ihipStream_tbPNSt15iterator_traitsISI_E10value_typeEPNSO_ISJ_E10value_typeEPSK_NS1_7vsmem_tEENKUlT_SI_SJ_SK_E_clIPiSD_S10_SD_EESH_SX_SI_SJ_SK_EUlSX_E_NS1_11comp_targetILNS1_3genE4ELNS1_11target_archE910ELNS1_3gpuE8ELNS1_3repE0EEENS1_48merge_mergepath_partition_config_static_selectorELNS0_4arch9wavefront6targetE0EEEvSJ_.numbered_sgpr, 0
	.set _ZN7rocprim17ROCPRIM_400000_NS6detail17trampoline_kernelINS0_14default_configENS1_38merge_sort_block_merge_config_selectorIiiEEZZNS1_27merge_sort_block_merge_implIS3_N6thrust23THRUST_200600_302600_NS6detail15normal_iteratorINS8_10device_ptrIiEEEESD_jNS1_19radix_merge_compareILb1ELb1EiNS0_19identity_decomposerEEEEE10hipError_tT0_T1_T2_jT3_P12ihipStream_tbPNSt15iterator_traitsISI_E10value_typeEPNSO_ISJ_E10value_typeEPSK_NS1_7vsmem_tEENKUlT_SI_SJ_SK_E_clIPiSD_S10_SD_EESH_SX_SI_SJ_SK_EUlSX_E_NS1_11comp_targetILNS1_3genE4ELNS1_11target_archE910ELNS1_3gpuE8ELNS1_3repE0EEENS1_48merge_mergepath_partition_config_static_selectorELNS0_4arch9wavefront6targetE0EEEvSJ_.num_named_barrier, 0
	.set _ZN7rocprim17ROCPRIM_400000_NS6detail17trampoline_kernelINS0_14default_configENS1_38merge_sort_block_merge_config_selectorIiiEEZZNS1_27merge_sort_block_merge_implIS3_N6thrust23THRUST_200600_302600_NS6detail15normal_iteratorINS8_10device_ptrIiEEEESD_jNS1_19radix_merge_compareILb1ELb1EiNS0_19identity_decomposerEEEEE10hipError_tT0_T1_T2_jT3_P12ihipStream_tbPNSt15iterator_traitsISI_E10value_typeEPNSO_ISJ_E10value_typeEPSK_NS1_7vsmem_tEENKUlT_SI_SJ_SK_E_clIPiSD_S10_SD_EESH_SX_SI_SJ_SK_EUlSX_E_NS1_11comp_targetILNS1_3genE4ELNS1_11target_archE910ELNS1_3gpuE8ELNS1_3repE0EEENS1_48merge_mergepath_partition_config_static_selectorELNS0_4arch9wavefront6targetE0EEEvSJ_.private_seg_size, 0
	.set _ZN7rocprim17ROCPRIM_400000_NS6detail17trampoline_kernelINS0_14default_configENS1_38merge_sort_block_merge_config_selectorIiiEEZZNS1_27merge_sort_block_merge_implIS3_N6thrust23THRUST_200600_302600_NS6detail15normal_iteratorINS8_10device_ptrIiEEEESD_jNS1_19radix_merge_compareILb1ELb1EiNS0_19identity_decomposerEEEEE10hipError_tT0_T1_T2_jT3_P12ihipStream_tbPNSt15iterator_traitsISI_E10value_typeEPNSO_ISJ_E10value_typeEPSK_NS1_7vsmem_tEENKUlT_SI_SJ_SK_E_clIPiSD_S10_SD_EESH_SX_SI_SJ_SK_EUlSX_E_NS1_11comp_targetILNS1_3genE4ELNS1_11target_archE910ELNS1_3gpuE8ELNS1_3repE0EEENS1_48merge_mergepath_partition_config_static_selectorELNS0_4arch9wavefront6targetE0EEEvSJ_.uses_vcc, 0
	.set _ZN7rocprim17ROCPRIM_400000_NS6detail17trampoline_kernelINS0_14default_configENS1_38merge_sort_block_merge_config_selectorIiiEEZZNS1_27merge_sort_block_merge_implIS3_N6thrust23THRUST_200600_302600_NS6detail15normal_iteratorINS8_10device_ptrIiEEEESD_jNS1_19radix_merge_compareILb1ELb1EiNS0_19identity_decomposerEEEEE10hipError_tT0_T1_T2_jT3_P12ihipStream_tbPNSt15iterator_traitsISI_E10value_typeEPNSO_ISJ_E10value_typeEPSK_NS1_7vsmem_tEENKUlT_SI_SJ_SK_E_clIPiSD_S10_SD_EESH_SX_SI_SJ_SK_EUlSX_E_NS1_11comp_targetILNS1_3genE4ELNS1_11target_archE910ELNS1_3gpuE8ELNS1_3repE0EEENS1_48merge_mergepath_partition_config_static_selectorELNS0_4arch9wavefront6targetE0EEEvSJ_.uses_flat_scratch, 0
	.set _ZN7rocprim17ROCPRIM_400000_NS6detail17trampoline_kernelINS0_14default_configENS1_38merge_sort_block_merge_config_selectorIiiEEZZNS1_27merge_sort_block_merge_implIS3_N6thrust23THRUST_200600_302600_NS6detail15normal_iteratorINS8_10device_ptrIiEEEESD_jNS1_19radix_merge_compareILb1ELb1EiNS0_19identity_decomposerEEEEE10hipError_tT0_T1_T2_jT3_P12ihipStream_tbPNSt15iterator_traitsISI_E10value_typeEPNSO_ISJ_E10value_typeEPSK_NS1_7vsmem_tEENKUlT_SI_SJ_SK_E_clIPiSD_S10_SD_EESH_SX_SI_SJ_SK_EUlSX_E_NS1_11comp_targetILNS1_3genE4ELNS1_11target_archE910ELNS1_3gpuE8ELNS1_3repE0EEENS1_48merge_mergepath_partition_config_static_selectorELNS0_4arch9wavefront6targetE0EEEvSJ_.has_dyn_sized_stack, 0
	.set _ZN7rocprim17ROCPRIM_400000_NS6detail17trampoline_kernelINS0_14default_configENS1_38merge_sort_block_merge_config_selectorIiiEEZZNS1_27merge_sort_block_merge_implIS3_N6thrust23THRUST_200600_302600_NS6detail15normal_iteratorINS8_10device_ptrIiEEEESD_jNS1_19radix_merge_compareILb1ELb1EiNS0_19identity_decomposerEEEEE10hipError_tT0_T1_T2_jT3_P12ihipStream_tbPNSt15iterator_traitsISI_E10value_typeEPNSO_ISJ_E10value_typeEPSK_NS1_7vsmem_tEENKUlT_SI_SJ_SK_E_clIPiSD_S10_SD_EESH_SX_SI_SJ_SK_EUlSX_E_NS1_11comp_targetILNS1_3genE4ELNS1_11target_archE910ELNS1_3gpuE8ELNS1_3repE0EEENS1_48merge_mergepath_partition_config_static_selectorELNS0_4arch9wavefront6targetE0EEEvSJ_.has_recursion, 0
	.set _ZN7rocprim17ROCPRIM_400000_NS6detail17trampoline_kernelINS0_14default_configENS1_38merge_sort_block_merge_config_selectorIiiEEZZNS1_27merge_sort_block_merge_implIS3_N6thrust23THRUST_200600_302600_NS6detail15normal_iteratorINS8_10device_ptrIiEEEESD_jNS1_19radix_merge_compareILb1ELb1EiNS0_19identity_decomposerEEEEE10hipError_tT0_T1_T2_jT3_P12ihipStream_tbPNSt15iterator_traitsISI_E10value_typeEPNSO_ISJ_E10value_typeEPSK_NS1_7vsmem_tEENKUlT_SI_SJ_SK_E_clIPiSD_S10_SD_EESH_SX_SI_SJ_SK_EUlSX_E_NS1_11comp_targetILNS1_3genE4ELNS1_11target_archE910ELNS1_3gpuE8ELNS1_3repE0EEENS1_48merge_mergepath_partition_config_static_selectorELNS0_4arch9wavefront6targetE0EEEvSJ_.has_indirect_call, 0
	.section	.AMDGPU.csdata,"",@progbits
; Kernel info:
; codeLenInByte = 0
; TotalNumSgprs: 0
; NumVgprs: 0
; ScratchSize: 0
; MemoryBound: 0
; FloatMode: 240
; IeeeMode: 1
; LDSByteSize: 0 bytes/workgroup (compile time only)
; SGPRBlocks: 0
; VGPRBlocks: 0
; NumSGPRsForWavesPerEU: 1
; NumVGPRsForWavesPerEU: 1
; Occupancy: 16
; WaveLimiterHint : 0
; COMPUTE_PGM_RSRC2:SCRATCH_EN: 0
; COMPUTE_PGM_RSRC2:USER_SGPR: 6
; COMPUTE_PGM_RSRC2:TRAP_HANDLER: 0
; COMPUTE_PGM_RSRC2:TGID_X_EN: 1
; COMPUTE_PGM_RSRC2:TGID_Y_EN: 0
; COMPUTE_PGM_RSRC2:TGID_Z_EN: 0
; COMPUTE_PGM_RSRC2:TIDIG_COMP_CNT: 0
	.section	.text._ZN7rocprim17ROCPRIM_400000_NS6detail17trampoline_kernelINS0_14default_configENS1_38merge_sort_block_merge_config_selectorIiiEEZZNS1_27merge_sort_block_merge_implIS3_N6thrust23THRUST_200600_302600_NS6detail15normal_iteratorINS8_10device_ptrIiEEEESD_jNS1_19radix_merge_compareILb1ELb1EiNS0_19identity_decomposerEEEEE10hipError_tT0_T1_T2_jT3_P12ihipStream_tbPNSt15iterator_traitsISI_E10value_typeEPNSO_ISJ_E10value_typeEPSK_NS1_7vsmem_tEENKUlT_SI_SJ_SK_E_clIPiSD_S10_SD_EESH_SX_SI_SJ_SK_EUlSX_E_NS1_11comp_targetILNS1_3genE3ELNS1_11target_archE908ELNS1_3gpuE7ELNS1_3repE0EEENS1_48merge_mergepath_partition_config_static_selectorELNS0_4arch9wavefront6targetE0EEEvSJ_,"axG",@progbits,_ZN7rocprim17ROCPRIM_400000_NS6detail17trampoline_kernelINS0_14default_configENS1_38merge_sort_block_merge_config_selectorIiiEEZZNS1_27merge_sort_block_merge_implIS3_N6thrust23THRUST_200600_302600_NS6detail15normal_iteratorINS8_10device_ptrIiEEEESD_jNS1_19radix_merge_compareILb1ELb1EiNS0_19identity_decomposerEEEEE10hipError_tT0_T1_T2_jT3_P12ihipStream_tbPNSt15iterator_traitsISI_E10value_typeEPNSO_ISJ_E10value_typeEPSK_NS1_7vsmem_tEENKUlT_SI_SJ_SK_E_clIPiSD_S10_SD_EESH_SX_SI_SJ_SK_EUlSX_E_NS1_11comp_targetILNS1_3genE3ELNS1_11target_archE908ELNS1_3gpuE7ELNS1_3repE0EEENS1_48merge_mergepath_partition_config_static_selectorELNS0_4arch9wavefront6targetE0EEEvSJ_,comdat
	.protected	_ZN7rocprim17ROCPRIM_400000_NS6detail17trampoline_kernelINS0_14default_configENS1_38merge_sort_block_merge_config_selectorIiiEEZZNS1_27merge_sort_block_merge_implIS3_N6thrust23THRUST_200600_302600_NS6detail15normal_iteratorINS8_10device_ptrIiEEEESD_jNS1_19radix_merge_compareILb1ELb1EiNS0_19identity_decomposerEEEEE10hipError_tT0_T1_T2_jT3_P12ihipStream_tbPNSt15iterator_traitsISI_E10value_typeEPNSO_ISJ_E10value_typeEPSK_NS1_7vsmem_tEENKUlT_SI_SJ_SK_E_clIPiSD_S10_SD_EESH_SX_SI_SJ_SK_EUlSX_E_NS1_11comp_targetILNS1_3genE3ELNS1_11target_archE908ELNS1_3gpuE7ELNS1_3repE0EEENS1_48merge_mergepath_partition_config_static_selectorELNS0_4arch9wavefront6targetE0EEEvSJ_ ; -- Begin function _ZN7rocprim17ROCPRIM_400000_NS6detail17trampoline_kernelINS0_14default_configENS1_38merge_sort_block_merge_config_selectorIiiEEZZNS1_27merge_sort_block_merge_implIS3_N6thrust23THRUST_200600_302600_NS6detail15normal_iteratorINS8_10device_ptrIiEEEESD_jNS1_19radix_merge_compareILb1ELb1EiNS0_19identity_decomposerEEEEE10hipError_tT0_T1_T2_jT3_P12ihipStream_tbPNSt15iterator_traitsISI_E10value_typeEPNSO_ISJ_E10value_typeEPSK_NS1_7vsmem_tEENKUlT_SI_SJ_SK_E_clIPiSD_S10_SD_EESH_SX_SI_SJ_SK_EUlSX_E_NS1_11comp_targetILNS1_3genE3ELNS1_11target_archE908ELNS1_3gpuE7ELNS1_3repE0EEENS1_48merge_mergepath_partition_config_static_selectorELNS0_4arch9wavefront6targetE0EEEvSJ_
	.globl	_ZN7rocprim17ROCPRIM_400000_NS6detail17trampoline_kernelINS0_14default_configENS1_38merge_sort_block_merge_config_selectorIiiEEZZNS1_27merge_sort_block_merge_implIS3_N6thrust23THRUST_200600_302600_NS6detail15normal_iteratorINS8_10device_ptrIiEEEESD_jNS1_19radix_merge_compareILb1ELb1EiNS0_19identity_decomposerEEEEE10hipError_tT0_T1_T2_jT3_P12ihipStream_tbPNSt15iterator_traitsISI_E10value_typeEPNSO_ISJ_E10value_typeEPSK_NS1_7vsmem_tEENKUlT_SI_SJ_SK_E_clIPiSD_S10_SD_EESH_SX_SI_SJ_SK_EUlSX_E_NS1_11comp_targetILNS1_3genE3ELNS1_11target_archE908ELNS1_3gpuE7ELNS1_3repE0EEENS1_48merge_mergepath_partition_config_static_selectorELNS0_4arch9wavefront6targetE0EEEvSJ_
	.p2align	8
	.type	_ZN7rocprim17ROCPRIM_400000_NS6detail17trampoline_kernelINS0_14default_configENS1_38merge_sort_block_merge_config_selectorIiiEEZZNS1_27merge_sort_block_merge_implIS3_N6thrust23THRUST_200600_302600_NS6detail15normal_iteratorINS8_10device_ptrIiEEEESD_jNS1_19radix_merge_compareILb1ELb1EiNS0_19identity_decomposerEEEEE10hipError_tT0_T1_T2_jT3_P12ihipStream_tbPNSt15iterator_traitsISI_E10value_typeEPNSO_ISJ_E10value_typeEPSK_NS1_7vsmem_tEENKUlT_SI_SJ_SK_E_clIPiSD_S10_SD_EESH_SX_SI_SJ_SK_EUlSX_E_NS1_11comp_targetILNS1_3genE3ELNS1_11target_archE908ELNS1_3gpuE7ELNS1_3repE0EEENS1_48merge_mergepath_partition_config_static_selectorELNS0_4arch9wavefront6targetE0EEEvSJ_,@function
_ZN7rocprim17ROCPRIM_400000_NS6detail17trampoline_kernelINS0_14default_configENS1_38merge_sort_block_merge_config_selectorIiiEEZZNS1_27merge_sort_block_merge_implIS3_N6thrust23THRUST_200600_302600_NS6detail15normal_iteratorINS8_10device_ptrIiEEEESD_jNS1_19radix_merge_compareILb1ELb1EiNS0_19identity_decomposerEEEEE10hipError_tT0_T1_T2_jT3_P12ihipStream_tbPNSt15iterator_traitsISI_E10value_typeEPNSO_ISJ_E10value_typeEPSK_NS1_7vsmem_tEENKUlT_SI_SJ_SK_E_clIPiSD_S10_SD_EESH_SX_SI_SJ_SK_EUlSX_E_NS1_11comp_targetILNS1_3genE3ELNS1_11target_archE908ELNS1_3gpuE7ELNS1_3repE0EEENS1_48merge_mergepath_partition_config_static_selectorELNS0_4arch9wavefront6targetE0EEEvSJ_: ; @_ZN7rocprim17ROCPRIM_400000_NS6detail17trampoline_kernelINS0_14default_configENS1_38merge_sort_block_merge_config_selectorIiiEEZZNS1_27merge_sort_block_merge_implIS3_N6thrust23THRUST_200600_302600_NS6detail15normal_iteratorINS8_10device_ptrIiEEEESD_jNS1_19radix_merge_compareILb1ELb1EiNS0_19identity_decomposerEEEEE10hipError_tT0_T1_T2_jT3_P12ihipStream_tbPNSt15iterator_traitsISI_E10value_typeEPNSO_ISJ_E10value_typeEPSK_NS1_7vsmem_tEENKUlT_SI_SJ_SK_E_clIPiSD_S10_SD_EESH_SX_SI_SJ_SK_EUlSX_E_NS1_11comp_targetILNS1_3genE3ELNS1_11target_archE908ELNS1_3gpuE7ELNS1_3repE0EEENS1_48merge_mergepath_partition_config_static_selectorELNS0_4arch9wavefront6targetE0EEEvSJ_
; %bb.0:
	.section	.rodata,"a",@progbits
	.p2align	6, 0x0
	.amdhsa_kernel _ZN7rocprim17ROCPRIM_400000_NS6detail17trampoline_kernelINS0_14default_configENS1_38merge_sort_block_merge_config_selectorIiiEEZZNS1_27merge_sort_block_merge_implIS3_N6thrust23THRUST_200600_302600_NS6detail15normal_iteratorINS8_10device_ptrIiEEEESD_jNS1_19radix_merge_compareILb1ELb1EiNS0_19identity_decomposerEEEEE10hipError_tT0_T1_T2_jT3_P12ihipStream_tbPNSt15iterator_traitsISI_E10value_typeEPNSO_ISJ_E10value_typeEPSK_NS1_7vsmem_tEENKUlT_SI_SJ_SK_E_clIPiSD_S10_SD_EESH_SX_SI_SJ_SK_EUlSX_E_NS1_11comp_targetILNS1_3genE3ELNS1_11target_archE908ELNS1_3gpuE7ELNS1_3repE0EEENS1_48merge_mergepath_partition_config_static_selectorELNS0_4arch9wavefront6targetE0EEEvSJ_
		.amdhsa_group_segment_fixed_size 0
		.amdhsa_private_segment_fixed_size 0
		.amdhsa_kernarg_size 40
		.amdhsa_user_sgpr_count 6
		.amdhsa_user_sgpr_private_segment_buffer 1
		.amdhsa_user_sgpr_dispatch_ptr 0
		.amdhsa_user_sgpr_queue_ptr 0
		.amdhsa_user_sgpr_kernarg_segment_ptr 1
		.amdhsa_user_sgpr_dispatch_id 0
		.amdhsa_user_sgpr_flat_scratch_init 0
		.amdhsa_user_sgpr_private_segment_size 0
		.amdhsa_wavefront_size32 1
		.amdhsa_uses_dynamic_stack 0
		.amdhsa_system_sgpr_private_segment_wavefront_offset 0
		.amdhsa_system_sgpr_workgroup_id_x 1
		.amdhsa_system_sgpr_workgroup_id_y 0
		.amdhsa_system_sgpr_workgroup_id_z 0
		.amdhsa_system_sgpr_workgroup_info 0
		.amdhsa_system_vgpr_workitem_id 0
		.amdhsa_next_free_vgpr 1
		.amdhsa_next_free_sgpr 1
		.amdhsa_reserve_vcc 0
		.amdhsa_reserve_flat_scratch 0
		.amdhsa_float_round_mode_32 0
		.amdhsa_float_round_mode_16_64 0
		.amdhsa_float_denorm_mode_32 3
		.amdhsa_float_denorm_mode_16_64 3
		.amdhsa_dx10_clamp 1
		.amdhsa_ieee_mode 1
		.amdhsa_fp16_overflow 0
		.amdhsa_workgroup_processor_mode 1
		.amdhsa_memory_ordered 1
		.amdhsa_forward_progress 1
		.amdhsa_shared_vgpr_count 0
		.amdhsa_exception_fp_ieee_invalid_op 0
		.amdhsa_exception_fp_denorm_src 0
		.amdhsa_exception_fp_ieee_div_zero 0
		.amdhsa_exception_fp_ieee_overflow 0
		.amdhsa_exception_fp_ieee_underflow 0
		.amdhsa_exception_fp_ieee_inexact 0
		.amdhsa_exception_int_div_zero 0
	.end_amdhsa_kernel
	.section	.text._ZN7rocprim17ROCPRIM_400000_NS6detail17trampoline_kernelINS0_14default_configENS1_38merge_sort_block_merge_config_selectorIiiEEZZNS1_27merge_sort_block_merge_implIS3_N6thrust23THRUST_200600_302600_NS6detail15normal_iteratorINS8_10device_ptrIiEEEESD_jNS1_19radix_merge_compareILb1ELb1EiNS0_19identity_decomposerEEEEE10hipError_tT0_T1_T2_jT3_P12ihipStream_tbPNSt15iterator_traitsISI_E10value_typeEPNSO_ISJ_E10value_typeEPSK_NS1_7vsmem_tEENKUlT_SI_SJ_SK_E_clIPiSD_S10_SD_EESH_SX_SI_SJ_SK_EUlSX_E_NS1_11comp_targetILNS1_3genE3ELNS1_11target_archE908ELNS1_3gpuE7ELNS1_3repE0EEENS1_48merge_mergepath_partition_config_static_selectorELNS0_4arch9wavefront6targetE0EEEvSJ_,"axG",@progbits,_ZN7rocprim17ROCPRIM_400000_NS6detail17trampoline_kernelINS0_14default_configENS1_38merge_sort_block_merge_config_selectorIiiEEZZNS1_27merge_sort_block_merge_implIS3_N6thrust23THRUST_200600_302600_NS6detail15normal_iteratorINS8_10device_ptrIiEEEESD_jNS1_19radix_merge_compareILb1ELb1EiNS0_19identity_decomposerEEEEE10hipError_tT0_T1_T2_jT3_P12ihipStream_tbPNSt15iterator_traitsISI_E10value_typeEPNSO_ISJ_E10value_typeEPSK_NS1_7vsmem_tEENKUlT_SI_SJ_SK_E_clIPiSD_S10_SD_EESH_SX_SI_SJ_SK_EUlSX_E_NS1_11comp_targetILNS1_3genE3ELNS1_11target_archE908ELNS1_3gpuE7ELNS1_3repE0EEENS1_48merge_mergepath_partition_config_static_selectorELNS0_4arch9wavefront6targetE0EEEvSJ_,comdat
.Lfunc_end937:
	.size	_ZN7rocprim17ROCPRIM_400000_NS6detail17trampoline_kernelINS0_14default_configENS1_38merge_sort_block_merge_config_selectorIiiEEZZNS1_27merge_sort_block_merge_implIS3_N6thrust23THRUST_200600_302600_NS6detail15normal_iteratorINS8_10device_ptrIiEEEESD_jNS1_19radix_merge_compareILb1ELb1EiNS0_19identity_decomposerEEEEE10hipError_tT0_T1_T2_jT3_P12ihipStream_tbPNSt15iterator_traitsISI_E10value_typeEPNSO_ISJ_E10value_typeEPSK_NS1_7vsmem_tEENKUlT_SI_SJ_SK_E_clIPiSD_S10_SD_EESH_SX_SI_SJ_SK_EUlSX_E_NS1_11comp_targetILNS1_3genE3ELNS1_11target_archE908ELNS1_3gpuE7ELNS1_3repE0EEENS1_48merge_mergepath_partition_config_static_selectorELNS0_4arch9wavefront6targetE0EEEvSJ_, .Lfunc_end937-_ZN7rocprim17ROCPRIM_400000_NS6detail17trampoline_kernelINS0_14default_configENS1_38merge_sort_block_merge_config_selectorIiiEEZZNS1_27merge_sort_block_merge_implIS3_N6thrust23THRUST_200600_302600_NS6detail15normal_iteratorINS8_10device_ptrIiEEEESD_jNS1_19radix_merge_compareILb1ELb1EiNS0_19identity_decomposerEEEEE10hipError_tT0_T1_T2_jT3_P12ihipStream_tbPNSt15iterator_traitsISI_E10value_typeEPNSO_ISJ_E10value_typeEPSK_NS1_7vsmem_tEENKUlT_SI_SJ_SK_E_clIPiSD_S10_SD_EESH_SX_SI_SJ_SK_EUlSX_E_NS1_11comp_targetILNS1_3genE3ELNS1_11target_archE908ELNS1_3gpuE7ELNS1_3repE0EEENS1_48merge_mergepath_partition_config_static_selectorELNS0_4arch9wavefront6targetE0EEEvSJ_
                                        ; -- End function
	.set _ZN7rocprim17ROCPRIM_400000_NS6detail17trampoline_kernelINS0_14default_configENS1_38merge_sort_block_merge_config_selectorIiiEEZZNS1_27merge_sort_block_merge_implIS3_N6thrust23THRUST_200600_302600_NS6detail15normal_iteratorINS8_10device_ptrIiEEEESD_jNS1_19radix_merge_compareILb1ELb1EiNS0_19identity_decomposerEEEEE10hipError_tT0_T1_T2_jT3_P12ihipStream_tbPNSt15iterator_traitsISI_E10value_typeEPNSO_ISJ_E10value_typeEPSK_NS1_7vsmem_tEENKUlT_SI_SJ_SK_E_clIPiSD_S10_SD_EESH_SX_SI_SJ_SK_EUlSX_E_NS1_11comp_targetILNS1_3genE3ELNS1_11target_archE908ELNS1_3gpuE7ELNS1_3repE0EEENS1_48merge_mergepath_partition_config_static_selectorELNS0_4arch9wavefront6targetE0EEEvSJ_.num_vgpr, 0
	.set _ZN7rocprim17ROCPRIM_400000_NS6detail17trampoline_kernelINS0_14default_configENS1_38merge_sort_block_merge_config_selectorIiiEEZZNS1_27merge_sort_block_merge_implIS3_N6thrust23THRUST_200600_302600_NS6detail15normal_iteratorINS8_10device_ptrIiEEEESD_jNS1_19radix_merge_compareILb1ELb1EiNS0_19identity_decomposerEEEEE10hipError_tT0_T1_T2_jT3_P12ihipStream_tbPNSt15iterator_traitsISI_E10value_typeEPNSO_ISJ_E10value_typeEPSK_NS1_7vsmem_tEENKUlT_SI_SJ_SK_E_clIPiSD_S10_SD_EESH_SX_SI_SJ_SK_EUlSX_E_NS1_11comp_targetILNS1_3genE3ELNS1_11target_archE908ELNS1_3gpuE7ELNS1_3repE0EEENS1_48merge_mergepath_partition_config_static_selectorELNS0_4arch9wavefront6targetE0EEEvSJ_.num_agpr, 0
	.set _ZN7rocprim17ROCPRIM_400000_NS6detail17trampoline_kernelINS0_14default_configENS1_38merge_sort_block_merge_config_selectorIiiEEZZNS1_27merge_sort_block_merge_implIS3_N6thrust23THRUST_200600_302600_NS6detail15normal_iteratorINS8_10device_ptrIiEEEESD_jNS1_19radix_merge_compareILb1ELb1EiNS0_19identity_decomposerEEEEE10hipError_tT0_T1_T2_jT3_P12ihipStream_tbPNSt15iterator_traitsISI_E10value_typeEPNSO_ISJ_E10value_typeEPSK_NS1_7vsmem_tEENKUlT_SI_SJ_SK_E_clIPiSD_S10_SD_EESH_SX_SI_SJ_SK_EUlSX_E_NS1_11comp_targetILNS1_3genE3ELNS1_11target_archE908ELNS1_3gpuE7ELNS1_3repE0EEENS1_48merge_mergepath_partition_config_static_selectorELNS0_4arch9wavefront6targetE0EEEvSJ_.numbered_sgpr, 0
	.set _ZN7rocprim17ROCPRIM_400000_NS6detail17trampoline_kernelINS0_14default_configENS1_38merge_sort_block_merge_config_selectorIiiEEZZNS1_27merge_sort_block_merge_implIS3_N6thrust23THRUST_200600_302600_NS6detail15normal_iteratorINS8_10device_ptrIiEEEESD_jNS1_19radix_merge_compareILb1ELb1EiNS0_19identity_decomposerEEEEE10hipError_tT0_T1_T2_jT3_P12ihipStream_tbPNSt15iterator_traitsISI_E10value_typeEPNSO_ISJ_E10value_typeEPSK_NS1_7vsmem_tEENKUlT_SI_SJ_SK_E_clIPiSD_S10_SD_EESH_SX_SI_SJ_SK_EUlSX_E_NS1_11comp_targetILNS1_3genE3ELNS1_11target_archE908ELNS1_3gpuE7ELNS1_3repE0EEENS1_48merge_mergepath_partition_config_static_selectorELNS0_4arch9wavefront6targetE0EEEvSJ_.num_named_barrier, 0
	.set _ZN7rocprim17ROCPRIM_400000_NS6detail17trampoline_kernelINS0_14default_configENS1_38merge_sort_block_merge_config_selectorIiiEEZZNS1_27merge_sort_block_merge_implIS3_N6thrust23THRUST_200600_302600_NS6detail15normal_iteratorINS8_10device_ptrIiEEEESD_jNS1_19radix_merge_compareILb1ELb1EiNS0_19identity_decomposerEEEEE10hipError_tT0_T1_T2_jT3_P12ihipStream_tbPNSt15iterator_traitsISI_E10value_typeEPNSO_ISJ_E10value_typeEPSK_NS1_7vsmem_tEENKUlT_SI_SJ_SK_E_clIPiSD_S10_SD_EESH_SX_SI_SJ_SK_EUlSX_E_NS1_11comp_targetILNS1_3genE3ELNS1_11target_archE908ELNS1_3gpuE7ELNS1_3repE0EEENS1_48merge_mergepath_partition_config_static_selectorELNS0_4arch9wavefront6targetE0EEEvSJ_.private_seg_size, 0
	.set _ZN7rocprim17ROCPRIM_400000_NS6detail17trampoline_kernelINS0_14default_configENS1_38merge_sort_block_merge_config_selectorIiiEEZZNS1_27merge_sort_block_merge_implIS3_N6thrust23THRUST_200600_302600_NS6detail15normal_iteratorINS8_10device_ptrIiEEEESD_jNS1_19radix_merge_compareILb1ELb1EiNS0_19identity_decomposerEEEEE10hipError_tT0_T1_T2_jT3_P12ihipStream_tbPNSt15iterator_traitsISI_E10value_typeEPNSO_ISJ_E10value_typeEPSK_NS1_7vsmem_tEENKUlT_SI_SJ_SK_E_clIPiSD_S10_SD_EESH_SX_SI_SJ_SK_EUlSX_E_NS1_11comp_targetILNS1_3genE3ELNS1_11target_archE908ELNS1_3gpuE7ELNS1_3repE0EEENS1_48merge_mergepath_partition_config_static_selectorELNS0_4arch9wavefront6targetE0EEEvSJ_.uses_vcc, 0
	.set _ZN7rocprim17ROCPRIM_400000_NS6detail17trampoline_kernelINS0_14default_configENS1_38merge_sort_block_merge_config_selectorIiiEEZZNS1_27merge_sort_block_merge_implIS3_N6thrust23THRUST_200600_302600_NS6detail15normal_iteratorINS8_10device_ptrIiEEEESD_jNS1_19radix_merge_compareILb1ELb1EiNS0_19identity_decomposerEEEEE10hipError_tT0_T1_T2_jT3_P12ihipStream_tbPNSt15iterator_traitsISI_E10value_typeEPNSO_ISJ_E10value_typeEPSK_NS1_7vsmem_tEENKUlT_SI_SJ_SK_E_clIPiSD_S10_SD_EESH_SX_SI_SJ_SK_EUlSX_E_NS1_11comp_targetILNS1_3genE3ELNS1_11target_archE908ELNS1_3gpuE7ELNS1_3repE0EEENS1_48merge_mergepath_partition_config_static_selectorELNS0_4arch9wavefront6targetE0EEEvSJ_.uses_flat_scratch, 0
	.set _ZN7rocprim17ROCPRIM_400000_NS6detail17trampoline_kernelINS0_14default_configENS1_38merge_sort_block_merge_config_selectorIiiEEZZNS1_27merge_sort_block_merge_implIS3_N6thrust23THRUST_200600_302600_NS6detail15normal_iteratorINS8_10device_ptrIiEEEESD_jNS1_19radix_merge_compareILb1ELb1EiNS0_19identity_decomposerEEEEE10hipError_tT0_T1_T2_jT3_P12ihipStream_tbPNSt15iterator_traitsISI_E10value_typeEPNSO_ISJ_E10value_typeEPSK_NS1_7vsmem_tEENKUlT_SI_SJ_SK_E_clIPiSD_S10_SD_EESH_SX_SI_SJ_SK_EUlSX_E_NS1_11comp_targetILNS1_3genE3ELNS1_11target_archE908ELNS1_3gpuE7ELNS1_3repE0EEENS1_48merge_mergepath_partition_config_static_selectorELNS0_4arch9wavefront6targetE0EEEvSJ_.has_dyn_sized_stack, 0
	.set _ZN7rocprim17ROCPRIM_400000_NS6detail17trampoline_kernelINS0_14default_configENS1_38merge_sort_block_merge_config_selectorIiiEEZZNS1_27merge_sort_block_merge_implIS3_N6thrust23THRUST_200600_302600_NS6detail15normal_iteratorINS8_10device_ptrIiEEEESD_jNS1_19radix_merge_compareILb1ELb1EiNS0_19identity_decomposerEEEEE10hipError_tT0_T1_T2_jT3_P12ihipStream_tbPNSt15iterator_traitsISI_E10value_typeEPNSO_ISJ_E10value_typeEPSK_NS1_7vsmem_tEENKUlT_SI_SJ_SK_E_clIPiSD_S10_SD_EESH_SX_SI_SJ_SK_EUlSX_E_NS1_11comp_targetILNS1_3genE3ELNS1_11target_archE908ELNS1_3gpuE7ELNS1_3repE0EEENS1_48merge_mergepath_partition_config_static_selectorELNS0_4arch9wavefront6targetE0EEEvSJ_.has_recursion, 0
	.set _ZN7rocprim17ROCPRIM_400000_NS6detail17trampoline_kernelINS0_14default_configENS1_38merge_sort_block_merge_config_selectorIiiEEZZNS1_27merge_sort_block_merge_implIS3_N6thrust23THRUST_200600_302600_NS6detail15normal_iteratorINS8_10device_ptrIiEEEESD_jNS1_19radix_merge_compareILb1ELb1EiNS0_19identity_decomposerEEEEE10hipError_tT0_T1_T2_jT3_P12ihipStream_tbPNSt15iterator_traitsISI_E10value_typeEPNSO_ISJ_E10value_typeEPSK_NS1_7vsmem_tEENKUlT_SI_SJ_SK_E_clIPiSD_S10_SD_EESH_SX_SI_SJ_SK_EUlSX_E_NS1_11comp_targetILNS1_3genE3ELNS1_11target_archE908ELNS1_3gpuE7ELNS1_3repE0EEENS1_48merge_mergepath_partition_config_static_selectorELNS0_4arch9wavefront6targetE0EEEvSJ_.has_indirect_call, 0
	.section	.AMDGPU.csdata,"",@progbits
; Kernel info:
; codeLenInByte = 0
; TotalNumSgprs: 0
; NumVgprs: 0
; ScratchSize: 0
; MemoryBound: 0
; FloatMode: 240
; IeeeMode: 1
; LDSByteSize: 0 bytes/workgroup (compile time only)
; SGPRBlocks: 0
; VGPRBlocks: 0
; NumSGPRsForWavesPerEU: 1
; NumVGPRsForWavesPerEU: 1
; Occupancy: 16
; WaveLimiterHint : 0
; COMPUTE_PGM_RSRC2:SCRATCH_EN: 0
; COMPUTE_PGM_RSRC2:USER_SGPR: 6
; COMPUTE_PGM_RSRC2:TRAP_HANDLER: 0
; COMPUTE_PGM_RSRC2:TGID_X_EN: 1
; COMPUTE_PGM_RSRC2:TGID_Y_EN: 0
; COMPUTE_PGM_RSRC2:TGID_Z_EN: 0
; COMPUTE_PGM_RSRC2:TIDIG_COMP_CNT: 0
	.section	.text._ZN7rocprim17ROCPRIM_400000_NS6detail17trampoline_kernelINS0_14default_configENS1_38merge_sort_block_merge_config_selectorIiiEEZZNS1_27merge_sort_block_merge_implIS3_N6thrust23THRUST_200600_302600_NS6detail15normal_iteratorINS8_10device_ptrIiEEEESD_jNS1_19radix_merge_compareILb1ELb1EiNS0_19identity_decomposerEEEEE10hipError_tT0_T1_T2_jT3_P12ihipStream_tbPNSt15iterator_traitsISI_E10value_typeEPNSO_ISJ_E10value_typeEPSK_NS1_7vsmem_tEENKUlT_SI_SJ_SK_E_clIPiSD_S10_SD_EESH_SX_SI_SJ_SK_EUlSX_E_NS1_11comp_targetILNS1_3genE2ELNS1_11target_archE906ELNS1_3gpuE6ELNS1_3repE0EEENS1_48merge_mergepath_partition_config_static_selectorELNS0_4arch9wavefront6targetE0EEEvSJ_,"axG",@progbits,_ZN7rocprim17ROCPRIM_400000_NS6detail17trampoline_kernelINS0_14default_configENS1_38merge_sort_block_merge_config_selectorIiiEEZZNS1_27merge_sort_block_merge_implIS3_N6thrust23THRUST_200600_302600_NS6detail15normal_iteratorINS8_10device_ptrIiEEEESD_jNS1_19radix_merge_compareILb1ELb1EiNS0_19identity_decomposerEEEEE10hipError_tT0_T1_T2_jT3_P12ihipStream_tbPNSt15iterator_traitsISI_E10value_typeEPNSO_ISJ_E10value_typeEPSK_NS1_7vsmem_tEENKUlT_SI_SJ_SK_E_clIPiSD_S10_SD_EESH_SX_SI_SJ_SK_EUlSX_E_NS1_11comp_targetILNS1_3genE2ELNS1_11target_archE906ELNS1_3gpuE6ELNS1_3repE0EEENS1_48merge_mergepath_partition_config_static_selectorELNS0_4arch9wavefront6targetE0EEEvSJ_,comdat
	.protected	_ZN7rocprim17ROCPRIM_400000_NS6detail17trampoline_kernelINS0_14default_configENS1_38merge_sort_block_merge_config_selectorIiiEEZZNS1_27merge_sort_block_merge_implIS3_N6thrust23THRUST_200600_302600_NS6detail15normal_iteratorINS8_10device_ptrIiEEEESD_jNS1_19radix_merge_compareILb1ELb1EiNS0_19identity_decomposerEEEEE10hipError_tT0_T1_T2_jT3_P12ihipStream_tbPNSt15iterator_traitsISI_E10value_typeEPNSO_ISJ_E10value_typeEPSK_NS1_7vsmem_tEENKUlT_SI_SJ_SK_E_clIPiSD_S10_SD_EESH_SX_SI_SJ_SK_EUlSX_E_NS1_11comp_targetILNS1_3genE2ELNS1_11target_archE906ELNS1_3gpuE6ELNS1_3repE0EEENS1_48merge_mergepath_partition_config_static_selectorELNS0_4arch9wavefront6targetE0EEEvSJ_ ; -- Begin function _ZN7rocprim17ROCPRIM_400000_NS6detail17trampoline_kernelINS0_14default_configENS1_38merge_sort_block_merge_config_selectorIiiEEZZNS1_27merge_sort_block_merge_implIS3_N6thrust23THRUST_200600_302600_NS6detail15normal_iteratorINS8_10device_ptrIiEEEESD_jNS1_19radix_merge_compareILb1ELb1EiNS0_19identity_decomposerEEEEE10hipError_tT0_T1_T2_jT3_P12ihipStream_tbPNSt15iterator_traitsISI_E10value_typeEPNSO_ISJ_E10value_typeEPSK_NS1_7vsmem_tEENKUlT_SI_SJ_SK_E_clIPiSD_S10_SD_EESH_SX_SI_SJ_SK_EUlSX_E_NS1_11comp_targetILNS1_3genE2ELNS1_11target_archE906ELNS1_3gpuE6ELNS1_3repE0EEENS1_48merge_mergepath_partition_config_static_selectorELNS0_4arch9wavefront6targetE0EEEvSJ_
	.globl	_ZN7rocprim17ROCPRIM_400000_NS6detail17trampoline_kernelINS0_14default_configENS1_38merge_sort_block_merge_config_selectorIiiEEZZNS1_27merge_sort_block_merge_implIS3_N6thrust23THRUST_200600_302600_NS6detail15normal_iteratorINS8_10device_ptrIiEEEESD_jNS1_19radix_merge_compareILb1ELb1EiNS0_19identity_decomposerEEEEE10hipError_tT0_T1_T2_jT3_P12ihipStream_tbPNSt15iterator_traitsISI_E10value_typeEPNSO_ISJ_E10value_typeEPSK_NS1_7vsmem_tEENKUlT_SI_SJ_SK_E_clIPiSD_S10_SD_EESH_SX_SI_SJ_SK_EUlSX_E_NS1_11comp_targetILNS1_3genE2ELNS1_11target_archE906ELNS1_3gpuE6ELNS1_3repE0EEENS1_48merge_mergepath_partition_config_static_selectorELNS0_4arch9wavefront6targetE0EEEvSJ_
	.p2align	8
	.type	_ZN7rocprim17ROCPRIM_400000_NS6detail17trampoline_kernelINS0_14default_configENS1_38merge_sort_block_merge_config_selectorIiiEEZZNS1_27merge_sort_block_merge_implIS3_N6thrust23THRUST_200600_302600_NS6detail15normal_iteratorINS8_10device_ptrIiEEEESD_jNS1_19radix_merge_compareILb1ELb1EiNS0_19identity_decomposerEEEEE10hipError_tT0_T1_T2_jT3_P12ihipStream_tbPNSt15iterator_traitsISI_E10value_typeEPNSO_ISJ_E10value_typeEPSK_NS1_7vsmem_tEENKUlT_SI_SJ_SK_E_clIPiSD_S10_SD_EESH_SX_SI_SJ_SK_EUlSX_E_NS1_11comp_targetILNS1_3genE2ELNS1_11target_archE906ELNS1_3gpuE6ELNS1_3repE0EEENS1_48merge_mergepath_partition_config_static_selectorELNS0_4arch9wavefront6targetE0EEEvSJ_,@function
_ZN7rocprim17ROCPRIM_400000_NS6detail17trampoline_kernelINS0_14default_configENS1_38merge_sort_block_merge_config_selectorIiiEEZZNS1_27merge_sort_block_merge_implIS3_N6thrust23THRUST_200600_302600_NS6detail15normal_iteratorINS8_10device_ptrIiEEEESD_jNS1_19radix_merge_compareILb1ELb1EiNS0_19identity_decomposerEEEEE10hipError_tT0_T1_T2_jT3_P12ihipStream_tbPNSt15iterator_traitsISI_E10value_typeEPNSO_ISJ_E10value_typeEPSK_NS1_7vsmem_tEENKUlT_SI_SJ_SK_E_clIPiSD_S10_SD_EESH_SX_SI_SJ_SK_EUlSX_E_NS1_11comp_targetILNS1_3genE2ELNS1_11target_archE906ELNS1_3gpuE6ELNS1_3repE0EEENS1_48merge_mergepath_partition_config_static_selectorELNS0_4arch9wavefront6targetE0EEEvSJ_: ; @_ZN7rocprim17ROCPRIM_400000_NS6detail17trampoline_kernelINS0_14default_configENS1_38merge_sort_block_merge_config_selectorIiiEEZZNS1_27merge_sort_block_merge_implIS3_N6thrust23THRUST_200600_302600_NS6detail15normal_iteratorINS8_10device_ptrIiEEEESD_jNS1_19radix_merge_compareILb1ELb1EiNS0_19identity_decomposerEEEEE10hipError_tT0_T1_T2_jT3_P12ihipStream_tbPNSt15iterator_traitsISI_E10value_typeEPNSO_ISJ_E10value_typeEPSK_NS1_7vsmem_tEENKUlT_SI_SJ_SK_E_clIPiSD_S10_SD_EESH_SX_SI_SJ_SK_EUlSX_E_NS1_11comp_targetILNS1_3genE2ELNS1_11target_archE906ELNS1_3gpuE6ELNS1_3repE0EEENS1_48merge_mergepath_partition_config_static_selectorELNS0_4arch9wavefront6targetE0EEEvSJ_
; %bb.0:
	.section	.rodata,"a",@progbits
	.p2align	6, 0x0
	.amdhsa_kernel _ZN7rocprim17ROCPRIM_400000_NS6detail17trampoline_kernelINS0_14default_configENS1_38merge_sort_block_merge_config_selectorIiiEEZZNS1_27merge_sort_block_merge_implIS3_N6thrust23THRUST_200600_302600_NS6detail15normal_iteratorINS8_10device_ptrIiEEEESD_jNS1_19radix_merge_compareILb1ELb1EiNS0_19identity_decomposerEEEEE10hipError_tT0_T1_T2_jT3_P12ihipStream_tbPNSt15iterator_traitsISI_E10value_typeEPNSO_ISJ_E10value_typeEPSK_NS1_7vsmem_tEENKUlT_SI_SJ_SK_E_clIPiSD_S10_SD_EESH_SX_SI_SJ_SK_EUlSX_E_NS1_11comp_targetILNS1_3genE2ELNS1_11target_archE906ELNS1_3gpuE6ELNS1_3repE0EEENS1_48merge_mergepath_partition_config_static_selectorELNS0_4arch9wavefront6targetE0EEEvSJ_
		.amdhsa_group_segment_fixed_size 0
		.amdhsa_private_segment_fixed_size 0
		.amdhsa_kernarg_size 40
		.amdhsa_user_sgpr_count 6
		.amdhsa_user_sgpr_private_segment_buffer 1
		.amdhsa_user_sgpr_dispatch_ptr 0
		.amdhsa_user_sgpr_queue_ptr 0
		.amdhsa_user_sgpr_kernarg_segment_ptr 1
		.amdhsa_user_sgpr_dispatch_id 0
		.amdhsa_user_sgpr_flat_scratch_init 0
		.amdhsa_user_sgpr_private_segment_size 0
		.amdhsa_wavefront_size32 1
		.amdhsa_uses_dynamic_stack 0
		.amdhsa_system_sgpr_private_segment_wavefront_offset 0
		.amdhsa_system_sgpr_workgroup_id_x 1
		.amdhsa_system_sgpr_workgroup_id_y 0
		.amdhsa_system_sgpr_workgroup_id_z 0
		.amdhsa_system_sgpr_workgroup_info 0
		.amdhsa_system_vgpr_workitem_id 0
		.amdhsa_next_free_vgpr 1
		.amdhsa_next_free_sgpr 1
		.amdhsa_reserve_vcc 0
		.amdhsa_reserve_flat_scratch 0
		.amdhsa_float_round_mode_32 0
		.amdhsa_float_round_mode_16_64 0
		.amdhsa_float_denorm_mode_32 3
		.amdhsa_float_denorm_mode_16_64 3
		.amdhsa_dx10_clamp 1
		.amdhsa_ieee_mode 1
		.amdhsa_fp16_overflow 0
		.amdhsa_workgroup_processor_mode 1
		.amdhsa_memory_ordered 1
		.amdhsa_forward_progress 1
		.amdhsa_shared_vgpr_count 0
		.amdhsa_exception_fp_ieee_invalid_op 0
		.amdhsa_exception_fp_denorm_src 0
		.amdhsa_exception_fp_ieee_div_zero 0
		.amdhsa_exception_fp_ieee_overflow 0
		.amdhsa_exception_fp_ieee_underflow 0
		.amdhsa_exception_fp_ieee_inexact 0
		.amdhsa_exception_int_div_zero 0
	.end_amdhsa_kernel
	.section	.text._ZN7rocprim17ROCPRIM_400000_NS6detail17trampoline_kernelINS0_14default_configENS1_38merge_sort_block_merge_config_selectorIiiEEZZNS1_27merge_sort_block_merge_implIS3_N6thrust23THRUST_200600_302600_NS6detail15normal_iteratorINS8_10device_ptrIiEEEESD_jNS1_19radix_merge_compareILb1ELb1EiNS0_19identity_decomposerEEEEE10hipError_tT0_T1_T2_jT3_P12ihipStream_tbPNSt15iterator_traitsISI_E10value_typeEPNSO_ISJ_E10value_typeEPSK_NS1_7vsmem_tEENKUlT_SI_SJ_SK_E_clIPiSD_S10_SD_EESH_SX_SI_SJ_SK_EUlSX_E_NS1_11comp_targetILNS1_3genE2ELNS1_11target_archE906ELNS1_3gpuE6ELNS1_3repE0EEENS1_48merge_mergepath_partition_config_static_selectorELNS0_4arch9wavefront6targetE0EEEvSJ_,"axG",@progbits,_ZN7rocprim17ROCPRIM_400000_NS6detail17trampoline_kernelINS0_14default_configENS1_38merge_sort_block_merge_config_selectorIiiEEZZNS1_27merge_sort_block_merge_implIS3_N6thrust23THRUST_200600_302600_NS6detail15normal_iteratorINS8_10device_ptrIiEEEESD_jNS1_19radix_merge_compareILb1ELb1EiNS0_19identity_decomposerEEEEE10hipError_tT0_T1_T2_jT3_P12ihipStream_tbPNSt15iterator_traitsISI_E10value_typeEPNSO_ISJ_E10value_typeEPSK_NS1_7vsmem_tEENKUlT_SI_SJ_SK_E_clIPiSD_S10_SD_EESH_SX_SI_SJ_SK_EUlSX_E_NS1_11comp_targetILNS1_3genE2ELNS1_11target_archE906ELNS1_3gpuE6ELNS1_3repE0EEENS1_48merge_mergepath_partition_config_static_selectorELNS0_4arch9wavefront6targetE0EEEvSJ_,comdat
.Lfunc_end938:
	.size	_ZN7rocprim17ROCPRIM_400000_NS6detail17trampoline_kernelINS0_14default_configENS1_38merge_sort_block_merge_config_selectorIiiEEZZNS1_27merge_sort_block_merge_implIS3_N6thrust23THRUST_200600_302600_NS6detail15normal_iteratorINS8_10device_ptrIiEEEESD_jNS1_19radix_merge_compareILb1ELb1EiNS0_19identity_decomposerEEEEE10hipError_tT0_T1_T2_jT3_P12ihipStream_tbPNSt15iterator_traitsISI_E10value_typeEPNSO_ISJ_E10value_typeEPSK_NS1_7vsmem_tEENKUlT_SI_SJ_SK_E_clIPiSD_S10_SD_EESH_SX_SI_SJ_SK_EUlSX_E_NS1_11comp_targetILNS1_3genE2ELNS1_11target_archE906ELNS1_3gpuE6ELNS1_3repE0EEENS1_48merge_mergepath_partition_config_static_selectorELNS0_4arch9wavefront6targetE0EEEvSJ_, .Lfunc_end938-_ZN7rocprim17ROCPRIM_400000_NS6detail17trampoline_kernelINS0_14default_configENS1_38merge_sort_block_merge_config_selectorIiiEEZZNS1_27merge_sort_block_merge_implIS3_N6thrust23THRUST_200600_302600_NS6detail15normal_iteratorINS8_10device_ptrIiEEEESD_jNS1_19radix_merge_compareILb1ELb1EiNS0_19identity_decomposerEEEEE10hipError_tT0_T1_T2_jT3_P12ihipStream_tbPNSt15iterator_traitsISI_E10value_typeEPNSO_ISJ_E10value_typeEPSK_NS1_7vsmem_tEENKUlT_SI_SJ_SK_E_clIPiSD_S10_SD_EESH_SX_SI_SJ_SK_EUlSX_E_NS1_11comp_targetILNS1_3genE2ELNS1_11target_archE906ELNS1_3gpuE6ELNS1_3repE0EEENS1_48merge_mergepath_partition_config_static_selectorELNS0_4arch9wavefront6targetE0EEEvSJ_
                                        ; -- End function
	.set _ZN7rocprim17ROCPRIM_400000_NS6detail17trampoline_kernelINS0_14default_configENS1_38merge_sort_block_merge_config_selectorIiiEEZZNS1_27merge_sort_block_merge_implIS3_N6thrust23THRUST_200600_302600_NS6detail15normal_iteratorINS8_10device_ptrIiEEEESD_jNS1_19radix_merge_compareILb1ELb1EiNS0_19identity_decomposerEEEEE10hipError_tT0_T1_T2_jT3_P12ihipStream_tbPNSt15iterator_traitsISI_E10value_typeEPNSO_ISJ_E10value_typeEPSK_NS1_7vsmem_tEENKUlT_SI_SJ_SK_E_clIPiSD_S10_SD_EESH_SX_SI_SJ_SK_EUlSX_E_NS1_11comp_targetILNS1_3genE2ELNS1_11target_archE906ELNS1_3gpuE6ELNS1_3repE0EEENS1_48merge_mergepath_partition_config_static_selectorELNS0_4arch9wavefront6targetE0EEEvSJ_.num_vgpr, 0
	.set _ZN7rocprim17ROCPRIM_400000_NS6detail17trampoline_kernelINS0_14default_configENS1_38merge_sort_block_merge_config_selectorIiiEEZZNS1_27merge_sort_block_merge_implIS3_N6thrust23THRUST_200600_302600_NS6detail15normal_iteratorINS8_10device_ptrIiEEEESD_jNS1_19radix_merge_compareILb1ELb1EiNS0_19identity_decomposerEEEEE10hipError_tT0_T1_T2_jT3_P12ihipStream_tbPNSt15iterator_traitsISI_E10value_typeEPNSO_ISJ_E10value_typeEPSK_NS1_7vsmem_tEENKUlT_SI_SJ_SK_E_clIPiSD_S10_SD_EESH_SX_SI_SJ_SK_EUlSX_E_NS1_11comp_targetILNS1_3genE2ELNS1_11target_archE906ELNS1_3gpuE6ELNS1_3repE0EEENS1_48merge_mergepath_partition_config_static_selectorELNS0_4arch9wavefront6targetE0EEEvSJ_.num_agpr, 0
	.set _ZN7rocprim17ROCPRIM_400000_NS6detail17trampoline_kernelINS0_14default_configENS1_38merge_sort_block_merge_config_selectorIiiEEZZNS1_27merge_sort_block_merge_implIS3_N6thrust23THRUST_200600_302600_NS6detail15normal_iteratorINS8_10device_ptrIiEEEESD_jNS1_19radix_merge_compareILb1ELb1EiNS0_19identity_decomposerEEEEE10hipError_tT0_T1_T2_jT3_P12ihipStream_tbPNSt15iterator_traitsISI_E10value_typeEPNSO_ISJ_E10value_typeEPSK_NS1_7vsmem_tEENKUlT_SI_SJ_SK_E_clIPiSD_S10_SD_EESH_SX_SI_SJ_SK_EUlSX_E_NS1_11comp_targetILNS1_3genE2ELNS1_11target_archE906ELNS1_3gpuE6ELNS1_3repE0EEENS1_48merge_mergepath_partition_config_static_selectorELNS0_4arch9wavefront6targetE0EEEvSJ_.numbered_sgpr, 0
	.set _ZN7rocprim17ROCPRIM_400000_NS6detail17trampoline_kernelINS0_14default_configENS1_38merge_sort_block_merge_config_selectorIiiEEZZNS1_27merge_sort_block_merge_implIS3_N6thrust23THRUST_200600_302600_NS6detail15normal_iteratorINS8_10device_ptrIiEEEESD_jNS1_19radix_merge_compareILb1ELb1EiNS0_19identity_decomposerEEEEE10hipError_tT0_T1_T2_jT3_P12ihipStream_tbPNSt15iterator_traitsISI_E10value_typeEPNSO_ISJ_E10value_typeEPSK_NS1_7vsmem_tEENKUlT_SI_SJ_SK_E_clIPiSD_S10_SD_EESH_SX_SI_SJ_SK_EUlSX_E_NS1_11comp_targetILNS1_3genE2ELNS1_11target_archE906ELNS1_3gpuE6ELNS1_3repE0EEENS1_48merge_mergepath_partition_config_static_selectorELNS0_4arch9wavefront6targetE0EEEvSJ_.num_named_barrier, 0
	.set _ZN7rocprim17ROCPRIM_400000_NS6detail17trampoline_kernelINS0_14default_configENS1_38merge_sort_block_merge_config_selectorIiiEEZZNS1_27merge_sort_block_merge_implIS3_N6thrust23THRUST_200600_302600_NS6detail15normal_iteratorINS8_10device_ptrIiEEEESD_jNS1_19radix_merge_compareILb1ELb1EiNS0_19identity_decomposerEEEEE10hipError_tT0_T1_T2_jT3_P12ihipStream_tbPNSt15iterator_traitsISI_E10value_typeEPNSO_ISJ_E10value_typeEPSK_NS1_7vsmem_tEENKUlT_SI_SJ_SK_E_clIPiSD_S10_SD_EESH_SX_SI_SJ_SK_EUlSX_E_NS1_11comp_targetILNS1_3genE2ELNS1_11target_archE906ELNS1_3gpuE6ELNS1_3repE0EEENS1_48merge_mergepath_partition_config_static_selectorELNS0_4arch9wavefront6targetE0EEEvSJ_.private_seg_size, 0
	.set _ZN7rocprim17ROCPRIM_400000_NS6detail17trampoline_kernelINS0_14default_configENS1_38merge_sort_block_merge_config_selectorIiiEEZZNS1_27merge_sort_block_merge_implIS3_N6thrust23THRUST_200600_302600_NS6detail15normal_iteratorINS8_10device_ptrIiEEEESD_jNS1_19radix_merge_compareILb1ELb1EiNS0_19identity_decomposerEEEEE10hipError_tT0_T1_T2_jT3_P12ihipStream_tbPNSt15iterator_traitsISI_E10value_typeEPNSO_ISJ_E10value_typeEPSK_NS1_7vsmem_tEENKUlT_SI_SJ_SK_E_clIPiSD_S10_SD_EESH_SX_SI_SJ_SK_EUlSX_E_NS1_11comp_targetILNS1_3genE2ELNS1_11target_archE906ELNS1_3gpuE6ELNS1_3repE0EEENS1_48merge_mergepath_partition_config_static_selectorELNS0_4arch9wavefront6targetE0EEEvSJ_.uses_vcc, 0
	.set _ZN7rocprim17ROCPRIM_400000_NS6detail17trampoline_kernelINS0_14default_configENS1_38merge_sort_block_merge_config_selectorIiiEEZZNS1_27merge_sort_block_merge_implIS3_N6thrust23THRUST_200600_302600_NS6detail15normal_iteratorINS8_10device_ptrIiEEEESD_jNS1_19radix_merge_compareILb1ELb1EiNS0_19identity_decomposerEEEEE10hipError_tT0_T1_T2_jT3_P12ihipStream_tbPNSt15iterator_traitsISI_E10value_typeEPNSO_ISJ_E10value_typeEPSK_NS1_7vsmem_tEENKUlT_SI_SJ_SK_E_clIPiSD_S10_SD_EESH_SX_SI_SJ_SK_EUlSX_E_NS1_11comp_targetILNS1_3genE2ELNS1_11target_archE906ELNS1_3gpuE6ELNS1_3repE0EEENS1_48merge_mergepath_partition_config_static_selectorELNS0_4arch9wavefront6targetE0EEEvSJ_.uses_flat_scratch, 0
	.set _ZN7rocprim17ROCPRIM_400000_NS6detail17trampoline_kernelINS0_14default_configENS1_38merge_sort_block_merge_config_selectorIiiEEZZNS1_27merge_sort_block_merge_implIS3_N6thrust23THRUST_200600_302600_NS6detail15normal_iteratorINS8_10device_ptrIiEEEESD_jNS1_19radix_merge_compareILb1ELb1EiNS0_19identity_decomposerEEEEE10hipError_tT0_T1_T2_jT3_P12ihipStream_tbPNSt15iterator_traitsISI_E10value_typeEPNSO_ISJ_E10value_typeEPSK_NS1_7vsmem_tEENKUlT_SI_SJ_SK_E_clIPiSD_S10_SD_EESH_SX_SI_SJ_SK_EUlSX_E_NS1_11comp_targetILNS1_3genE2ELNS1_11target_archE906ELNS1_3gpuE6ELNS1_3repE0EEENS1_48merge_mergepath_partition_config_static_selectorELNS0_4arch9wavefront6targetE0EEEvSJ_.has_dyn_sized_stack, 0
	.set _ZN7rocprim17ROCPRIM_400000_NS6detail17trampoline_kernelINS0_14default_configENS1_38merge_sort_block_merge_config_selectorIiiEEZZNS1_27merge_sort_block_merge_implIS3_N6thrust23THRUST_200600_302600_NS6detail15normal_iteratorINS8_10device_ptrIiEEEESD_jNS1_19radix_merge_compareILb1ELb1EiNS0_19identity_decomposerEEEEE10hipError_tT0_T1_T2_jT3_P12ihipStream_tbPNSt15iterator_traitsISI_E10value_typeEPNSO_ISJ_E10value_typeEPSK_NS1_7vsmem_tEENKUlT_SI_SJ_SK_E_clIPiSD_S10_SD_EESH_SX_SI_SJ_SK_EUlSX_E_NS1_11comp_targetILNS1_3genE2ELNS1_11target_archE906ELNS1_3gpuE6ELNS1_3repE0EEENS1_48merge_mergepath_partition_config_static_selectorELNS0_4arch9wavefront6targetE0EEEvSJ_.has_recursion, 0
	.set _ZN7rocprim17ROCPRIM_400000_NS6detail17trampoline_kernelINS0_14default_configENS1_38merge_sort_block_merge_config_selectorIiiEEZZNS1_27merge_sort_block_merge_implIS3_N6thrust23THRUST_200600_302600_NS6detail15normal_iteratorINS8_10device_ptrIiEEEESD_jNS1_19radix_merge_compareILb1ELb1EiNS0_19identity_decomposerEEEEE10hipError_tT0_T1_T2_jT3_P12ihipStream_tbPNSt15iterator_traitsISI_E10value_typeEPNSO_ISJ_E10value_typeEPSK_NS1_7vsmem_tEENKUlT_SI_SJ_SK_E_clIPiSD_S10_SD_EESH_SX_SI_SJ_SK_EUlSX_E_NS1_11comp_targetILNS1_3genE2ELNS1_11target_archE906ELNS1_3gpuE6ELNS1_3repE0EEENS1_48merge_mergepath_partition_config_static_selectorELNS0_4arch9wavefront6targetE0EEEvSJ_.has_indirect_call, 0
	.section	.AMDGPU.csdata,"",@progbits
; Kernel info:
; codeLenInByte = 0
; TotalNumSgprs: 0
; NumVgprs: 0
; ScratchSize: 0
; MemoryBound: 0
; FloatMode: 240
; IeeeMode: 1
; LDSByteSize: 0 bytes/workgroup (compile time only)
; SGPRBlocks: 0
; VGPRBlocks: 0
; NumSGPRsForWavesPerEU: 1
; NumVGPRsForWavesPerEU: 1
; Occupancy: 16
; WaveLimiterHint : 0
; COMPUTE_PGM_RSRC2:SCRATCH_EN: 0
; COMPUTE_PGM_RSRC2:USER_SGPR: 6
; COMPUTE_PGM_RSRC2:TRAP_HANDLER: 0
; COMPUTE_PGM_RSRC2:TGID_X_EN: 1
; COMPUTE_PGM_RSRC2:TGID_Y_EN: 0
; COMPUTE_PGM_RSRC2:TGID_Z_EN: 0
; COMPUTE_PGM_RSRC2:TIDIG_COMP_CNT: 0
	.section	.text._ZN7rocprim17ROCPRIM_400000_NS6detail17trampoline_kernelINS0_14default_configENS1_38merge_sort_block_merge_config_selectorIiiEEZZNS1_27merge_sort_block_merge_implIS3_N6thrust23THRUST_200600_302600_NS6detail15normal_iteratorINS8_10device_ptrIiEEEESD_jNS1_19radix_merge_compareILb1ELb1EiNS0_19identity_decomposerEEEEE10hipError_tT0_T1_T2_jT3_P12ihipStream_tbPNSt15iterator_traitsISI_E10value_typeEPNSO_ISJ_E10value_typeEPSK_NS1_7vsmem_tEENKUlT_SI_SJ_SK_E_clIPiSD_S10_SD_EESH_SX_SI_SJ_SK_EUlSX_E_NS1_11comp_targetILNS1_3genE9ELNS1_11target_archE1100ELNS1_3gpuE3ELNS1_3repE0EEENS1_48merge_mergepath_partition_config_static_selectorELNS0_4arch9wavefront6targetE0EEEvSJ_,"axG",@progbits,_ZN7rocprim17ROCPRIM_400000_NS6detail17trampoline_kernelINS0_14default_configENS1_38merge_sort_block_merge_config_selectorIiiEEZZNS1_27merge_sort_block_merge_implIS3_N6thrust23THRUST_200600_302600_NS6detail15normal_iteratorINS8_10device_ptrIiEEEESD_jNS1_19radix_merge_compareILb1ELb1EiNS0_19identity_decomposerEEEEE10hipError_tT0_T1_T2_jT3_P12ihipStream_tbPNSt15iterator_traitsISI_E10value_typeEPNSO_ISJ_E10value_typeEPSK_NS1_7vsmem_tEENKUlT_SI_SJ_SK_E_clIPiSD_S10_SD_EESH_SX_SI_SJ_SK_EUlSX_E_NS1_11comp_targetILNS1_3genE9ELNS1_11target_archE1100ELNS1_3gpuE3ELNS1_3repE0EEENS1_48merge_mergepath_partition_config_static_selectorELNS0_4arch9wavefront6targetE0EEEvSJ_,comdat
	.protected	_ZN7rocprim17ROCPRIM_400000_NS6detail17trampoline_kernelINS0_14default_configENS1_38merge_sort_block_merge_config_selectorIiiEEZZNS1_27merge_sort_block_merge_implIS3_N6thrust23THRUST_200600_302600_NS6detail15normal_iteratorINS8_10device_ptrIiEEEESD_jNS1_19radix_merge_compareILb1ELb1EiNS0_19identity_decomposerEEEEE10hipError_tT0_T1_T2_jT3_P12ihipStream_tbPNSt15iterator_traitsISI_E10value_typeEPNSO_ISJ_E10value_typeEPSK_NS1_7vsmem_tEENKUlT_SI_SJ_SK_E_clIPiSD_S10_SD_EESH_SX_SI_SJ_SK_EUlSX_E_NS1_11comp_targetILNS1_3genE9ELNS1_11target_archE1100ELNS1_3gpuE3ELNS1_3repE0EEENS1_48merge_mergepath_partition_config_static_selectorELNS0_4arch9wavefront6targetE0EEEvSJ_ ; -- Begin function _ZN7rocprim17ROCPRIM_400000_NS6detail17trampoline_kernelINS0_14default_configENS1_38merge_sort_block_merge_config_selectorIiiEEZZNS1_27merge_sort_block_merge_implIS3_N6thrust23THRUST_200600_302600_NS6detail15normal_iteratorINS8_10device_ptrIiEEEESD_jNS1_19radix_merge_compareILb1ELb1EiNS0_19identity_decomposerEEEEE10hipError_tT0_T1_T2_jT3_P12ihipStream_tbPNSt15iterator_traitsISI_E10value_typeEPNSO_ISJ_E10value_typeEPSK_NS1_7vsmem_tEENKUlT_SI_SJ_SK_E_clIPiSD_S10_SD_EESH_SX_SI_SJ_SK_EUlSX_E_NS1_11comp_targetILNS1_3genE9ELNS1_11target_archE1100ELNS1_3gpuE3ELNS1_3repE0EEENS1_48merge_mergepath_partition_config_static_selectorELNS0_4arch9wavefront6targetE0EEEvSJ_
	.globl	_ZN7rocprim17ROCPRIM_400000_NS6detail17trampoline_kernelINS0_14default_configENS1_38merge_sort_block_merge_config_selectorIiiEEZZNS1_27merge_sort_block_merge_implIS3_N6thrust23THRUST_200600_302600_NS6detail15normal_iteratorINS8_10device_ptrIiEEEESD_jNS1_19radix_merge_compareILb1ELb1EiNS0_19identity_decomposerEEEEE10hipError_tT0_T1_T2_jT3_P12ihipStream_tbPNSt15iterator_traitsISI_E10value_typeEPNSO_ISJ_E10value_typeEPSK_NS1_7vsmem_tEENKUlT_SI_SJ_SK_E_clIPiSD_S10_SD_EESH_SX_SI_SJ_SK_EUlSX_E_NS1_11comp_targetILNS1_3genE9ELNS1_11target_archE1100ELNS1_3gpuE3ELNS1_3repE0EEENS1_48merge_mergepath_partition_config_static_selectorELNS0_4arch9wavefront6targetE0EEEvSJ_
	.p2align	8
	.type	_ZN7rocprim17ROCPRIM_400000_NS6detail17trampoline_kernelINS0_14default_configENS1_38merge_sort_block_merge_config_selectorIiiEEZZNS1_27merge_sort_block_merge_implIS3_N6thrust23THRUST_200600_302600_NS6detail15normal_iteratorINS8_10device_ptrIiEEEESD_jNS1_19radix_merge_compareILb1ELb1EiNS0_19identity_decomposerEEEEE10hipError_tT0_T1_T2_jT3_P12ihipStream_tbPNSt15iterator_traitsISI_E10value_typeEPNSO_ISJ_E10value_typeEPSK_NS1_7vsmem_tEENKUlT_SI_SJ_SK_E_clIPiSD_S10_SD_EESH_SX_SI_SJ_SK_EUlSX_E_NS1_11comp_targetILNS1_3genE9ELNS1_11target_archE1100ELNS1_3gpuE3ELNS1_3repE0EEENS1_48merge_mergepath_partition_config_static_selectorELNS0_4arch9wavefront6targetE0EEEvSJ_,@function
_ZN7rocprim17ROCPRIM_400000_NS6detail17trampoline_kernelINS0_14default_configENS1_38merge_sort_block_merge_config_selectorIiiEEZZNS1_27merge_sort_block_merge_implIS3_N6thrust23THRUST_200600_302600_NS6detail15normal_iteratorINS8_10device_ptrIiEEEESD_jNS1_19radix_merge_compareILb1ELb1EiNS0_19identity_decomposerEEEEE10hipError_tT0_T1_T2_jT3_P12ihipStream_tbPNSt15iterator_traitsISI_E10value_typeEPNSO_ISJ_E10value_typeEPSK_NS1_7vsmem_tEENKUlT_SI_SJ_SK_E_clIPiSD_S10_SD_EESH_SX_SI_SJ_SK_EUlSX_E_NS1_11comp_targetILNS1_3genE9ELNS1_11target_archE1100ELNS1_3gpuE3ELNS1_3repE0EEENS1_48merge_mergepath_partition_config_static_selectorELNS0_4arch9wavefront6targetE0EEEvSJ_: ; @_ZN7rocprim17ROCPRIM_400000_NS6detail17trampoline_kernelINS0_14default_configENS1_38merge_sort_block_merge_config_selectorIiiEEZZNS1_27merge_sort_block_merge_implIS3_N6thrust23THRUST_200600_302600_NS6detail15normal_iteratorINS8_10device_ptrIiEEEESD_jNS1_19radix_merge_compareILb1ELb1EiNS0_19identity_decomposerEEEEE10hipError_tT0_T1_T2_jT3_P12ihipStream_tbPNSt15iterator_traitsISI_E10value_typeEPNSO_ISJ_E10value_typeEPSK_NS1_7vsmem_tEENKUlT_SI_SJ_SK_E_clIPiSD_S10_SD_EESH_SX_SI_SJ_SK_EUlSX_E_NS1_11comp_targetILNS1_3genE9ELNS1_11target_archE1100ELNS1_3gpuE3ELNS1_3repE0EEENS1_48merge_mergepath_partition_config_static_selectorELNS0_4arch9wavefront6targetE0EEEvSJ_
; %bb.0:
	.section	.rodata,"a",@progbits
	.p2align	6, 0x0
	.amdhsa_kernel _ZN7rocprim17ROCPRIM_400000_NS6detail17trampoline_kernelINS0_14default_configENS1_38merge_sort_block_merge_config_selectorIiiEEZZNS1_27merge_sort_block_merge_implIS3_N6thrust23THRUST_200600_302600_NS6detail15normal_iteratorINS8_10device_ptrIiEEEESD_jNS1_19radix_merge_compareILb1ELb1EiNS0_19identity_decomposerEEEEE10hipError_tT0_T1_T2_jT3_P12ihipStream_tbPNSt15iterator_traitsISI_E10value_typeEPNSO_ISJ_E10value_typeEPSK_NS1_7vsmem_tEENKUlT_SI_SJ_SK_E_clIPiSD_S10_SD_EESH_SX_SI_SJ_SK_EUlSX_E_NS1_11comp_targetILNS1_3genE9ELNS1_11target_archE1100ELNS1_3gpuE3ELNS1_3repE0EEENS1_48merge_mergepath_partition_config_static_selectorELNS0_4arch9wavefront6targetE0EEEvSJ_
		.amdhsa_group_segment_fixed_size 0
		.amdhsa_private_segment_fixed_size 0
		.amdhsa_kernarg_size 40
		.amdhsa_user_sgpr_count 6
		.amdhsa_user_sgpr_private_segment_buffer 1
		.amdhsa_user_sgpr_dispatch_ptr 0
		.amdhsa_user_sgpr_queue_ptr 0
		.amdhsa_user_sgpr_kernarg_segment_ptr 1
		.amdhsa_user_sgpr_dispatch_id 0
		.amdhsa_user_sgpr_flat_scratch_init 0
		.amdhsa_user_sgpr_private_segment_size 0
		.amdhsa_wavefront_size32 1
		.amdhsa_uses_dynamic_stack 0
		.amdhsa_system_sgpr_private_segment_wavefront_offset 0
		.amdhsa_system_sgpr_workgroup_id_x 1
		.amdhsa_system_sgpr_workgroup_id_y 0
		.amdhsa_system_sgpr_workgroup_id_z 0
		.amdhsa_system_sgpr_workgroup_info 0
		.amdhsa_system_vgpr_workitem_id 0
		.amdhsa_next_free_vgpr 1
		.amdhsa_next_free_sgpr 1
		.amdhsa_reserve_vcc 0
		.amdhsa_reserve_flat_scratch 0
		.amdhsa_float_round_mode_32 0
		.amdhsa_float_round_mode_16_64 0
		.amdhsa_float_denorm_mode_32 3
		.amdhsa_float_denorm_mode_16_64 3
		.amdhsa_dx10_clamp 1
		.amdhsa_ieee_mode 1
		.amdhsa_fp16_overflow 0
		.amdhsa_workgroup_processor_mode 1
		.amdhsa_memory_ordered 1
		.amdhsa_forward_progress 1
		.amdhsa_shared_vgpr_count 0
		.amdhsa_exception_fp_ieee_invalid_op 0
		.amdhsa_exception_fp_denorm_src 0
		.amdhsa_exception_fp_ieee_div_zero 0
		.amdhsa_exception_fp_ieee_overflow 0
		.amdhsa_exception_fp_ieee_underflow 0
		.amdhsa_exception_fp_ieee_inexact 0
		.amdhsa_exception_int_div_zero 0
	.end_amdhsa_kernel
	.section	.text._ZN7rocprim17ROCPRIM_400000_NS6detail17trampoline_kernelINS0_14default_configENS1_38merge_sort_block_merge_config_selectorIiiEEZZNS1_27merge_sort_block_merge_implIS3_N6thrust23THRUST_200600_302600_NS6detail15normal_iteratorINS8_10device_ptrIiEEEESD_jNS1_19radix_merge_compareILb1ELb1EiNS0_19identity_decomposerEEEEE10hipError_tT0_T1_T2_jT3_P12ihipStream_tbPNSt15iterator_traitsISI_E10value_typeEPNSO_ISJ_E10value_typeEPSK_NS1_7vsmem_tEENKUlT_SI_SJ_SK_E_clIPiSD_S10_SD_EESH_SX_SI_SJ_SK_EUlSX_E_NS1_11comp_targetILNS1_3genE9ELNS1_11target_archE1100ELNS1_3gpuE3ELNS1_3repE0EEENS1_48merge_mergepath_partition_config_static_selectorELNS0_4arch9wavefront6targetE0EEEvSJ_,"axG",@progbits,_ZN7rocprim17ROCPRIM_400000_NS6detail17trampoline_kernelINS0_14default_configENS1_38merge_sort_block_merge_config_selectorIiiEEZZNS1_27merge_sort_block_merge_implIS3_N6thrust23THRUST_200600_302600_NS6detail15normal_iteratorINS8_10device_ptrIiEEEESD_jNS1_19radix_merge_compareILb1ELb1EiNS0_19identity_decomposerEEEEE10hipError_tT0_T1_T2_jT3_P12ihipStream_tbPNSt15iterator_traitsISI_E10value_typeEPNSO_ISJ_E10value_typeEPSK_NS1_7vsmem_tEENKUlT_SI_SJ_SK_E_clIPiSD_S10_SD_EESH_SX_SI_SJ_SK_EUlSX_E_NS1_11comp_targetILNS1_3genE9ELNS1_11target_archE1100ELNS1_3gpuE3ELNS1_3repE0EEENS1_48merge_mergepath_partition_config_static_selectorELNS0_4arch9wavefront6targetE0EEEvSJ_,comdat
.Lfunc_end939:
	.size	_ZN7rocprim17ROCPRIM_400000_NS6detail17trampoline_kernelINS0_14default_configENS1_38merge_sort_block_merge_config_selectorIiiEEZZNS1_27merge_sort_block_merge_implIS3_N6thrust23THRUST_200600_302600_NS6detail15normal_iteratorINS8_10device_ptrIiEEEESD_jNS1_19radix_merge_compareILb1ELb1EiNS0_19identity_decomposerEEEEE10hipError_tT0_T1_T2_jT3_P12ihipStream_tbPNSt15iterator_traitsISI_E10value_typeEPNSO_ISJ_E10value_typeEPSK_NS1_7vsmem_tEENKUlT_SI_SJ_SK_E_clIPiSD_S10_SD_EESH_SX_SI_SJ_SK_EUlSX_E_NS1_11comp_targetILNS1_3genE9ELNS1_11target_archE1100ELNS1_3gpuE3ELNS1_3repE0EEENS1_48merge_mergepath_partition_config_static_selectorELNS0_4arch9wavefront6targetE0EEEvSJ_, .Lfunc_end939-_ZN7rocprim17ROCPRIM_400000_NS6detail17trampoline_kernelINS0_14default_configENS1_38merge_sort_block_merge_config_selectorIiiEEZZNS1_27merge_sort_block_merge_implIS3_N6thrust23THRUST_200600_302600_NS6detail15normal_iteratorINS8_10device_ptrIiEEEESD_jNS1_19radix_merge_compareILb1ELb1EiNS0_19identity_decomposerEEEEE10hipError_tT0_T1_T2_jT3_P12ihipStream_tbPNSt15iterator_traitsISI_E10value_typeEPNSO_ISJ_E10value_typeEPSK_NS1_7vsmem_tEENKUlT_SI_SJ_SK_E_clIPiSD_S10_SD_EESH_SX_SI_SJ_SK_EUlSX_E_NS1_11comp_targetILNS1_3genE9ELNS1_11target_archE1100ELNS1_3gpuE3ELNS1_3repE0EEENS1_48merge_mergepath_partition_config_static_selectorELNS0_4arch9wavefront6targetE0EEEvSJ_
                                        ; -- End function
	.set _ZN7rocprim17ROCPRIM_400000_NS6detail17trampoline_kernelINS0_14default_configENS1_38merge_sort_block_merge_config_selectorIiiEEZZNS1_27merge_sort_block_merge_implIS3_N6thrust23THRUST_200600_302600_NS6detail15normal_iteratorINS8_10device_ptrIiEEEESD_jNS1_19radix_merge_compareILb1ELb1EiNS0_19identity_decomposerEEEEE10hipError_tT0_T1_T2_jT3_P12ihipStream_tbPNSt15iterator_traitsISI_E10value_typeEPNSO_ISJ_E10value_typeEPSK_NS1_7vsmem_tEENKUlT_SI_SJ_SK_E_clIPiSD_S10_SD_EESH_SX_SI_SJ_SK_EUlSX_E_NS1_11comp_targetILNS1_3genE9ELNS1_11target_archE1100ELNS1_3gpuE3ELNS1_3repE0EEENS1_48merge_mergepath_partition_config_static_selectorELNS0_4arch9wavefront6targetE0EEEvSJ_.num_vgpr, 0
	.set _ZN7rocprim17ROCPRIM_400000_NS6detail17trampoline_kernelINS0_14default_configENS1_38merge_sort_block_merge_config_selectorIiiEEZZNS1_27merge_sort_block_merge_implIS3_N6thrust23THRUST_200600_302600_NS6detail15normal_iteratorINS8_10device_ptrIiEEEESD_jNS1_19radix_merge_compareILb1ELb1EiNS0_19identity_decomposerEEEEE10hipError_tT0_T1_T2_jT3_P12ihipStream_tbPNSt15iterator_traitsISI_E10value_typeEPNSO_ISJ_E10value_typeEPSK_NS1_7vsmem_tEENKUlT_SI_SJ_SK_E_clIPiSD_S10_SD_EESH_SX_SI_SJ_SK_EUlSX_E_NS1_11comp_targetILNS1_3genE9ELNS1_11target_archE1100ELNS1_3gpuE3ELNS1_3repE0EEENS1_48merge_mergepath_partition_config_static_selectorELNS0_4arch9wavefront6targetE0EEEvSJ_.num_agpr, 0
	.set _ZN7rocprim17ROCPRIM_400000_NS6detail17trampoline_kernelINS0_14default_configENS1_38merge_sort_block_merge_config_selectorIiiEEZZNS1_27merge_sort_block_merge_implIS3_N6thrust23THRUST_200600_302600_NS6detail15normal_iteratorINS8_10device_ptrIiEEEESD_jNS1_19radix_merge_compareILb1ELb1EiNS0_19identity_decomposerEEEEE10hipError_tT0_T1_T2_jT3_P12ihipStream_tbPNSt15iterator_traitsISI_E10value_typeEPNSO_ISJ_E10value_typeEPSK_NS1_7vsmem_tEENKUlT_SI_SJ_SK_E_clIPiSD_S10_SD_EESH_SX_SI_SJ_SK_EUlSX_E_NS1_11comp_targetILNS1_3genE9ELNS1_11target_archE1100ELNS1_3gpuE3ELNS1_3repE0EEENS1_48merge_mergepath_partition_config_static_selectorELNS0_4arch9wavefront6targetE0EEEvSJ_.numbered_sgpr, 0
	.set _ZN7rocprim17ROCPRIM_400000_NS6detail17trampoline_kernelINS0_14default_configENS1_38merge_sort_block_merge_config_selectorIiiEEZZNS1_27merge_sort_block_merge_implIS3_N6thrust23THRUST_200600_302600_NS6detail15normal_iteratorINS8_10device_ptrIiEEEESD_jNS1_19radix_merge_compareILb1ELb1EiNS0_19identity_decomposerEEEEE10hipError_tT0_T1_T2_jT3_P12ihipStream_tbPNSt15iterator_traitsISI_E10value_typeEPNSO_ISJ_E10value_typeEPSK_NS1_7vsmem_tEENKUlT_SI_SJ_SK_E_clIPiSD_S10_SD_EESH_SX_SI_SJ_SK_EUlSX_E_NS1_11comp_targetILNS1_3genE9ELNS1_11target_archE1100ELNS1_3gpuE3ELNS1_3repE0EEENS1_48merge_mergepath_partition_config_static_selectorELNS0_4arch9wavefront6targetE0EEEvSJ_.num_named_barrier, 0
	.set _ZN7rocprim17ROCPRIM_400000_NS6detail17trampoline_kernelINS0_14default_configENS1_38merge_sort_block_merge_config_selectorIiiEEZZNS1_27merge_sort_block_merge_implIS3_N6thrust23THRUST_200600_302600_NS6detail15normal_iteratorINS8_10device_ptrIiEEEESD_jNS1_19radix_merge_compareILb1ELb1EiNS0_19identity_decomposerEEEEE10hipError_tT0_T1_T2_jT3_P12ihipStream_tbPNSt15iterator_traitsISI_E10value_typeEPNSO_ISJ_E10value_typeEPSK_NS1_7vsmem_tEENKUlT_SI_SJ_SK_E_clIPiSD_S10_SD_EESH_SX_SI_SJ_SK_EUlSX_E_NS1_11comp_targetILNS1_3genE9ELNS1_11target_archE1100ELNS1_3gpuE3ELNS1_3repE0EEENS1_48merge_mergepath_partition_config_static_selectorELNS0_4arch9wavefront6targetE0EEEvSJ_.private_seg_size, 0
	.set _ZN7rocprim17ROCPRIM_400000_NS6detail17trampoline_kernelINS0_14default_configENS1_38merge_sort_block_merge_config_selectorIiiEEZZNS1_27merge_sort_block_merge_implIS3_N6thrust23THRUST_200600_302600_NS6detail15normal_iteratorINS8_10device_ptrIiEEEESD_jNS1_19radix_merge_compareILb1ELb1EiNS0_19identity_decomposerEEEEE10hipError_tT0_T1_T2_jT3_P12ihipStream_tbPNSt15iterator_traitsISI_E10value_typeEPNSO_ISJ_E10value_typeEPSK_NS1_7vsmem_tEENKUlT_SI_SJ_SK_E_clIPiSD_S10_SD_EESH_SX_SI_SJ_SK_EUlSX_E_NS1_11comp_targetILNS1_3genE9ELNS1_11target_archE1100ELNS1_3gpuE3ELNS1_3repE0EEENS1_48merge_mergepath_partition_config_static_selectorELNS0_4arch9wavefront6targetE0EEEvSJ_.uses_vcc, 0
	.set _ZN7rocprim17ROCPRIM_400000_NS6detail17trampoline_kernelINS0_14default_configENS1_38merge_sort_block_merge_config_selectorIiiEEZZNS1_27merge_sort_block_merge_implIS3_N6thrust23THRUST_200600_302600_NS6detail15normal_iteratorINS8_10device_ptrIiEEEESD_jNS1_19radix_merge_compareILb1ELb1EiNS0_19identity_decomposerEEEEE10hipError_tT0_T1_T2_jT3_P12ihipStream_tbPNSt15iterator_traitsISI_E10value_typeEPNSO_ISJ_E10value_typeEPSK_NS1_7vsmem_tEENKUlT_SI_SJ_SK_E_clIPiSD_S10_SD_EESH_SX_SI_SJ_SK_EUlSX_E_NS1_11comp_targetILNS1_3genE9ELNS1_11target_archE1100ELNS1_3gpuE3ELNS1_3repE0EEENS1_48merge_mergepath_partition_config_static_selectorELNS0_4arch9wavefront6targetE0EEEvSJ_.uses_flat_scratch, 0
	.set _ZN7rocprim17ROCPRIM_400000_NS6detail17trampoline_kernelINS0_14default_configENS1_38merge_sort_block_merge_config_selectorIiiEEZZNS1_27merge_sort_block_merge_implIS3_N6thrust23THRUST_200600_302600_NS6detail15normal_iteratorINS8_10device_ptrIiEEEESD_jNS1_19radix_merge_compareILb1ELb1EiNS0_19identity_decomposerEEEEE10hipError_tT0_T1_T2_jT3_P12ihipStream_tbPNSt15iterator_traitsISI_E10value_typeEPNSO_ISJ_E10value_typeEPSK_NS1_7vsmem_tEENKUlT_SI_SJ_SK_E_clIPiSD_S10_SD_EESH_SX_SI_SJ_SK_EUlSX_E_NS1_11comp_targetILNS1_3genE9ELNS1_11target_archE1100ELNS1_3gpuE3ELNS1_3repE0EEENS1_48merge_mergepath_partition_config_static_selectorELNS0_4arch9wavefront6targetE0EEEvSJ_.has_dyn_sized_stack, 0
	.set _ZN7rocprim17ROCPRIM_400000_NS6detail17trampoline_kernelINS0_14default_configENS1_38merge_sort_block_merge_config_selectorIiiEEZZNS1_27merge_sort_block_merge_implIS3_N6thrust23THRUST_200600_302600_NS6detail15normal_iteratorINS8_10device_ptrIiEEEESD_jNS1_19radix_merge_compareILb1ELb1EiNS0_19identity_decomposerEEEEE10hipError_tT0_T1_T2_jT3_P12ihipStream_tbPNSt15iterator_traitsISI_E10value_typeEPNSO_ISJ_E10value_typeEPSK_NS1_7vsmem_tEENKUlT_SI_SJ_SK_E_clIPiSD_S10_SD_EESH_SX_SI_SJ_SK_EUlSX_E_NS1_11comp_targetILNS1_3genE9ELNS1_11target_archE1100ELNS1_3gpuE3ELNS1_3repE0EEENS1_48merge_mergepath_partition_config_static_selectorELNS0_4arch9wavefront6targetE0EEEvSJ_.has_recursion, 0
	.set _ZN7rocprim17ROCPRIM_400000_NS6detail17trampoline_kernelINS0_14default_configENS1_38merge_sort_block_merge_config_selectorIiiEEZZNS1_27merge_sort_block_merge_implIS3_N6thrust23THRUST_200600_302600_NS6detail15normal_iteratorINS8_10device_ptrIiEEEESD_jNS1_19radix_merge_compareILb1ELb1EiNS0_19identity_decomposerEEEEE10hipError_tT0_T1_T2_jT3_P12ihipStream_tbPNSt15iterator_traitsISI_E10value_typeEPNSO_ISJ_E10value_typeEPSK_NS1_7vsmem_tEENKUlT_SI_SJ_SK_E_clIPiSD_S10_SD_EESH_SX_SI_SJ_SK_EUlSX_E_NS1_11comp_targetILNS1_3genE9ELNS1_11target_archE1100ELNS1_3gpuE3ELNS1_3repE0EEENS1_48merge_mergepath_partition_config_static_selectorELNS0_4arch9wavefront6targetE0EEEvSJ_.has_indirect_call, 0
	.section	.AMDGPU.csdata,"",@progbits
; Kernel info:
; codeLenInByte = 0
; TotalNumSgprs: 0
; NumVgprs: 0
; ScratchSize: 0
; MemoryBound: 0
; FloatMode: 240
; IeeeMode: 1
; LDSByteSize: 0 bytes/workgroup (compile time only)
; SGPRBlocks: 0
; VGPRBlocks: 0
; NumSGPRsForWavesPerEU: 1
; NumVGPRsForWavesPerEU: 1
; Occupancy: 16
; WaveLimiterHint : 0
; COMPUTE_PGM_RSRC2:SCRATCH_EN: 0
; COMPUTE_PGM_RSRC2:USER_SGPR: 6
; COMPUTE_PGM_RSRC2:TRAP_HANDLER: 0
; COMPUTE_PGM_RSRC2:TGID_X_EN: 1
; COMPUTE_PGM_RSRC2:TGID_Y_EN: 0
; COMPUTE_PGM_RSRC2:TGID_Z_EN: 0
; COMPUTE_PGM_RSRC2:TIDIG_COMP_CNT: 0
	.section	.text._ZN7rocprim17ROCPRIM_400000_NS6detail17trampoline_kernelINS0_14default_configENS1_38merge_sort_block_merge_config_selectorIiiEEZZNS1_27merge_sort_block_merge_implIS3_N6thrust23THRUST_200600_302600_NS6detail15normal_iteratorINS8_10device_ptrIiEEEESD_jNS1_19radix_merge_compareILb1ELb1EiNS0_19identity_decomposerEEEEE10hipError_tT0_T1_T2_jT3_P12ihipStream_tbPNSt15iterator_traitsISI_E10value_typeEPNSO_ISJ_E10value_typeEPSK_NS1_7vsmem_tEENKUlT_SI_SJ_SK_E_clIPiSD_S10_SD_EESH_SX_SI_SJ_SK_EUlSX_E_NS1_11comp_targetILNS1_3genE8ELNS1_11target_archE1030ELNS1_3gpuE2ELNS1_3repE0EEENS1_48merge_mergepath_partition_config_static_selectorELNS0_4arch9wavefront6targetE0EEEvSJ_,"axG",@progbits,_ZN7rocprim17ROCPRIM_400000_NS6detail17trampoline_kernelINS0_14default_configENS1_38merge_sort_block_merge_config_selectorIiiEEZZNS1_27merge_sort_block_merge_implIS3_N6thrust23THRUST_200600_302600_NS6detail15normal_iteratorINS8_10device_ptrIiEEEESD_jNS1_19radix_merge_compareILb1ELb1EiNS0_19identity_decomposerEEEEE10hipError_tT0_T1_T2_jT3_P12ihipStream_tbPNSt15iterator_traitsISI_E10value_typeEPNSO_ISJ_E10value_typeEPSK_NS1_7vsmem_tEENKUlT_SI_SJ_SK_E_clIPiSD_S10_SD_EESH_SX_SI_SJ_SK_EUlSX_E_NS1_11comp_targetILNS1_3genE8ELNS1_11target_archE1030ELNS1_3gpuE2ELNS1_3repE0EEENS1_48merge_mergepath_partition_config_static_selectorELNS0_4arch9wavefront6targetE0EEEvSJ_,comdat
	.protected	_ZN7rocprim17ROCPRIM_400000_NS6detail17trampoline_kernelINS0_14default_configENS1_38merge_sort_block_merge_config_selectorIiiEEZZNS1_27merge_sort_block_merge_implIS3_N6thrust23THRUST_200600_302600_NS6detail15normal_iteratorINS8_10device_ptrIiEEEESD_jNS1_19radix_merge_compareILb1ELb1EiNS0_19identity_decomposerEEEEE10hipError_tT0_T1_T2_jT3_P12ihipStream_tbPNSt15iterator_traitsISI_E10value_typeEPNSO_ISJ_E10value_typeEPSK_NS1_7vsmem_tEENKUlT_SI_SJ_SK_E_clIPiSD_S10_SD_EESH_SX_SI_SJ_SK_EUlSX_E_NS1_11comp_targetILNS1_3genE8ELNS1_11target_archE1030ELNS1_3gpuE2ELNS1_3repE0EEENS1_48merge_mergepath_partition_config_static_selectorELNS0_4arch9wavefront6targetE0EEEvSJ_ ; -- Begin function _ZN7rocprim17ROCPRIM_400000_NS6detail17trampoline_kernelINS0_14default_configENS1_38merge_sort_block_merge_config_selectorIiiEEZZNS1_27merge_sort_block_merge_implIS3_N6thrust23THRUST_200600_302600_NS6detail15normal_iteratorINS8_10device_ptrIiEEEESD_jNS1_19radix_merge_compareILb1ELb1EiNS0_19identity_decomposerEEEEE10hipError_tT0_T1_T2_jT3_P12ihipStream_tbPNSt15iterator_traitsISI_E10value_typeEPNSO_ISJ_E10value_typeEPSK_NS1_7vsmem_tEENKUlT_SI_SJ_SK_E_clIPiSD_S10_SD_EESH_SX_SI_SJ_SK_EUlSX_E_NS1_11comp_targetILNS1_3genE8ELNS1_11target_archE1030ELNS1_3gpuE2ELNS1_3repE0EEENS1_48merge_mergepath_partition_config_static_selectorELNS0_4arch9wavefront6targetE0EEEvSJ_
	.globl	_ZN7rocprim17ROCPRIM_400000_NS6detail17trampoline_kernelINS0_14default_configENS1_38merge_sort_block_merge_config_selectorIiiEEZZNS1_27merge_sort_block_merge_implIS3_N6thrust23THRUST_200600_302600_NS6detail15normal_iteratorINS8_10device_ptrIiEEEESD_jNS1_19radix_merge_compareILb1ELb1EiNS0_19identity_decomposerEEEEE10hipError_tT0_T1_T2_jT3_P12ihipStream_tbPNSt15iterator_traitsISI_E10value_typeEPNSO_ISJ_E10value_typeEPSK_NS1_7vsmem_tEENKUlT_SI_SJ_SK_E_clIPiSD_S10_SD_EESH_SX_SI_SJ_SK_EUlSX_E_NS1_11comp_targetILNS1_3genE8ELNS1_11target_archE1030ELNS1_3gpuE2ELNS1_3repE0EEENS1_48merge_mergepath_partition_config_static_selectorELNS0_4arch9wavefront6targetE0EEEvSJ_
	.p2align	8
	.type	_ZN7rocprim17ROCPRIM_400000_NS6detail17trampoline_kernelINS0_14default_configENS1_38merge_sort_block_merge_config_selectorIiiEEZZNS1_27merge_sort_block_merge_implIS3_N6thrust23THRUST_200600_302600_NS6detail15normal_iteratorINS8_10device_ptrIiEEEESD_jNS1_19radix_merge_compareILb1ELb1EiNS0_19identity_decomposerEEEEE10hipError_tT0_T1_T2_jT3_P12ihipStream_tbPNSt15iterator_traitsISI_E10value_typeEPNSO_ISJ_E10value_typeEPSK_NS1_7vsmem_tEENKUlT_SI_SJ_SK_E_clIPiSD_S10_SD_EESH_SX_SI_SJ_SK_EUlSX_E_NS1_11comp_targetILNS1_3genE8ELNS1_11target_archE1030ELNS1_3gpuE2ELNS1_3repE0EEENS1_48merge_mergepath_partition_config_static_selectorELNS0_4arch9wavefront6targetE0EEEvSJ_,@function
_ZN7rocprim17ROCPRIM_400000_NS6detail17trampoline_kernelINS0_14default_configENS1_38merge_sort_block_merge_config_selectorIiiEEZZNS1_27merge_sort_block_merge_implIS3_N6thrust23THRUST_200600_302600_NS6detail15normal_iteratorINS8_10device_ptrIiEEEESD_jNS1_19radix_merge_compareILb1ELb1EiNS0_19identity_decomposerEEEEE10hipError_tT0_T1_T2_jT3_P12ihipStream_tbPNSt15iterator_traitsISI_E10value_typeEPNSO_ISJ_E10value_typeEPSK_NS1_7vsmem_tEENKUlT_SI_SJ_SK_E_clIPiSD_S10_SD_EESH_SX_SI_SJ_SK_EUlSX_E_NS1_11comp_targetILNS1_3genE8ELNS1_11target_archE1030ELNS1_3gpuE2ELNS1_3repE0EEENS1_48merge_mergepath_partition_config_static_selectorELNS0_4arch9wavefront6targetE0EEEvSJ_: ; @_ZN7rocprim17ROCPRIM_400000_NS6detail17trampoline_kernelINS0_14default_configENS1_38merge_sort_block_merge_config_selectorIiiEEZZNS1_27merge_sort_block_merge_implIS3_N6thrust23THRUST_200600_302600_NS6detail15normal_iteratorINS8_10device_ptrIiEEEESD_jNS1_19radix_merge_compareILb1ELb1EiNS0_19identity_decomposerEEEEE10hipError_tT0_T1_T2_jT3_P12ihipStream_tbPNSt15iterator_traitsISI_E10value_typeEPNSO_ISJ_E10value_typeEPSK_NS1_7vsmem_tEENKUlT_SI_SJ_SK_E_clIPiSD_S10_SD_EESH_SX_SI_SJ_SK_EUlSX_E_NS1_11comp_targetILNS1_3genE8ELNS1_11target_archE1030ELNS1_3gpuE2ELNS1_3repE0EEENS1_48merge_mergepath_partition_config_static_selectorELNS0_4arch9wavefront6targetE0EEEvSJ_
; %bb.0:
	s_load_dword s0, s[4:5], 0x0
	v_lshl_or_b32 v0, s6, 7, v0
	s_waitcnt lgkmcnt(0)
	v_cmp_gt_u32_e32 vcc_lo, s0, v0
	s_and_saveexec_b32 s0, vcc_lo
	s_cbranch_execz .LBB940_6
; %bb.1:
	s_load_dwordx2 s[0:1], s[4:5], 0x4
	s_waitcnt lgkmcnt(0)
	s_lshr_b32 s2, s0, 9
	s_and_b32 s2, s2, 0x7ffffe
	s_sub_i32 s3, 0, s2
	s_add_i32 s2, s2, -1
	v_and_b32_e32 v1, s3, v0
	v_and_b32_e32 v5, s2, v0
	s_mov_b32 s3, 0
	s_mov_b32 s2, exec_lo
	v_lshlrev_b32_e32 v1, 10, v1
	v_add_nc_u32_e32 v2, s0, v1
	v_min_u32_e32 v4, s1, v2
	v_min_u32_e32 v2, s1, v1
	v_add_nc_u32_e32 v3, s0, v4
	v_min_u32_e32 v1, s1, v3
	s_load_dwordx2 s[0:1], s[4:5], 0x20
	v_lshlrev_b32_e32 v3, 10, v5
	v_sub_nc_u32_e32 v5, v1, v2
	v_sub_nc_u32_e32 v6, v1, v4
	v_min_u32_e32 v1, v5, v3
	v_sub_nc_u32_e32 v3, v4, v2
	v_sub_nc_u32_e64 v6, v1, v6 clamp
	v_min_u32_e32 v7, v1, v3
	v_cmpx_lt_u32_e64 v6, v7
	s_cbranch_execz .LBB940_5
; %bb.2:
	s_load_dwordx2 s[6:7], s[4:5], 0x10
	v_mov_b32_e32 v5, 0
	s_load_dword s4, s[4:5], 0x18
	v_mov_b32_e32 v3, v5
	v_lshlrev_b64 v[10:11], 2, v[4:5]
	v_lshlrev_b64 v[8:9], 2, v[2:3]
	s_waitcnt lgkmcnt(0)
	v_add_co_u32 v3, vcc_lo, s6, v8
	v_add_co_ci_u32_e64 v8, null, s7, v9, vcc_lo
	v_add_co_u32 v9, vcc_lo, s6, v10
	v_add_co_ci_u32_e64 v10, null, s7, v11, vcc_lo
	.p2align	6
.LBB940_3:                              ; =>This Inner Loop Header: Depth=1
	v_add_nc_u32_e32 v4, v7, v6
	v_mov_b32_e32 v12, v5
	v_lshrrev_b32_e32 v4, 1, v4
	v_xad_u32 v11, v4, -1, v1
	v_lshlrev_b64 v[13:14], 2, v[4:5]
	v_lshlrev_b64 v[11:12], 2, v[11:12]
	v_add_co_u32 v13, vcc_lo, v3, v13
	v_add_co_ci_u32_e64 v14, null, v8, v14, vcc_lo
	v_add_co_u32 v11, vcc_lo, v9, v11
	v_add_co_ci_u32_e64 v12, null, v10, v12, vcc_lo
	s_clause 0x1
	global_load_dword v13, v[13:14], off
	global_load_dword v11, v[11:12], off
	s_waitcnt vmcnt(1)
	v_and_b32_e32 v12, s4, v13
	s_waitcnt vmcnt(0)
	v_and_b32_e32 v11, s4, v11
	v_add_nc_u32_e32 v13, 1, v4
	v_cmp_gt_i32_e32 vcc_lo, v11, v12
	v_cndmask_b32_e32 v7, v7, v4, vcc_lo
	v_cndmask_b32_e32 v6, v13, v6, vcc_lo
	v_cmp_ge_u32_e32 vcc_lo, v6, v7
	s_or_b32 s3, vcc_lo, s3
	s_andn2_b32 exec_lo, exec_lo, s3
	s_cbranch_execnz .LBB940_3
; %bb.4:
	s_or_b32 exec_lo, exec_lo, s3
.LBB940_5:
	s_or_b32 exec_lo, exec_lo, s2
	v_mov_b32_e32 v1, 0
	v_add_nc_u32_e32 v2, v6, v2
	v_lshlrev_b64 v[0:1], 2, v[0:1]
	s_waitcnt lgkmcnt(0)
	v_add_co_u32 v0, vcc_lo, s0, v0
	v_add_co_ci_u32_e64 v1, null, s1, v1, vcc_lo
	global_store_dword v[0:1], v2, off
.LBB940_6:
	s_endpgm
	.section	.rodata,"a",@progbits
	.p2align	6, 0x0
	.amdhsa_kernel _ZN7rocprim17ROCPRIM_400000_NS6detail17trampoline_kernelINS0_14default_configENS1_38merge_sort_block_merge_config_selectorIiiEEZZNS1_27merge_sort_block_merge_implIS3_N6thrust23THRUST_200600_302600_NS6detail15normal_iteratorINS8_10device_ptrIiEEEESD_jNS1_19radix_merge_compareILb1ELb1EiNS0_19identity_decomposerEEEEE10hipError_tT0_T1_T2_jT3_P12ihipStream_tbPNSt15iterator_traitsISI_E10value_typeEPNSO_ISJ_E10value_typeEPSK_NS1_7vsmem_tEENKUlT_SI_SJ_SK_E_clIPiSD_S10_SD_EESH_SX_SI_SJ_SK_EUlSX_E_NS1_11comp_targetILNS1_3genE8ELNS1_11target_archE1030ELNS1_3gpuE2ELNS1_3repE0EEENS1_48merge_mergepath_partition_config_static_selectorELNS0_4arch9wavefront6targetE0EEEvSJ_
		.amdhsa_group_segment_fixed_size 0
		.amdhsa_private_segment_fixed_size 0
		.amdhsa_kernarg_size 40
		.amdhsa_user_sgpr_count 6
		.amdhsa_user_sgpr_private_segment_buffer 1
		.amdhsa_user_sgpr_dispatch_ptr 0
		.amdhsa_user_sgpr_queue_ptr 0
		.amdhsa_user_sgpr_kernarg_segment_ptr 1
		.amdhsa_user_sgpr_dispatch_id 0
		.amdhsa_user_sgpr_flat_scratch_init 0
		.amdhsa_user_sgpr_private_segment_size 0
		.amdhsa_wavefront_size32 1
		.amdhsa_uses_dynamic_stack 0
		.amdhsa_system_sgpr_private_segment_wavefront_offset 0
		.amdhsa_system_sgpr_workgroup_id_x 1
		.amdhsa_system_sgpr_workgroup_id_y 0
		.amdhsa_system_sgpr_workgroup_id_z 0
		.amdhsa_system_sgpr_workgroup_info 0
		.amdhsa_system_vgpr_workitem_id 0
		.amdhsa_next_free_vgpr 15
		.amdhsa_next_free_sgpr 8
		.amdhsa_reserve_vcc 1
		.amdhsa_reserve_flat_scratch 0
		.amdhsa_float_round_mode_32 0
		.amdhsa_float_round_mode_16_64 0
		.amdhsa_float_denorm_mode_32 3
		.amdhsa_float_denorm_mode_16_64 3
		.amdhsa_dx10_clamp 1
		.amdhsa_ieee_mode 1
		.amdhsa_fp16_overflow 0
		.amdhsa_workgroup_processor_mode 1
		.amdhsa_memory_ordered 1
		.amdhsa_forward_progress 1
		.amdhsa_shared_vgpr_count 0
		.amdhsa_exception_fp_ieee_invalid_op 0
		.amdhsa_exception_fp_denorm_src 0
		.amdhsa_exception_fp_ieee_div_zero 0
		.amdhsa_exception_fp_ieee_overflow 0
		.amdhsa_exception_fp_ieee_underflow 0
		.amdhsa_exception_fp_ieee_inexact 0
		.amdhsa_exception_int_div_zero 0
	.end_amdhsa_kernel
	.section	.text._ZN7rocprim17ROCPRIM_400000_NS6detail17trampoline_kernelINS0_14default_configENS1_38merge_sort_block_merge_config_selectorIiiEEZZNS1_27merge_sort_block_merge_implIS3_N6thrust23THRUST_200600_302600_NS6detail15normal_iteratorINS8_10device_ptrIiEEEESD_jNS1_19radix_merge_compareILb1ELb1EiNS0_19identity_decomposerEEEEE10hipError_tT0_T1_T2_jT3_P12ihipStream_tbPNSt15iterator_traitsISI_E10value_typeEPNSO_ISJ_E10value_typeEPSK_NS1_7vsmem_tEENKUlT_SI_SJ_SK_E_clIPiSD_S10_SD_EESH_SX_SI_SJ_SK_EUlSX_E_NS1_11comp_targetILNS1_3genE8ELNS1_11target_archE1030ELNS1_3gpuE2ELNS1_3repE0EEENS1_48merge_mergepath_partition_config_static_selectorELNS0_4arch9wavefront6targetE0EEEvSJ_,"axG",@progbits,_ZN7rocprim17ROCPRIM_400000_NS6detail17trampoline_kernelINS0_14default_configENS1_38merge_sort_block_merge_config_selectorIiiEEZZNS1_27merge_sort_block_merge_implIS3_N6thrust23THRUST_200600_302600_NS6detail15normal_iteratorINS8_10device_ptrIiEEEESD_jNS1_19radix_merge_compareILb1ELb1EiNS0_19identity_decomposerEEEEE10hipError_tT0_T1_T2_jT3_P12ihipStream_tbPNSt15iterator_traitsISI_E10value_typeEPNSO_ISJ_E10value_typeEPSK_NS1_7vsmem_tEENKUlT_SI_SJ_SK_E_clIPiSD_S10_SD_EESH_SX_SI_SJ_SK_EUlSX_E_NS1_11comp_targetILNS1_3genE8ELNS1_11target_archE1030ELNS1_3gpuE2ELNS1_3repE0EEENS1_48merge_mergepath_partition_config_static_selectorELNS0_4arch9wavefront6targetE0EEEvSJ_,comdat
.Lfunc_end940:
	.size	_ZN7rocprim17ROCPRIM_400000_NS6detail17trampoline_kernelINS0_14default_configENS1_38merge_sort_block_merge_config_selectorIiiEEZZNS1_27merge_sort_block_merge_implIS3_N6thrust23THRUST_200600_302600_NS6detail15normal_iteratorINS8_10device_ptrIiEEEESD_jNS1_19radix_merge_compareILb1ELb1EiNS0_19identity_decomposerEEEEE10hipError_tT0_T1_T2_jT3_P12ihipStream_tbPNSt15iterator_traitsISI_E10value_typeEPNSO_ISJ_E10value_typeEPSK_NS1_7vsmem_tEENKUlT_SI_SJ_SK_E_clIPiSD_S10_SD_EESH_SX_SI_SJ_SK_EUlSX_E_NS1_11comp_targetILNS1_3genE8ELNS1_11target_archE1030ELNS1_3gpuE2ELNS1_3repE0EEENS1_48merge_mergepath_partition_config_static_selectorELNS0_4arch9wavefront6targetE0EEEvSJ_, .Lfunc_end940-_ZN7rocprim17ROCPRIM_400000_NS6detail17trampoline_kernelINS0_14default_configENS1_38merge_sort_block_merge_config_selectorIiiEEZZNS1_27merge_sort_block_merge_implIS3_N6thrust23THRUST_200600_302600_NS6detail15normal_iteratorINS8_10device_ptrIiEEEESD_jNS1_19radix_merge_compareILb1ELb1EiNS0_19identity_decomposerEEEEE10hipError_tT0_T1_T2_jT3_P12ihipStream_tbPNSt15iterator_traitsISI_E10value_typeEPNSO_ISJ_E10value_typeEPSK_NS1_7vsmem_tEENKUlT_SI_SJ_SK_E_clIPiSD_S10_SD_EESH_SX_SI_SJ_SK_EUlSX_E_NS1_11comp_targetILNS1_3genE8ELNS1_11target_archE1030ELNS1_3gpuE2ELNS1_3repE0EEENS1_48merge_mergepath_partition_config_static_selectorELNS0_4arch9wavefront6targetE0EEEvSJ_
                                        ; -- End function
	.set _ZN7rocprim17ROCPRIM_400000_NS6detail17trampoline_kernelINS0_14default_configENS1_38merge_sort_block_merge_config_selectorIiiEEZZNS1_27merge_sort_block_merge_implIS3_N6thrust23THRUST_200600_302600_NS6detail15normal_iteratorINS8_10device_ptrIiEEEESD_jNS1_19radix_merge_compareILb1ELb1EiNS0_19identity_decomposerEEEEE10hipError_tT0_T1_T2_jT3_P12ihipStream_tbPNSt15iterator_traitsISI_E10value_typeEPNSO_ISJ_E10value_typeEPSK_NS1_7vsmem_tEENKUlT_SI_SJ_SK_E_clIPiSD_S10_SD_EESH_SX_SI_SJ_SK_EUlSX_E_NS1_11comp_targetILNS1_3genE8ELNS1_11target_archE1030ELNS1_3gpuE2ELNS1_3repE0EEENS1_48merge_mergepath_partition_config_static_selectorELNS0_4arch9wavefront6targetE0EEEvSJ_.num_vgpr, 15
	.set _ZN7rocprim17ROCPRIM_400000_NS6detail17trampoline_kernelINS0_14default_configENS1_38merge_sort_block_merge_config_selectorIiiEEZZNS1_27merge_sort_block_merge_implIS3_N6thrust23THRUST_200600_302600_NS6detail15normal_iteratorINS8_10device_ptrIiEEEESD_jNS1_19radix_merge_compareILb1ELb1EiNS0_19identity_decomposerEEEEE10hipError_tT0_T1_T2_jT3_P12ihipStream_tbPNSt15iterator_traitsISI_E10value_typeEPNSO_ISJ_E10value_typeEPSK_NS1_7vsmem_tEENKUlT_SI_SJ_SK_E_clIPiSD_S10_SD_EESH_SX_SI_SJ_SK_EUlSX_E_NS1_11comp_targetILNS1_3genE8ELNS1_11target_archE1030ELNS1_3gpuE2ELNS1_3repE0EEENS1_48merge_mergepath_partition_config_static_selectorELNS0_4arch9wavefront6targetE0EEEvSJ_.num_agpr, 0
	.set _ZN7rocprim17ROCPRIM_400000_NS6detail17trampoline_kernelINS0_14default_configENS1_38merge_sort_block_merge_config_selectorIiiEEZZNS1_27merge_sort_block_merge_implIS3_N6thrust23THRUST_200600_302600_NS6detail15normal_iteratorINS8_10device_ptrIiEEEESD_jNS1_19radix_merge_compareILb1ELb1EiNS0_19identity_decomposerEEEEE10hipError_tT0_T1_T2_jT3_P12ihipStream_tbPNSt15iterator_traitsISI_E10value_typeEPNSO_ISJ_E10value_typeEPSK_NS1_7vsmem_tEENKUlT_SI_SJ_SK_E_clIPiSD_S10_SD_EESH_SX_SI_SJ_SK_EUlSX_E_NS1_11comp_targetILNS1_3genE8ELNS1_11target_archE1030ELNS1_3gpuE2ELNS1_3repE0EEENS1_48merge_mergepath_partition_config_static_selectorELNS0_4arch9wavefront6targetE0EEEvSJ_.numbered_sgpr, 8
	.set _ZN7rocprim17ROCPRIM_400000_NS6detail17trampoline_kernelINS0_14default_configENS1_38merge_sort_block_merge_config_selectorIiiEEZZNS1_27merge_sort_block_merge_implIS3_N6thrust23THRUST_200600_302600_NS6detail15normal_iteratorINS8_10device_ptrIiEEEESD_jNS1_19radix_merge_compareILb1ELb1EiNS0_19identity_decomposerEEEEE10hipError_tT0_T1_T2_jT3_P12ihipStream_tbPNSt15iterator_traitsISI_E10value_typeEPNSO_ISJ_E10value_typeEPSK_NS1_7vsmem_tEENKUlT_SI_SJ_SK_E_clIPiSD_S10_SD_EESH_SX_SI_SJ_SK_EUlSX_E_NS1_11comp_targetILNS1_3genE8ELNS1_11target_archE1030ELNS1_3gpuE2ELNS1_3repE0EEENS1_48merge_mergepath_partition_config_static_selectorELNS0_4arch9wavefront6targetE0EEEvSJ_.num_named_barrier, 0
	.set _ZN7rocprim17ROCPRIM_400000_NS6detail17trampoline_kernelINS0_14default_configENS1_38merge_sort_block_merge_config_selectorIiiEEZZNS1_27merge_sort_block_merge_implIS3_N6thrust23THRUST_200600_302600_NS6detail15normal_iteratorINS8_10device_ptrIiEEEESD_jNS1_19radix_merge_compareILb1ELb1EiNS0_19identity_decomposerEEEEE10hipError_tT0_T1_T2_jT3_P12ihipStream_tbPNSt15iterator_traitsISI_E10value_typeEPNSO_ISJ_E10value_typeEPSK_NS1_7vsmem_tEENKUlT_SI_SJ_SK_E_clIPiSD_S10_SD_EESH_SX_SI_SJ_SK_EUlSX_E_NS1_11comp_targetILNS1_3genE8ELNS1_11target_archE1030ELNS1_3gpuE2ELNS1_3repE0EEENS1_48merge_mergepath_partition_config_static_selectorELNS0_4arch9wavefront6targetE0EEEvSJ_.private_seg_size, 0
	.set _ZN7rocprim17ROCPRIM_400000_NS6detail17trampoline_kernelINS0_14default_configENS1_38merge_sort_block_merge_config_selectorIiiEEZZNS1_27merge_sort_block_merge_implIS3_N6thrust23THRUST_200600_302600_NS6detail15normal_iteratorINS8_10device_ptrIiEEEESD_jNS1_19radix_merge_compareILb1ELb1EiNS0_19identity_decomposerEEEEE10hipError_tT0_T1_T2_jT3_P12ihipStream_tbPNSt15iterator_traitsISI_E10value_typeEPNSO_ISJ_E10value_typeEPSK_NS1_7vsmem_tEENKUlT_SI_SJ_SK_E_clIPiSD_S10_SD_EESH_SX_SI_SJ_SK_EUlSX_E_NS1_11comp_targetILNS1_3genE8ELNS1_11target_archE1030ELNS1_3gpuE2ELNS1_3repE0EEENS1_48merge_mergepath_partition_config_static_selectorELNS0_4arch9wavefront6targetE0EEEvSJ_.uses_vcc, 1
	.set _ZN7rocprim17ROCPRIM_400000_NS6detail17trampoline_kernelINS0_14default_configENS1_38merge_sort_block_merge_config_selectorIiiEEZZNS1_27merge_sort_block_merge_implIS3_N6thrust23THRUST_200600_302600_NS6detail15normal_iteratorINS8_10device_ptrIiEEEESD_jNS1_19radix_merge_compareILb1ELb1EiNS0_19identity_decomposerEEEEE10hipError_tT0_T1_T2_jT3_P12ihipStream_tbPNSt15iterator_traitsISI_E10value_typeEPNSO_ISJ_E10value_typeEPSK_NS1_7vsmem_tEENKUlT_SI_SJ_SK_E_clIPiSD_S10_SD_EESH_SX_SI_SJ_SK_EUlSX_E_NS1_11comp_targetILNS1_3genE8ELNS1_11target_archE1030ELNS1_3gpuE2ELNS1_3repE0EEENS1_48merge_mergepath_partition_config_static_selectorELNS0_4arch9wavefront6targetE0EEEvSJ_.uses_flat_scratch, 0
	.set _ZN7rocprim17ROCPRIM_400000_NS6detail17trampoline_kernelINS0_14default_configENS1_38merge_sort_block_merge_config_selectorIiiEEZZNS1_27merge_sort_block_merge_implIS3_N6thrust23THRUST_200600_302600_NS6detail15normal_iteratorINS8_10device_ptrIiEEEESD_jNS1_19radix_merge_compareILb1ELb1EiNS0_19identity_decomposerEEEEE10hipError_tT0_T1_T2_jT3_P12ihipStream_tbPNSt15iterator_traitsISI_E10value_typeEPNSO_ISJ_E10value_typeEPSK_NS1_7vsmem_tEENKUlT_SI_SJ_SK_E_clIPiSD_S10_SD_EESH_SX_SI_SJ_SK_EUlSX_E_NS1_11comp_targetILNS1_3genE8ELNS1_11target_archE1030ELNS1_3gpuE2ELNS1_3repE0EEENS1_48merge_mergepath_partition_config_static_selectorELNS0_4arch9wavefront6targetE0EEEvSJ_.has_dyn_sized_stack, 0
	.set _ZN7rocprim17ROCPRIM_400000_NS6detail17trampoline_kernelINS0_14default_configENS1_38merge_sort_block_merge_config_selectorIiiEEZZNS1_27merge_sort_block_merge_implIS3_N6thrust23THRUST_200600_302600_NS6detail15normal_iteratorINS8_10device_ptrIiEEEESD_jNS1_19radix_merge_compareILb1ELb1EiNS0_19identity_decomposerEEEEE10hipError_tT0_T1_T2_jT3_P12ihipStream_tbPNSt15iterator_traitsISI_E10value_typeEPNSO_ISJ_E10value_typeEPSK_NS1_7vsmem_tEENKUlT_SI_SJ_SK_E_clIPiSD_S10_SD_EESH_SX_SI_SJ_SK_EUlSX_E_NS1_11comp_targetILNS1_3genE8ELNS1_11target_archE1030ELNS1_3gpuE2ELNS1_3repE0EEENS1_48merge_mergepath_partition_config_static_selectorELNS0_4arch9wavefront6targetE0EEEvSJ_.has_recursion, 0
	.set _ZN7rocprim17ROCPRIM_400000_NS6detail17trampoline_kernelINS0_14default_configENS1_38merge_sort_block_merge_config_selectorIiiEEZZNS1_27merge_sort_block_merge_implIS3_N6thrust23THRUST_200600_302600_NS6detail15normal_iteratorINS8_10device_ptrIiEEEESD_jNS1_19radix_merge_compareILb1ELb1EiNS0_19identity_decomposerEEEEE10hipError_tT0_T1_T2_jT3_P12ihipStream_tbPNSt15iterator_traitsISI_E10value_typeEPNSO_ISJ_E10value_typeEPSK_NS1_7vsmem_tEENKUlT_SI_SJ_SK_E_clIPiSD_S10_SD_EESH_SX_SI_SJ_SK_EUlSX_E_NS1_11comp_targetILNS1_3genE8ELNS1_11target_archE1030ELNS1_3gpuE2ELNS1_3repE0EEENS1_48merge_mergepath_partition_config_static_selectorELNS0_4arch9wavefront6targetE0EEEvSJ_.has_indirect_call, 0
	.section	.AMDGPU.csdata,"",@progbits
; Kernel info:
; codeLenInByte = 448
; TotalNumSgprs: 10
; NumVgprs: 15
; ScratchSize: 0
; MemoryBound: 0
; FloatMode: 240
; IeeeMode: 1
; LDSByteSize: 0 bytes/workgroup (compile time only)
; SGPRBlocks: 0
; VGPRBlocks: 1
; NumSGPRsForWavesPerEU: 10
; NumVGPRsForWavesPerEU: 15
; Occupancy: 16
; WaveLimiterHint : 0
; COMPUTE_PGM_RSRC2:SCRATCH_EN: 0
; COMPUTE_PGM_RSRC2:USER_SGPR: 6
; COMPUTE_PGM_RSRC2:TRAP_HANDLER: 0
; COMPUTE_PGM_RSRC2:TGID_X_EN: 1
; COMPUTE_PGM_RSRC2:TGID_Y_EN: 0
; COMPUTE_PGM_RSRC2:TGID_Z_EN: 0
; COMPUTE_PGM_RSRC2:TIDIG_COMP_CNT: 0
	.section	.text._ZN7rocprim17ROCPRIM_400000_NS6detail17trampoline_kernelINS0_14default_configENS1_38merge_sort_block_merge_config_selectorIiiEEZZNS1_27merge_sort_block_merge_implIS3_N6thrust23THRUST_200600_302600_NS6detail15normal_iteratorINS8_10device_ptrIiEEEESD_jNS1_19radix_merge_compareILb1ELb1EiNS0_19identity_decomposerEEEEE10hipError_tT0_T1_T2_jT3_P12ihipStream_tbPNSt15iterator_traitsISI_E10value_typeEPNSO_ISJ_E10value_typeEPSK_NS1_7vsmem_tEENKUlT_SI_SJ_SK_E_clIPiSD_S10_SD_EESH_SX_SI_SJ_SK_EUlSX_E0_NS1_11comp_targetILNS1_3genE0ELNS1_11target_archE4294967295ELNS1_3gpuE0ELNS1_3repE0EEENS1_38merge_mergepath_config_static_selectorELNS0_4arch9wavefront6targetE0EEEvSJ_,"axG",@progbits,_ZN7rocprim17ROCPRIM_400000_NS6detail17trampoline_kernelINS0_14default_configENS1_38merge_sort_block_merge_config_selectorIiiEEZZNS1_27merge_sort_block_merge_implIS3_N6thrust23THRUST_200600_302600_NS6detail15normal_iteratorINS8_10device_ptrIiEEEESD_jNS1_19radix_merge_compareILb1ELb1EiNS0_19identity_decomposerEEEEE10hipError_tT0_T1_T2_jT3_P12ihipStream_tbPNSt15iterator_traitsISI_E10value_typeEPNSO_ISJ_E10value_typeEPSK_NS1_7vsmem_tEENKUlT_SI_SJ_SK_E_clIPiSD_S10_SD_EESH_SX_SI_SJ_SK_EUlSX_E0_NS1_11comp_targetILNS1_3genE0ELNS1_11target_archE4294967295ELNS1_3gpuE0ELNS1_3repE0EEENS1_38merge_mergepath_config_static_selectorELNS0_4arch9wavefront6targetE0EEEvSJ_,comdat
	.protected	_ZN7rocprim17ROCPRIM_400000_NS6detail17trampoline_kernelINS0_14default_configENS1_38merge_sort_block_merge_config_selectorIiiEEZZNS1_27merge_sort_block_merge_implIS3_N6thrust23THRUST_200600_302600_NS6detail15normal_iteratorINS8_10device_ptrIiEEEESD_jNS1_19radix_merge_compareILb1ELb1EiNS0_19identity_decomposerEEEEE10hipError_tT0_T1_T2_jT3_P12ihipStream_tbPNSt15iterator_traitsISI_E10value_typeEPNSO_ISJ_E10value_typeEPSK_NS1_7vsmem_tEENKUlT_SI_SJ_SK_E_clIPiSD_S10_SD_EESH_SX_SI_SJ_SK_EUlSX_E0_NS1_11comp_targetILNS1_3genE0ELNS1_11target_archE4294967295ELNS1_3gpuE0ELNS1_3repE0EEENS1_38merge_mergepath_config_static_selectorELNS0_4arch9wavefront6targetE0EEEvSJ_ ; -- Begin function _ZN7rocprim17ROCPRIM_400000_NS6detail17trampoline_kernelINS0_14default_configENS1_38merge_sort_block_merge_config_selectorIiiEEZZNS1_27merge_sort_block_merge_implIS3_N6thrust23THRUST_200600_302600_NS6detail15normal_iteratorINS8_10device_ptrIiEEEESD_jNS1_19radix_merge_compareILb1ELb1EiNS0_19identity_decomposerEEEEE10hipError_tT0_T1_T2_jT3_P12ihipStream_tbPNSt15iterator_traitsISI_E10value_typeEPNSO_ISJ_E10value_typeEPSK_NS1_7vsmem_tEENKUlT_SI_SJ_SK_E_clIPiSD_S10_SD_EESH_SX_SI_SJ_SK_EUlSX_E0_NS1_11comp_targetILNS1_3genE0ELNS1_11target_archE4294967295ELNS1_3gpuE0ELNS1_3repE0EEENS1_38merge_mergepath_config_static_selectorELNS0_4arch9wavefront6targetE0EEEvSJ_
	.globl	_ZN7rocprim17ROCPRIM_400000_NS6detail17trampoline_kernelINS0_14default_configENS1_38merge_sort_block_merge_config_selectorIiiEEZZNS1_27merge_sort_block_merge_implIS3_N6thrust23THRUST_200600_302600_NS6detail15normal_iteratorINS8_10device_ptrIiEEEESD_jNS1_19radix_merge_compareILb1ELb1EiNS0_19identity_decomposerEEEEE10hipError_tT0_T1_T2_jT3_P12ihipStream_tbPNSt15iterator_traitsISI_E10value_typeEPNSO_ISJ_E10value_typeEPSK_NS1_7vsmem_tEENKUlT_SI_SJ_SK_E_clIPiSD_S10_SD_EESH_SX_SI_SJ_SK_EUlSX_E0_NS1_11comp_targetILNS1_3genE0ELNS1_11target_archE4294967295ELNS1_3gpuE0ELNS1_3repE0EEENS1_38merge_mergepath_config_static_selectorELNS0_4arch9wavefront6targetE0EEEvSJ_
	.p2align	8
	.type	_ZN7rocprim17ROCPRIM_400000_NS6detail17trampoline_kernelINS0_14default_configENS1_38merge_sort_block_merge_config_selectorIiiEEZZNS1_27merge_sort_block_merge_implIS3_N6thrust23THRUST_200600_302600_NS6detail15normal_iteratorINS8_10device_ptrIiEEEESD_jNS1_19radix_merge_compareILb1ELb1EiNS0_19identity_decomposerEEEEE10hipError_tT0_T1_T2_jT3_P12ihipStream_tbPNSt15iterator_traitsISI_E10value_typeEPNSO_ISJ_E10value_typeEPSK_NS1_7vsmem_tEENKUlT_SI_SJ_SK_E_clIPiSD_S10_SD_EESH_SX_SI_SJ_SK_EUlSX_E0_NS1_11comp_targetILNS1_3genE0ELNS1_11target_archE4294967295ELNS1_3gpuE0ELNS1_3repE0EEENS1_38merge_mergepath_config_static_selectorELNS0_4arch9wavefront6targetE0EEEvSJ_,@function
_ZN7rocprim17ROCPRIM_400000_NS6detail17trampoline_kernelINS0_14default_configENS1_38merge_sort_block_merge_config_selectorIiiEEZZNS1_27merge_sort_block_merge_implIS3_N6thrust23THRUST_200600_302600_NS6detail15normal_iteratorINS8_10device_ptrIiEEEESD_jNS1_19radix_merge_compareILb1ELb1EiNS0_19identity_decomposerEEEEE10hipError_tT0_T1_T2_jT3_P12ihipStream_tbPNSt15iterator_traitsISI_E10value_typeEPNSO_ISJ_E10value_typeEPSK_NS1_7vsmem_tEENKUlT_SI_SJ_SK_E_clIPiSD_S10_SD_EESH_SX_SI_SJ_SK_EUlSX_E0_NS1_11comp_targetILNS1_3genE0ELNS1_11target_archE4294967295ELNS1_3gpuE0ELNS1_3repE0EEENS1_38merge_mergepath_config_static_selectorELNS0_4arch9wavefront6targetE0EEEvSJ_: ; @_ZN7rocprim17ROCPRIM_400000_NS6detail17trampoline_kernelINS0_14default_configENS1_38merge_sort_block_merge_config_selectorIiiEEZZNS1_27merge_sort_block_merge_implIS3_N6thrust23THRUST_200600_302600_NS6detail15normal_iteratorINS8_10device_ptrIiEEEESD_jNS1_19radix_merge_compareILb1ELb1EiNS0_19identity_decomposerEEEEE10hipError_tT0_T1_T2_jT3_P12ihipStream_tbPNSt15iterator_traitsISI_E10value_typeEPNSO_ISJ_E10value_typeEPSK_NS1_7vsmem_tEENKUlT_SI_SJ_SK_E_clIPiSD_S10_SD_EESH_SX_SI_SJ_SK_EUlSX_E0_NS1_11comp_targetILNS1_3genE0ELNS1_11target_archE4294967295ELNS1_3gpuE0ELNS1_3repE0EEENS1_38merge_mergepath_config_static_selectorELNS0_4arch9wavefront6targetE0EEEvSJ_
; %bb.0:
	.section	.rodata,"a",@progbits
	.p2align	6, 0x0
	.amdhsa_kernel _ZN7rocprim17ROCPRIM_400000_NS6detail17trampoline_kernelINS0_14default_configENS1_38merge_sort_block_merge_config_selectorIiiEEZZNS1_27merge_sort_block_merge_implIS3_N6thrust23THRUST_200600_302600_NS6detail15normal_iteratorINS8_10device_ptrIiEEEESD_jNS1_19radix_merge_compareILb1ELb1EiNS0_19identity_decomposerEEEEE10hipError_tT0_T1_T2_jT3_P12ihipStream_tbPNSt15iterator_traitsISI_E10value_typeEPNSO_ISJ_E10value_typeEPSK_NS1_7vsmem_tEENKUlT_SI_SJ_SK_E_clIPiSD_S10_SD_EESH_SX_SI_SJ_SK_EUlSX_E0_NS1_11comp_targetILNS1_3genE0ELNS1_11target_archE4294967295ELNS1_3gpuE0ELNS1_3repE0EEENS1_38merge_mergepath_config_static_selectorELNS0_4arch9wavefront6targetE0EEEvSJ_
		.amdhsa_group_segment_fixed_size 0
		.amdhsa_private_segment_fixed_size 0
		.amdhsa_kernarg_size 64
		.amdhsa_user_sgpr_count 6
		.amdhsa_user_sgpr_private_segment_buffer 1
		.amdhsa_user_sgpr_dispatch_ptr 0
		.amdhsa_user_sgpr_queue_ptr 0
		.amdhsa_user_sgpr_kernarg_segment_ptr 1
		.amdhsa_user_sgpr_dispatch_id 0
		.amdhsa_user_sgpr_flat_scratch_init 0
		.amdhsa_user_sgpr_private_segment_size 0
		.amdhsa_wavefront_size32 1
		.amdhsa_uses_dynamic_stack 0
		.amdhsa_system_sgpr_private_segment_wavefront_offset 0
		.amdhsa_system_sgpr_workgroup_id_x 1
		.amdhsa_system_sgpr_workgroup_id_y 0
		.amdhsa_system_sgpr_workgroup_id_z 0
		.amdhsa_system_sgpr_workgroup_info 0
		.amdhsa_system_vgpr_workitem_id 0
		.amdhsa_next_free_vgpr 1
		.amdhsa_next_free_sgpr 1
		.amdhsa_reserve_vcc 0
		.amdhsa_reserve_flat_scratch 0
		.amdhsa_float_round_mode_32 0
		.amdhsa_float_round_mode_16_64 0
		.amdhsa_float_denorm_mode_32 3
		.amdhsa_float_denorm_mode_16_64 3
		.amdhsa_dx10_clamp 1
		.amdhsa_ieee_mode 1
		.amdhsa_fp16_overflow 0
		.amdhsa_workgroup_processor_mode 1
		.amdhsa_memory_ordered 1
		.amdhsa_forward_progress 1
		.amdhsa_shared_vgpr_count 0
		.amdhsa_exception_fp_ieee_invalid_op 0
		.amdhsa_exception_fp_denorm_src 0
		.amdhsa_exception_fp_ieee_div_zero 0
		.amdhsa_exception_fp_ieee_overflow 0
		.amdhsa_exception_fp_ieee_underflow 0
		.amdhsa_exception_fp_ieee_inexact 0
		.amdhsa_exception_int_div_zero 0
	.end_amdhsa_kernel
	.section	.text._ZN7rocprim17ROCPRIM_400000_NS6detail17trampoline_kernelINS0_14default_configENS1_38merge_sort_block_merge_config_selectorIiiEEZZNS1_27merge_sort_block_merge_implIS3_N6thrust23THRUST_200600_302600_NS6detail15normal_iteratorINS8_10device_ptrIiEEEESD_jNS1_19radix_merge_compareILb1ELb1EiNS0_19identity_decomposerEEEEE10hipError_tT0_T1_T2_jT3_P12ihipStream_tbPNSt15iterator_traitsISI_E10value_typeEPNSO_ISJ_E10value_typeEPSK_NS1_7vsmem_tEENKUlT_SI_SJ_SK_E_clIPiSD_S10_SD_EESH_SX_SI_SJ_SK_EUlSX_E0_NS1_11comp_targetILNS1_3genE0ELNS1_11target_archE4294967295ELNS1_3gpuE0ELNS1_3repE0EEENS1_38merge_mergepath_config_static_selectorELNS0_4arch9wavefront6targetE0EEEvSJ_,"axG",@progbits,_ZN7rocprim17ROCPRIM_400000_NS6detail17trampoline_kernelINS0_14default_configENS1_38merge_sort_block_merge_config_selectorIiiEEZZNS1_27merge_sort_block_merge_implIS3_N6thrust23THRUST_200600_302600_NS6detail15normal_iteratorINS8_10device_ptrIiEEEESD_jNS1_19radix_merge_compareILb1ELb1EiNS0_19identity_decomposerEEEEE10hipError_tT0_T1_T2_jT3_P12ihipStream_tbPNSt15iterator_traitsISI_E10value_typeEPNSO_ISJ_E10value_typeEPSK_NS1_7vsmem_tEENKUlT_SI_SJ_SK_E_clIPiSD_S10_SD_EESH_SX_SI_SJ_SK_EUlSX_E0_NS1_11comp_targetILNS1_3genE0ELNS1_11target_archE4294967295ELNS1_3gpuE0ELNS1_3repE0EEENS1_38merge_mergepath_config_static_selectorELNS0_4arch9wavefront6targetE0EEEvSJ_,comdat
.Lfunc_end941:
	.size	_ZN7rocprim17ROCPRIM_400000_NS6detail17trampoline_kernelINS0_14default_configENS1_38merge_sort_block_merge_config_selectorIiiEEZZNS1_27merge_sort_block_merge_implIS3_N6thrust23THRUST_200600_302600_NS6detail15normal_iteratorINS8_10device_ptrIiEEEESD_jNS1_19radix_merge_compareILb1ELb1EiNS0_19identity_decomposerEEEEE10hipError_tT0_T1_T2_jT3_P12ihipStream_tbPNSt15iterator_traitsISI_E10value_typeEPNSO_ISJ_E10value_typeEPSK_NS1_7vsmem_tEENKUlT_SI_SJ_SK_E_clIPiSD_S10_SD_EESH_SX_SI_SJ_SK_EUlSX_E0_NS1_11comp_targetILNS1_3genE0ELNS1_11target_archE4294967295ELNS1_3gpuE0ELNS1_3repE0EEENS1_38merge_mergepath_config_static_selectorELNS0_4arch9wavefront6targetE0EEEvSJ_, .Lfunc_end941-_ZN7rocprim17ROCPRIM_400000_NS6detail17trampoline_kernelINS0_14default_configENS1_38merge_sort_block_merge_config_selectorIiiEEZZNS1_27merge_sort_block_merge_implIS3_N6thrust23THRUST_200600_302600_NS6detail15normal_iteratorINS8_10device_ptrIiEEEESD_jNS1_19radix_merge_compareILb1ELb1EiNS0_19identity_decomposerEEEEE10hipError_tT0_T1_T2_jT3_P12ihipStream_tbPNSt15iterator_traitsISI_E10value_typeEPNSO_ISJ_E10value_typeEPSK_NS1_7vsmem_tEENKUlT_SI_SJ_SK_E_clIPiSD_S10_SD_EESH_SX_SI_SJ_SK_EUlSX_E0_NS1_11comp_targetILNS1_3genE0ELNS1_11target_archE4294967295ELNS1_3gpuE0ELNS1_3repE0EEENS1_38merge_mergepath_config_static_selectorELNS0_4arch9wavefront6targetE0EEEvSJ_
                                        ; -- End function
	.set _ZN7rocprim17ROCPRIM_400000_NS6detail17trampoline_kernelINS0_14default_configENS1_38merge_sort_block_merge_config_selectorIiiEEZZNS1_27merge_sort_block_merge_implIS3_N6thrust23THRUST_200600_302600_NS6detail15normal_iteratorINS8_10device_ptrIiEEEESD_jNS1_19radix_merge_compareILb1ELb1EiNS0_19identity_decomposerEEEEE10hipError_tT0_T1_T2_jT3_P12ihipStream_tbPNSt15iterator_traitsISI_E10value_typeEPNSO_ISJ_E10value_typeEPSK_NS1_7vsmem_tEENKUlT_SI_SJ_SK_E_clIPiSD_S10_SD_EESH_SX_SI_SJ_SK_EUlSX_E0_NS1_11comp_targetILNS1_3genE0ELNS1_11target_archE4294967295ELNS1_3gpuE0ELNS1_3repE0EEENS1_38merge_mergepath_config_static_selectorELNS0_4arch9wavefront6targetE0EEEvSJ_.num_vgpr, 0
	.set _ZN7rocprim17ROCPRIM_400000_NS6detail17trampoline_kernelINS0_14default_configENS1_38merge_sort_block_merge_config_selectorIiiEEZZNS1_27merge_sort_block_merge_implIS3_N6thrust23THRUST_200600_302600_NS6detail15normal_iteratorINS8_10device_ptrIiEEEESD_jNS1_19radix_merge_compareILb1ELb1EiNS0_19identity_decomposerEEEEE10hipError_tT0_T1_T2_jT3_P12ihipStream_tbPNSt15iterator_traitsISI_E10value_typeEPNSO_ISJ_E10value_typeEPSK_NS1_7vsmem_tEENKUlT_SI_SJ_SK_E_clIPiSD_S10_SD_EESH_SX_SI_SJ_SK_EUlSX_E0_NS1_11comp_targetILNS1_3genE0ELNS1_11target_archE4294967295ELNS1_3gpuE0ELNS1_3repE0EEENS1_38merge_mergepath_config_static_selectorELNS0_4arch9wavefront6targetE0EEEvSJ_.num_agpr, 0
	.set _ZN7rocprim17ROCPRIM_400000_NS6detail17trampoline_kernelINS0_14default_configENS1_38merge_sort_block_merge_config_selectorIiiEEZZNS1_27merge_sort_block_merge_implIS3_N6thrust23THRUST_200600_302600_NS6detail15normal_iteratorINS8_10device_ptrIiEEEESD_jNS1_19radix_merge_compareILb1ELb1EiNS0_19identity_decomposerEEEEE10hipError_tT0_T1_T2_jT3_P12ihipStream_tbPNSt15iterator_traitsISI_E10value_typeEPNSO_ISJ_E10value_typeEPSK_NS1_7vsmem_tEENKUlT_SI_SJ_SK_E_clIPiSD_S10_SD_EESH_SX_SI_SJ_SK_EUlSX_E0_NS1_11comp_targetILNS1_3genE0ELNS1_11target_archE4294967295ELNS1_3gpuE0ELNS1_3repE0EEENS1_38merge_mergepath_config_static_selectorELNS0_4arch9wavefront6targetE0EEEvSJ_.numbered_sgpr, 0
	.set _ZN7rocprim17ROCPRIM_400000_NS6detail17trampoline_kernelINS0_14default_configENS1_38merge_sort_block_merge_config_selectorIiiEEZZNS1_27merge_sort_block_merge_implIS3_N6thrust23THRUST_200600_302600_NS6detail15normal_iteratorINS8_10device_ptrIiEEEESD_jNS1_19radix_merge_compareILb1ELb1EiNS0_19identity_decomposerEEEEE10hipError_tT0_T1_T2_jT3_P12ihipStream_tbPNSt15iterator_traitsISI_E10value_typeEPNSO_ISJ_E10value_typeEPSK_NS1_7vsmem_tEENKUlT_SI_SJ_SK_E_clIPiSD_S10_SD_EESH_SX_SI_SJ_SK_EUlSX_E0_NS1_11comp_targetILNS1_3genE0ELNS1_11target_archE4294967295ELNS1_3gpuE0ELNS1_3repE0EEENS1_38merge_mergepath_config_static_selectorELNS0_4arch9wavefront6targetE0EEEvSJ_.num_named_barrier, 0
	.set _ZN7rocprim17ROCPRIM_400000_NS6detail17trampoline_kernelINS0_14default_configENS1_38merge_sort_block_merge_config_selectorIiiEEZZNS1_27merge_sort_block_merge_implIS3_N6thrust23THRUST_200600_302600_NS6detail15normal_iteratorINS8_10device_ptrIiEEEESD_jNS1_19radix_merge_compareILb1ELb1EiNS0_19identity_decomposerEEEEE10hipError_tT0_T1_T2_jT3_P12ihipStream_tbPNSt15iterator_traitsISI_E10value_typeEPNSO_ISJ_E10value_typeEPSK_NS1_7vsmem_tEENKUlT_SI_SJ_SK_E_clIPiSD_S10_SD_EESH_SX_SI_SJ_SK_EUlSX_E0_NS1_11comp_targetILNS1_3genE0ELNS1_11target_archE4294967295ELNS1_3gpuE0ELNS1_3repE0EEENS1_38merge_mergepath_config_static_selectorELNS0_4arch9wavefront6targetE0EEEvSJ_.private_seg_size, 0
	.set _ZN7rocprim17ROCPRIM_400000_NS6detail17trampoline_kernelINS0_14default_configENS1_38merge_sort_block_merge_config_selectorIiiEEZZNS1_27merge_sort_block_merge_implIS3_N6thrust23THRUST_200600_302600_NS6detail15normal_iteratorINS8_10device_ptrIiEEEESD_jNS1_19radix_merge_compareILb1ELb1EiNS0_19identity_decomposerEEEEE10hipError_tT0_T1_T2_jT3_P12ihipStream_tbPNSt15iterator_traitsISI_E10value_typeEPNSO_ISJ_E10value_typeEPSK_NS1_7vsmem_tEENKUlT_SI_SJ_SK_E_clIPiSD_S10_SD_EESH_SX_SI_SJ_SK_EUlSX_E0_NS1_11comp_targetILNS1_3genE0ELNS1_11target_archE4294967295ELNS1_3gpuE0ELNS1_3repE0EEENS1_38merge_mergepath_config_static_selectorELNS0_4arch9wavefront6targetE0EEEvSJ_.uses_vcc, 0
	.set _ZN7rocprim17ROCPRIM_400000_NS6detail17trampoline_kernelINS0_14default_configENS1_38merge_sort_block_merge_config_selectorIiiEEZZNS1_27merge_sort_block_merge_implIS3_N6thrust23THRUST_200600_302600_NS6detail15normal_iteratorINS8_10device_ptrIiEEEESD_jNS1_19radix_merge_compareILb1ELb1EiNS0_19identity_decomposerEEEEE10hipError_tT0_T1_T2_jT3_P12ihipStream_tbPNSt15iterator_traitsISI_E10value_typeEPNSO_ISJ_E10value_typeEPSK_NS1_7vsmem_tEENKUlT_SI_SJ_SK_E_clIPiSD_S10_SD_EESH_SX_SI_SJ_SK_EUlSX_E0_NS1_11comp_targetILNS1_3genE0ELNS1_11target_archE4294967295ELNS1_3gpuE0ELNS1_3repE0EEENS1_38merge_mergepath_config_static_selectorELNS0_4arch9wavefront6targetE0EEEvSJ_.uses_flat_scratch, 0
	.set _ZN7rocprim17ROCPRIM_400000_NS6detail17trampoline_kernelINS0_14default_configENS1_38merge_sort_block_merge_config_selectorIiiEEZZNS1_27merge_sort_block_merge_implIS3_N6thrust23THRUST_200600_302600_NS6detail15normal_iteratorINS8_10device_ptrIiEEEESD_jNS1_19radix_merge_compareILb1ELb1EiNS0_19identity_decomposerEEEEE10hipError_tT0_T1_T2_jT3_P12ihipStream_tbPNSt15iterator_traitsISI_E10value_typeEPNSO_ISJ_E10value_typeEPSK_NS1_7vsmem_tEENKUlT_SI_SJ_SK_E_clIPiSD_S10_SD_EESH_SX_SI_SJ_SK_EUlSX_E0_NS1_11comp_targetILNS1_3genE0ELNS1_11target_archE4294967295ELNS1_3gpuE0ELNS1_3repE0EEENS1_38merge_mergepath_config_static_selectorELNS0_4arch9wavefront6targetE0EEEvSJ_.has_dyn_sized_stack, 0
	.set _ZN7rocprim17ROCPRIM_400000_NS6detail17trampoline_kernelINS0_14default_configENS1_38merge_sort_block_merge_config_selectorIiiEEZZNS1_27merge_sort_block_merge_implIS3_N6thrust23THRUST_200600_302600_NS6detail15normal_iteratorINS8_10device_ptrIiEEEESD_jNS1_19radix_merge_compareILb1ELb1EiNS0_19identity_decomposerEEEEE10hipError_tT0_T1_T2_jT3_P12ihipStream_tbPNSt15iterator_traitsISI_E10value_typeEPNSO_ISJ_E10value_typeEPSK_NS1_7vsmem_tEENKUlT_SI_SJ_SK_E_clIPiSD_S10_SD_EESH_SX_SI_SJ_SK_EUlSX_E0_NS1_11comp_targetILNS1_3genE0ELNS1_11target_archE4294967295ELNS1_3gpuE0ELNS1_3repE0EEENS1_38merge_mergepath_config_static_selectorELNS0_4arch9wavefront6targetE0EEEvSJ_.has_recursion, 0
	.set _ZN7rocprim17ROCPRIM_400000_NS6detail17trampoline_kernelINS0_14default_configENS1_38merge_sort_block_merge_config_selectorIiiEEZZNS1_27merge_sort_block_merge_implIS3_N6thrust23THRUST_200600_302600_NS6detail15normal_iteratorINS8_10device_ptrIiEEEESD_jNS1_19radix_merge_compareILb1ELb1EiNS0_19identity_decomposerEEEEE10hipError_tT0_T1_T2_jT3_P12ihipStream_tbPNSt15iterator_traitsISI_E10value_typeEPNSO_ISJ_E10value_typeEPSK_NS1_7vsmem_tEENKUlT_SI_SJ_SK_E_clIPiSD_S10_SD_EESH_SX_SI_SJ_SK_EUlSX_E0_NS1_11comp_targetILNS1_3genE0ELNS1_11target_archE4294967295ELNS1_3gpuE0ELNS1_3repE0EEENS1_38merge_mergepath_config_static_selectorELNS0_4arch9wavefront6targetE0EEEvSJ_.has_indirect_call, 0
	.section	.AMDGPU.csdata,"",@progbits
; Kernel info:
; codeLenInByte = 0
; TotalNumSgprs: 0
; NumVgprs: 0
; ScratchSize: 0
; MemoryBound: 0
; FloatMode: 240
; IeeeMode: 1
; LDSByteSize: 0 bytes/workgroup (compile time only)
; SGPRBlocks: 0
; VGPRBlocks: 0
; NumSGPRsForWavesPerEU: 1
; NumVGPRsForWavesPerEU: 1
; Occupancy: 16
; WaveLimiterHint : 0
; COMPUTE_PGM_RSRC2:SCRATCH_EN: 0
; COMPUTE_PGM_RSRC2:USER_SGPR: 6
; COMPUTE_PGM_RSRC2:TRAP_HANDLER: 0
; COMPUTE_PGM_RSRC2:TGID_X_EN: 1
; COMPUTE_PGM_RSRC2:TGID_Y_EN: 0
; COMPUTE_PGM_RSRC2:TGID_Z_EN: 0
; COMPUTE_PGM_RSRC2:TIDIG_COMP_CNT: 0
	.section	.text._ZN7rocprim17ROCPRIM_400000_NS6detail17trampoline_kernelINS0_14default_configENS1_38merge_sort_block_merge_config_selectorIiiEEZZNS1_27merge_sort_block_merge_implIS3_N6thrust23THRUST_200600_302600_NS6detail15normal_iteratorINS8_10device_ptrIiEEEESD_jNS1_19radix_merge_compareILb1ELb1EiNS0_19identity_decomposerEEEEE10hipError_tT0_T1_T2_jT3_P12ihipStream_tbPNSt15iterator_traitsISI_E10value_typeEPNSO_ISJ_E10value_typeEPSK_NS1_7vsmem_tEENKUlT_SI_SJ_SK_E_clIPiSD_S10_SD_EESH_SX_SI_SJ_SK_EUlSX_E0_NS1_11comp_targetILNS1_3genE10ELNS1_11target_archE1201ELNS1_3gpuE5ELNS1_3repE0EEENS1_38merge_mergepath_config_static_selectorELNS0_4arch9wavefront6targetE0EEEvSJ_,"axG",@progbits,_ZN7rocprim17ROCPRIM_400000_NS6detail17trampoline_kernelINS0_14default_configENS1_38merge_sort_block_merge_config_selectorIiiEEZZNS1_27merge_sort_block_merge_implIS3_N6thrust23THRUST_200600_302600_NS6detail15normal_iteratorINS8_10device_ptrIiEEEESD_jNS1_19radix_merge_compareILb1ELb1EiNS0_19identity_decomposerEEEEE10hipError_tT0_T1_T2_jT3_P12ihipStream_tbPNSt15iterator_traitsISI_E10value_typeEPNSO_ISJ_E10value_typeEPSK_NS1_7vsmem_tEENKUlT_SI_SJ_SK_E_clIPiSD_S10_SD_EESH_SX_SI_SJ_SK_EUlSX_E0_NS1_11comp_targetILNS1_3genE10ELNS1_11target_archE1201ELNS1_3gpuE5ELNS1_3repE0EEENS1_38merge_mergepath_config_static_selectorELNS0_4arch9wavefront6targetE0EEEvSJ_,comdat
	.protected	_ZN7rocprim17ROCPRIM_400000_NS6detail17trampoline_kernelINS0_14default_configENS1_38merge_sort_block_merge_config_selectorIiiEEZZNS1_27merge_sort_block_merge_implIS3_N6thrust23THRUST_200600_302600_NS6detail15normal_iteratorINS8_10device_ptrIiEEEESD_jNS1_19radix_merge_compareILb1ELb1EiNS0_19identity_decomposerEEEEE10hipError_tT0_T1_T2_jT3_P12ihipStream_tbPNSt15iterator_traitsISI_E10value_typeEPNSO_ISJ_E10value_typeEPSK_NS1_7vsmem_tEENKUlT_SI_SJ_SK_E_clIPiSD_S10_SD_EESH_SX_SI_SJ_SK_EUlSX_E0_NS1_11comp_targetILNS1_3genE10ELNS1_11target_archE1201ELNS1_3gpuE5ELNS1_3repE0EEENS1_38merge_mergepath_config_static_selectorELNS0_4arch9wavefront6targetE0EEEvSJ_ ; -- Begin function _ZN7rocprim17ROCPRIM_400000_NS6detail17trampoline_kernelINS0_14default_configENS1_38merge_sort_block_merge_config_selectorIiiEEZZNS1_27merge_sort_block_merge_implIS3_N6thrust23THRUST_200600_302600_NS6detail15normal_iteratorINS8_10device_ptrIiEEEESD_jNS1_19radix_merge_compareILb1ELb1EiNS0_19identity_decomposerEEEEE10hipError_tT0_T1_T2_jT3_P12ihipStream_tbPNSt15iterator_traitsISI_E10value_typeEPNSO_ISJ_E10value_typeEPSK_NS1_7vsmem_tEENKUlT_SI_SJ_SK_E_clIPiSD_S10_SD_EESH_SX_SI_SJ_SK_EUlSX_E0_NS1_11comp_targetILNS1_3genE10ELNS1_11target_archE1201ELNS1_3gpuE5ELNS1_3repE0EEENS1_38merge_mergepath_config_static_selectorELNS0_4arch9wavefront6targetE0EEEvSJ_
	.globl	_ZN7rocprim17ROCPRIM_400000_NS6detail17trampoline_kernelINS0_14default_configENS1_38merge_sort_block_merge_config_selectorIiiEEZZNS1_27merge_sort_block_merge_implIS3_N6thrust23THRUST_200600_302600_NS6detail15normal_iteratorINS8_10device_ptrIiEEEESD_jNS1_19radix_merge_compareILb1ELb1EiNS0_19identity_decomposerEEEEE10hipError_tT0_T1_T2_jT3_P12ihipStream_tbPNSt15iterator_traitsISI_E10value_typeEPNSO_ISJ_E10value_typeEPSK_NS1_7vsmem_tEENKUlT_SI_SJ_SK_E_clIPiSD_S10_SD_EESH_SX_SI_SJ_SK_EUlSX_E0_NS1_11comp_targetILNS1_3genE10ELNS1_11target_archE1201ELNS1_3gpuE5ELNS1_3repE0EEENS1_38merge_mergepath_config_static_selectorELNS0_4arch9wavefront6targetE0EEEvSJ_
	.p2align	8
	.type	_ZN7rocprim17ROCPRIM_400000_NS6detail17trampoline_kernelINS0_14default_configENS1_38merge_sort_block_merge_config_selectorIiiEEZZNS1_27merge_sort_block_merge_implIS3_N6thrust23THRUST_200600_302600_NS6detail15normal_iteratorINS8_10device_ptrIiEEEESD_jNS1_19radix_merge_compareILb1ELb1EiNS0_19identity_decomposerEEEEE10hipError_tT0_T1_T2_jT3_P12ihipStream_tbPNSt15iterator_traitsISI_E10value_typeEPNSO_ISJ_E10value_typeEPSK_NS1_7vsmem_tEENKUlT_SI_SJ_SK_E_clIPiSD_S10_SD_EESH_SX_SI_SJ_SK_EUlSX_E0_NS1_11comp_targetILNS1_3genE10ELNS1_11target_archE1201ELNS1_3gpuE5ELNS1_3repE0EEENS1_38merge_mergepath_config_static_selectorELNS0_4arch9wavefront6targetE0EEEvSJ_,@function
_ZN7rocprim17ROCPRIM_400000_NS6detail17trampoline_kernelINS0_14default_configENS1_38merge_sort_block_merge_config_selectorIiiEEZZNS1_27merge_sort_block_merge_implIS3_N6thrust23THRUST_200600_302600_NS6detail15normal_iteratorINS8_10device_ptrIiEEEESD_jNS1_19radix_merge_compareILb1ELb1EiNS0_19identity_decomposerEEEEE10hipError_tT0_T1_T2_jT3_P12ihipStream_tbPNSt15iterator_traitsISI_E10value_typeEPNSO_ISJ_E10value_typeEPSK_NS1_7vsmem_tEENKUlT_SI_SJ_SK_E_clIPiSD_S10_SD_EESH_SX_SI_SJ_SK_EUlSX_E0_NS1_11comp_targetILNS1_3genE10ELNS1_11target_archE1201ELNS1_3gpuE5ELNS1_3repE0EEENS1_38merge_mergepath_config_static_selectorELNS0_4arch9wavefront6targetE0EEEvSJ_: ; @_ZN7rocprim17ROCPRIM_400000_NS6detail17trampoline_kernelINS0_14default_configENS1_38merge_sort_block_merge_config_selectorIiiEEZZNS1_27merge_sort_block_merge_implIS3_N6thrust23THRUST_200600_302600_NS6detail15normal_iteratorINS8_10device_ptrIiEEEESD_jNS1_19radix_merge_compareILb1ELb1EiNS0_19identity_decomposerEEEEE10hipError_tT0_T1_T2_jT3_P12ihipStream_tbPNSt15iterator_traitsISI_E10value_typeEPNSO_ISJ_E10value_typeEPSK_NS1_7vsmem_tEENKUlT_SI_SJ_SK_E_clIPiSD_S10_SD_EESH_SX_SI_SJ_SK_EUlSX_E0_NS1_11comp_targetILNS1_3genE10ELNS1_11target_archE1201ELNS1_3gpuE5ELNS1_3repE0EEENS1_38merge_mergepath_config_static_selectorELNS0_4arch9wavefront6targetE0EEEvSJ_
; %bb.0:
	.section	.rodata,"a",@progbits
	.p2align	6, 0x0
	.amdhsa_kernel _ZN7rocprim17ROCPRIM_400000_NS6detail17trampoline_kernelINS0_14default_configENS1_38merge_sort_block_merge_config_selectorIiiEEZZNS1_27merge_sort_block_merge_implIS3_N6thrust23THRUST_200600_302600_NS6detail15normal_iteratorINS8_10device_ptrIiEEEESD_jNS1_19radix_merge_compareILb1ELb1EiNS0_19identity_decomposerEEEEE10hipError_tT0_T1_T2_jT3_P12ihipStream_tbPNSt15iterator_traitsISI_E10value_typeEPNSO_ISJ_E10value_typeEPSK_NS1_7vsmem_tEENKUlT_SI_SJ_SK_E_clIPiSD_S10_SD_EESH_SX_SI_SJ_SK_EUlSX_E0_NS1_11comp_targetILNS1_3genE10ELNS1_11target_archE1201ELNS1_3gpuE5ELNS1_3repE0EEENS1_38merge_mergepath_config_static_selectorELNS0_4arch9wavefront6targetE0EEEvSJ_
		.amdhsa_group_segment_fixed_size 0
		.amdhsa_private_segment_fixed_size 0
		.amdhsa_kernarg_size 64
		.amdhsa_user_sgpr_count 6
		.amdhsa_user_sgpr_private_segment_buffer 1
		.amdhsa_user_sgpr_dispatch_ptr 0
		.amdhsa_user_sgpr_queue_ptr 0
		.amdhsa_user_sgpr_kernarg_segment_ptr 1
		.amdhsa_user_sgpr_dispatch_id 0
		.amdhsa_user_sgpr_flat_scratch_init 0
		.amdhsa_user_sgpr_private_segment_size 0
		.amdhsa_wavefront_size32 1
		.amdhsa_uses_dynamic_stack 0
		.amdhsa_system_sgpr_private_segment_wavefront_offset 0
		.amdhsa_system_sgpr_workgroup_id_x 1
		.amdhsa_system_sgpr_workgroup_id_y 0
		.amdhsa_system_sgpr_workgroup_id_z 0
		.amdhsa_system_sgpr_workgroup_info 0
		.amdhsa_system_vgpr_workitem_id 0
		.amdhsa_next_free_vgpr 1
		.amdhsa_next_free_sgpr 1
		.amdhsa_reserve_vcc 0
		.amdhsa_reserve_flat_scratch 0
		.amdhsa_float_round_mode_32 0
		.amdhsa_float_round_mode_16_64 0
		.amdhsa_float_denorm_mode_32 3
		.amdhsa_float_denorm_mode_16_64 3
		.amdhsa_dx10_clamp 1
		.amdhsa_ieee_mode 1
		.amdhsa_fp16_overflow 0
		.amdhsa_workgroup_processor_mode 1
		.amdhsa_memory_ordered 1
		.amdhsa_forward_progress 1
		.amdhsa_shared_vgpr_count 0
		.amdhsa_exception_fp_ieee_invalid_op 0
		.amdhsa_exception_fp_denorm_src 0
		.amdhsa_exception_fp_ieee_div_zero 0
		.amdhsa_exception_fp_ieee_overflow 0
		.amdhsa_exception_fp_ieee_underflow 0
		.amdhsa_exception_fp_ieee_inexact 0
		.amdhsa_exception_int_div_zero 0
	.end_amdhsa_kernel
	.section	.text._ZN7rocprim17ROCPRIM_400000_NS6detail17trampoline_kernelINS0_14default_configENS1_38merge_sort_block_merge_config_selectorIiiEEZZNS1_27merge_sort_block_merge_implIS3_N6thrust23THRUST_200600_302600_NS6detail15normal_iteratorINS8_10device_ptrIiEEEESD_jNS1_19radix_merge_compareILb1ELb1EiNS0_19identity_decomposerEEEEE10hipError_tT0_T1_T2_jT3_P12ihipStream_tbPNSt15iterator_traitsISI_E10value_typeEPNSO_ISJ_E10value_typeEPSK_NS1_7vsmem_tEENKUlT_SI_SJ_SK_E_clIPiSD_S10_SD_EESH_SX_SI_SJ_SK_EUlSX_E0_NS1_11comp_targetILNS1_3genE10ELNS1_11target_archE1201ELNS1_3gpuE5ELNS1_3repE0EEENS1_38merge_mergepath_config_static_selectorELNS0_4arch9wavefront6targetE0EEEvSJ_,"axG",@progbits,_ZN7rocprim17ROCPRIM_400000_NS6detail17trampoline_kernelINS0_14default_configENS1_38merge_sort_block_merge_config_selectorIiiEEZZNS1_27merge_sort_block_merge_implIS3_N6thrust23THRUST_200600_302600_NS6detail15normal_iteratorINS8_10device_ptrIiEEEESD_jNS1_19radix_merge_compareILb1ELb1EiNS0_19identity_decomposerEEEEE10hipError_tT0_T1_T2_jT3_P12ihipStream_tbPNSt15iterator_traitsISI_E10value_typeEPNSO_ISJ_E10value_typeEPSK_NS1_7vsmem_tEENKUlT_SI_SJ_SK_E_clIPiSD_S10_SD_EESH_SX_SI_SJ_SK_EUlSX_E0_NS1_11comp_targetILNS1_3genE10ELNS1_11target_archE1201ELNS1_3gpuE5ELNS1_3repE0EEENS1_38merge_mergepath_config_static_selectorELNS0_4arch9wavefront6targetE0EEEvSJ_,comdat
.Lfunc_end942:
	.size	_ZN7rocprim17ROCPRIM_400000_NS6detail17trampoline_kernelINS0_14default_configENS1_38merge_sort_block_merge_config_selectorIiiEEZZNS1_27merge_sort_block_merge_implIS3_N6thrust23THRUST_200600_302600_NS6detail15normal_iteratorINS8_10device_ptrIiEEEESD_jNS1_19radix_merge_compareILb1ELb1EiNS0_19identity_decomposerEEEEE10hipError_tT0_T1_T2_jT3_P12ihipStream_tbPNSt15iterator_traitsISI_E10value_typeEPNSO_ISJ_E10value_typeEPSK_NS1_7vsmem_tEENKUlT_SI_SJ_SK_E_clIPiSD_S10_SD_EESH_SX_SI_SJ_SK_EUlSX_E0_NS1_11comp_targetILNS1_3genE10ELNS1_11target_archE1201ELNS1_3gpuE5ELNS1_3repE0EEENS1_38merge_mergepath_config_static_selectorELNS0_4arch9wavefront6targetE0EEEvSJ_, .Lfunc_end942-_ZN7rocprim17ROCPRIM_400000_NS6detail17trampoline_kernelINS0_14default_configENS1_38merge_sort_block_merge_config_selectorIiiEEZZNS1_27merge_sort_block_merge_implIS3_N6thrust23THRUST_200600_302600_NS6detail15normal_iteratorINS8_10device_ptrIiEEEESD_jNS1_19radix_merge_compareILb1ELb1EiNS0_19identity_decomposerEEEEE10hipError_tT0_T1_T2_jT3_P12ihipStream_tbPNSt15iterator_traitsISI_E10value_typeEPNSO_ISJ_E10value_typeEPSK_NS1_7vsmem_tEENKUlT_SI_SJ_SK_E_clIPiSD_S10_SD_EESH_SX_SI_SJ_SK_EUlSX_E0_NS1_11comp_targetILNS1_3genE10ELNS1_11target_archE1201ELNS1_3gpuE5ELNS1_3repE0EEENS1_38merge_mergepath_config_static_selectorELNS0_4arch9wavefront6targetE0EEEvSJ_
                                        ; -- End function
	.set _ZN7rocprim17ROCPRIM_400000_NS6detail17trampoline_kernelINS0_14default_configENS1_38merge_sort_block_merge_config_selectorIiiEEZZNS1_27merge_sort_block_merge_implIS3_N6thrust23THRUST_200600_302600_NS6detail15normal_iteratorINS8_10device_ptrIiEEEESD_jNS1_19radix_merge_compareILb1ELb1EiNS0_19identity_decomposerEEEEE10hipError_tT0_T1_T2_jT3_P12ihipStream_tbPNSt15iterator_traitsISI_E10value_typeEPNSO_ISJ_E10value_typeEPSK_NS1_7vsmem_tEENKUlT_SI_SJ_SK_E_clIPiSD_S10_SD_EESH_SX_SI_SJ_SK_EUlSX_E0_NS1_11comp_targetILNS1_3genE10ELNS1_11target_archE1201ELNS1_3gpuE5ELNS1_3repE0EEENS1_38merge_mergepath_config_static_selectorELNS0_4arch9wavefront6targetE0EEEvSJ_.num_vgpr, 0
	.set _ZN7rocprim17ROCPRIM_400000_NS6detail17trampoline_kernelINS0_14default_configENS1_38merge_sort_block_merge_config_selectorIiiEEZZNS1_27merge_sort_block_merge_implIS3_N6thrust23THRUST_200600_302600_NS6detail15normal_iteratorINS8_10device_ptrIiEEEESD_jNS1_19radix_merge_compareILb1ELb1EiNS0_19identity_decomposerEEEEE10hipError_tT0_T1_T2_jT3_P12ihipStream_tbPNSt15iterator_traitsISI_E10value_typeEPNSO_ISJ_E10value_typeEPSK_NS1_7vsmem_tEENKUlT_SI_SJ_SK_E_clIPiSD_S10_SD_EESH_SX_SI_SJ_SK_EUlSX_E0_NS1_11comp_targetILNS1_3genE10ELNS1_11target_archE1201ELNS1_3gpuE5ELNS1_3repE0EEENS1_38merge_mergepath_config_static_selectorELNS0_4arch9wavefront6targetE0EEEvSJ_.num_agpr, 0
	.set _ZN7rocprim17ROCPRIM_400000_NS6detail17trampoline_kernelINS0_14default_configENS1_38merge_sort_block_merge_config_selectorIiiEEZZNS1_27merge_sort_block_merge_implIS3_N6thrust23THRUST_200600_302600_NS6detail15normal_iteratorINS8_10device_ptrIiEEEESD_jNS1_19radix_merge_compareILb1ELb1EiNS0_19identity_decomposerEEEEE10hipError_tT0_T1_T2_jT3_P12ihipStream_tbPNSt15iterator_traitsISI_E10value_typeEPNSO_ISJ_E10value_typeEPSK_NS1_7vsmem_tEENKUlT_SI_SJ_SK_E_clIPiSD_S10_SD_EESH_SX_SI_SJ_SK_EUlSX_E0_NS1_11comp_targetILNS1_3genE10ELNS1_11target_archE1201ELNS1_3gpuE5ELNS1_3repE0EEENS1_38merge_mergepath_config_static_selectorELNS0_4arch9wavefront6targetE0EEEvSJ_.numbered_sgpr, 0
	.set _ZN7rocprim17ROCPRIM_400000_NS6detail17trampoline_kernelINS0_14default_configENS1_38merge_sort_block_merge_config_selectorIiiEEZZNS1_27merge_sort_block_merge_implIS3_N6thrust23THRUST_200600_302600_NS6detail15normal_iteratorINS8_10device_ptrIiEEEESD_jNS1_19radix_merge_compareILb1ELb1EiNS0_19identity_decomposerEEEEE10hipError_tT0_T1_T2_jT3_P12ihipStream_tbPNSt15iterator_traitsISI_E10value_typeEPNSO_ISJ_E10value_typeEPSK_NS1_7vsmem_tEENKUlT_SI_SJ_SK_E_clIPiSD_S10_SD_EESH_SX_SI_SJ_SK_EUlSX_E0_NS1_11comp_targetILNS1_3genE10ELNS1_11target_archE1201ELNS1_3gpuE5ELNS1_3repE0EEENS1_38merge_mergepath_config_static_selectorELNS0_4arch9wavefront6targetE0EEEvSJ_.num_named_barrier, 0
	.set _ZN7rocprim17ROCPRIM_400000_NS6detail17trampoline_kernelINS0_14default_configENS1_38merge_sort_block_merge_config_selectorIiiEEZZNS1_27merge_sort_block_merge_implIS3_N6thrust23THRUST_200600_302600_NS6detail15normal_iteratorINS8_10device_ptrIiEEEESD_jNS1_19radix_merge_compareILb1ELb1EiNS0_19identity_decomposerEEEEE10hipError_tT0_T1_T2_jT3_P12ihipStream_tbPNSt15iterator_traitsISI_E10value_typeEPNSO_ISJ_E10value_typeEPSK_NS1_7vsmem_tEENKUlT_SI_SJ_SK_E_clIPiSD_S10_SD_EESH_SX_SI_SJ_SK_EUlSX_E0_NS1_11comp_targetILNS1_3genE10ELNS1_11target_archE1201ELNS1_3gpuE5ELNS1_3repE0EEENS1_38merge_mergepath_config_static_selectorELNS0_4arch9wavefront6targetE0EEEvSJ_.private_seg_size, 0
	.set _ZN7rocprim17ROCPRIM_400000_NS6detail17trampoline_kernelINS0_14default_configENS1_38merge_sort_block_merge_config_selectorIiiEEZZNS1_27merge_sort_block_merge_implIS3_N6thrust23THRUST_200600_302600_NS6detail15normal_iteratorINS8_10device_ptrIiEEEESD_jNS1_19radix_merge_compareILb1ELb1EiNS0_19identity_decomposerEEEEE10hipError_tT0_T1_T2_jT3_P12ihipStream_tbPNSt15iterator_traitsISI_E10value_typeEPNSO_ISJ_E10value_typeEPSK_NS1_7vsmem_tEENKUlT_SI_SJ_SK_E_clIPiSD_S10_SD_EESH_SX_SI_SJ_SK_EUlSX_E0_NS1_11comp_targetILNS1_3genE10ELNS1_11target_archE1201ELNS1_3gpuE5ELNS1_3repE0EEENS1_38merge_mergepath_config_static_selectorELNS0_4arch9wavefront6targetE0EEEvSJ_.uses_vcc, 0
	.set _ZN7rocprim17ROCPRIM_400000_NS6detail17trampoline_kernelINS0_14default_configENS1_38merge_sort_block_merge_config_selectorIiiEEZZNS1_27merge_sort_block_merge_implIS3_N6thrust23THRUST_200600_302600_NS6detail15normal_iteratorINS8_10device_ptrIiEEEESD_jNS1_19radix_merge_compareILb1ELb1EiNS0_19identity_decomposerEEEEE10hipError_tT0_T1_T2_jT3_P12ihipStream_tbPNSt15iterator_traitsISI_E10value_typeEPNSO_ISJ_E10value_typeEPSK_NS1_7vsmem_tEENKUlT_SI_SJ_SK_E_clIPiSD_S10_SD_EESH_SX_SI_SJ_SK_EUlSX_E0_NS1_11comp_targetILNS1_3genE10ELNS1_11target_archE1201ELNS1_3gpuE5ELNS1_3repE0EEENS1_38merge_mergepath_config_static_selectorELNS0_4arch9wavefront6targetE0EEEvSJ_.uses_flat_scratch, 0
	.set _ZN7rocprim17ROCPRIM_400000_NS6detail17trampoline_kernelINS0_14default_configENS1_38merge_sort_block_merge_config_selectorIiiEEZZNS1_27merge_sort_block_merge_implIS3_N6thrust23THRUST_200600_302600_NS6detail15normal_iteratorINS8_10device_ptrIiEEEESD_jNS1_19radix_merge_compareILb1ELb1EiNS0_19identity_decomposerEEEEE10hipError_tT0_T1_T2_jT3_P12ihipStream_tbPNSt15iterator_traitsISI_E10value_typeEPNSO_ISJ_E10value_typeEPSK_NS1_7vsmem_tEENKUlT_SI_SJ_SK_E_clIPiSD_S10_SD_EESH_SX_SI_SJ_SK_EUlSX_E0_NS1_11comp_targetILNS1_3genE10ELNS1_11target_archE1201ELNS1_3gpuE5ELNS1_3repE0EEENS1_38merge_mergepath_config_static_selectorELNS0_4arch9wavefront6targetE0EEEvSJ_.has_dyn_sized_stack, 0
	.set _ZN7rocprim17ROCPRIM_400000_NS6detail17trampoline_kernelINS0_14default_configENS1_38merge_sort_block_merge_config_selectorIiiEEZZNS1_27merge_sort_block_merge_implIS3_N6thrust23THRUST_200600_302600_NS6detail15normal_iteratorINS8_10device_ptrIiEEEESD_jNS1_19radix_merge_compareILb1ELb1EiNS0_19identity_decomposerEEEEE10hipError_tT0_T1_T2_jT3_P12ihipStream_tbPNSt15iterator_traitsISI_E10value_typeEPNSO_ISJ_E10value_typeEPSK_NS1_7vsmem_tEENKUlT_SI_SJ_SK_E_clIPiSD_S10_SD_EESH_SX_SI_SJ_SK_EUlSX_E0_NS1_11comp_targetILNS1_3genE10ELNS1_11target_archE1201ELNS1_3gpuE5ELNS1_3repE0EEENS1_38merge_mergepath_config_static_selectorELNS0_4arch9wavefront6targetE0EEEvSJ_.has_recursion, 0
	.set _ZN7rocprim17ROCPRIM_400000_NS6detail17trampoline_kernelINS0_14default_configENS1_38merge_sort_block_merge_config_selectorIiiEEZZNS1_27merge_sort_block_merge_implIS3_N6thrust23THRUST_200600_302600_NS6detail15normal_iteratorINS8_10device_ptrIiEEEESD_jNS1_19radix_merge_compareILb1ELb1EiNS0_19identity_decomposerEEEEE10hipError_tT0_T1_T2_jT3_P12ihipStream_tbPNSt15iterator_traitsISI_E10value_typeEPNSO_ISJ_E10value_typeEPSK_NS1_7vsmem_tEENKUlT_SI_SJ_SK_E_clIPiSD_S10_SD_EESH_SX_SI_SJ_SK_EUlSX_E0_NS1_11comp_targetILNS1_3genE10ELNS1_11target_archE1201ELNS1_3gpuE5ELNS1_3repE0EEENS1_38merge_mergepath_config_static_selectorELNS0_4arch9wavefront6targetE0EEEvSJ_.has_indirect_call, 0
	.section	.AMDGPU.csdata,"",@progbits
; Kernel info:
; codeLenInByte = 0
; TotalNumSgprs: 0
; NumVgprs: 0
; ScratchSize: 0
; MemoryBound: 0
; FloatMode: 240
; IeeeMode: 1
; LDSByteSize: 0 bytes/workgroup (compile time only)
; SGPRBlocks: 0
; VGPRBlocks: 0
; NumSGPRsForWavesPerEU: 1
; NumVGPRsForWavesPerEU: 1
; Occupancy: 16
; WaveLimiterHint : 0
; COMPUTE_PGM_RSRC2:SCRATCH_EN: 0
; COMPUTE_PGM_RSRC2:USER_SGPR: 6
; COMPUTE_PGM_RSRC2:TRAP_HANDLER: 0
; COMPUTE_PGM_RSRC2:TGID_X_EN: 1
; COMPUTE_PGM_RSRC2:TGID_Y_EN: 0
; COMPUTE_PGM_RSRC2:TGID_Z_EN: 0
; COMPUTE_PGM_RSRC2:TIDIG_COMP_CNT: 0
	.section	.text._ZN7rocprim17ROCPRIM_400000_NS6detail17trampoline_kernelINS0_14default_configENS1_38merge_sort_block_merge_config_selectorIiiEEZZNS1_27merge_sort_block_merge_implIS3_N6thrust23THRUST_200600_302600_NS6detail15normal_iteratorINS8_10device_ptrIiEEEESD_jNS1_19radix_merge_compareILb1ELb1EiNS0_19identity_decomposerEEEEE10hipError_tT0_T1_T2_jT3_P12ihipStream_tbPNSt15iterator_traitsISI_E10value_typeEPNSO_ISJ_E10value_typeEPSK_NS1_7vsmem_tEENKUlT_SI_SJ_SK_E_clIPiSD_S10_SD_EESH_SX_SI_SJ_SK_EUlSX_E0_NS1_11comp_targetILNS1_3genE5ELNS1_11target_archE942ELNS1_3gpuE9ELNS1_3repE0EEENS1_38merge_mergepath_config_static_selectorELNS0_4arch9wavefront6targetE0EEEvSJ_,"axG",@progbits,_ZN7rocprim17ROCPRIM_400000_NS6detail17trampoline_kernelINS0_14default_configENS1_38merge_sort_block_merge_config_selectorIiiEEZZNS1_27merge_sort_block_merge_implIS3_N6thrust23THRUST_200600_302600_NS6detail15normal_iteratorINS8_10device_ptrIiEEEESD_jNS1_19radix_merge_compareILb1ELb1EiNS0_19identity_decomposerEEEEE10hipError_tT0_T1_T2_jT3_P12ihipStream_tbPNSt15iterator_traitsISI_E10value_typeEPNSO_ISJ_E10value_typeEPSK_NS1_7vsmem_tEENKUlT_SI_SJ_SK_E_clIPiSD_S10_SD_EESH_SX_SI_SJ_SK_EUlSX_E0_NS1_11comp_targetILNS1_3genE5ELNS1_11target_archE942ELNS1_3gpuE9ELNS1_3repE0EEENS1_38merge_mergepath_config_static_selectorELNS0_4arch9wavefront6targetE0EEEvSJ_,comdat
	.protected	_ZN7rocprim17ROCPRIM_400000_NS6detail17trampoline_kernelINS0_14default_configENS1_38merge_sort_block_merge_config_selectorIiiEEZZNS1_27merge_sort_block_merge_implIS3_N6thrust23THRUST_200600_302600_NS6detail15normal_iteratorINS8_10device_ptrIiEEEESD_jNS1_19radix_merge_compareILb1ELb1EiNS0_19identity_decomposerEEEEE10hipError_tT0_T1_T2_jT3_P12ihipStream_tbPNSt15iterator_traitsISI_E10value_typeEPNSO_ISJ_E10value_typeEPSK_NS1_7vsmem_tEENKUlT_SI_SJ_SK_E_clIPiSD_S10_SD_EESH_SX_SI_SJ_SK_EUlSX_E0_NS1_11comp_targetILNS1_3genE5ELNS1_11target_archE942ELNS1_3gpuE9ELNS1_3repE0EEENS1_38merge_mergepath_config_static_selectorELNS0_4arch9wavefront6targetE0EEEvSJ_ ; -- Begin function _ZN7rocprim17ROCPRIM_400000_NS6detail17trampoline_kernelINS0_14default_configENS1_38merge_sort_block_merge_config_selectorIiiEEZZNS1_27merge_sort_block_merge_implIS3_N6thrust23THRUST_200600_302600_NS6detail15normal_iteratorINS8_10device_ptrIiEEEESD_jNS1_19radix_merge_compareILb1ELb1EiNS0_19identity_decomposerEEEEE10hipError_tT0_T1_T2_jT3_P12ihipStream_tbPNSt15iterator_traitsISI_E10value_typeEPNSO_ISJ_E10value_typeEPSK_NS1_7vsmem_tEENKUlT_SI_SJ_SK_E_clIPiSD_S10_SD_EESH_SX_SI_SJ_SK_EUlSX_E0_NS1_11comp_targetILNS1_3genE5ELNS1_11target_archE942ELNS1_3gpuE9ELNS1_3repE0EEENS1_38merge_mergepath_config_static_selectorELNS0_4arch9wavefront6targetE0EEEvSJ_
	.globl	_ZN7rocprim17ROCPRIM_400000_NS6detail17trampoline_kernelINS0_14default_configENS1_38merge_sort_block_merge_config_selectorIiiEEZZNS1_27merge_sort_block_merge_implIS3_N6thrust23THRUST_200600_302600_NS6detail15normal_iteratorINS8_10device_ptrIiEEEESD_jNS1_19radix_merge_compareILb1ELb1EiNS0_19identity_decomposerEEEEE10hipError_tT0_T1_T2_jT3_P12ihipStream_tbPNSt15iterator_traitsISI_E10value_typeEPNSO_ISJ_E10value_typeEPSK_NS1_7vsmem_tEENKUlT_SI_SJ_SK_E_clIPiSD_S10_SD_EESH_SX_SI_SJ_SK_EUlSX_E0_NS1_11comp_targetILNS1_3genE5ELNS1_11target_archE942ELNS1_3gpuE9ELNS1_3repE0EEENS1_38merge_mergepath_config_static_selectorELNS0_4arch9wavefront6targetE0EEEvSJ_
	.p2align	8
	.type	_ZN7rocprim17ROCPRIM_400000_NS6detail17trampoline_kernelINS0_14default_configENS1_38merge_sort_block_merge_config_selectorIiiEEZZNS1_27merge_sort_block_merge_implIS3_N6thrust23THRUST_200600_302600_NS6detail15normal_iteratorINS8_10device_ptrIiEEEESD_jNS1_19radix_merge_compareILb1ELb1EiNS0_19identity_decomposerEEEEE10hipError_tT0_T1_T2_jT3_P12ihipStream_tbPNSt15iterator_traitsISI_E10value_typeEPNSO_ISJ_E10value_typeEPSK_NS1_7vsmem_tEENKUlT_SI_SJ_SK_E_clIPiSD_S10_SD_EESH_SX_SI_SJ_SK_EUlSX_E0_NS1_11comp_targetILNS1_3genE5ELNS1_11target_archE942ELNS1_3gpuE9ELNS1_3repE0EEENS1_38merge_mergepath_config_static_selectorELNS0_4arch9wavefront6targetE0EEEvSJ_,@function
_ZN7rocprim17ROCPRIM_400000_NS6detail17trampoline_kernelINS0_14default_configENS1_38merge_sort_block_merge_config_selectorIiiEEZZNS1_27merge_sort_block_merge_implIS3_N6thrust23THRUST_200600_302600_NS6detail15normal_iteratorINS8_10device_ptrIiEEEESD_jNS1_19radix_merge_compareILb1ELb1EiNS0_19identity_decomposerEEEEE10hipError_tT0_T1_T2_jT3_P12ihipStream_tbPNSt15iterator_traitsISI_E10value_typeEPNSO_ISJ_E10value_typeEPSK_NS1_7vsmem_tEENKUlT_SI_SJ_SK_E_clIPiSD_S10_SD_EESH_SX_SI_SJ_SK_EUlSX_E0_NS1_11comp_targetILNS1_3genE5ELNS1_11target_archE942ELNS1_3gpuE9ELNS1_3repE0EEENS1_38merge_mergepath_config_static_selectorELNS0_4arch9wavefront6targetE0EEEvSJ_: ; @_ZN7rocprim17ROCPRIM_400000_NS6detail17trampoline_kernelINS0_14default_configENS1_38merge_sort_block_merge_config_selectorIiiEEZZNS1_27merge_sort_block_merge_implIS3_N6thrust23THRUST_200600_302600_NS6detail15normal_iteratorINS8_10device_ptrIiEEEESD_jNS1_19radix_merge_compareILb1ELb1EiNS0_19identity_decomposerEEEEE10hipError_tT0_T1_T2_jT3_P12ihipStream_tbPNSt15iterator_traitsISI_E10value_typeEPNSO_ISJ_E10value_typeEPSK_NS1_7vsmem_tEENKUlT_SI_SJ_SK_E_clIPiSD_S10_SD_EESH_SX_SI_SJ_SK_EUlSX_E0_NS1_11comp_targetILNS1_3genE5ELNS1_11target_archE942ELNS1_3gpuE9ELNS1_3repE0EEENS1_38merge_mergepath_config_static_selectorELNS0_4arch9wavefront6targetE0EEEvSJ_
; %bb.0:
	.section	.rodata,"a",@progbits
	.p2align	6, 0x0
	.amdhsa_kernel _ZN7rocprim17ROCPRIM_400000_NS6detail17trampoline_kernelINS0_14default_configENS1_38merge_sort_block_merge_config_selectorIiiEEZZNS1_27merge_sort_block_merge_implIS3_N6thrust23THRUST_200600_302600_NS6detail15normal_iteratorINS8_10device_ptrIiEEEESD_jNS1_19radix_merge_compareILb1ELb1EiNS0_19identity_decomposerEEEEE10hipError_tT0_T1_T2_jT3_P12ihipStream_tbPNSt15iterator_traitsISI_E10value_typeEPNSO_ISJ_E10value_typeEPSK_NS1_7vsmem_tEENKUlT_SI_SJ_SK_E_clIPiSD_S10_SD_EESH_SX_SI_SJ_SK_EUlSX_E0_NS1_11comp_targetILNS1_3genE5ELNS1_11target_archE942ELNS1_3gpuE9ELNS1_3repE0EEENS1_38merge_mergepath_config_static_selectorELNS0_4arch9wavefront6targetE0EEEvSJ_
		.amdhsa_group_segment_fixed_size 0
		.amdhsa_private_segment_fixed_size 0
		.amdhsa_kernarg_size 64
		.amdhsa_user_sgpr_count 6
		.amdhsa_user_sgpr_private_segment_buffer 1
		.amdhsa_user_sgpr_dispatch_ptr 0
		.amdhsa_user_sgpr_queue_ptr 0
		.amdhsa_user_sgpr_kernarg_segment_ptr 1
		.amdhsa_user_sgpr_dispatch_id 0
		.amdhsa_user_sgpr_flat_scratch_init 0
		.amdhsa_user_sgpr_private_segment_size 0
		.amdhsa_wavefront_size32 1
		.amdhsa_uses_dynamic_stack 0
		.amdhsa_system_sgpr_private_segment_wavefront_offset 0
		.amdhsa_system_sgpr_workgroup_id_x 1
		.amdhsa_system_sgpr_workgroup_id_y 0
		.amdhsa_system_sgpr_workgroup_id_z 0
		.amdhsa_system_sgpr_workgroup_info 0
		.amdhsa_system_vgpr_workitem_id 0
		.amdhsa_next_free_vgpr 1
		.amdhsa_next_free_sgpr 1
		.amdhsa_reserve_vcc 0
		.amdhsa_reserve_flat_scratch 0
		.amdhsa_float_round_mode_32 0
		.amdhsa_float_round_mode_16_64 0
		.amdhsa_float_denorm_mode_32 3
		.amdhsa_float_denorm_mode_16_64 3
		.amdhsa_dx10_clamp 1
		.amdhsa_ieee_mode 1
		.amdhsa_fp16_overflow 0
		.amdhsa_workgroup_processor_mode 1
		.amdhsa_memory_ordered 1
		.amdhsa_forward_progress 1
		.amdhsa_shared_vgpr_count 0
		.amdhsa_exception_fp_ieee_invalid_op 0
		.amdhsa_exception_fp_denorm_src 0
		.amdhsa_exception_fp_ieee_div_zero 0
		.amdhsa_exception_fp_ieee_overflow 0
		.amdhsa_exception_fp_ieee_underflow 0
		.amdhsa_exception_fp_ieee_inexact 0
		.amdhsa_exception_int_div_zero 0
	.end_amdhsa_kernel
	.section	.text._ZN7rocprim17ROCPRIM_400000_NS6detail17trampoline_kernelINS0_14default_configENS1_38merge_sort_block_merge_config_selectorIiiEEZZNS1_27merge_sort_block_merge_implIS3_N6thrust23THRUST_200600_302600_NS6detail15normal_iteratorINS8_10device_ptrIiEEEESD_jNS1_19radix_merge_compareILb1ELb1EiNS0_19identity_decomposerEEEEE10hipError_tT0_T1_T2_jT3_P12ihipStream_tbPNSt15iterator_traitsISI_E10value_typeEPNSO_ISJ_E10value_typeEPSK_NS1_7vsmem_tEENKUlT_SI_SJ_SK_E_clIPiSD_S10_SD_EESH_SX_SI_SJ_SK_EUlSX_E0_NS1_11comp_targetILNS1_3genE5ELNS1_11target_archE942ELNS1_3gpuE9ELNS1_3repE0EEENS1_38merge_mergepath_config_static_selectorELNS0_4arch9wavefront6targetE0EEEvSJ_,"axG",@progbits,_ZN7rocprim17ROCPRIM_400000_NS6detail17trampoline_kernelINS0_14default_configENS1_38merge_sort_block_merge_config_selectorIiiEEZZNS1_27merge_sort_block_merge_implIS3_N6thrust23THRUST_200600_302600_NS6detail15normal_iteratorINS8_10device_ptrIiEEEESD_jNS1_19radix_merge_compareILb1ELb1EiNS0_19identity_decomposerEEEEE10hipError_tT0_T1_T2_jT3_P12ihipStream_tbPNSt15iterator_traitsISI_E10value_typeEPNSO_ISJ_E10value_typeEPSK_NS1_7vsmem_tEENKUlT_SI_SJ_SK_E_clIPiSD_S10_SD_EESH_SX_SI_SJ_SK_EUlSX_E0_NS1_11comp_targetILNS1_3genE5ELNS1_11target_archE942ELNS1_3gpuE9ELNS1_3repE0EEENS1_38merge_mergepath_config_static_selectorELNS0_4arch9wavefront6targetE0EEEvSJ_,comdat
.Lfunc_end943:
	.size	_ZN7rocprim17ROCPRIM_400000_NS6detail17trampoline_kernelINS0_14default_configENS1_38merge_sort_block_merge_config_selectorIiiEEZZNS1_27merge_sort_block_merge_implIS3_N6thrust23THRUST_200600_302600_NS6detail15normal_iteratorINS8_10device_ptrIiEEEESD_jNS1_19radix_merge_compareILb1ELb1EiNS0_19identity_decomposerEEEEE10hipError_tT0_T1_T2_jT3_P12ihipStream_tbPNSt15iterator_traitsISI_E10value_typeEPNSO_ISJ_E10value_typeEPSK_NS1_7vsmem_tEENKUlT_SI_SJ_SK_E_clIPiSD_S10_SD_EESH_SX_SI_SJ_SK_EUlSX_E0_NS1_11comp_targetILNS1_3genE5ELNS1_11target_archE942ELNS1_3gpuE9ELNS1_3repE0EEENS1_38merge_mergepath_config_static_selectorELNS0_4arch9wavefront6targetE0EEEvSJ_, .Lfunc_end943-_ZN7rocprim17ROCPRIM_400000_NS6detail17trampoline_kernelINS0_14default_configENS1_38merge_sort_block_merge_config_selectorIiiEEZZNS1_27merge_sort_block_merge_implIS3_N6thrust23THRUST_200600_302600_NS6detail15normal_iteratorINS8_10device_ptrIiEEEESD_jNS1_19radix_merge_compareILb1ELb1EiNS0_19identity_decomposerEEEEE10hipError_tT0_T1_T2_jT3_P12ihipStream_tbPNSt15iterator_traitsISI_E10value_typeEPNSO_ISJ_E10value_typeEPSK_NS1_7vsmem_tEENKUlT_SI_SJ_SK_E_clIPiSD_S10_SD_EESH_SX_SI_SJ_SK_EUlSX_E0_NS1_11comp_targetILNS1_3genE5ELNS1_11target_archE942ELNS1_3gpuE9ELNS1_3repE0EEENS1_38merge_mergepath_config_static_selectorELNS0_4arch9wavefront6targetE0EEEvSJ_
                                        ; -- End function
	.set _ZN7rocprim17ROCPRIM_400000_NS6detail17trampoline_kernelINS0_14default_configENS1_38merge_sort_block_merge_config_selectorIiiEEZZNS1_27merge_sort_block_merge_implIS3_N6thrust23THRUST_200600_302600_NS6detail15normal_iteratorINS8_10device_ptrIiEEEESD_jNS1_19radix_merge_compareILb1ELb1EiNS0_19identity_decomposerEEEEE10hipError_tT0_T1_T2_jT3_P12ihipStream_tbPNSt15iterator_traitsISI_E10value_typeEPNSO_ISJ_E10value_typeEPSK_NS1_7vsmem_tEENKUlT_SI_SJ_SK_E_clIPiSD_S10_SD_EESH_SX_SI_SJ_SK_EUlSX_E0_NS1_11comp_targetILNS1_3genE5ELNS1_11target_archE942ELNS1_3gpuE9ELNS1_3repE0EEENS1_38merge_mergepath_config_static_selectorELNS0_4arch9wavefront6targetE0EEEvSJ_.num_vgpr, 0
	.set _ZN7rocprim17ROCPRIM_400000_NS6detail17trampoline_kernelINS0_14default_configENS1_38merge_sort_block_merge_config_selectorIiiEEZZNS1_27merge_sort_block_merge_implIS3_N6thrust23THRUST_200600_302600_NS6detail15normal_iteratorINS8_10device_ptrIiEEEESD_jNS1_19radix_merge_compareILb1ELb1EiNS0_19identity_decomposerEEEEE10hipError_tT0_T1_T2_jT3_P12ihipStream_tbPNSt15iterator_traitsISI_E10value_typeEPNSO_ISJ_E10value_typeEPSK_NS1_7vsmem_tEENKUlT_SI_SJ_SK_E_clIPiSD_S10_SD_EESH_SX_SI_SJ_SK_EUlSX_E0_NS1_11comp_targetILNS1_3genE5ELNS1_11target_archE942ELNS1_3gpuE9ELNS1_3repE0EEENS1_38merge_mergepath_config_static_selectorELNS0_4arch9wavefront6targetE0EEEvSJ_.num_agpr, 0
	.set _ZN7rocprim17ROCPRIM_400000_NS6detail17trampoline_kernelINS0_14default_configENS1_38merge_sort_block_merge_config_selectorIiiEEZZNS1_27merge_sort_block_merge_implIS3_N6thrust23THRUST_200600_302600_NS6detail15normal_iteratorINS8_10device_ptrIiEEEESD_jNS1_19radix_merge_compareILb1ELb1EiNS0_19identity_decomposerEEEEE10hipError_tT0_T1_T2_jT3_P12ihipStream_tbPNSt15iterator_traitsISI_E10value_typeEPNSO_ISJ_E10value_typeEPSK_NS1_7vsmem_tEENKUlT_SI_SJ_SK_E_clIPiSD_S10_SD_EESH_SX_SI_SJ_SK_EUlSX_E0_NS1_11comp_targetILNS1_3genE5ELNS1_11target_archE942ELNS1_3gpuE9ELNS1_3repE0EEENS1_38merge_mergepath_config_static_selectorELNS0_4arch9wavefront6targetE0EEEvSJ_.numbered_sgpr, 0
	.set _ZN7rocprim17ROCPRIM_400000_NS6detail17trampoline_kernelINS0_14default_configENS1_38merge_sort_block_merge_config_selectorIiiEEZZNS1_27merge_sort_block_merge_implIS3_N6thrust23THRUST_200600_302600_NS6detail15normal_iteratorINS8_10device_ptrIiEEEESD_jNS1_19radix_merge_compareILb1ELb1EiNS0_19identity_decomposerEEEEE10hipError_tT0_T1_T2_jT3_P12ihipStream_tbPNSt15iterator_traitsISI_E10value_typeEPNSO_ISJ_E10value_typeEPSK_NS1_7vsmem_tEENKUlT_SI_SJ_SK_E_clIPiSD_S10_SD_EESH_SX_SI_SJ_SK_EUlSX_E0_NS1_11comp_targetILNS1_3genE5ELNS1_11target_archE942ELNS1_3gpuE9ELNS1_3repE0EEENS1_38merge_mergepath_config_static_selectorELNS0_4arch9wavefront6targetE0EEEvSJ_.num_named_barrier, 0
	.set _ZN7rocprim17ROCPRIM_400000_NS6detail17trampoline_kernelINS0_14default_configENS1_38merge_sort_block_merge_config_selectorIiiEEZZNS1_27merge_sort_block_merge_implIS3_N6thrust23THRUST_200600_302600_NS6detail15normal_iteratorINS8_10device_ptrIiEEEESD_jNS1_19radix_merge_compareILb1ELb1EiNS0_19identity_decomposerEEEEE10hipError_tT0_T1_T2_jT3_P12ihipStream_tbPNSt15iterator_traitsISI_E10value_typeEPNSO_ISJ_E10value_typeEPSK_NS1_7vsmem_tEENKUlT_SI_SJ_SK_E_clIPiSD_S10_SD_EESH_SX_SI_SJ_SK_EUlSX_E0_NS1_11comp_targetILNS1_3genE5ELNS1_11target_archE942ELNS1_3gpuE9ELNS1_3repE0EEENS1_38merge_mergepath_config_static_selectorELNS0_4arch9wavefront6targetE0EEEvSJ_.private_seg_size, 0
	.set _ZN7rocprim17ROCPRIM_400000_NS6detail17trampoline_kernelINS0_14default_configENS1_38merge_sort_block_merge_config_selectorIiiEEZZNS1_27merge_sort_block_merge_implIS3_N6thrust23THRUST_200600_302600_NS6detail15normal_iteratorINS8_10device_ptrIiEEEESD_jNS1_19radix_merge_compareILb1ELb1EiNS0_19identity_decomposerEEEEE10hipError_tT0_T1_T2_jT3_P12ihipStream_tbPNSt15iterator_traitsISI_E10value_typeEPNSO_ISJ_E10value_typeEPSK_NS1_7vsmem_tEENKUlT_SI_SJ_SK_E_clIPiSD_S10_SD_EESH_SX_SI_SJ_SK_EUlSX_E0_NS1_11comp_targetILNS1_3genE5ELNS1_11target_archE942ELNS1_3gpuE9ELNS1_3repE0EEENS1_38merge_mergepath_config_static_selectorELNS0_4arch9wavefront6targetE0EEEvSJ_.uses_vcc, 0
	.set _ZN7rocprim17ROCPRIM_400000_NS6detail17trampoline_kernelINS0_14default_configENS1_38merge_sort_block_merge_config_selectorIiiEEZZNS1_27merge_sort_block_merge_implIS3_N6thrust23THRUST_200600_302600_NS6detail15normal_iteratorINS8_10device_ptrIiEEEESD_jNS1_19radix_merge_compareILb1ELb1EiNS0_19identity_decomposerEEEEE10hipError_tT0_T1_T2_jT3_P12ihipStream_tbPNSt15iterator_traitsISI_E10value_typeEPNSO_ISJ_E10value_typeEPSK_NS1_7vsmem_tEENKUlT_SI_SJ_SK_E_clIPiSD_S10_SD_EESH_SX_SI_SJ_SK_EUlSX_E0_NS1_11comp_targetILNS1_3genE5ELNS1_11target_archE942ELNS1_3gpuE9ELNS1_3repE0EEENS1_38merge_mergepath_config_static_selectorELNS0_4arch9wavefront6targetE0EEEvSJ_.uses_flat_scratch, 0
	.set _ZN7rocprim17ROCPRIM_400000_NS6detail17trampoline_kernelINS0_14default_configENS1_38merge_sort_block_merge_config_selectorIiiEEZZNS1_27merge_sort_block_merge_implIS3_N6thrust23THRUST_200600_302600_NS6detail15normal_iteratorINS8_10device_ptrIiEEEESD_jNS1_19radix_merge_compareILb1ELb1EiNS0_19identity_decomposerEEEEE10hipError_tT0_T1_T2_jT3_P12ihipStream_tbPNSt15iterator_traitsISI_E10value_typeEPNSO_ISJ_E10value_typeEPSK_NS1_7vsmem_tEENKUlT_SI_SJ_SK_E_clIPiSD_S10_SD_EESH_SX_SI_SJ_SK_EUlSX_E0_NS1_11comp_targetILNS1_3genE5ELNS1_11target_archE942ELNS1_3gpuE9ELNS1_3repE0EEENS1_38merge_mergepath_config_static_selectorELNS0_4arch9wavefront6targetE0EEEvSJ_.has_dyn_sized_stack, 0
	.set _ZN7rocprim17ROCPRIM_400000_NS6detail17trampoline_kernelINS0_14default_configENS1_38merge_sort_block_merge_config_selectorIiiEEZZNS1_27merge_sort_block_merge_implIS3_N6thrust23THRUST_200600_302600_NS6detail15normal_iteratorINS8_10device_ptrIiEEEESD_jNS1_19radix_merge_compareILb1ELb1EiNS0_19identity_decomposerEEEEE10hipError_tT0_T1_T2_jT3_P12ihipStream_tbPNSt15iterator_traitsISI_E10value_typeEPNSO_ISJ_E10value_typeEPSK_NS1_7vsmem_tEENKUlT_SI_SJ_SK_E_clIPiSD_S10_SD_EESH_SX_SI_SJ_SK_EUlSX_E0_NS1_11comp_targetILNS1_3genE5ELNS1_11target_archE942ELNS1_3gpuE9ELNS1_3repE0EEENS1_38merge_mergepath_config_static_selectorELNS0_4arch9wavefront6targetE0EEEvSJ_.has_recursion, 0
	.set _ZN7rocprim17ROCPRIM_400000_NS6detail17trampoline_kernelINS0_14default_configENS1_38merge_sort_block_merge_config_selectorIiiEEZZNS1_27merge_sort_block_merge_implIS3_N6thrust23THRUST_200600_302600_NS6detail15normal_iteratorINS8_10device_ptrIiEEEESD_jNS1_19radix_merge_compareILb1ELb1EiNS0_19identity_decomposerEEEEE10hipError_tT0_T1_T2_jT3_P12ihipStream_tbPNSt15iterator_traitsISI_E10value_typeEPNSO_ISJ_E10value_typeEPSK_NS1_7vsmem_tEENKUlT_SI_SJ_SK_E_clIPiSD_S10_SD_EESH_SX_SI_SJ_SK_EUlSX_E0_NS1_11comp_targetILNS1_3genE5ELNS1_11target_archE942ELNS1_3gpuE9ELNS1_3repE0EEENS1_38merge_mergepath_config_static_selectorELNS0_4arch9wavefront6targetE0EEEvSJ_.has_indirect_call, 0
	.section	.AMDGPU.csdata,"",@progbits
; Kernel info:
; codeLenInByte = 0
; TotalNumSgprs: 0
; NumVgprs: 0
; ScratchSize: 0
; MemoryBound: 0
; FloatMode: 240
; IeeeMode: 1
; LDSByteSize: 0 bytes/workgroup (compile time only)
; SGPRBlocks: 0
; VGPRBlocks: 0
; NumSGPRsForWavesPerEU: 1
; NumVGPRsForWavesPerEU: 1
; Occupancy: 16
; WaveLimiterHint : 0
; COMPUTE_PGM_RSRC2:SCRATCH_EN: 0
; COMPUTE_PGM_RSRC2:USER_SGPR: 6
; COMPUTE_PGM_RSRC2:TRAP_HANDLER: 0
; COMPUTE_PGM_RSRC2:TGID_X_EN: 1
; COMPUTE_PGM_RSRC2:TGID_Y_EN: 0
; COMPUTE_PGM_RSRC2:TGID_Z_EN: 0
; COMPUTE_PGM_RSRC2:TIDIG_COMP_CNT: 0
	.section	.text._ZN7rocprim17ROCPRIM_400000_NS6detail17trampoline_kernelINS0_14default_configENS1_38merge_sort_block_merge_config_selectorIiiEEZZNS1_27merge_sort_block_merge_implIS3_N6thrust23THRUST_200600_302600_NS6detail15normal_iteratorINS8_10device_ptrIiEEEESD_jNS1_19radix_merge_compareILb1ELb1EiNS0_19identity_decomposerEEEEE10hipError_tT0_T1_T2_jT3_P12ihipStream_tbPNSt15iterator_traitsISI_E10value_typeEPNSO_ISJ_E10value_typeEPSK_NS1_7vsmem_tEENKUlT_SI_SJ_SK_E_clIPiSD_S10_SD_EESH_SX_SI_SJ_SK_EUlSX_E0_NS1_11comp_targetILNS1_3genE4ELNS1_11target_archE910ELNS1_3gpuE8ELNS1_3repE0EEENS1_38merge_mergepath_config_static_selectorELNS0_4arch9wavefront6targetE0EEEvSJ_,"axG",@progbits,_ZN7rocprim17ROCPRIM_400000_NS6detail17trampoline_kernelINS0_14default_configENS1_38merge_sort_block_merge_config_selectorIiiEEZZNS1_27merge_sort_block_merge_implIS3_N6thrust23THRUST_200600_302600_NS6detail15normal_iteratorINS8_10device_ptrIiEEEESD_jNS1_19radix_merge_compareILb1ELb1EiNS0_19identity_decomposerEEEEE10hipError_tT0_T1_T2_jT3_P12ihipStream_tbPNSt15iterator_traitsISI_E10value_typeEPNSO_ISJ_E10value_typeEPSK_NS1_7vsmem_tEENKUlT_SI_SJ_SK_E_clIPiSD_S10_SD_EESH_SX_SI_SJ_SK_EUlSX_E0_NS1_11comp_targetILNS1_3genE4ELNS1_11target_archE910ELNS1_3gpuE8ELNS1_3repE0EEENS1_38merge_mergepath_config_static_selectorELNS0_4arch9wavefront6targetE0EEEvSJ_,comdat
	.protected	_ZN7rocprim17ROCPRIM_400000_NS6detail17trampoline_kernelINS0_14default_configENS1_38merge_sort_block_merge_config_selectorIiiEEZZNS1_27merge_sort_block_merge_implIS3_N6thrust23THRUST_200600_302600_NS6detail15normal_iteratorINS8_10device_ptrIiEEEESD_jNS1_19radix_merge_compareILb1ELb1EiNS0_19identity_decomposerEEEEE10hipError_tT0_T1_T2_jT3_P12ihipStream_tbPNSt15iterator_traitsISI_E10value_typeEPNSO_ISJ_E10value_typeEPSK_NS1_7vsmem_tEENKUlT_SI_SJ_SK_E_clIPiSD_S10_SD_EESH_SX_SI_SJ_SK_EUlSX_E0_NS1_11comp_targetILNS1_3genE4ELNS1_11target_archE910ELNS1_3gpuE8ELNS1_3repE0EEENS1_38merge_mergepath_config_static_selectorELNS0_4arch9wavefront6targetE0EEEvSJ_ ; -- Begin function _ZN7rocprim17ROCPRIM_400000_NS6detail17trampoline_kernelINS0_14default_configENS1_38merge_sort_block_merge_config_selectorIiiEEZZNS1_27merge_sort_block_merge_implIS3_N6thrust23THRUST_200600_302600_NS6detail15normal_iteratorINS8_10device_ptrIiEEEESD_jNS1_19radix_merge_compareILb1ELb1EiNS0_19identity_decomposerEEEEE10hipError_tT0_T1_T2_jT3_P12ihipStream_tbPNSt15iterator_traitsISI_E10value_typeEPNSO_ISJ_E10value_typeEPSK_NS1_7vsmem_tEENKUlT_SI_SJ_SK_E_clIPiSD_S10_SD_EESH_SX_SI_SJ_SK_EUlSX_E0_NS1_11comp_targetILNS1_3genE4ELNS1_11target_archE910ELNS1_3gpuE8ELNS1_3repE0EEENS1_38merge_mergepath_config_static_selectorELNS0_4arch9wavefront6targetE0EEEvSJ_
	.globl	_ZN7rocprim17ROCPRIM_400000_NS6detail17trampoline_kernelINS0_14default_configENS1_38merge_sort_block_merge_config_selectorIiiEEZZNS1_27merge_sort_block_merge_implIS3_N6thrust23THRUST_200600_302600_NS6detail15normal_iteratorINS8_10device_ptrIiEEEESD_jNS1_19radix_merge_compareILb1ELb1EiNS0_19identity_decomposerEEEEE10hipError_tT0_T1_T2_jT3_P12ihipStream_tbPNSt15iterator_traitsISI_E10value_typeEPNSO_ISJ_E10value_typeEPSK_NS1_7vsmem_tEENKUlT_SI_SJ_SK_E_clIPiSD_S10_SD_EESH_SX_SI_SJ_SK_EUlSX_E0_NS1_11comp_targetILNS1_3genE4ELNS1_11target_archE910ELNS1_3gpuE8ELNS1_3repE0EEENS1_38merge_mergepath_config_static_selectorELNS0_4arch9wavefront6targetE0EEEvSJ_
	.p2align	8
	.type	_ZN7rocprim17ROCPRIM_400000_NS6detail17trampoline_kernelINS0_14default_configENS1_38merge_sort_block_merge_config_selectorIiiEEZZNS1_27merge_sort_block_merge_implIS3_N6thrust23THRUST_200600_302600_NS6detail15normal_iteratorINS8_10device_ptrIiEEEESD_jNS1_19radix_merge_compareILb1ELb1EiNS0_19identity_decomposerEEEEE10hipError_tT0_T1_T2_jT3_P12ihipStream_tbPNSt15iterator_traitsISI_E10value_typeEPNSO_ISJ_E10value_typeEPSK_NS1_7vsmem_tEENKUlT_SI_SJ_SK_E_clIPiSD_S10_SD_EESH_SX_SI_SJ_SK_EUlSX_E0_NS1_11comp_targetILNS1_3genE4ELNS1_11target_archE910ELNS1_3gpuE8ELNS1_3repE0EEENS1_38merge_mergepath_config_static_selectorELNS0_4arch9wavefront6targetE0EEEvSJ_,@function
_ZN7rocprim17ROCPRIM_400000_NS6detail17trampoline_kernelINS0_14default_configENS1_38merge_sort_block_merge_config_selectorIiiEEZZNS1_27merge_sort_block_merge_implIS3_N6thrust23THRUST_200600_302600_NS6detail15normal_iteratorINS8_10device_ptrIiEEEESD_jNS1_19radix_merge_compareILb1ELb1EiNS0_19identity_decomposerEEEEE10hipError_tT0_T1_T2_jT3_P12ihipStream_tbPNSt15iterator_traitsISI_E10value_typeEPNSO_ISJ_E10value_typeEPSK_NS1_7vsmem_tEENKUlT_SI_SJ_SK_E_clIPiSD_S10_SD_EESH_SX_SI_SJ_SK_EUlSX_E0_NS1_11comp_targetILNS1_3genE4ELNS1_11target_archE910ELNS1_3gpuE8ELNS1_3repE0EEENS1_38merge_mergepath_config_static_selectorELNS0_4arch9wavefront6targetE0EEEvSJ_: ; @_ZN7rocprim17ROCPRIM_400000_NS6detail17trampoline_kernelINS0_14default_configENS1_38merge_sort_block_merge_config_selectorIiiEEZZNS1_27merge_sort_block_merge_implIS3_N6thrust23THRUST_200600_302600_NS6detail15normal_iteratorINS8_10device_ptrIiEEEESD_jNS1_19radix_merge_compareILb1ELb1EiNS0_19identity_decomposerEEEEE10hipError_tT0_T1_T2_jT3_P12ihipStream_tbPNSt15iterator_traitsISI_E10value_typeEPNSO_ISJ_E10value_typeEPSK_NS1_7vsmem_tEENKUlT_SI_SJ_SK_E_clIPiSD_S10_SD_EESH_SX_SI_SJ_SK_EUlSX_E0_NS1_11comp_targetILNS1_3genE4ELNS1_11target_archE910ELNS1_3gpuE8ELNS1_3repE0EEENS1_38merge_mergepath_config_static_selectorELNS0_4arch9wavefront6targetE0EEEvSJ_
; %bb.0:
	.section	.rodata,"a",@progbits
	.p2align	6, 0x0
	.amdhsa_kernel _ZN7rocprim17ROCPRIM_400000_NS6detail17trampoline_kernelINS0_14default_configENS1_38merge_sort_block_merge_config_selectorIiiEEZZNS1_27merge_sort_block_merge_implIS3_N6thrust23THRUST_200600_302600_NS6detail15normal_iteratorINS8_10device_ptrIiEEEESD_jNS1_19radix_merge_compareILb1ELb1EiNS0_19identity_decomposerEEEEE10hipError_tT0_T1_T2_jT3_P12ihipStream_tbPNSt15iterator_traitsISI_E10value_typeEPNSO_ISJ_E10value_typeEPSK_NS1_7vsmem_tEENKUlT_SI_SJ_SK_E_clIPiSD_S10_SD_EESH_SX_SI_SJ_SK_EUlSX_E0_NS1_11comp_targetILNS1_3genE4ELNS1_11target_archE910ELNS1_3gpuE8ELNS1_3repE0EEENS1_38merge_mergepath_config_static_selectorELNS0_4arch9wavefront6targetE0EEEvSJ_
		.amdhsa_group_segment_fixed_size 0
		.amdhsa_private_segment_fixed_size 0
		.amdhsa_kernarg_size 64
		.amdhsa_user_sgpr_count 6
		.amdhsa_user_sgpr_private_segment_buffer 1
		.amdhsa_user_sgpr_dispatch_ptr 0
		.amdhsa_user_sgpr_queue_ptr 0
		.amdhsa_user_sgpr_kernarg_segment_ptr 1
		.amdhsa_user_sgpr_dispatch_id 0
		.amdhsa_user_sgpr_flat_scratch_init 0
		.amdhsa_user_sgpr_private_segment_size 0
		.amdhsa_wavefront_size32 1
		.amdhsa_uses_dynamic_stack 0
		.amdhsa_system_sgpr_private_segment_wavefront_offset 0
		.amdhsa_system_sgpr_workgroup_id_x 1
		.amdhsa_system_sgpr_workgroup_id_y 0
		.amdhsa_system_sgpr_workgroup_id_z 0
		.amdhsa_system_sgpr_workgroup_info 0
		.amdhsa_system_vgpr_workitem_id 0
		.amdhsa_next_free_vgpr 1
		.amdhsa_next_free_sgpr 1
		.amdhsa_reserve_vcc 0
		.amdhsa_reserve_flat_scratch 0
		.amdhsa_float_round_mode_32 0
		.amdhsa_float_round_mode_16_64 0
		.amdhsa_float_denorm_mode_32 3
		.amdhsa_float_denorm_mode_16_64 3
		.amdhsa_dx10_clamp 1
		.amdhsa_ieee_mode 1
		.amdhsa_fp16_overflow 0
		.amdhsa_workgroup_processor_mode 1
		.amdhsa_memory_ordered 1
		.amdhsa_forward_progress 1
		.amdhsa_shared_vgpr_count 0
		.amdhsa_exception_fp_ieee_invalid_op 0
		.amdhsa_exception_fp_denorm_src 0
		.amdhsa_exception_fp_ieee_div_zero 0
		.amdhsa_exception_fp_ieee_overflow 0
		.amdhsa_exception_fp_ieee_underflow 0
		.amdhsa_exception_fp_ieee_inexact 0
		.amdhsa_exception_int_div_zero 0
	.end_amdhsa_kernel
	.section	.text._ZN7rocprim17ROCPRIM_400000_NS6detail17trampoline_kernelINS0_14default_configENS1_38merge_sort_block_merge_config_selectorIiiEEZZNS1_27merge_sort_block_merge_implIS3_N6thrust23THRUST_200600_302600_NS6detail15normal_iteratorINS8_10device_ptrIiEEEESD_jNS1_19radix_merge_compareILb1ELb1EiNS0_19identity_decomposerEEEEE10hipError_tT0_T1_T2_jT3_P12ihipStream_tbPNSt15iterator_traitsISI_E10value_typeEPNSO_ISJ_E10value_typeEPSK_NS1_7vsmem_tEENKUlT_SI_SJ_SK_E_clIPiSD_S10_SD_EESH_SX_SI_SJ_SK_EUlSX_E0_NS1_11comp_targetILNS1_3genE4ELNS1_11target_archE910ELNS1_3gpuE8ELNS1_3repE0EEENS1_38merge_mergepath_config_static_selectorELNS0_4arch9wavefront6targetE0EEEvSJ_,"axG",@progbits,_ZN7rocprim17ROCPRIM_400000_NS6detail17trampoline_kernelINS0_14default_configENS1_38merge_sort_block_merge_config_selectorIiiEEZZNS1_27merge_sort_block_merge_implIS3_N6thrust23THRUST_200600_302600_NS6detail15normal_iteratorINS8_10device_ptrIiEEEESD_jNS1_19radix_merge_compareILb1ELb1EiNS0_19identity_decomposerEEEEE10hipError_tT0_T1_T2_jT3_P12ihipStream_tbPNSt15iterator_traitsISI_E10value_typeEPNSO_ISJ_E10value_typeEPSK_NS1_7vsmem_tEENKUlT_SI_SJ_SK_E_clIPiSD_S10_SD_EESH_SX_SI_SJ_SK_EUlSX_E0_NS1_11comp_targetILNS1_3genE4ELNS1_11target_archE910ELNS1_3gpuE8ELNS1_3repE0EEENS1_38merge_mergepath_config_static_selectorELNS0_4arch9wavefront6targetE0EEEvSJ_,comdat
.Lfunc_end944:
	.size	_ZN7rocprim17ROCPRIM_400000_NS6detail17trampoline_kernelINS0_14default_configENS1_38merge_sort_block_merge_config_selectorIiiEEZZNS1_27merge_sort_block_merge_implIS3_N6thrust23THRUST_200600_302600_NS6detail15normal_iteratorINS8_10device_ptrIiEEEESD_jNS1_19radix_merge_compareILb1ELb1EiNS0_19identity_decomposerEEEEE10hipError_tT0_T1_T2_jT3_P12ihipStream_tbPNSt15iterator_traitsISI_E10value_typeEPNSO_ISJ_E10value_typeEPSK_NS1_7vsmem_tEENKUlT_SI_SJ_SK_E_clIPiSD_S10_SD_EESH_SX_SI_SJ_SK_EUlSX_E0_NS1_11comp_targetILNS1_3genE4ELNS1_11target_archE910ELNS1_3gpuE8ELNS1_3repE0EEENS1_38merge_mergepath_config_static_selectorELNS0_4arch9wavefront6targetE0EEEvSJ_, .Lfunc_end944-_ZN7rocprim17ROCPRIM_400000_NS6detail17trampoline_kernelINS0_14default_configENS1_38merge_sort_block_merge_config_selectorIiiEEZZNS1_27merge_sort_block_merge_implIS3_N6thrust23THRUST_200600_302600_NS6detail15normal_iteratorINS8_10device_ptrIiEEEESD_jNS1_19radix_merge_compareILb1ELb1EiNS0_19identity_decomposerEEEEE10hipError_tT0_T1_T2_jT3_P12ihipStream_tbPNSt15iterator_traitsISI_E10value_typeEPNSO_ISJ_E10value_typeEPSK_NS1_7vsmem_tEENKUlT_SI_SJ_SK_E_clIPiSD_S10_SD_EESH_SX_SI_SJ_SK_EUlSX_E0_NS1_11comp_targetILNS1_3genE4ELNS1_11target_archE910ELNS1_3gpuE8ELNS1_3repE0EEENS1_38merge_mergepath_config_static_selectorELNS0_4arch9wavefront6targetE0EEEvSJ_
                                        ; -- End function
	.set _ZN7rocprim17ROCPRIM_400000_NS6detail17trampoline_kernelINS0_14default_configENS1_38merge_sort_block_merge_config_selectorIiiEEZZNS1_27merge_sort_block_merge_implIS3_N6thrust23THRUST_200600_302600_NS6detail15normal_iteratorINS8_10device_ptrIiEEEESD_jNS1_19radix_merge_compareILb1ELb1EiNS0_19identity_decomposerEEEEE10hipError_tT0_T1_T2_jT3_P12ihipStream_tbPNSt15iterator_traitsISI_E10value_typeEPNSO_ISJ_E10value_typeEPSK_NS1_7vsmem_tEENKUlT_SI_SJ_SK_E_clIPiSD_S10_SD_EESH_SX_SI_SJ_SK_EUlSX_E0_NS1_11comp_targetILNS1_3genE4ELNS1_11target_archE910ELNS1_3gpuE8ELNS1_3repE0EEENS1_38merge_mergepath_config_static_selectorELNS0_4arch9wavefront6targetE0EEEvSJ_.num_vgpr, 0
	.set _ZN7rocprim17ROCPRIM_400000_NS6detail17trampoline_kernelINS0_14default_configENS1_38merge_sort_block_merge_config_selectorIiiEEZZNS1_27merge_sort_block_merge_implIS3_N6thrust23THRUST_200600_302600_NS6detail15normal_iteratorINS8_10device_ptrIiEEEESD_jNS1_19radix_merge_compareILb1ELb1EiNS0_19identity_decomposerEEEEE10hipError_tT0_T1_T2_jT3_P12ihipStream_tbPNSt15iterator_traitsISI_E10value_typeEPNSO_ISJ_E10value_typeEPSK_NS1_7vsmem_tEENKUlT_SI_SJ_SK_E_clIPiSD_S10_SD_EESH_SX_SI_SJ_SK_EUlSX_E0_NS1_11comp_targetILNS1_3genE4ELNS1_11target_archE910ELNS1_3gpuE8ELNS1_3repE0EEENS1_38merge_mergepath_config_static_selectorELNS0_4arch9wavefront6targetE0EEEvSJ_.num_agpr, 0
	.set _ZN7rocprim17ROCPRIM_400000_NS6detail17trampoline_kernelINS0_14default_configENS1_38merge_sort_block_merge_config_selectorIiiEEZZNS1_27merge_sort_block_merge_implIS3_N6thrust23THRUST_200600_302600_NS6detail15normal_iteratorINS8_10device_ptrIiEEEESD_jNS1_19radix_merge_compareILb1ELb1EiNS0_19identity_decomposerEEEEE10hipError_tT0_T1_T2_jT3_P12ihipStream_tbPNSt15iterator_traitsISI_E10value_typeEPNSO_ISJ_E10value_typeEPSK_NS1_7vsmem_tEENKUlT_SI_SJ_SK_E_clIPiSD_S10_SD_EESH_SX_SI_SJ_SK_EUlSX_E0_NS1_11comp_targetILNS1_3genE4ELNS1_11target_archE910ELNS1_3gpuE8ELNS1_3repE0EEENS1_38merge_mergepath_config_static_selectorELNS0_4arch9wavefront6targetE0EEEvSJ_.numbered_sgpr, 0
	.set _ZN7rocprim17ROCPRIM_400000_NS6detail17trampoline_kernelINS0_14default_configENS1_38merge_sort_block_merge_config_selectorIiiEEZZNS1_27merge_sort_block_merge_implIS3_N6thrust23THRUST_200600_302600_NS6detail15normal_iteratorINS8_10device_ptrIiEEEESD_jNS1_19radix_merge_compareILb1ELb1EiNS0_19identity_decomposerEEEEE10hipError_tT0_T1_T2_jT3_P12ihipStream_tbPNSt15iterator_traitsISI_E10value_typeEPNSO_ISJ_E10value_typeEPSK_NS1_7vsmem_tEENKUlT_SI_SJ_SK_E_clIPiSD_S10_SD_EESH_SX_SI_SJ_SK_EUlSX_E0_NS1_11comp_targetILNS1_3genE4ELNS1_11target_archE910ELNS1_3gpuE8ELNS1_3repE0EEENS1_38merge_mergepath_config_static_selectorELNS0_4arch9wavefront6targetE0EEEvSJ_.num_named_barrier, 0
	.set _ZN7rocprim17ROCPRIM_400000_NS6detail17trampoline_kernelINS0_14default_configENS1_38merge_sort_block_merge_config_selectorIiiEEZZNS1_27merge_sort_block_merge_implIS3_N6thrust23THRUST_200600_302600_NS6detail15normal_iteratorINS8_10device_ptrIiEEEESD_jNS1_19radix_merge_compareILb1ELb1EiNS0_19identity_decomposerEEEEE10hipError_tT0_T1_T2_jT3_P12ihipStream_tbPNSt15iterator_traitsISI_E10value_typeEPNSO_ISJ_E10value_typeEPSK_NS1_7vsmem_tEENKUlT_SI_SJ_SK_E_clIPiSD_S10_SD_EESH_SX_SI_SJ_SK_EUlSX_E0_NS1_11comp_targetILNS1_3genE4ELNS1_11target_archE910ELNS1_3gpuE8ELNS1_3repE0EEENS1_38merge_mergepath_config_static_selectorELNS0_4arch9wavefront6targetE0EEEvSJ_.private_seg_size, 0
	.set _ZN7rocprim17ROCPRIM_400000_NS6detail17trampoline_kernelINS0_14default_configENS1_38merge_sort_block_merge_config_selectorIiiEEZZNS1_27merge_sort_block_merge_implIS3_N6thrust23THRUST_200600_302600_NS6detail15normal_iteratorINS8_10device_ptrIiEEEESD_jNS1_19radix_merge_compareILb1ELb1EiNS0_19identity_decomposerEEEEE10hipError_tT0_T1_T2_jT3_P12ihipStream_tbPNSt15iterator_traitsISI_E10value_typeEPNSO_ISJ_E10value_typeEPSK_NS1_7vsmem_tEENKUlT_SI_SJ_SK_E_clIPiSD_S10_SD_EESH_SX_SI_SJ_SK_EUlSX_E0_NS1_11comp_targetILNS1_3genE4ELNS1_11target_archE910ELNS1_3gpuE8ELNS1_3repE0EEENS1_38merge_mergepath_config_static_selectorELNS0_4arch9wavefront6targetE0EEEvSJ_.uses_vcc, 0
	.set _ZN7rocprim17ROCPRIM_400000_NS6detail17trampoline_kernelINS0_14default_configENS1_38merge_sort_block_merge_config_selectorIiiEEZZNS1_27merge_sort_block_merge_implIS3_N6thrust23THRUST_200600_302600_NS6detail15normal_iteratorINS8_10device_ptrIiEEEESD_jNS1_19radix_merge_compareILb1ELb1EiNS0_19identity_decomposerEEEEE10hipError_tT0_T1_T2_jT3_P12ihipStream_tbPNSt15iterator_traitsISI_E10value_typeEPNSO_ISJ_E10value_typeEPSK_NS1_7vsmem_tEENKUlT_SI_SJ_SK_E_clIPiSD_S10_SD_EESH_SX_SI_SJ_SK_EUlSX_E0_NS1_11comp_targetILNS1_3genE4ELNS1_11target_archE910ELNS1_3gpuE8ELNS1_3repE0EEENS1_38merge_mergepath_config_static_selectorELNS0_4arch9wavefront6targetE0EEEvSJ_.uses_flat_scratch, 0
	.set _ZN7rocprim17ROCPRIM_400000_NS6detail17trampoline_kernelINS0_14default_configENS1_38merge_sort_block_merge_config_selectorIiiEEZZNS1_27merge_sort_block_merge_implIS3_N6thrust23THRUST_200600_302600_NS6detail15normal_iteratorINS8_10device_ptrIiEEEESD_jNS1_19radix_merge_compareILb1ELb1EiNS0_19identity_decomposerEEEEE10hipError_tT0_T1_T2_jT3_P12ihipStream_tbPNSt15iterator_traitsISI_E10value_typeEPNSO_ISJ_E10value_typeEPSK_NS1_7vsmem_tEENKUlT_SI_SJ_SK_E_clIPiSD_S10_SD_EESH_SX_SI_SJ_SK_EUlSX_E0_NS1_11comp_targetILNS1_3genE4ELNS1_11target_archE910ELNS1_3gpuE8ELNS1_3repE0EEENS1_38merge_mergepath_config_static_selectorELNS0_4arch9wavefront6targetE0EEEvSJ_.has_dyn_sized_stack, 0
	.set _ZN7rocprim17ROCPRIM_400000_NS6detail17trampoline_kernelINS0_14default_configENS1_38merge_sort_block_merge_config_selectorIiiEEZZNS1_27merge_sort_block_merge_implIS3_N6thrust23THRUST_200600_302600_NS6detail15normal_iteratorINS8_10device_ptrIiEEEESD_jNS1_19radix_merge_compareILb1ELb1EiNS0_19identity_decomposerEEEEE10hipError_tT0_T1_T2_jT3_P12ihipStream_tbPNSt15iterator_traitsISI_E10value_typeEPNSO_ISJ_E10value_typeEPSK_NS1_7vsmem_tEENKUlT_SI_SJ_SK_E_clIPiSD_S10_SD_EESH_SX_SI_SJ_SK_EUlSX_E0_NS1_11comp_targetILNS1_3genE4ELNS1_11target_archE910ELNS1_3gpuE8ELNS1_3repE0EEENS1_38merge_mergepath_config_static_selectorELNS0_4arch9wavefront6targetE0EEEvSJ_.has_recursion, 0
	.set _ZN7rocprim17ROCPRIM_400000_NS6detail17trampoline_kernelINS0_14default_configENS1_38merge_sort_block_merge_config_selectorIiiEEZZNS1_27merge_sort_block_merge_implIS3_N6thrust23THRUST_200600_302600_NS6detail15normal_iteratorINS8_10device_ptrIiEEEESD_jNS1_19radix_merge_compareILb1ELb1EiNS0_19identity_decomposerEEEEE10hipError_tT0_T1_T2_jT3_P12ihipStream_tbPNSt15iterator_traitsISI_E10value_typeEPNSO_ISJ_E10value_typeEPSK_NS1_7vsmem_tEENKUlT_SI_SJ_SK_E_clIPiSD_S10_SD_EESH_SX_SI_SJ_SK_EUlSX_E0_NS1_11comp_targetILNS1_3genE4ELNS1_11target_archE910ELNS1_3gpuE8ELNS1_3repE0EEENS1_38merge_mergepath_config_static_selectorELNS0_4arch9wavefront6targetE0EEEvSJ_.has_indirect_call, 0
	.section	.AMDGPU.csdata,"",@progbits
; Kernel info:
; codeLenInByte = 0
; TotalNumSgprs: 0
; NumVgprs: 0
; ScratchSize: 0
; MemoryBound: 0
; FloatMode: 240
; IeeeMode: 1
; LDSByteSize: 0 bytes/workgroup (compile time only)
; SGPRBlocks: 0
; VGPRBlocks: 0
; NumSGPRsForWavesPerEU: 1
; NumVGPRsForWavesPerEU: 1
; Occupancy: 16
; WaveLimiterHint : 0
; COMPUTE_PGM_RSRC2:SCRATCH_EN: 0
; COMPUTE_PGM_RSRC2:USER_SGPR: 6
; COMPUTE_PGM_RSRC2:TRAP_HANDLER: 0
; COMPUTE_PGM_RSRC2:TGID_X_EN: 1
; COMPUTE_PGM_RSRC2:TGID_Y_EN: 0
; COMPUTE_PGM_RSRC2:TGID_Z_EN: 0
; COMPUTE_PGM_RSRC2:TIDIG_COMP_CNT: 0
	.section	.text._ZN7rocprim17ROCPRIM_400000_NS6detail17trampoline_kernelINS0_14default_configENS1_38merge_sort_block_merge_config_selectorIiiEEZZNS1_27merge_sort_block_merge_implIS3_N6thrust23THRUST_200600_302600_NS6detail15normal_iteratorINS8_10device_ptrIiEEEESD_jNS1_19radix_merge_compareILb1ELb1EiNS0_19identity_decomposerEEEEE10hipError_tT0_T1_T2_jT3_P12ihipStream_tbPNSt15iterator_traitsISI_E10value_typeEPNSO_ISJ_E10value_typeEPSK_NS1_7vsmem_tEENKUlT_SI_SJ_SK_E_clIPiSD_S10_SD_EESH_SX_SI_SJ_SK_EUlSX_E0_NS1_11comp_targetILNS1_3genE3ELNS1_11target_archE908ELNS1_3gpuE7ELNS1_3repE0EEENS1_38merge_mergepath_config_static_selectorELNS0_4arch9wavefront6targetE0EEEvSJ_,"axG",@progbits,_ZN7rocprim17ROCPRIM_400000_NS6detail17trampoline_kernelINS0_14default_configENS1_38merge_sort_block_merge_config_selectorIiiEEZZNS1_27merge_sort_block_merge_implIS3_N6thrust23THRUST_200600_302600_NS6detail15normal_iteratorINS8_10device_ptrIiEEEESD_jNS1_19radix_merge_compareILb1ELb1EiNS0_19identity_decomposerEEEEE10hipError_tT0_T1_T2_jT3_P12ihipStream_tbPNSt15iterator_traitsISI_E10value_typeEPNSO_ISJ_E10value_typeEPSK_NS1_7vsmem_tEENKUlT_SI_SJ_SK_E_clIPiSD_S10_SD_EESH_SX_SI_SJ_SK_EUlSX_E0_NS1_11comp_targetILNS1_3genE3ELNS1_11target_archE908ELNS1_3gpuE7ELNS1_3repE0EEENS1_38merge_mergepath_config_static_selectorELNS0_4arch9wavefront6targetE0EEEvSJ_,comdat
	.protected	_ZN7rocprim17ROCPRIM_400000_NS6detail17trampoline_kernelINS0_14default_configENS1_38merge_sort_block_merge_config_selectorIiiEEZZNS1_27merge_sort_block_merge_implIS3_N6thrust23THRUST_200600_302600_NS6detail15normal_iteratorINS8_10device_ptrIiEEEESD_jNS1_19radix_merge_compareILb1ELb1EiNS0_19identity_decomposerEEEEE10hipError_tT0_T1_T2_jT3_P12ihipStream_tbPNSt15iterator_traitsISI_E10value_typeEPNSO_ISJ_E10value_typeEPSK_NS1_7vsmem_tEENKUlT_SI_SJ_SK_E_clIPiSD_S10_SD_EESH_SX_SI_SJ_SK_EUlSX_E0_NS1_11comp_targetILNS1_3genE3ELNS1_11target_archE908ELNS1_3gpuE7ELNS1_3repE0EEENS1_38merge_mergepath_config_static_selectorELNS0_4arch9wavefront6targetE0EEEvSJ_ ; -- Begin function _ZN7rocprim17ROCPRIM_400000_NS6detail17trampoline_kernelINS0_14default_configENS1_38merge_sort_block_merge_config_selectorIiiEEZZNS1_27merge_sort_block_merge_implIS3_N6thrust23THRUST_200600_302600_NS6detail15normal_iteratorINS8_10device_ptrIiEEEESD_jNS1_19radix_merge_compareILb1ELb1EiNS0_19identity_decomposerEEEEE10hipError_tT0_T1_T2_jT3_P12ihipStream_tbPNSt15iterator_traitsISI_E10value_typeEPNSO_ISJ_E10value_typeEPSK_NS1_7vsmem_tEENKUlT_SI_SJ_SK_E_clIPiSD_S10_SD_EESH_SX_SI_SJ_SK_EUlSX_E0_NS1_11comp_targetILNS1_3genE3ELNS1_11target_archE908ELNS1_3gpuE7ELNS1_3repE0EEENS1_38merge_mergepath_config_static_selectorELNS0_4arch9wavefront6targetE0EEEvSJ_
	.globl	_ZN7rocprim17ROCPRIM_400000_NS6detail17trampoline_kernelINS0_14default_configENS1_38merge_sort_block_merge_config_selectorIiiEEZZNS1_27merge_sort_block_merge_implIS3_N6thrust23THRUST_200600_302600_NS6detail15normal_iteratorINS8_10device_ptrIiEEEESD_jNS1_19radix_merge_compareILb1ELb1EiNS0_19identity_decomposerEEEEE10hipError_tT0_T1_T2_jT3_P12ihipStream_tbPNSt15iterator_traitsISI_E10value_typeEPNSO_ISJ_E10value_typeEPSK_NS1_7vsmem_tEENKUlT_SI_SJ_SK_E_clIPiSD_S10_SD_EESH_SX_SI_SJ_SK_EUlSX_E0_NS1_11comp_targetILNS1_3genE3ELNS1_11target_archE908ELNS1_3gpuE7ELNS1_3repE0EEENS1_38merge_mergepath_config_static_selectorELNS0_4arch9wavefront6targetE0EEEvSJ_
	.p2align	8
	.type	_ZN7rocprim17ROCPRIM_400000_NS6detail17trampoline_kernelINS0_14default_configENS1_38merge_sort_block_merge_config_selectorIiiEEZZNS1_27merge_sort_block_merge_implIS3_N6thrust23THRUST_200600_302600_NS6detail15normal_iteratorINS8_10device_ptrIiEEEESD_jNS1_19radix_merge_compareILb1ELb1EiNS0_19identity_decomposerEEEEE10hipError_tT0_T1_T2_jT3_P12ihipStream_tbPNSt15iterator_traitsISI_E10value_typeEPNSO_ISJ_E10value_typeEPSK_NS1_7vsmem_tEENKUlT_SI_SJ_SK_E_clIPiSD_S10_SD_EESH_SX_SI_SJ_SK_EUlSX_E0_NS1_11comp_targetILNS1_3genE3ELNS1_11target_archE908ELNS1_3gpuE7ELNS1_3repE0EEENS1_38merge_mergepath_config_static_selectorELNS0_4arch9wavefront6targetE0EEEvSJ_,@function
_ZN7rocprim17ROCPRIM_400000_NS6detail17trampoline_kernelINS0_14default_configENS1_38merge_sort_block_merge_config_selectorIiiEEZZNS1_27merge_sort_block_merge_implIS3_N6thrust23THRUST_200600_302600_NS6detail15normal_iteratorINS8_10device_ptrIiEEEESD_jNS1_19radix_merge_compareILb1ELb1EiNS0_19identity_decomposerEEEEE10hipError_tT0_T1_T2_jT3_P12ihipStream_tbPNSt15iterator_traitsISI_E10value_typeEPNSO_ISJ_E10value_typeEPSK_NS1_7vsmem_tEENKUlT_SI_SJ_SK_E_clIPiSD_S10_SD_EESH_SX_SI_SJ_SK_EUlSX_E0_NS1_11comp_targetILNS1_3genE3ELNS1_11target_archE908ELNS1_3gpuE7ELNS1_3repE0EEENS1_38merge_mergepath_config_static_selectorELNS0_4arch9wavefront6targetE0EEEvSJ_: ; @_ZN7rocprim17ROCPRIM_400000_NS6detail17trampoline_kernelINS0_14default_configENS1_38merge_sort_block_merge_config_selectorIiiEEZZNS1_27merge_sort_block_merge_implIS3_N6thrust23THRUST_200600_302600_NS6detail15normal_iteratorINS8_10device_ptrIiEEEESD_jNS1_19radix_merge_compareILb1ELb1EiNS0_19identity_decomposerEEEEE10hipError_tT0_T1_T2_jT3_P12ihipStream_tbPNSt15iterator_traitsISI_E10value_typeEPNSO_ISJ_E10value_typeEPSK_NS1_7vsmem_tEENKUlT_SI_SJ_SK_E_clIPiSD_S10_SD_EESH_SX_SI_SJ_SK_EUlSX_E0_NS1_11comp_targetILNS1_3genE3ELNS1_11target_archE908ELNS1_3gpuE7ELNS1_3repE0EEENS1_38merge_mergepath_config_static_selectorELNS0_4arch9wavefront6targetE0EEEvSJ_
; %bb.0:
	.section	.rodata,"a",@progbits
	.p2align	6, 0x0
	.amdhsa_kernel _ZN7rocprim17ROCPRIM_400000_NS6detail17trampoline_kernelINS0_14default_configENS1_38merge_sort_block_merge_config_selectorIiiEEZZNS1_27merge_sort_block_merge_implIS3_N6thrust23THRUST_200600_302600_NS6detail15normal_iteratorINS8_10device_ptrIiEEEESD_jNS1_19radix_merge_compareILb1ELb1EiNS0_19identity_decomposerEEEEE10hipError_tT0_T1_T2_jT3_P12ihipStream_tbPNSt15iterator_traitsISI_E10value_typeEPNSO_ISJ_E10value_typeEPSK_NS1_7vsmem_tEENKUlT_SI_SJ_SK_E_clIPiSD_S10_SD_EESH_SX_SI_SJ_SK_EUlSX_E0_NS1_11comp_targetILNS1_3genE3ELNS1_11target_archE908ELNS1_3gpuE7ELNS1_3repE0EEENS1_38merge_mergepath_config_static_selectorELNS0_4arch9wavefront6targetE0EEEvSJ_
		.amdhsa_group_segment_fixed_size 0
		.amdhsa_private_segment_fixed_size 0
		.amdhsa_kernarg_size 64
		.amdhsa_user_sgpr_count 6
		.amdhsa_user_sgpr_private_segment_buffer 1
		.amdhsa_user_sgpr_dispatch_ptr 0
		.amdhsa_user_sgpr_queue_ptr 0
		.amdhsa_user_sgpr_kernarg_segment_ptr 1
		.amdhsa_user_sgpr_dispatch_id 0
		.amdhsa_user_sgpr_flat_scratch_init 0
		.amdhsa_user_sgpr_private_segment_size 0
		.amdhsa_wavefront_size32 1
		.amdhsa_uses_dynamic_stack 0
		.amdhsa_system_sgpr_private_segment_wavefront_offset 0
		.amdhsa_system_sgpr_workgroup_id_x 1
		.amdhsa_system_sgpr_workgroup_id_y 0
		.amdhsa_system_sgpr_workgroup_id_z 0
		.amdhsa_system_sgpr_workgroup_info 0
		.amdhsa_system_vgpr_workitem_id 0
		.amdhsa_next_free_vgpr 1
		.amdhsa_next_free_sgpr 1
		.amdhsa_reserve_vcc 0
		.amdhsa_reserve_flat_scratch 0
		.amdhsa_float_round_mode_32 0
		.amdhsa_float_round_mode_16_64 0
		.amdhsa_float_denorm_mode_32 3
		.amdhsa_float_denorm_mode_16_64 3
		.amdhsa_dx10_clamp 1
		.amdhsa_ieee_mode 1
		.amdhsa_fp16_overflow 0
		.amdhsa_workgroup_processor_mode 1
		.amdhsa_memory_ordered 1
		.amdhsa_forward_progress 1
		.amdhsa_shared_vgpr_count 0
		.amdhsa_exception_fp_ieee_invalid_op 0
		.amdhsa_exception_fp_denorm_src 0
		.amdhsa_exception_fp_ieee_div_zero 0
		.amdhsa_exception_fp_ieee_overflow 0
		.amdhsa_exception_fp_ieee_underflow 0
		.amdhsa_exception_fp_ieee_inexact 0
		.amdhsa_exception_int_div_zero 0
	.end_amdhsa_kernel
	.section	.text._ZN7rocprim17ROCPRIM_400000_NS6detail17trampoline_kernelINS0_14default_configENS1_38merge_sort_block_merge_config_selectorIiiEEZZNS1_27merge_sort_block_merge_implIS3_N6thrust23THRUST_200600_302600_NS6detail15normal_iteratorINS8_10device_ptrIiEEEESD_jNS1_19radix_merge_compareILb1ELb1EiNS0_19identity_decomposerEEEEE10hipError_tT0_T1_T2_jT3_P12ihipStream_tbPNSt15iterator_traitsISI_E10value_typeEPNSO_ISJ_E10value_typeEPSK_NS1_7vsmem_tEENKUlT_SI_SJ_SK_E_clIPiSD_S10_SD_EESH_SX_SI_SJ_SK_EUlSX_E0_NS1_11comp_targetILNS1_3genE3ELNS1_11target_archE908ELNS1_3gpuE7ELNS1_3repE0EEENS1_38merge_mergepath_config_static_selectorELNS0_4arch9wavefront6targetE0EEEvSJ_,"axG",@progbits,_ZN7rocprim17ROCPRIM_400000_NS6detail17trampoline_kernelINS0_14default_configENS1_38merge_sort_block_merge_config_selectorIiiEEZZNS1_27merge_sort_block_merge_implIS3_N6thrust23THRUST_200600_302600_NS6detail15normal_iteratorINS8_10device_ptrIiEEEESD_jNS1_19radix_merge_compareILb1ELb1EiNS0_19identity_decomposerEEEEE10hipError_tT0_T1_T2_jT3_P12ihipStream_tbPNSt15iterator_traitsISI_E10value_typeEPNSO_ISJ_E10value_typeEPSK_NS1_7vsmem_tEENKUlT_SI_SJ_SK_E_clIPiSD_S10_SD_EESH_SX_SI_SJ_SK_EUlSX_E0_NS1_11comp_targetILNS1_3genE3ELNS1_11target_archE908ELNS1_3gpuE7ELNS1_3repE0EEENS1_38merge_mergepath_config_static_selectorELNS0_4arch9wavefront6targetE0EEEvSJ_,comdat
.Lfunc_end945:
	.size	_ZN7rocprim17ROCPRIM_400000_NS6detail17trampoline_kernelINS0_14default_configENS1_38merge_sort_block_merge_config_selectorIiiEEZZNS1_27merge_sort_block_merge_implIS3_N6thrust23THRUST_200600_302600_NS6detail15normal_iteratorINS8_10device_ptrIiEEEESD_jNS1_19radix_merge_compareILb1ELb1EiNS0_19identity_decomposerEEEEE10hipError_tT0_T1_T2_jT3_P12ihipStream_tbPNSt15iterator_traitsISI_E10value_typeEPNSO_ISJ_E10value_typeEPSK_NS1_7vsmem_tEENKUlT_SI_SJ_SK_E_clIPiSD_S10_SD_EESH_SX_SI_SJ_SK_EUlSX_E0_NS1_11comp_targetILNS1_3genE3ELNS1_11target_archE908ELNS1_3gpuE7ELNS1_3repE0EEENS1_38merge_mergepath_config_static_selectorELNS0_4arch9wavefront6targetE0EEEvSJ_, .Lfunc_end945-_ZN7rocprim17ROCPRIM_400000_NS6detail17trampoline_kernelINS0_14default_configENS1_38merge_sort_block_merge_config_selectorIiiEEZZNS1_27merge_sort_block_merge_implIS3_N6thrust23THRUST_200600_302600_NS6detail15normal_iteratorINS8_10device_ptrIiEEEESD_jNS1_19radix_merge_compareILb1ELb1EiNS0_19identity_decomposerEEEEE10hipError_tT0_T1_T2_jT3_P12ihipStream_tbPNSt15iterator_traitsISI_E10value_typeEPNSO_ISJ_E10value_typeEPSK_NS1_7vsmem_tEENKUlT_SI_SJ_SK_E_clIPiSD_S10_SD_EESH_SX_SI_SJ_SK_EUlSX_E0_NS1_11comp_targetILNS1_3genE3ELNS1_11target_archE908ELNS1_3gpuE7ELNS1_3repE0EEENS1_38merge_mergepath_config_static_selectorELNS0_4arch9wavefront6targetE0EEEvSJ_
                                        ; -- End function
	.set _ZN7rocprim17ROCPRIM_400000_NS6detail17trampoline_kernelINS0_14default_configENS1_38merge_sort_block_merge_config_selectorIiiEEZZNS1_27merge_sort_block_merge_implIS3_N6thrust23THRUST_200600_302600_NS6detail15normal_iteratorINS8_10device_ptrIiEEEESD_jNS1_19radix_merge_compareILb1ELb1EiNS0_19identity_decomposerEEEEE10hipError_tT0_T1_T2_jT3_P12ihipStream_tbPNSt15iterator_traitsISI_E10value_typeEPNSO_ISJ_E10value_typeEPSK_NS1_7vsmem_tEENKUlT_SI_SJ_SK_E_clIPiSD_S10_SD_EESH_SX_SI_SJ_SK_EUlSX_E0_NS1_11comp_targetILNS1_3genE3ELNS1_11target_archE908ELNS1_3gpuE7ELNS1_3repE0EEENS1_38merge_mergepath_config_static_selectorELNS0_4arch9wavefront6targetE0EEEvSJ_.num_vgpr, 0
	.set _ZN7rocprim17ROCPRIM_400000_NS6detail17trampoline_kernelINS0_14default_configENS1_38merge_sort_block_merge_config_selectorIiiEEZZNS1_27merge_sort_block_merge_implIS3_N6thrust23THRUST_200600_302600_NS6detail15normal_iteratorINS8_10device_ptrIiEEEESD_jNS1_19radix_merge_compareILb1ELb1EiNS0_19identity_decomposerEEEEE10hipError_tT0_T1_T2_jT3_P12ihipStream_tbPNSt15iterator_traitsISI_E10value_typeEPNSO_ISJ_E10value_typeEPSK_NS1_7vsmem_tEENKUlT_SI_SJ_SK_E_clIPiSD_S10_SD_EESH_SX_SI_SJ_SK_EUlSX_E0_NS1_11comp_targetILNS1_3genE3ELNS1_11target_archE908ELNS1_3gpuE7ELNS1_3repE0EEENS1_38merge_mergepath_config_static_selectorELNS0_4arch9wavefront6targetE0EEEvSJ_.num_agpr, 0
	.set _ZN7rocprim17ROCPRIM_400000_NS6detail17trampoline_kernelINS0_14default_configENS1_38merge_sort_block_merge_config_selectorIiiEEZZNS1_27merge_sort_block_merge_implIS3_N6thrust23THRUST_200600_302600_NS6detail15normal_iteratorINS8_10device_ptrIiEEEESD_jNS1_19radix_merge_compareILb1ELb1EiNS0_19identity_decomposerEEEEE10hipError_tT0_T1_T2_jT3_P12ihipStream_tbPNSt15iterator_traitsISI_E10value_typeEPNSO_ISJ_E10value_typeEPSK_NS1_7vsmem_tEENKUlT_SI_SJ_SK_E_clIPiSD_S10_SD_EESH_SX_SI_SJ_SK_EUlSX_E0_NS1_11comp_targetILNS1_3genE3ELNS1_11target_archE908ELNS1_3gpuE7ELNS1_3repE0EEENS1_38merge_mergepath_config_static_selectorELNS0_4arch9wavefront6targetE0EEEvSJ_.numbered_sgpr, 0
	.set _ZN7rocprim17ROCPRIM_400000_NS6detail17trampoline_kernelINS0_14default_configENS1_38merge_sort_block_merge_config_selectorIiiEEZZNS1_27merge_sort_block_merge_implIS3_N6thrust23THRUST_200600_302600_NS6detail15normal_iteratorINS8_10device_ptrIiEEEESD_jNS1_19radix_merge_compareILb1ELb1EiNS0_19identity_decomposerEEEEE10hipError_tT0_T1_T2_jT3_P12ihipStream_tbPNSt15iterator_traitsISI_E10value_typeEPNSO_ISJ_E10value_typeEPSK_NS1_7vsmem_tEENKUlT_SI_SJ_SK_E_clIPiSD_S10_SD_EESH_SX_SI_SJ_SK_EUlSX_E0_NS1_11comp_targetILNS1_3genE3ELNS1_11target_archE908ELNS1_3gpuE7ELNS1_3repE0EEENS1_38merge_mergepath_config_static_selectorELNS0_4arch9wavefront6targetE0EEEvSJ_.num_named_barrier, 0
	.set _ZN7rocprim17ROCPRIM_400000_NS6detail17trampoline_kernelINS0_14default_configENS1_38merge_sort_block_merge_config_selectorIiiEEZZNS1_27merge_sort_block_merge_implIS3_N6thrust23THRUST_200600_302600_NS6detail15normal_iteratorINS8_10device_ptrIiEEEESD_jNS1_19radix_merge_compareILb1ELb1EiNS0_19identity_decomposerEEEEE10hipError_tT0_T1_T2_jT3_P12ihipStream_tbPNSt15iterator_traitsISI_E10value_typeEPNSO_ISJ_E10value_typeEPSK_NS1_7vsmem_tEENKUlT_SI_SJ_SK_E_clIPiSD_S10_SD_EESH_SX_SI_SJ_SK_EUlSX_E0_NS1_11comp_targetILNS1_3genE3ELNS1_11target_archE908ELNS1_3gpuE7ELNS1_3repE0EEENS1_38merge_mergepath_config_static_selectorELNS0_4arch9wavefront6targetE0EEEvSJ_.private_seg_size, 0
	.set _ZN7rocprim17ROCPRIM_400000_NS6detail17trampoline_kernelINS0_14default_configENS1_38merge_sort_block_merge_config_selectorIiiEEZZNS1_27merge_sort_block_merge_implIS3_N6thrust23THRUST_200600_302600_NS6detail15normal_iteratorINS8_10device_ptrIiEEEESD_jNS1_19radix_merge_compareILb1ELb1EiNS0_19identity_decomposerEEEEE10hipError_tT0_T1_T2_jT3_P12ihipStream_tbPNSt15iterator_traitsISI_E10value_typeEPNSO_ISJ_E10value_typeEPSK_NS1_7vsmem_tEENKUlT_SI_SJ_SK_E_clIPiSD_S10_SD_EESH_SX_SI_SJ_SK_EUlSX_E0_NS1_11comp_targetILNS1_3genE3ELNS1_11target_archE908ELNS1_3gpuE7ELNS1_3repE0EEENS1_38merge_mergepath_config_static_selectorELNS0_4arch9wavefront6targetE0EEEvSJ_.uses_vcc, 0
	.set _ZN7rocprim17ROCPRIM_400000_NS6detail17trampoline_kernelINS0_14default_configENS1_38merge_sort_block_merge_config_selectorIiiEEZZNS1_27merge_sort_block_merge_implIS3_N6thrust23THRUST_200600_302600_NS6detail15normal_iteratorINS8_10device_ptrIiEEEESD_jNS1_19radix_merge_compareILb1ELb1EiNS0_19identity_decomposerEEEEE10hipError_tT0_T1_T2_jT3_P12ihipStream_tbPNSt15iterator_traitsISI_E10value_typeEPNSO_ISJ_E10value_typeEPSK_NS1_7vsmem_tEENKUlT_SI_SJ_SK_E_clIPiSD_S10_SD_EESH_SX_SI_SJ_SK_EUlSX_E0_NS1_11comp_targetILNS1_3genE3ELNS1_11target_archE908ELNS1_3gpuE7ELNS1_3repE0EEENS1_38merge_mergepath_config_static_selectorELNS0_4arch9wavefront6targetE0EEEvSJ_.uses_flat_scratch, 0
	.set _ZN7rocprim17ROCPRIM_400000_NS6detail17trampoline_kernelINS0_14default_configENS1_38merge_sort_block_merge_config_selectorIiiEEZZNS1_27merge_sort_block_merge_implIS3_N6thrust23THRUST_200600_302600_NS6detail15normal_iteratorINS8_10device_ptrIiEEEESD_jNS1_19radix_merge_compareILb1ELb1EiNS0_19identity_decomposerEEEEE10hipError_tT0_T1_T2_jT3_P12ihipStream_tbPNSt15iterator_traitsISI_E10value_typeEPNSO_ISJ_E10value_typeEPSK_NS1_7vsmem_tEENKUlT_SI_SJ_SK_E_clIPiSD_S10_SD_EESH_SX_SI_SJ_SK_EUlSX_E0_NS1_11comp_targetILNS1_3genE3ELNS1_11target_archE908ELNS1_3gpuE7ELNS1_3repE0EEENS1_38merge_mergepath_config_static_selectorELNS0_4arch9wavefront6targetE0EEEvSJ_.has_dyn_sized_stack, 0
	.set _ZN7rocprim17ROCPRIM_400000_NS6detail17trampoline_kernelINS0_14default_configENS1_38merge_sort_block_merge_config_selectorIiiEEZZNS1_27merge_sort_block_merge_implIS3_N6thrust23THRUST_200600_302600_NS6detail15normal_iteratorINS8_10device_ptrIiEEEESD_jNS1_19radix_merge_compareILb1ELb1EiNS0_19identity_decomposerEEEEE10hipError_tT0_T1_T2_jT3_P12ihipStream_tbPNSt15iterator_traitsISI_E10value_typeEPNSO_ISJ_E10value_typeEPSK_NS1_7vsmem_tEENKUlT_SI_SJ_SK_E_clIPiSD_S10_SD_EESH_SX_SI_SJ_SK_EUlSX_E0_NS1_11comp_targetILNS1_3genE3ELNS1_11target_archE908ELNS1_3gpuE7ELNS1_3repE0EEENS1_38merge_mergepath_config_static_selectorELNS0_4arch9wavefront6targetE0EEEvSJ_.has_recursion, 0
	.set _ZN7rocprim17ROCPRIM_400000_NS6detail17trampoline_kernelINS0_14default_configENS1_38merge_sort_block_merge_config_selectorIiiEEZZNS1_27merge_sort_block_merge_implIS3_N6thrust23THRUST_200600_302600_NS6detail15normal_iteratorINS8_10device_ptrIiEEEESD_jNS1_19radix_merge_compareILb1ELb1EiNS0_19identity_decomposerEEEEE10hipError_tT0_T1_T2_jT3_P12ihipStream_tbPNSt15iterator_traitsISI_E10value_typeEPNSO_ISJ_E10value_typeEPSK_NS1_7vsmem_tEENKUlT_SI_SJ_SK_E_clIPiSD_S10_SD_EESH_SX_SI_SJ_SK_EUlSX_E0_NS1_11comp_targetILNS1_3genE3ELNS1_11target_archE908ELNS1_3gpuE7ELNS1_3repE0EEENS1_38merge_mergepath_config_static_selectorELNS0_4arch9wavefront6targetE0EEEvSJ_.has_indirect_call, 0
	.section	.AMDGPU.csdata,"",@progbits
; Kernel info:
; codeLenInByte = 0
; TotalNumSgprs: 0
; NumVgprs: 0
; ScratchSize: 0
; MemoryBound: 0
; FloatMode: 240
; IeeeMode: 1
; LDSByteSize: 0 bytes/workgroup (compile time only)
; SGPRBlocks: 0
; VGPRBlocks: 0
; NumSGPRsForWavesPerEU: 1
; NumVGPRsForWavesPerEU: 1
; Occupancy: 16
; WaveLimiterHint : 0
; COMPUTE_PGM_RSRC2:SCRATCH_EN: 0
; COMPUTE_PGM_RSRC2:USER_SGPR: 6
; COMPUTE_PGM_RSRC2:TRAP_HANDLER: 0
; COMPUTE_PGM_RSRC2:TGID_X_EN: 1
; COMPUTE_PGM_RSRC2:TGID_Y_EN: 0
; COMPUTE_PGM_RSRC2:TGID_Z_EN: 0
; COMPUTE_PGM_RSRC2:TIDIG_COMP_CNT: 0
	.section	.text._ZN7rocprim17ROCPRIM_400000_NS6detail17trampoline_kernelINS0_14default_configENS1_38merge_sort_block_merge_config_selectorIiiEEZZNS1_27merge_sort_block_merge_implIS3_N6thrust23THRUST_200600_302600_NS6detail15normal_iteratorINS8_10device_ptrIiEEEESD_jNS1_19radix_merge_compareILb1ELb1EiNS0_19identity_decomposerEEEEE10hipError_tT0_T1_T2_jT3_P12ihipStream_tbPNSt15iterator_traitsISI_E10value_typeEPNSO_ISJ_E10value_typeEPSK_NS1_7vsmem_tEENKUlT_SI_SJ_SK_E_clIPiSD_S10_SD_EESH_SX_SI_SJ_SK_EUlSX_E0_NS1_11comp_targetILNS1_3genE2ELNS1_11target_archE906ELNS1_3gpuE6ELNS1_3repE0EEENS1_38merge_mergepath_config_static_selectorELNS0_4arch9wavefront6targetE0EEEvSJ_,"axG",@progbits,_ZN7rocprim17ROCPRIM_400000_NS6detail17trampoline_kernelINS0_14default_configENS1_38merge_sort_block_merge_config_selectorIiiEEZZNS1_27merge_sort_block_merge_implIS3_N6thrust23THRUST_200600_302600_NS6detail15normal_iteratorINS8_10device_ptrIiEEEESD_jNS1_19radix_merge_compareILb1ELb1EiNS0_19identity_decomposerEEEEE10hipError_tT0_T1_T2_jT3_P12ihipStream_tbPNSt15iterator_traitsISI_E10value_typeEPNSO_ISJ_E10value_typeEPSK_NS1_7vsmem_tEENKUlT_SI_SJ_SK_E_clIPiSD_S10_SD_EESH_SX_SI_SJ_SK_EUlSX_E0_NS1_11comp_targetILNS1_3genE2ELNS1_11target_archE906ELNS1_3gpuE6ELNS1_3repE0EEENS1_38merge_mergepath_config_static_selectorELNS0_4arch9wavefront6targetE0EEEvSJ_,comdat
	.protected	_ZN7rocprim17ROCPRIM_400000_NS6detail17trampoline_kernelINS0_14default_configENS1_38merge_sort_block_merge_config_selectorIiiEEZZNS1_27merge_sort_block_merge_implIS3_N6thrust23THRUST_200600_302600_NS6detail15normal_iteratorINS8_10device_ptrIiEEEESD_jNS1_19radix_merge_compareILb1ELb1EiNS0_19identity_decomposerEEEEE10hipError_tT0_T1_T2_jT3_P12ihipStream_tbPNSt15iterator_traitsISI_E10value_typeEPNSO_ISJ_E10value_typeEPSK_NS1_7vsmem_tEENKUlT_SI_SJ_SK_E_clIPiSD_S10_SD_EESH_SX_SI_SJ_SK_EUlSX_E0_NS1_11comp_targetILNS1_3genE2ELNS1_11target_archE906ELNS1_3gpuE6ELNS1_3repE0EEENS1_38merge_mergepath_config_static_selectorELNS0_4arch9wavefront6targetE0EEEvSJ_ ; -- Begin function _ZN7rocprim17ROCPRIM_400000_NS6detail17trampoline_kernelINS0_14default_configENS1_38merge_sort_block_merge_config_selectorIiiEEZZNS1_27merge_sort_block_merge_implIS3_N6thrust23THRUST_200600_302600_NS6detail15normal_iteratorINS8_10device_ptrIiEEEESD_jNS1_19radix_merge_compareILb1ELb1EiNS0_19identity_decomposerEEEEE10hipError_tT0_T1_T2_jT3_P12ihipStream_tbPNSt15iterator_traitsISI_E10value_typeEPNSO_ISJ_E10value_typeEPSK_NS1_7vsmem_tEENKUlT_SI_SJ_SK_E_clIPiSD_S10_SD_EESH_SX_SI_SJ_SK_EUlSX_E0_NS1_11comp_targetILNS1_3genE2ELNS1_11target_archE906ELNS1_3gpuE6ELNS1_3repE0EEENS1_38merge_mergepath_config_static_selectorELNS0_4arch9wavefront6targetE0EEEvSJ_
	.globl	_ZN7rocprim17ROCPRIM_400000_NS6detail17trampoline_kernelINS0_14default_configENS1_38merge_sort_block_merge_config_selectorIiiEEZZNS1_27merge_sort_block_merge_implIS3_N6thrust23THRUST_200600_302600_NS6detail15normal_iteratorINS8_10device_ptrIiEEEESD_jNS1_19radix_merge_compareILb1ELb1EiNS0_19identity_decomposerEEEEE10hipError_tT0_T1_T2_jT3_P12ihipStream_tbPNSt15iterator_traitsISI_E10value_typeEPNSO_ISJ_E10value_typeEPSK_NS1_7vsmem_tEENKUlT_SI_SJ_SK_E_clIPiSD_S10_SD_EESH_SX_SI_SJ_SK_EUlSX_E0_NS1_11comp_targetILNS1_3genE2ELNS1_11target_archE906ELNS1_3gpuE6ELNS1_3repE0EEENS1_38merge_mergepath_config_static_selectorELNS0_4arch9wavefront6targetE0EEEvSJ_
	.p2align	8
	.type	_ZN7rocprim17ROCPRIM_400000_NS6detail17trampoline_kernelINS0_14default_configENS1_38merge_sort_block_merge_config_selectorIiiEEZZNS1_27merge_sort_block_merge_implIS3_N6thrust23THRUST_200600_302600_NS6detail15normal_iteratorINS8_10device_ptrIiEEEESD_jNS1_19radix_merge_compareILb1ELb1EiNS0_19identity_decomposerEEEEE10hipError_tT0_T1_T2_jT3_P12ihipStream_tbPNSt15iterator_traitsISI_E10value_typeEPNSO_ISJ_E10value_typeEPSK_NS1_7vsmem_tEENKUlT_SI_SJ_SK_E_clIPiSD_S10_SD_EESH_SX_SI_SJ_SK_EUlSX_E0_NS1_11comp_targetILNS1_3genE2ELNS1_11target_archE906ELNS1_3gpuE6ELNS1_3repE0EEENS1_38merge_mergepath_config_static_selectorELNS0_4arch9wavefront6targetE0EEEvSJ_,@function
_ZN7rocprim17ROCPRIM_400000_NS6detail17trampoline_kernelINS0_14default_configENS1_38merge_sort_block_merge_config_selectorIiiEEZZNS1_27merge_sort_block_merge_implIS3_N6thrust23THRUST_200600_302600_NS6detail15normal_iteratorINS8_10device_ptrIiEEEESD_jNS1_19radix_merge_compareILb1ELb1EiNS0_19identity_decomposerEEEEE10hipError_tT0_T1_T2_jT3_P12ihipStream_tbPNSt15iterator_traitsISI_E10value_typeEPNSO_ISJ_E10value_typeEPSK_NS1_7vsmem_tEENKUlT_SI_SJ_SK_E_clIPiSD_S10_SD_EESH_SX_SI_SJ_SK_EUlSX_E0_NS1_11comp_targetILNS1_3genE2ELNS1_11target_archE906ELNS1_3gpuE6ELNS1_3repE0EEENS1_38merge_mergepath_config_static_selectorELNS0_4arch9wavefront6targetE0EEEvSJ_: ; @_ZN7rocprim17ROCPRIM_400000_NS6detail17trampoline_kernelINS0_14default_configENS1_38merge_sort_block_merge_config_selectorIiiEEZZNS1_27merge_sort_block_merge_implIS3_N6thrust23THRUST_200600_302600_NS6detail15normal_iteratorINS8_10device_ptrIiEEEESD_jNS1_19radix_merge_compareILb1ELb1EiNS0_19identity_decomposerEEEEE10hipError_tT0_T1_T2_jT3_P12ihipStream_tbPNSt15iterator_traitsISI_E10value_typeEPNSO_ISJ_E10value_typeEPSK_NS1_7vsmem_tEENKUlT_SI_SJ_SK_E_clIPiSD_S10_SD_EESH_SX_SI_SJ_SK_EUlSX_E0_NS1_11comp_targetILNS1_3genE2ELNS1_11target_archE906ELNS1_3gpuE6ELNS1_3repE0EEENS1_38merge_mergepath_config_static_selectorELNS0_4arch9wavefront6targetE0EEEvSJ_
; %bb.0:
	.section	.rodata,"a",@progbits
	.p2align	6, 0x0
	.amdhsa_kernel _ZN7rocprim17ROCPRIM_400000_NS6detail17trampoline_kernelINS0_14default_configENS1_38merge_sort_block_merge_config_selectorIiiEEZZNS1_27merge_sort_block_merge_implIS3_N6thrust23THRUST_200600_302600_NS6detail15normal_iteratorINS8_10device_ptrIiEEEESD_jNS1_19radix_merge_compareILb1ELb1EiNS0_19identity_decomposerEEEEE10hipError_tT0_T1_T2_jT3_P12ihipStream_tbPNSt15iterator_traitsISI_E10value_typeEPNSO_ISJ_E10value_typeEPSK_NS1_7vsmem_tEENKUlT_SI_SJ_SK_E_clIPiSD_S10_SD_EESH_SX_SI_SJ_SK_EUlSX_E0_NS1_11comp_targetILNS1_3genE2ELNS1_11target_archE906ELNS1_3gpuE6ELNS1_3repE0EEENS1_38merge_mergepath_config_static_selectorELNS0_4arch9wavefront6targetE0EEEvSJ_
		.amdhsa_group_segment_fixed_size 0
		.amdhsa_private_segment_fixed_size 0
		.amdhsa_kernarg_size 64
		.amdhsa_user_sgpr_count 6
		.amdhsa_user_sgpr_private_segment_buffer 1
		.amdhsa_user_sgpr_dispatch_ptr 0
		.amdhsa_user_sgpr_queue_ptr 0
		.amdhsa_user_sgpr_kernarg_segment_ptr 1
		.amdhsa_user_sgpr_dispatch_id 0
		.amdhsa_user_sgpr_flat_scratch_init 0
		.amdhsa_user_sgpr_private_segment_size 0
		.amdhsa_wavefront_size32 1
		.amdhsa_uses_dynamic_stack 0
		.amdhsa_system_sgpr_private_segment_wavefront_offset 0
		.amdhsa_system_sgpr_workgroup_id_x 1
		.amdhsa_system_sgpr_workgroup_id_y 0
		.amdhsa_system_sgpr_workgroup_id_z 0
		.amdhsa_system_sgpr_workgroup_info 0
		.amdhsa_system_vgpr_workitem_id 0
		.amdhsa_next_free_vgpr 1
		.amdhsa_next_free_sgpr 1
		.amdhsa_reserve_vcc 0
		.amdhsa_reserve_flat_scratch 0
		.amdhsa_float_round_mode_32 0
		.amdhsa_float_round_mode_16_64 0
		.amdhsa_float_denorm_mode_32 3
		.amdhsa_float_denorm_mode_16_64 3
		.amdhsa_dx10_clamp 1
		.amdhsa_ieee_mode 1
		.amdhsa_fp16_overflow 0
		.amdhsa_workgroup_processor_mode 1
		.amdhsa_memory_ordered 1
		.amdhsa_forward_progress 1
		.amdhsa_shared_vgpr_count 0
		.amdhsa_exception_fp_ieee_invalid_op 0
		.amdhsa_exception_fp_denorm_src 0
		.amdhsa_exception_fp_ieee_div_zero 0
		.amdhsa_exception_fp_ieee_overflow 0
		.amdhsa_exception_fp_ieee_underflow 0
		.amdhsa_exception_fp_ieee_inexact 0
		.amdhsa_exception_int_div_zero 0
	.end_amdhsa_kernel
	.section	.text._ZN7rocprim17ROCPRIM_400000_NS6detail17trampoline_kernelINS0_14default_configENS1_38merge_sort_block_merge_config_selectorIiiEEZZNS1_27merge_sort_block_merge_implIS3_N6thrust23THRUST_200600_302600_NS6detail15normal_iteratorINS8_10device_ptrIiEEEESD_jNS1_19radix_merge_compareILb1ELb1EiNS0_19identity_decomposerEEEEE10hipError_tT0_T1_T2_jT3_P12ihipStream_tbPNSt15iterator_traitsISI_E10value_typeEPNSO_ISJ_E10value_typeEPSK_NS1_7vsmem_tEENKUlT_SI_SJ_SK_E_clIPiSD_S10_SD_EESH_SX_SI_SJ_SK_EUlSX_E0_NS1_11comp_targetILNS1_3genE2ELNS1_11target_archE906ELNS1_3gpuE6ELNS1_3repE0EEENS1_38merge_mergepath_config_static_selectorELNS0_4arch9wavefront6targetE0EEEvSJ_,"axG",@progbits,_ZN7rocprim17ROCPRIM_400000_NS6detail17trampoline_kernelINS0_14default_configENS1_38merge_sort_block_merge_config_selectorIiiEEZZNS1_27merge_sort_block_merge_implIS3_N6thrust23THRUST_200600_302600_NS6detail15normal_iteratorINS8_10device_ptrIiEEEESD_jNS1_19radix_merge_compareILb1ELb1EiNS0_19identity_decomposerEEEEE10hipError_tT0_T1_T2_jT3_P12ihipStream_tbPNSt15iterator_traitsISI_E10value_typeEPNSO_ISJ_E10value_typeEPSK_NS1_7vsmem_tEENKUlT_SI_SJ_SK_E_clIPiSD_S10_SD_EESH_SX_SI_SJ_SK_EUlSX_E0_NS1_11comp_targetILNS1_3genE2ELNS1_11target_archE906ELNS1_3gpuE6ELNS1_3repE0EEENS1_38merge_mergepath_config_static_selectorELNS0_4arch9wavefront6targetE0EEEvSJ_,comdat
.Lfunc_end946:
	.size	_ZN7rocprim17ROCPRIM_400000_NS6detail17trampoline_kernelINS0_14default_configENS1_38merge_sort_block_merge_config_selectorIiiEEZZNS1_27merge_sort_block_merge_implIS3_N6thrust23THRUST_200600_302600_NS6detail15normal_iteratorINS8_10device_ptrIiEEEESD_jNS1_19radix_merge_compareILb1ELb1EiNS0_19identity_decomposerEEEEE10hipError_tT0_T1_T2_jT3_P12ihipStream_tbPNSt15iterator_traitsISI_E10value_typeEPNSO_ISJ_E10value_typeEPSK_NS1_7vsmem_tEENKUlT_SI_SJ_SK_E_clIPiSD_S10_SD_EESH_SX_SI_SJ_SK_EUlSX_E0_NS1_11comp_targetILNS1_3genE2ELNS1_11target_archE906ELNS1_3gpuE6ELNS1_3repE0EEENS1_38merge_mergepath_config_static_selectorELNS0_4arch9wavefront6targetE0EEEvSJ_, .Lfunc_end946-_ZN7rocprim17ROCPRIM_400000_NS6detail17trampoline_kernelINS0_14default_configENS1_38merge_sort_block_merge_config_selectorIiiEEZZNS1_27merge_sort_block_merge_implIS3_N6thrust23THRUST_200600_302600_NS6detail15normal_iteratorINS8_10device_ptrIiEEEESD_jNS1_19radix_merge_compareILb1ELb1EiNS0_19identity_decomposerEEEEE10hipError_tT0_T1_T2_jT3_P12ihipStream_tbPNSt15iterator_traitsISI_E10value_typeEPNSO_ISJ_E10value_typeEPSK_NS1_7vsmem_tEENKUlT_SI_SJ_SK_E_clIPiSD_S10_SD_EESH_SX_SI_SJ_SK_EUlSX_E0_NS1_11comp_targetILNS1_3genE2ELNS1_11target_archE906ELNS1_3gpuE6ELNS1_3repE0EEENS1_38merge_mergepath_config_static_selectorELNS0_4arch9wavefront6targetE0EEEvSJ_
                                        ; -- End function
	.set _ZN7rocprim17ROCPRIM_400000_NS6detail17trampoline_kernelINS0_14default_configENS1_38merge_sort_block_merge_config_selectorIiiEEZZNS1_27merge_sort_block_merge_implIS3_N6thrust23THRUST_200600_302600_NS6detail15normal_iteratorINS8_10device_ptrIiEEEESD_jNS1_19radix_merge_compareILb1ELb1EiNS0_19identity_decomposerEEEEE10hipError_tT0_T1_T2_jT3_P12ihipStream_tbPNSt15iterator_traitsISI_E10value_typeEPNSO_ISJ_E10value_typeEPSK_NS1_7vsmem_tEENKUlT_SI_SJ_SK_E_clIPiSD_S10_SD_EESH_SX_SI_SJ_SK_EUlSX_E0_NS1_11comp_targetILNS1_3genE2ELNS1_11target_archE906ELNS1_3gpuE6ELNS1_3repE0EEENS1_38merge_mergepath_config_static_selectorELNS0_4arch9wavefront6targetE0EEEvSJ_.num_vgpr, 0
	.set _ZN7rocprim17ROCPRIM_400000_NS6detail17trampoline_kernelINS0_14default_configENS1_38merge_sort_block_merge_config_selectorIiiEEZZNS1_27merge_sort_block_merge_implIS3_N6thrust23THRUST_200600_302600_NS6detail15normal_iteratorINS8_10device_ptrIiEEEESD_jNS1_19radix_merge_compareILb1ELb1EiNS0_19identity_decomposerEEEEE10hipError_tT0_T1_T2_jT3_P12ihipStream_tbPNSt15iterator_traitsISI_E10value_typeEPNSO_ISJ_E10value_typeEPSK_NS1_7vsmem_tEENKUlT_SI_SJ_SK_E_clIPiSD_S10_SD_EESH_SX_SI_SJ_SK_EUlSX_E0_NS1_11comp_targetILNS1_3genE2ELNS1_11target_archE906ELNS1_3gpuE6ELNS1_3repE0EEENS1_38merge_mergepath_config_static_selectorELNS0_4arch9wavefront6targetE0EEEvSJ_.num_agpr, 0
	.set _ZN7rocprim17ROCPRIM_400000_NS6detail17trampoline_kernelINS0_14default_configENS1_38merge_sort_block_merge_config_selectorIiiEEZZNS1_27merge_sort_block_merge_implIS3_N6thrust23THRUST_200600_302600_NS6detail15normal_iteratorINS8_10device_ptrIiEEEESD_jNS1_19radix_merge_compareILb1ELb1EiNS0_19identity_decomposerEEEEE10hipError_tT0_T1_T2_jT3_P12ihipStream_tbPNSt15iterator_traitsISI_E10value_typeEPNSO_ISJ_E10value_typeEPSK_NS1_7vsmem_tEENKUlT_SI_SJ_SK_E_clIPiSD_S10_SD_EESH_SX_SI_SJ_SK_EUlSX_E0_NS1_11comp_targetILNS1_3genE2ELNS1_11target_archE906ELNS1_3gpuE6ELNS1_3repE0EEENS1_38merge_mergepath_config_static_selectorELNS0_4arch9wavefront6targetE0EEEvSJ_.numbered_sgpr, 0
	.set _ZN7rocprim17ROCPRIM_400000_NS6detail17trampoline_kernelINS0_14default_configENS1_38merge_sort_block_merge_config_selectorIiiEEZZNS1_27merge_sort_block_merge_implIS3_N6thrust23THRUST_200600_302600_NS6detail15normal_iteratorINS8_10device_ptrIiEEEESD_jNS1_19radix_merge_compareILb1ELb1EiNS0_19identity_decomposerEEEEE10hipError_tT0_T1_T2_jT3_P12ihipStream_tbPNSt15iterator_traitsISI_E10value_typeEPNSO_ISJ_E10value_typeEPSK_NS1_7vsmem_tEENKUlT_SI_SJ_SK_E_clIPiSD_S10_SD_EESH_SX_SI_SJ_SK_EUlSX_E0_NS1_11comp_targetILNS1_3genE2ELNS1_11target_archE906ELNS1_3gpuE6ELNS1_3repE0EEENS1_38merge_mergepath_config_static_selectorELNS0_4arch9wavefront6targetE0EEEvSJ_.num_named_barrier, 0
	.set _ZN7rocprim17ROCPRIM_400000_NS6detail17trampoline_kernelINS0_14default_configENS1_38merge_sort_block_merge_config_selectorIiiEEZZNS1_27merge_sort_block_merge_implIS3_N6thrust23THRUST_200600_302600_NS6detail15normal_iteratorINS8_10device_ptrIiEEEESD_jNS1_19radix_merge_compareILb1ELb1EiNS0_19identity_decomposerEEEEE10hipError_tT0_T1_T2_jT3_P12ihipStream_tbPNSt15iterator_traitsISI_E10value_typeEPNSO_ISJ_E10value_typeEPSK_NS1_7vsmem_tEENKUlT_SI_SJ_SK_E_clIPiSD_S10_SD_EESH_SX_SI_SJ_SK_EUlSX_E0_NS1_11comp_targetILNS1_3genE2ELNS1_11target_archE906ELNS1_3gpuE6ELNS1_3repE0EEENS1_38merge_mergepath_config_static_selectorELNS0_4arch9wavefront6targetE0EEEvSJ_.private_seg_size, 0
	.set _ZN7rocprim17ROCPRIM_400000_NS6detail17trampoline_kernelINS0_14default_configENS1_38merge_sort_block_merge_config_selectorIiiEEZZNS1_27merge_sort_block_merge_implIS3_N6thrust23THRUST_200600_302600_NS6detail15normal_iteratorINS8_10device_ptrIiEEEESD_jNS1_19radix_merge_compareILb1ELb1EiNS0_19identity_decomposerEEEEE10hipError_tT0_T1_T2_jT3_P12ihipStream_tbPNSt15iterator_traitsISI_E10value_typeEPNSO_ISJ_E10value_typeEPSK_NS1_7vsmem_tEENKUlT_SI_SJ_SK_E_clIPiSD_S10_SD_EESH_SX_SI_SJ_SK_EUlSX_E0_NS1_11comp_targetILNS1_3genE2ELNS1_11target_archE906ELNS1_3gpuE6ELNS1_3repE0EEENS1_38merge_mergepath_config_static_selectorELNS0_4arch9wavefront6targetE0EEEvSJ_.uses_vcc, 0
	.set _ZN7rocprim17ROCPRIM_400000_NS6detail17trampoline_kernelINS0_14default_configENS1_38merge_sort_block_merge_config_selectorIiiEEZZNS1_27merge_sort_block_merge_implIS3_N6thrust23THRUST_200600_302600_NS6detail15normal_iteratorINS8_10device_ptrIiEEEESD_jNS1_19radix_merge_compareILb1ELb1EiNS0_19identity_decomposerEEEEE10hipError_tT0_T1_T2_jT3_P12ihipStream_tbPNSt15iterator_traitsISI_E10value_typeEPNSO_ISJ_E10value_typeEPSK_NS1_7vsmem_tEENKUlT_SI_SJ_SK_E_clIPiSD_S10_SD_EESH_SX_SI_SJ_SK_EUlSX_E0_NS1_11comp_targetILNS1_3genE2ELNS1_11target_archE906ELNS1_3gpuE6ELNS1_3repE0EEENS1_38merge_mergepath_config_static_selectorELNS0_4arch9wavefront6targetE0EEEvSJ_.uses_flat_scratch, 0
	.set _ZN7rocprim17ROCPRIM_400000_NS6detail17trampoline_kernelINS0_14default_configENS1_38merge_sort_block_merge_config_selectorIiiEEZZNS1_27merge_sort_block_merge_implIS3_N6thrust23THRUST_200600_302600_NS6detail15normal_iteratorINS8_10device_ptrIiEEEESD_jNS1_19radix_merge_compareILb1ELb1EiNS0_19identity_decomposerEEEEE10hipError_tT0_T1_T2_jT3_P12ihipStream_tbPNSt15iterator_traitsISI_E10value_typeEPNSO_ISJ_E10value_typeEPSK_NS1_7vsmem_tEENKUlT_SI_SJ_SK_E_clIPiSD_S10_SD_EESH_SX_SI_SJ_SK_EUlSX_E0_NS1_11comp_targetILNS1_3genE2ELNS1_11target_archE906ELNS1_3gpuE6ELNS1_3repE0EEENS1_38merge_mergepath_config_static_selectorELNS0_4arch9wavefront6targetE0EEEvSJ_.has_dyn_sized_stack, 0
	.set _ZN7rocprim17ROCPRIM_400000_NS6detail17trampoline_kernelINS0_14default_configENS1_38merge_sort_block_merge_config_selectorIiiEEZZNS1_27merge_sort_block_merge_implIS3_N6thrust23THRUST_200600_302600_NS6detail15normal_iteratorINS8_10device_ptrIiEEEESD_jNS1_19radix_merge_compareILb1ELb1EiNS0_19identity_decomposerEEEEE10hipError_tT0_T1_T2_jT3_P12ihipStream_tbPNSt15iterator_traitsISI_E10value_typeEPNSO_ISJ_E10value_typeEPSK_NS1_7vsmem_tEENKUlT_SI_SJ_SK_E_clIPiSD_S10_SD_EESH_SX_SI_SJ_SK_EUlSX_E0_NS1_11comp_targetILNS1_3genE2ELNS1_11target_archE906ELNS1_3gpuE6ELNS1_3repE0EEENS1_38merge_mergepath_config_static_selectorELNS0_4arch9wavefront6targetE0EEEvSJ_.has_recursion, 0
	.set _ZN7rocprim17ROCPRIM_400000_NS6detail17trampoline_kernelINS0_14default_configENS1_38merge_sort_block_merge_config_selectorIiiEEZZNS1_27merge_sort_block_merge_implIS3_N6thrust23THRUST_200600_302600_NS6detail15normal_iteratorINS8_10device_ptrIiEEEESD_jNS1_19radix_merge_compareILb1ELb1EiNS0_19identity_decomposerEEEEE10hipError_tT0_T1_T2_jT3_P12ihipStream_tbPNSt15iterator_traitsISI_E10value_typeEPNSO_ISJ_E10value_typeEPSK_NS1_7vsmem_tEENKUlT_SI_SJ_SK_E_clIPiSD_S10_SD_EESH_SX_SI_SJ_SK_EUlSX_E0_NS1_11comp_targetILNS1_3genE2ELNS1_11target_archE906ELNS1_3gpuE6ELNS1_3repE0EEENS1_38merge_mergepath_config_static_selectorELNS0_4arch9wavefront6targetE0EEEvSJ_.has_indirect_call, 0
	.section	.AMDGPU.csdata,"",@progbits
; Kernel info:
; codeLenInByte = 0
; TotalNumSgprs: 0
; NumVgprs: 0
; ScratchSize: 0
; MemoryBound: 0
; FloatMode: 240
; IeeeMode: 1
; LDSByteSize: 0 bytes/workgroup (compile time only)
; SGPRBlocks: 0
; VGPRBlocks: 0
; NumSGPRsForWavesPerEU: 1
; NumVGPRsForWavesPerEU: 1
; Occupancy: 16
; WaveLimiterHint : 0
; COMPUTE_PGM_RSRC2:SCRATCH_EN: 0
; COMPUTE_PGM_RSRC2:USER_SGPR: 6
; COMPUTE_PGM_RSRC2:TRAP_HANDLER: 0
; COMPUTE_PGM_RSRC2:TGID_X_EN: 1
; COMPUTE_PGM_RSRC2:TGID_Y_EN: 0
; COMPUTE_PGM_RSRC2:TGID_Z_EN: 0
; COMPUTE_PGM_RSRC2:TIDIG_COMP_CNT: 0
	.section	.text._ZN7rocprim17ROCPRIM_400000_NS6detail17trampoline_kernelINS0_14default_configENS1_38merge_sort_block_merge_config_selectorIiiEEZZNS1_27merge_sort_block_merge_implIS3_N6thrust23THRUST_200600_302600_NS6detail15normal_iteratorINS8_10device_ptrIiEEEESD_jNS1_19radix_merge_compareILb1ELb1EiNS0_19identity_decomposerEEEEE10hipError_tT0_T1_T2_jT3_P12ihipStream_tbPNSt15iterator_traitsISI_E10value_typeEPNSO_ISJ_E10value_typeEPSK_NS1_7vsmem_tEENKUlT_SI_SJ_SK_E_clIPiSD_S10_SD_EESH_SX_SI_SJ_SK_EUlSX_E0_NS1_11comp_targetILNS1_3genE9ELNS1_11target_archE1100ELNS1_3gpuE3ELNS1_3repE0EEENS1_38merge_mergepath_config_static_selectorELNS0_4arch9wavefront6targetE0EEEvSJ_,"axG",@progbits,_ZN7rocprim17ROCPRIM_400000_NS6detail17trampoline_kernelINS0_14default_configENS1_38merge_sort_block_merge_config_selectorIiiEEZZNS1_27merge_sort_block_merge_implIS3_N6thrust23THRUST_200600_302600_NS6detail15normal_iteratorINS8_10device_ptrIiEEEESD_jNS1_19radix_merge_compareILb1ELb1EiNS0_19identity_decomposerEEEEE10hipError_tT0_T1_T2_jT3_P12ihipStream_tbPNSt15iterator_traitsISI_E10value_typeEPNSO_ISJ_E10value_typeEPSK_NS1_7vsmem_tEENKUlT_SI_SJ_SK_E_clIPiSD_S10_SD_EESH_SX_SI_SJ_SK_EUlSX_E0_NS1_11comp_targetILNS1_3genE9ELNS1_11target_archE1100ELNS1_3gpuE3ELNS1_3repE0EEENS1_38merge_mergepath_config_static_selectorELNS0_4arch9wavefront6targetE0EEEvSJ_,comdat
	.protected	_ZN7rocprim17ROCPRIM_400000_NS6detail17trampoline_kernelINS0_14default_configENS1_38merge_sort_block_merge_config_selectorIiiEEZZNS1_27merge_sort_block_merge_implIS3_N6thrust23THRUST_200600_302600_NS6detail15normal_iteratorINS8_10device_ptrIiEEEESD_jNS1_19radix_merge_compareILb1ELb1EiNS0_19identity_decomposerEEEEE10hipError_tT0_T1_T2_jT3_P12ihipStream_tbPNSt15iterator_traitsISI_E10value_typeEPNSO_ISJ_E10value_typeEPSK_NS1_7vsmem_tEENKUlT_SI_SJ_SK_E_clIPiSD_S10_SD_EESH_SX_SI_SJ_SK_EUlSX_E0_NS1_11comp_targetILNS1_3genE9ELNS1_11target_archE1100ELNS1_3gpuE3ELNS1_3repE0EEENS1_38merge_mergepath_config_static_selectorELNS0_4arch9wavefront6targetE0EEEvSJ_ ; -- Begin function _ZN7rocprim17ROCPRIM_400000_NS6detail17trampoline_kernelINS0_14default_configENS1_38merge_sort_block_merge_config_selectorIiiEEZZNS1_27merge_sort_block_merge_implIS3_N6thrust23THRUST_200600_302600_NS6detail15normal_iteratorINS8_10device_ptrIiEEEESD_jNS1_19radix_merge_compareILb1ELb1EiNS0_19identity_decomposerEEEEE10hipError_tT0_T1_T2_jT3_P12ihipStream_tbPNSt15iterator_traitsISI_E10value_typeEPNSO_ISJ_E10value_typeEPSK_NS1_7vsmem_tEENKUlT_SI_SJ_SK_E_clIPiSD_S10_SD_EESH_SX_SI_SJ_SK_EUlSX_E0_NS1_11comp_targetILNS1_3genE9ELNS1_11target_archE1100ELNS1_3gpuE3ELNS1_3repE0EEENS1_38merge_mergepath_config_static_selectorELNS0_4arch9wavefront6targetE0EEEvSJ_
	.globl	_ZN7rocprim17ROCPRIM_400000_NS6detail17trampoline_kernelINS0_14default_configENS1_38merge_sort_block_merge_config_selectorIiiEEZZNS1_27merge_sort_block_merge_implIS3_N6thrust23THRUST_200600_302600_NS6detail15normal_iteratorINS8_10device_ptrIiEEEESD_jNS1_19radix_merge_compareILb1ELb1EiNS0_19identity_decomposerEEEEE10hipError_tT0_T1_T2_jT3_P12ihipStream_tbPNSt15iterator_traitsISI_E10value_typeEPNSO_ISJ_E10value_typeEPSK_NS1_7vsmem_tEENKUlT_SI_SJ_SK_E_clIPiSD_S10_SD_EESH_SX_SI_SJ_SK_EUlSX_E0_NS1_11comp_targetILNS1_3genE9ELNS1_11target_archE1100ELNS1_3gpuE3ELNS1_3repE0EEENS1_38merge_mergepath_config_static_selectorELNS0_4arch9wavefront6targetE0EEEvSJ_
	.p2align	8
	.type	_ZN7rocprim17ROCPRIM_400000_NS6detail17trampoline_kernelINS0_14default_configENS1_38merge_sort_block_merge_config_selectorIiiEEZZNS1_27merge_sort_block_merge_implIS3_N6thrust23THRUST_200600_302600_NS6detail15normal_iteratorINS8_10device_ptrIiEEEESD_jNS1_19radix_merge_compareILb1ELb1EiNS0_19identity_decomposerEEEEE10hipError_tT0_T1_T2_jT3_P12ihipStream_tbPNSt15iterator_traitsISI_E10value_typeEPNSO_ISJ_E10value_typeEPSK_NS1_7vsmem_tEENKUlT_SI_SJ_SK_E_clIPiSD_S10_SD_EESH_SX_SI_SJ_SK_EUlSX_E0_NS1_11comp_targetILNS1_3genE9ELNS1_11target_archE1100ELNS1_3gpuE3ELNS1_3repE0EEENS1_38merge_mergepath_config_static_selectorELNS0_4arch9wavefront6targetE0EEEvSJ_,@function
_ZN7rocprim17ROCPRIM_400000_NS6detail17trampoline_kernelINS0_14default_configENS1_38merge_sort_block_merge_config_selectorIiiEEZZNS1_27merge_sort_block_merge_implIS3_N6thrust23THRUST_200600_302600_NS6detail15normal_iteratorINS8_10device_ptrIiEEEESD_jNS1_19radix_merge_compareILb1ELb1EiNS0_19identity_decomposerEEEEE10hipError_tT0_T1_T2_jT3_P12ihipStream_tbPNSt15iterator_traitsISI_E10value_typeEPNSO_ISJ_E10value_typeEPSK_NS1_7vsmem_tEENKUlT_SI_SJ_SK_E_clIPiSD_S10_SD_EESH_SX_SI_SJ_SK_EUlSX_E0_NS1_11comp_targetILNS1_3genE9ELNS1_11target_archE1100ELNS1_3gpuE3ELNS1_3repE0EEENS1_38merge_mergepath_config_static_selectorELNS0_4arch9wavefront6targetE0EEEvSJ_: ; @_ZN7rocprim17ROCPRIM_400000_NS6detail17trampoline_kernelINS0_14default_configENS1_38merge_sort_block_merge_config_selectorIiiEEZZNS1_27merge_sort_block_merge_implIS3_N6thrust23THRUST_200600_302600_NS6detail15normal_iteratorINS8_10device_ptrIiEEEESD_jNS1_19radix_merge_compareILb1ELb1EiNS0_19identity_decomposerEEEEE10hipError_tT0_T1_T2_jT3_P12ihipStream_tbPNSt15iterator_traitsISI_E10value_typeEPNSO_ISJ_E10value_typeEPSK_NS1_7vsmem_tEENKUlT_SI_SJ_SK_E_clIPiSD_S10_SD_EESH_SX_SI_SJ_SK_EUlSX_E0_NS1_11comp_targetILNS1_3genE9ELNS1_11target_archE1100ELNS1_3gpuE3ELNS1_3repE0EEENS1_38merge_mergepath_config_static_selectorELNS0_4arch9wavefront6targetE0EEEvSJ_
; %bb.0:
	.section	.rodata,"a",@progbits
	.p2align	6, 0x0
	.amdhsa_kernel _ZN7rocprim17ROCPRIM_400000_NS6detail17trampoline_kernelINS0_14default_configENS1_38merge_sort_block_merge_config_selectorIiiEEZZNS1_27merge_sort_block_merge_implIS3_N6thrust23THRUST_200600_302600_NS6detail15normal_iteratorINS8_10device_ptrIiEEEESD_jNS1_19radix_merge_compareILb1ELb1EiNS0_19identity_decomposerEEEEE10hipError_tT0_T1_T2_jT3_P12ihipStream_tbPNSt15iterator_traitsISI_E10value_typeEPNSO_ISJ_E10value_typeEPSK_NS1_7vsmem_tEENKUlT_SI_SJ_SK_E_clIPiSD_S10_SD_EESH_SX_SI_SJ_SK_EUlSX_E0_NS1_11comp_targetILNS1_3genE9ELNS1_11target_archE1100ELNS1_3gpuE3ELNS1_3repE0EEENS1_38merge_mergepath_config_static_selectorELNS0_4arch9wavefront6targetE0EEEvSJ_
		.amdhsa_group_segment_fixed_size 0
		.amdhsa_private_segment_fixed_size 0
		.amdhsa_kernarg_size 64
		.amdhsa_user_sgpr_count 6
		.amdhsa_user_sgpr_private_segment_buffer 1
		.amdhsa_user_sgpr_dispatch_ptr 0
		.amdhsa_user_sgpr_queue_ptr 0
		.amdhsa_user_sgpr_kernarg_segment_ptr 1
		.amdhsa_user_sgpr_dispatch_id 0
		.amdhsa_user_sgpr_flat_scratch_init 0
		.amdhsa_user_sgpr_private_segment_size 0
		.amdhsa_wavefront_size32 1
		.amdhsa_uses_dynamic_stack 0
		.amdhsa_system_sgpr_private_segment_wavefront_offset 0
		.amdhsa_system_sgpr_workgroup_id_x 1
		.amdhsa_system_sgpr_workgroup_id_y 0
		.amdhsa_system_sgpr_workgroup_id_z 0
		.amdhsa_system_sgpr_workgroup_info 0
		.amdhsa_system_vgpr_workitem_id 0
		.amdhsa_next_free_vgpr 1
		.amdhsa_next_free_sgpr 1
		.amdhsa_reserve_vcc 0
		.amdhsa_reserve_flat_scratch 0
		.amdhsa_float_round_mode_32 0
		.amdhsa_float_round_mode_16_64 0
		.amdhsa_float_denorm_mode_32 3
		.amdhsa_float_denorm_mode_16_64 3
		.amdhsa_dx10_clamp 1
		.amdhsa_ieee_mode 1
		.amdhsa_fp16_overflow 0
		.amdhsa_workgroup_processor_mode 1
		.amdhsa_memory_ordered 1
		.amdhsa_forward_progress 1
		.amdhsa_shared_vgpr_count 0
		.amdhsa_exception_fp_ieee_invalid_op 0
		.amdhsa_exception_fp_denorm_src 0
		.amdhsa_exception_fp_ieee_div_zero 0
		.amdhsa_exception_fp_ieee_overflow 0
		.amdhsa_exception_fp_ieee_underflow 0
		.amdhsa_exception_fp_ieee_inexact 0
		.amdhsa_exception_int_div_zero 0
	.end_amdhsa_kernel
	.section	.text._ZN7rocprim17ROCPRIM_400000_NS6detail17trampoline_kernelINS0_14default_configENS1_38merge_sort_block_merge_config_selectorIiiEEZZNS1_27merge_sort_block_merge_implIS3_N6thrust23THRUST_200600_302600_NS6detail15normal_iteratorINS8_10device_ptrIiEEEESD_jNS1_19radix_merge_compareILb1ELb1EiNS0_19identity_decomposerEEEEE10hipError_tT0_T1_T2_jT3_P12ihipStream_tbPNSt15iterator_traitsISI_E10value_typeEPNSO_ISJ_E10value_typeEPSK_NS1_7vsmem_tEENKUlT_SI_SJ_SK_E_clIPiSD_S10_SD_EESH_SX_SI_SJ_SK_EUlSX_E0_NS1_11comp_targetILNS1_3genE9ELNS1_11target_archE1100ELNS1_3gpuE3ELNS1_3repE0EEENS1_38merge_mergepath_config_static_selectorELNS0_4arch9wavefront6targetE0EEEvSJ_,"axG",@progbits,_ZN7rocprim17ROCPRIM_400000_NS6detail17trampoline_kernelINS0_14default_configENS1_38merge_sort_block_merge_config_selectorIiiEEZZNS1_27merge_sort_block_merge_implIS3_N6thrust23THRUST_200600_302600_NS6detail15normal_iteratorINS8_10device_ptrIiEEEESD_jNS1_19radix_merge_compareILb1ELb1EiNS0_19identity_decomposerEEEEE10hipError_tT0_T1_T2_jT3_P12ihipStream_tbPNSt15iterator_traitsISI_E10value_typeEPNSO_ISJ_E10value_typeEPSK_NS1_7vsmem_tEENKUlT_SI_SJ_SK_E_clIPiSD_S10_SD_EESH_SX_SI_SJ_SK_EUlSX_E0_NS1_11comp_targetILNS1_3genE9ELNS1_11target_archE1100ELNS1_3gpuE3ELNS1_3repE0EEENS1_38merge_mergepath_config_static_selectorELNS0_4arch9wavefront6targetE0EEEvSJ_,comdat
.Lfunc_end947:
	.size	_ZN7rocprim17ROCPRIM_400000_NS6detail17trampoline_kernelINS0_14default_configENS1_38merge_sort_block_merge_config_selectorIiiEEZZNS1_27merge_sort_block_merge_implIS3_N6thrust23THRUST_200600_302600_NS6detail15normal_iteratorINS8_10device_ptrIiEEEESD_jNS1_19radix_merge_compareILb1ELb1EiNS0_19identity_decomposerEEEEE10hipError_tT0_T1_T2_jT3_P12ihipStream_tbPNSt15iterator_traitsISI_E10value_typeEPNSO_ISJ_E10value_typeEPSK_NS1_7vsmem_tEENKUlT_SI_SJ_SK_E_clIPiSD_S10_SD_EESH_SX_SI_SJ_SK_EUlSX_E0_NS1_11comp_targetILNS1_3genE9ELNS1_11target_archE1100ELNS1_3gpuE3ELNS1_3repE0EEENS1_38merge_mergepath_config_static_selectorELNS0_4arch9wavefront6targetE0EEEvSJ_, .Lfunc_end947-_ZN7rocprim17ROCPRIM_400000_NS6detail17trampoline_kernelINS0_14default_configENS1_38merge_sort_block_merge_config_selectorIiiEEZZNS1_27merge_sort_block_merge_implIS3_N6thrust23THRUST_200600_302600_NS6detail15normal_iteratorINS8_10device_ptrIiEEEESD_jNS1_19radix_merge_compareILb1ELb1EiNS0_19identity_decomposerEEEEE10hipError_tT0_T1_T2_jT3_P12ihipStream_tbPNSt15iterator_traitsISI_E10value_typeEPNSO_ISJ_E10value_typeEPSK_NS1_7vsmem_tEENKUlT_SI_SJ_SK_E_clIPiSD_S10_SD_EESH_SX_SI_SJ_SK_EUlSX_E0_NS1_11comp_targetILNS1_3genE9ELNS1_11target_archE1100ELNS1_3gpuE3ELNS1_3repE0EEENS1_38merge_mergepath_config_static_selectorELNS0_4arch9wavefront6targetE0EEEvSJ_
                                        ; -- End function
	.set _ZN7rocprim17ROCPRIM_400000_NS6detail17trampoline_kernelINS0_14default_configENS1_38merge_sort_block_merge_config_selectorIiiEEZZNS1_27merge_sort_block_merge_implIS3_N6thrust23THRUST_200600_302600_NS6detail15normal_iteratorINS8_10device_ptrIiEEEESD_jNS1_19radix_merge_compareILb1ELb1EiNS0_19identity_decomposerEEEEE10hipError_tT0_T1_T2_jT3_P12ihipStream_tbPNSt15iterator_traitsISI_E10value_typeEPNSO_ISJ_E10value_typeEPSK_NS1_7vsmem_tEENKUlT_SI_SJ_SK_E_clIPiSD_S10_SD_EESH_SX_SI_SJ_SK_EUlSX_E0_NS1_11comp_targetILNS1_3genE9ELNS1_11target_archE1100ELNS1_3gpuE3ELNS1_3repE0EEENS1_38merge_mergepath_config_static_selectorELNS0_4arch9wavefront6targetE0EEEvSJ_.num_vgpr, 0
	.set _ZN7rocprim17ROCPRIM_400000_NS6detail17trampoline_kernelINS0_14default_configENS1_38merge_sort_block_merge_config_selectorIiiEEZZNS1_27merge_sort_block_merge_implIS3_N6thrust23THRUST_200600_302600_NS6detail15normal_iteratorINS8_10device_ptrIiEEEESD_jNS1_19radix_merge_compareILb1ELb1EiNS0_19identity_decomposerEEEEE10hipError_tT0_T1_T2_jT3_P12ihipStream_tbPNSt15iterator_traitsISI_E10value_typeEPNSO_ISJ_E10value_typeEPSK_NS1_7vsmem_tEENKUlT_SI_SJ_SK_E_clIPiSD_S10_SD_EESH_SX_SI_SJ_SK_EUlSX_E0_NS1_11comp_targetILNS1_3genE9ELNS1_11target_archE1100ELNS1_3gpuE3ELNS1_3repE0EEENS1_38merge_mergepath_config_static_selectorELNS0_4arch9wavefront6targetE0EEEvSJ_.num_agpr, 0
	.set _ZN7rocprim17ROCPRIM_400000_NS6detail17trampoline_kernelINS0_14default_configENS1_38merge_sort_block_merge_config_selectorIiiEEZZNS1_27merge_sort_block_merge_implIS3_N6thrust23THRUST_200600_302600_NS6detail15normal_iteratorINS8_10device_ptrIiEEEESD_jNS1_19radix_merge_compareILb1ELb1EiNS0_19identity_decomposerEEEEE10hipError_tT0_T1_T2_jT3_P12ihipStream_tbPNSt15iterator_traitsISI_E10value_typeEPNSO_ISJ_E10value_typeEPSK_NS1_7vsmem_tEENKUlT_SI_SJ_SK_E_clIPiSD_S10_SD_EESH_SX_SI_SJ_SK_EUlSX_E0_NS1_11comp_targetILNS1_3genE9ELNS1_11target_archE1100ELNS1_3gpuE3ELNS1_3repE0EEENS1_38merge_mergepath_config_static_selectorELNS0_4arch9wavefront6targetE0EEEvSJ_.numbered_sgpr, 0
	.set _ZN7rocprim17ROCPRIM_400000_NS6detail17trampoline_kernelINS0_14default_configENS1_38merge_sort_block_merge_config_selectorIiiEEZZNS1_27merge_sort_block_merge_implIS3_N6thrust23THRUST_200600_302600_NS6detail15normal_iteratorINS8_10device_ptrIiEEEESD_jNS1_19radix_merge_compareILb1ELb1EiNS0_19identity_decomposerEEEEE10hipError_tT0_T1_T2_jT3_P12ihipStream_tbPNSt15iterator_traitsISI_E10value_typeEPNSO_ISJ_E10value_typeEPSK_NS1_7vsmem_tEENKUlT_SI_SJ_SK_E_clIPiSD_S10_SD_EESH_SX_SI_SJ_SK_EUlSX_E0_NS1_11comp_targetILNS1_3genE9ELNS1_11target_archE1100ELNS1_3gpuE3ELNS1_3repE0EEENS1_38merge_mergepath_config_static_selectorELNS0_4arch9wavefront6targetE0EEEvSJ_.num_named_barrier, 0
	.set _ZN7rocprim17ROCPRIM_400000_NS6detail17trampoline_kernelINS0_14default_configENS1_38merge_sort_block_merge_config_selectorIiiEEZZNS1_27merge_sort_block_merge_implIS3_N6thrust23THRUST_200600_302600_NS6detail15normal_iteratorINS8_10device_ptrIiEEEESD_jNS1_19radix_merge_compareILb1ELb1EiNS0_19identity_decomposerEEEEE10hipError_tT0_T1_T2_jT3_P12ihipStream_tbPNSt15iterator_traitsISI_E10value_typeEPNSO_ISJ_E10value_typeEPSK_NS1_7vsmem_tEENKUlT_SI_SJ_SK_E_clIPiSD_S10_SD_EESH_SX_SI_SJ_SK_EUlSX_E0_NS1_11comp_targetILNS1_3genE9ELNS1_11target_archE1100ELNS1_3gpuE3ELNS1_3repE0EEENS1_38merge_mergepath_config_static_selectorELNS0_4arch9wavefront6targetE0EEEvSJ_.private_seg_size, 0
	.set _ZN7rocprim17ROCPRIM_400000_NS6detail17trampoline_kernelINS0_14default_configENS1_38merge_sort_block_merge_config_selectorIiiEEZZNS1_27merge_sort_block_merge_implIS3_N6thrust23THRUST_200600_302600_NS6detail15normal_iteratorINS8_10device_ptrIiEEEESD_jNS1_19radix_merge_compareILb1ELb1EiNS0_19identity_decomposerEEEEE10hipError_tT0_T1_T2_jT3_P12ihipStream_tbPNSt15iterator_traitsISI_E10value_typeEPNSO_ISJ_E10value_typeEPSK_NS1_7vsmem_tEENKUlT_SI_SJ_SK_E_clIPiSD_S10_SD_EESH_SX_SI_SJ_SK_EUlSX_E0_NS1_11comp_targetILNS1_3genE9ELNS1_11target_archE1100ELNS1_3gpuE3ELNS1_3repE0EEENS1_38merge_mergepath_config_static_selectorELNS0_4arch9wavefront6targetE0EEEvSJ_.uses_vcc, 0
	.set _ZN7rocprim17ROCPRIM_400000_NS6detail17trampoline_kernelINS0_14default_configENS1_38merge_sort_block_merge_config_selectorIiiEEZZNS1_27merge_sort_block_merge_implIS3_N6thrust23THRUST_200600_302600_NS6detail15normal_iteratorINS8_10device_ptrIiEEEESD_jNS1_19radix_merge_compareILb1ELb1EiNS0_19identity_decomposerEEEEE10hipError_tT0_T1_T2_jT3_P12ihipStream_tbPNSt15iterator_traitsISI_E10value_typeEPNSO_ISJ_E10value_typeEPSK_NS1_7vsmem_tEENKUlT_SI_SJ_SK_E_clIPiSD_S10_SD_EESH_SX_SI_SJ_SK_EUlSX_E0_NS1_11comp_targetILNS1_3genE9ELNS1_11target_archE1100ELNS1_3gpuE3ELNS1_3repE0EEENS1_38merge_mergepath_config_static_selectorELNS0_4arch9wavefront6targetE0EEEvSJ_.uses_flat_scratch, 0
	.set _ZN7rocprim17ROCPRIM_400000_NS6detail17trampoline_kernelINS0_14default_configENS1_38merge_sort_block_merge_config_selectorIiiEEZZNS1_27merge_sort_block_merge_implIS3_N6thrust23THRUST_200600_302600_NS6detail15normal_iteratorINS8_10device_ptrIiEEEESD_jNS1_19radix_merge_compareILb1ELb1EiNS0_19identity_decomposerEEEEE10hipError_tT0_T1_T2_jT3_P12ihipStream_tbPNSt15iterator_traitsISI_E10value_typeEPNSO_ISJ_E10value_typeEPSK_NS1_7vsmem_tEENKUlT_SI_SJ_SK_E_clIPiSD_S10_SD_EESH_SX_SI_SJ_SK_EUlSX_E0_NS1_11comp_targetILNS1_3genE9ELNS1_11target_archE1100ELNS1_3gpuE3ELNS1_3repE0EEENS1_38merge_mergepath_config_static_selectorELNS0_4arch9wavefront6targetE0EEEvSJ_.has_dyn_sized_stack, 0
	.set _ZN7rocprim17ROCPRIM_400000_NS6detail17trampoline_kernelINS0_14default_configENS1_38merge_sort_block_merge_config_selectorIiiEEZZNS1_27merge_sort_block_merge_implIS3_N6thrust23THRUST_200600_302600_NS6detail15normal_iteratorINS8_10device_ptrIiEEEESD_jNS1_19radix_merge_compareILb1ELb1EiNS0_19identity_decomposerEEEEE10hipError_tT0_T1_T2_jT3_P12ihipStream_tbPNSt15iterator_traitsISI_E10value_typeEPNSO_ISJ_E10value_typeEPSK_NS1_7vsmem_tEENKUlT_SI_SJ_SK_E_clIPiSD_S10_SD_EESH_SX_SI_SJ_SK_EUlSX_E0_NS1_11comp_targetILNS1_3genE9ELNS1_11target_archE1100ELNS1_3gpuE3ELNS1_3repE0EEENS1_38merge_mergepath_config_static_selectorELNS0_4arch9wavefront6targetE0EEEvSJ_.has_recursion, 0
	.set _ZN7rocprim17ROCPRIM_400000_NS6detail17trampoline_kernelINS0_14default_configENS1_38merge_sort_block_merge_config_selectorIiiEEZZNS1_27merge_sort_block_merge_implIS3_N6thrust23THRUST_200600_302600_NS6detail15normal_iteratorINS8_10device_ptrIiEEEESD_jNS1_19radix_merge_compareILb1ELb1EiNS0_19identity_decomposerEEEEE10hipError_tT0_T1_T2_jT3_P12ihipStream_tbPNSt15iterator_traitsISI_E10value_typeEPNSO_ISJ_E10value_typeEPSK_NS1_7vsmem_tEENKUlT_SI_SJ_SK_E_clIPiSD_S10_SD_EESH_SX_SI_SJ_SK_EUlSX_E0_NS1_11comp_targetILNS1_3genE9ELNS1_11target_archE1100ELNS1_3gpuE3ELNS1_3repE0EEENS1_38merge_mergepath_config_static_selectorELNS0_4arch9wavefront6targetE0EEEvSJ_.has_indirect_call, 0
	.section	.AMDGPU.csdata,"",@progbits
; Kernel info:
; codeLenInByte = 0
; TotalNumSgprs: 0
; NumVgprs: 0
; ScratchSize: 0
; MemoryBound: 0
; FloatMode: 240
; IeeeMode: 1
; LDSByteSize: 0 bytes/workgroup (compile time only)
; SGPRBlocks: 0
; VGPRBlocks: 0
; NumSGPRsForWavesPerEU: 1
; NumVGPRsForWavesPerEU: 1
; Occupancy: 16
; WaveLimiterHint : 0
; COMPUTE_PGM_RSRC2:SCRATCH_EN: 0
; COMPUTE_PGM_RSRC2:USER_SGPR: 6
; COMPUTE_PGM_RSRC2:TRAP_HANDLER: 0
; COMPUTE_PGM_RSRC2:TGID_X_EN: 1
; COMPUTE_PGM_RSRC2:TGID_Y_EN: 0
; COMPUTE_PGM_RSRC2:TGID_Z_EN: 0
; COMPUTE_PGM_RSRC2:TIDIG_COMP_CNT: 0
	.section	.text._ZN7rocprim17ROCPRIM_400000_NS6detail17trampoline_kernelINS0_14default_configENS1_38merge_sort_block_merge_config_selectorIiiEEZZNS1_27merge_sort_block_merge_implIS3_N6thrust23THRUST_200600_302600_NS6detail15normal_iteratorINS8_10device_ptrIiEEEESD_jNS1_19radix_merge_compareILb1ELb1EiNS0_19identity_decomposerEEEEE10hipError_tT0_T1_T2_jT3_P12ihipStream_tbPNSt15iterator_traitsISI_E10value_typeEPNSO_ISJ_E10value_typeEPSK_NS1_7vsmem_tEENKUlT_SI_SJ_SK_E_clIPiSD_S10_SD_EESH_SX_SI_SJ_SK_EUlSX_E0_NS1_11comp_targetILNS1_3genE8ELNS1_11target_archE1030ELNS1_3gpuE2ELNS1_3repE0EEENS1_38merge_mergepath_config_static_selectorELNS0_4arch9wavefront6targetE0EEEvSJ_,"axG",@progbits,_ZN7rocprim17ROCPRIM_400000_NS6detail17trampoline_kernelINS0_14default_configENS1_38merge_sort_block_merge_config_selectorIiiEEZZNS1_27merge_sort_block_merge_implIS3_N6thrust23THRUST_200600_302600_NS6detail15normal_iteratorINS8_10device_ptrIiEEEESD_jNS1_19radix_merge_compareILb1ELb1EiNS0_19identity_decomposerEEEEE10hipError_tT0_T1_T2_jT3_P12ihipStream_tbPNSt15iterator_traitsISI_E10value_typeEPNSO_ISJ_E10value_typeEPSK_NS1_7vsmem_tEENKUlT_SI_SJ_SK_E_clIPiSD_S10_SD_EESH_SX_SI_SJ_SK_EUlSX_E0_NS1_11comp_targetILNS1_3genE8ELNS1_11target_archE1030ELNS1_3gpuE2ELNS1_3repE0EEENS1_38merge_mergepath_config_static_selectorELNS0_4arch9wavefront6targetE0EEEvSJ_,comdat
	.protected	_ZN7rocprim17ROCPRIM_400000_NS6detail17trampoline_kernelINS0_14default_configENS1_38merge_sort_block_merge_config_selectorIiiEEZZNS1_27merge_sort_block_merge_implIS3_N6thrust23THRUST_200600_302600_NS6detail15normal_iteratorINS8_10device_ptrIiEEEESD_jNS1_19radix_merge_compareILb1ELb1EiNS0_19identity_decomposerEEEEE10hipError_tT0_T1_T2_jT3_P12ihipStream_tbPNSt15iterator_traitsISI_E10value_typeEPNSO_ISJ_E10value_typeEPSK_NS1_7vsmem_tEENKUlT_SI_SJ_SK_E_clIPiSD_S10_SD_EESH_SX_SI_SJ_SK_EUlSX_E0_NS1_11comp_targetILNS1_3genE8ELNS1_11target_archE1030ELNS1_3gpuE2ELNS1_3repE0EEENS1_38merge_mergepath_config_static_selectorELNS0_4arch9wavefront6targetE0EEEvSJ_ ; -- Begin function _ZN7rocprim17ROCPRIM_400000_NS6detail17trampoline_kernelINS0_14default_configENS1_38merge_sort_block_merge_config_selectorIiiEEZZNS1_27merge_sort_block_merge_implIS3_N6thrust23THRUST_200600_302600_NS6detail15normal_iteratorINS8_10device_ptrIiEEEESD_jNS1_19radix_merge_compareILb1ELb1EiNS0_19identity_decomposerEEEEE10hipError_tT0_T1_T2_jT3_P12ihipStream_tbPNSt15iterator_traitsISI_E10value_typeEPNSO_ISJ_E10value_typeEPSK_NS1_7vsmem_tEENKUlT_SI_SJ_SK_E_clIPiSD_S10_SD_EESH_SX_SI_SJ_SK_EUlSX_E0_NS1_11comp_targetILNS1_3genE8ELNS1_11target_archE1030ELNS1_3gpuE2ELNS1_3repE0EEENS1_38merge_mergepath_config_static_selectorELNS0_4arch9wavefront6targetE0EEEvSJ_
	.globl	_ZN7rocprim17ROCPRIM_400000_NS6detail17trampoline_kernelINS0_14default_configENS1_38merge_sort_block_merge_config_selectorIiiEEZZNS1_27merge_sort_block_merge_implIS3_N6thrust23THRUST_200600_302600_NS6detail15normal_iteratorINS8_10device_ptrIiEEEESD_jNS1_19radix_merge_compareILb1ELb1EiNS0_19identity_decomposerEEEEE10hipError_tT0_T1_T2_jT3_P12ihipStream_tbPNSt15iterator_traitsISI_E10value_typeEPNSO_ISJ_E10value_typeEPSK_NS1_7vsmem_tEENKUlT_SI_SJ_SK_E_clIPiSD_S10_SD_EESH_SX_SI_SJ_SK_EUlSX_E0_NS1_11comp_targetILNS1_3genE8ELNS1_11target_archE1030ELNS1_3gpuE2ELNS1_3repE0EEENS1_38merge_mergepath_config_static_selectorELNS0_4arch9wavefront6targetE0EEEvSJ_
	.p2align	8
	.type	_ZN7rocprim17ROCPRIM_400000_NS6detail17trampoline_kernelINS0_14default_configENS1_38merge_sort_block_merge_config_selectorIiiEEZZNS1_27merge_sort_block_merge_implIS3_N6thrust23THRUST_200600_302600_NS6detail15normal_iteratorINS8_10device_ptrIiEEEESD_jNS1_19radix_merge_compareILb1ELb1EiNS0_19identity_decomposerEEEEE10hipError_tT0_T1_T2_jT3_P12ihipStream_tbPNSt15iterator_traitsISI_E10value_typeEPNSO_ISJ_E10value_typeEPSK_NS1_7vsmem_tEENKUlT_SI_SJ_SK_E_clIPiSD_S10_SD_EESH_SX_SI_SJ_SK_EUlSX_E0_NS1_11comp_targetILNS1_3genE8ELNS1_11target_archE1030ELNS1_3gpuE2ELNS1_3repE0EEENS1_38merge_mergepath_config_static_selectorELNS0_4arch9wavefront6targetE0EEEvSJ_,@function
_ZN7rocprim17ROCPRIM_400000_NS6detail17trampoline_kernelINS0_14default_configENS1_38merge_sort_block_merge_config_selectorIiiEEZZNS1_27merge_sort_block_merge_implIS3_N6thrust23THRUST_200600_302600_NS6detail15normal_iteratorINS8_10device_ptrIiEEEESD_jNS1_19radix_merge_compareILb1ELb1EiNS0_19identity_decomposerEEEEE10hipError_tT0_T1_T2_jT3_P12ihipStream_tbPNSt15iterator_traitsISI_E10value_typeEPNSO_ISJ_E10value_typeEPSK_NS1_7vsmem_tEENKUlT_SI_SJ_SK_E_clIPiSD_S10_SD_EESH_SX_SI_SJ_SK_EUlSX_E0_NS1_11comp_targetILNS1_3genE8ELNS1_11target_archE1030ELNS1_3gpuE2ELNS1_3repE0EEENS1_38merge_mergepath_config_static_selectorELNS0_4arch9wavefront6targetE0EEEvSJ_: ; @_ZN7rocprim17ROCPRIM_400000_NS6detail17trampoline_kernelINS0_14default_configENS1_38merge_sort_block_merge_config_selectorIiiEEZZNS1_27merge_sort_block_merge_implIS3_N6thrust23THRUST_200600_302600_NS6detail15normal_iteratorINS8_10device_ptrIiEEEESD_jNS1_19radix_merge_compareILb1ELb1EiNS0_19identity_decomposerEEEEE10hipError_tT0_T1_T2_jT3_P12ihipStream_tbPNSt15iterator_traitsISI_E10value_typeEPNSO_ISJ_E10value_typeEPSK_NS1_7vsmem_tEENKUlT_SI_SJ_SK_E_clIPiSD_S10_SD_EESH_SX_SI_SJ_SK_EUlSX_E0_NS1_11comp_targetILNS1_3genE8ELNS1_11target_archE1030ELNS1_3gpuE2ELNS1_3repE0EEENS1_38merge_mergepath_config_static_selectorELNS0_4arch9wavefront6targetE0EEEvSJ_
; %bb.0:
	s_clause 0x1
	s_load_dwordx2 s[0:1], s[4:5], 0x40
	s_load_dwordx2 s[12:13], s[4:5], 0x30
	s_waitcnt lgkmcnt(0)
	s_mul_i32 s1, s1, s8
	s_add_i32 s1, s1, s7
	s_mul_i32 s0, s1, s0
	s_add_i32 s16, s0, s6
	s_cmp_ge_u32 s16, s12
	s_cbranch_scc1 .LBB948_24
; %bb.1:
	s_clause 0x1
	s_load_dwordx2 s[10:11], s[4:5], 0x28
	s_load_dwordx2 s[0:1], s[4:5], 0x38
	s_mov_b32 s17, 0
	v_mov_b32_e32 v2, 0
                                        ; implicit-def: $vgpr3
	s_waitcnt lgkmcnt(0)
	s_lshr_b32 s2, s10, 10
	s_cmp_lg_u32 s16, s2
	s_cselect_b32 s12, -1, 0
	s_lshl_b64 s[2:3], s[16:17], 2
	s_add_u32 s0, s0, s2
	s_addc_u32 s1, s1, s3
	s_load_dwordx2 s[14:15], s[0:1], 0x0
	s_lshr_b32 s0, s11, 9
	s_and_b32 s8, s0, 0x7ffffe
	s_load_dwordx8 s[0:7], s[4:5], 0x8
	s_sub_i32 s9, 0, s8
	s_lshl_b32 s8, s16, 10
	s_and_b32 s18, s16, s9
	s_or_b32 s9, s16, s9
	s_lshl_b32 s16, s18, 11
	s_lshl_b32 s18, s18, 10
	s_add_i32 s16, s16, s11
	s_sub_i32 s19, s8, s18
	s_sub_i32 s18, s16, s18
	s_add_i32 s16, s16, s19
	s_min_u32 s19, s10, s18
	s_add_i32 s18, s18, s11
	s_waitcnt lgkmcnt(0)
	s_sub_i32 s20, s16, s14
	s_sub_i32 s21, s16, s15
	s_min_u32 s16, s10, s20
	s_addk_i32 s21, 0x400
	s_cmp_eq_u32 s9, -1
	s_cselect_b32 s9, s18, s21
	s_cselect_b32 s11, s19, s15
	s_min_u32 s9, s9, s10
	s_sub_i32 s11, s11, s14
	s_sub_i32 s18, s9, s16
	s_mov_b32 s15, s17
	s_add_i32 s9, s18, s11
	v_cmp_gt_u32_e32 vcc_lo, s9, v0
	s_or_b32 s19, s12, vcc_lo
	s_and_saveexec_b32 s20, s19
	s_xor_b32 s20, exec_lo, s20
	s_cbranch_execz .LBB948_3
; %bb.2:
	v_lshlrev_b32_e32 v1, 2, v0
	s_lshl_b64 s[22:23], s[14:15], 2
	s_add_u32 s21, s0, s22
	s_addc_u32 s22, s1, s23
	v_add_co_u32 v3, s21, s21, v1
	v_sub_co_u32 v1, vcc_lo, v0, s11
	v_add_co_ci_u32_e64 v4, null, s22, 0, s21
	s_lshl_b64 s[22:23], s[16:17], 2
	v_lshlrev_b64 v[1:2], 2, v[1:2]
	s_add_u32 s0, s0, s22
	s_addc_u32 s1, s1, s23
	v_add_co_u32 v1, s0, s0, v1
	v_add_co_ci_u32_e64 v2, null, s1, v2, s0
	v_cndmask_b32_e32 v1, v1, v3, vcc_lo
	v_cndmask_b32_e32 v2, v2, v4, vcc_lo
	global_load_dword v3, v[1:2], off
.LBB948_3:
	s_andn2_saveexec_b32 s0, s20
; %bb.4:
                                        ; implicit-def: $vgpr3
; %bb.5:
	s_or_b32 exec_lo, exec_lo, s0
	v_lshlrev_b32_e32 v1, 2, v0
                                        ; implicit-def: $vgpr2
	s_waitcnt vmcnt(0)
	ds_write_b32 v1, v3
	s_and_saveexec_b32 s1, s19
	s_cbranch_execz .LBB948_7
; %bb.6:
	v_mov_b32_e32 v5, 0
	v_sub_co_u32 v4, vcc_lo, v0, s11
	s_lshl_b64 s[14:15], s[14:15], 2
	s_add_u32 s0, s4, s14
	s_addc_u32 s14, s5, s15
	v_add_co_u32 v2, s0, s0, v1
	v_lshlrev_b64 v[4:5], 2, v[4:5]
	v_add_co_ci_u32_e64 v6, null, s14, 0, s0
	s_lshl_b64 s[14:15], s[16:17], 2
	s_add_u32 s0, s4, s14
	s_addc_u32 s4, s5, s15
	v_add_co_u32 v4, s0, s0, v4
	v_add_co_ci_u32_e64 v5, null, s4, v5, s0
	v_cndmask_b32_e32 v4, v4, v2, vcc_lo
	v_cndmask_b32_e32 v5, v5, v6, vcc_lo
	global_load_dword v2, v[4:5], off
.LBB948_7:
	s_or_b32 exec_lo, exec_lo, s1
	v_min_u32_e32 v5, s9, v0
	s_mov_b32 s0, exec_lo
	s_waitcnt vmcnt(0) lgkmcnt(0)
	s_barrier
	buffer_gl0_inv
	v_sub_nc_u32_e64 v4, v5, s18 clamp
	v_min_u32_e32 v6, s11, v5
	v_cmpx_lt_u32_e64 v4, v6
	s_cbranch_execz .LBB948_11
; %bb.8:
	v_lshlrev_b32_e32 v7, 2, v5
	s_mov_b32 s1, 0
	v_lshl_add_u32 v7, s11, 2, v7
	.p2align	6
.LBB948_9:                              ; =>This Inner Loop Header: Depth=1
	v_add_nc_u32_e32 v8, v6, v4
	v_lshrrev_b32_e32 v8, 1, v8
	v_not_b32_e32 v9, v8
	v_lshlrev_b32_e32 v10, 2, v8
	v_add_nc_u32_e32 v11, 1, v8
	v_lshl_add_u32 v9, v9, 2, v7
	ds_read_b32 v10, v10
	ds_read_b32 v9, v9
	s_waitcnt lgkmcnt(1)
	v_and_b32_e32 v10, s13, v10
	s_waitcnt lgkmcnt(0)
	v_and_b32_e32 v9, s13, v9
	v_cmp_gt_i32_e32 vcc_lo, v9, v10
	v_cndmask_b32_e32 v6, v6, v8, vcc_lo
	v_cndmask_b32_e32 v4, v11, v4, vcc_lo
	v_cmp_ge_u32_e32 vcc_lo, v4, v6
	s_or_b32 s1, vcc_lo, s1
	s_andn2_b32 exec_lo, exec_lo, s1
	s_cbranch_execnz .LBB948_9
; %bb.10:
	s_or_b32 exec_lo, exec_lo, s1
.LBB948_11:
	s_or_b32 exec_lo, exec_lo, s0
	v_sub_nc_u32_e32 v5, v5, v4
	v_cmp_ge_u32_e32 vcc_lo, s11, v4
	v_mov_b32_e32 v6, 0
	v_add_nc_u32_e32 v5, s11, v5
	v_cmp_ge_u32_e64 s0, s9, v5
	s_or_b32 s0, vcc_lo, s0
	s_and_saveexec_b32 s4, s0
	s_cbranch_execz .LBB948_17
; %bb.12:
	v_cmp_gt_u32_e32 vcc_lo, s11, v4
                                        ; implicit-def: $vgpr3
	s_and_saveexec_b32 s0, vcc_lo
; %bb.13:
	v_lshlrev_b32_e32 v3, 2, v4
	ds_read_b32 v3, v3
; %bb.14:
	s_or_b32 exec_lo, exec_lo, s0
	v_cmp_le_u32_e64 s0, s9, v5
	s_mov_b32 s5, exec_lo
                                        ; implicit-def: $vgpr7
	v_cmpx_gt_u32_e64 s9, v5
; %bb.15:
	v_lshlrev_b32_e32 v6, 2, v5
	ds_read_b32 v7, v6
; %bb.16:
	s_or_b32 exec_lo, exec_lo, s5
	s_waitcnt lgkmcnt(0)
	v_and_b32_e32 v6, s13, v7
	v_and_b32_e32 v8, s13, v3
	v_cmp_le_i32_e64 s1, v6, v8
	s_and_b32 s1, vcc_lo, s1
	s_or_b32 vcc_lo, s0, s1
	v_cndmask_b32_e32 v6, v5, v4, vcc_lo
	v_cndmask_b32_e32 v3, v7, v3, vcc_lo
.LBB948_17:
	s_or_b32 exec_lo, exec_lo, s4
	v_lshlrev_b32_e32 v4, 2, v6
	s_barrier
	buffer_gl0_inv
	ds_write_b32 v1, v2
	s_waitcnt lgkmcnt(0)
	s_barrier
	buffer_gl0_inv
	ds_read_b32 v2, v4
	s_mov_b32 s9, 0
	s_and_b32 vcc_lo, exec_lo, s12
	s_mov_b32 s0, -1
	s_waitcnt lgkmcnt(0)
	s_barrier
	buffer_gl0_inv
	s_barrier
	buffer_gl0_inv
	ds_write_b32 v1, v3
	s_waitcnt lgkmcnt(0)
	s_cbranch_vccz .LBB948_19
; %bb.18:
	s_barrier
	buffer_gl0_inv
	ds_read_b32 v3, v1
	s_lshl_b64 s[0:1], s[8:9], 2
	s_add_u32 s4, s2, s0
	s_addc_u32 s5, s3, s1
	s_waitcnt lgkmcnt(0)
	global_store_dword v1, v3, s[4:5]
	s_waitcnt_vscnt null, 0x0
	s_barrier
	buffer_gl0_inv
	ds_write_b32 v1, v2
	s_waitcnt lgkmcnt(0)
	s_barrier
	buffer_gl0_inv
	ds_read_b32 v3, v1
	s_add_u32 s4, s6, s0
	s_addc_u32 s5, s7, s1
	s_mov_b32 s0, s9
	s_waitcnt lgkmcnt(0)
	global_store_dword v1, v3, s[4:5]
.LBB948_19:
	s_andn2_b32 vcc_lo, exec_lo, s0
	s_cbranch_vccnz .LBB948_24
; %bb.20:
	s_sub_i32 s0, s10, s8
	s_barrier
	v_cmp_gt_u32_e32 vcc_lo, s0, v0
	s_waitcnt_vscnt null, 0x0
	buffer_gl0_inv
	s_and_saveexec_b32 s0, vcc_lo
	s_cbranch_execz .LBB948_22
; %bb.21:
	ds_read_b32 v0, v1
	s_lshl_b64 s[4:5], s[8:9], 2
	s_add_u32 s2, s2, s4
	s_addc_u32 s3, s3, s5
	s_waitcnt lgkmcnt(0)
	global_store_dword v1, v0, s[2:3]
.LBB948_22:
	s_or_b32 exec_lo, exec_lo, s0
	s_waitcnt_vscnt null, 0x0
	s_barrier
	buffer_gl0_inv
	ds_write_b32 v1, v2
	s_waitcnt lgkmcnt(0)
	s_barrier
	buffer_gl0_inv
	s_and_saveexec_b32 s0, vcc_lo
	s_cbranch_execz .LBB948_24
; %bb.23:
	ds_read_b32 v0, v1
	s_lshl_b64 s[0:1], s[8:9], 2
	s_add_u32 s0, s6, s0
	s_addc_u32 s1, s7, s1
	s_waitcnt lgkmcnt(0)
	global_store_dword v1, v0, s[0:1]
.LBB948_24:
	s_endpgm
	.section	.rodata,"a",@progbits
	.p2align	6, 0x0
	.amdhsa_kernel _ZN7rocprim17ROCPRIM_400000_NS6detail17trampoline_kernelINS0_14default_configENS1_38merge_sort_block_merge_config_selectorIiiEEZZNS1_27merge_sort_block_merge_implIS3_N6thrust23THRUST_200600_302600_NS6detail15normal_iteratorINS8_10device_ptrIiEEEESD_jNS1_19radix_merge_compareILb1ELb1EiNS0_19identity_decomposerEEEEE10hipError_tT0_T1_T2_jT3_P12ihipStream_tbPNSt15iterator_traitsISI_E10value_typeEPNSO_ISJ_E10value_typeEPSK_NS1_7vsmem_tEENKUlT_SI_SJ_SK_E_clIPiSD_S10_SD_EESH_SX_SI_SJ_SK_EUlSX_E0_NS1_11comp_targetILNS1_3genE8ELNS1_11target_archE1030ELNS1_3gpuE2ELNS1_3repE0EEENS1_38merge_mergepath_config_static_selectorELNS0_4arch9wavefront6targetE0EEEvSJ_
		.amdhsa_group_segment_fixed_size 4112
		.amdhsa_private_segment_fixed_size 0
		.amdhsa_kernarg_size 320
		.amdhsa_user_sgpr_count 6
		.amdhsa_user_sgpr_private_segment_buffer 1
		.amdhsa_user_sgpr_dispatch_ptr 0
		.amdhsa_user_sgpr_queue_ptr 0
		.amdhsa_user_sgpr_kernarg_segment_ptr 1
		.amdhsa_user_sgpr_dispatch_id 0
		.amdhsa_user_sgpr_flat_scratch_init 0
		.amdhsa_user_sgpr_private_segment_size 0
		.amdhsa_wavefront_size32 1
		.amdhsa_uses_dynamic_stack 0
		.amdhsa_system_sgpr_private_segment_wavefront_offset 0
		.amdhsa_system_sgpr_workgroup_id_x 1
		.amdhsa_system_sgpr_workgroup_id_y 1
		.amdhsa_system_sgpr_workgroup_id_z 1
		.amdhsa_system_sgpr_workgroup_info 0
		.amdhsa_system_vgpr_workitem_id 0
		.amdhsa_next_free_vgpr 12
		.amdhsa_next_free_sgpr 24
		.amdhsa_reserve_vcc 1
		.amdhsa_reserve_flat_scratch 0
		.amdhsa_float_round_mode_32 0
		.amdhsa_float_round_mode_16_64 0
		.amdhsa_float_denorm_mode_32 3
		.amdhsa_float_denorm_mode_16_64 3
		.amdhsa_dx10_clamp 1
		.amdhsa_ieee_mode 1
		.amdhsa_fp16_overflow 0
		.amdhsa_workgroup_processor_mode 1
		.amdhsa_memory_ordered 1
		.amdhsa_forward_progress 1
		.amdhsa_shared_vgpr_count 0
		.amdhsa_exception_fp_ieee_invalid_op 0
		.amdhsa_exception_fp_denorm_src 0
		.amdhsa_exception_fp_ieee_div_zero 0
		.amdhsa_exception_fp_ieee_overflow 0
		.amdhsa_exception_fp_ieee_underflow 0
		.amdhsa_exception_fp_ieee_inexact 0
		.amdhsa_exception_int_div_zero 0
	.end_amdhsa_kernel
	.section	.text._ZN7rocprim17ROCPRIM_400000_NS6detail17trampoline_kernelINS0_14default_configENS1_38merge_sort_block_merge_config_selectorIiiEEZZNS1_27merge_sort_block_merge_implIS3_N6thrust23THRUST_200600_302600_NS6detail15normal_iteratorINS8_10device_ptrIiEEEESD_jNS1_19radix_merge_compareILb1ELb1EiNS0_19identity_decomposerEEEEE10hipError_tT0_T1_T2_jT3_P12ihipStream_tbPNSt15iterator_traitsISI_E10value_typeEPNSO_ISJ_E10value_typeEPSK_NS1_7vsmem_tEENKUlT_SI_SJ_SK_E_clIPiSD_S10_SD_EESH_SX_SI_SJ_SK_EUlSX_E0_NS1_11comp_targetILNS1_3genE8ELNS1_11target_archE1030ELNS1_3gpuE2ELNS1_3repE0EEENS1_38merge_mergepath_config_static_selectorELNS0_4arch9wavefront6targetE0EEEvSJ_,"axG",@progbits,_ZN7rocprim17ROCPRIM_400000_NS6detail17trampoline_kernelINS0_14default_configENS1_38merge_sort_block_merge_config_selectorIiiEEZZNS1_27merge_sort_block_merge_implIS3_N6thrust23THRUST_200600_302600_NS6detail15normal_iteratorINS8_10device_ptrIiEEEESD_jNS1_19radix_merge_compareILb1ELb1EiNS0_19identity_decomposerEEEEE10hipError_tT0_T1_T2_jT3_P12ihipStream_tbPNSt15iterator_traitsISI_E10value_typeEPNSO_ISJ_E10value_typeEPSK_NS1_7vsmem_tEENKUlT_SI_SJ_SK_E_clIPiSD_S10_SD_EESH_SX_SI_SJ_SK_EUlSX_E0_NS1_11comp_targetILNS1_3genE8ELNS1_11target_archE1030ELNS1_3gpuE2ELNS1_3repE0EEENS1_38merge_mergepath_config_static_selectorELNS0_4arch9wavefront6targetE0EEEvSJ_,comdat
.Lfunc_end948:
	.size	_ZN7rocprim17ROCPRIM_400000_NS6detail17trampoline_kernelINS0_14default_configENS1_38merge_sort_block_merge_config_selectorIiiEEZZNS1_27merge_sort_block_merge_implIS3_N6thrust23THRUST_200600_302600_NS6detail15normal_iteratorINS8_10device_ptrIiEEEESD_jNS1_19radix_merge_compareILb1ELb1EiNS0_19identity_decomposerEEEEE10hipError_tT0_T1_T2_jT3_P12ihipStream_tbPNSt15iterator_traitsISI_E10value_typeEPNSO_ISJ_E10value_typeEPSK_NS1_7vsmem_tEENKUlT_SI_SJ_SK_E_clIPiSD_S10_SD_EESH_SX_SI_SJ_SK_EUlSX_E0_NS1_11comp_targetILNS1_3genE8ELNS1_11target_archE1030ELNS1_3gpuE2ELNS1_3repE0EEENS1_38merge_mergepath_config_static_selectorELNS0_4arch9wavefront6targetE0EEEvSJ_, .Lfunc_end948-_ZN7rocprim17ROCPRIM_400000_NS6detail17trampoline_kernelINS0_14default_configENS1_38merge_sort_block_merge_config_selectorIiiEEZZNS1_27merge_sort_block_merge_implIS3_N6thrust23THRUST_200600_302600_NS6detail15normal_iteratorINS8_10device_ptrIiEEEESD_jNS1_19radix_merge_compareILb1ELb1EiNS0_19identity_decomposerEEEEE10hipError_tT0_T1_T2_jT3_P12ihipStream_tbPNSt15iterator_traitsISI_E10value_typeEPNSO_ISJ_E10value_typeEPSK_NS1_7vsmem_tEENKUlT_SI_SJ_SK_E_clIPiSD_S10_SD_EESH_SX_SI_SJ_SK_EUlSX_E0_NS1_11comp_targetILNS1_3genE8ELNS1_11target_archE1030ELNS1_3gpuE2ELNS1_3repE0EEENS1_38merge_mergepath_config_static_selectorELNS0_4arch9wavefront6targetE0EEEvSJ_
                                        ; -- End function
	.set _ZN7rocprim17ROCPRIM_400000_NS6detail17trampoline_kernelINS0_14default_configENS1_38merge_sort_block_merge_config_selectorIiiEEZZNS1_27merge_sort_block_merge_implIS3_N6thrust23THRUST_200600_302600_NS6detail15normal_iteratorINS8_10device_ptrIiEEEESD_jNS1_19radix_merge_compareILb1ELb1EiNS0_19identity_decomposerEEEEE10hipError_tT0_T1_T2_jT3_P12ihipStream_tbPNSt15iterator_traitsISI_E10value_typeEPNSO_ISJ_E10value_typeEPSK_NS1_7vsmem_tEENKUlT_SI_SJ_SK_E_clIPiSD_S10_SD_EESH_SX_SI_SJ_SK_EUlSX_E0_NS1_11comp_targetILNS1_3genE8ELNS1_11target_archE1030ELNS1_3gpuE2ELNS1_3repE0EEENS1_38merge_mergepath_config_static_selectorELNS0_4arch9wavefront6targetE0EEEvSJ_.num_vgpr, 12
	.set _ZN7rocprim17ROCPRIM_400000_NS6detail17trampoline_kernelINS0_14default_configENS1_38merge_sort_block_merge_config_selectorIiiEEZZNS1_27merge_sort_block_merge_implIS3_N6thrust23THRUST_200600_302600_NS6detail15normal_iteratorINS8_10device_ptrIiEEEESD_jNS1_19radix_merge_compareILb1ELb1EiNS0_19identity_decomposerEEEEE10hipError_tT0_T1_T2_jT3_P12ihipStream_tbPNSt15iterator_traitsISI_E10value_typeEPNSO_ISJ_E10value_typeEPSK_NS1_7vsmem_tEENKUlT_SI_SJ_SK_E_clIPiSD_S10_SD_EESH_SX_SI_SJ_SK_EUlSX_E0_NS1_11comp_targetILNS1_3genE8ELNS1_11target_archE1030ELNS1_3gpuE2ELNS1_3repE0EEENS1_38merge_mergepath_config_static_selectorELNS0_4arch9wavefront6targetE0EEEvSJ_.num_agpr, 0
	.set _ZN7rocprim17ROCPRIM_400000_NS6detail17trampoline_kernelINS0_14default_configENS1_38merge_sort_block_merge_config_selectorIiiEEZZNS1_27merge_sort_block_merge_implIS3_N6thrust23THRUST_200600_302600_NS6detail15normal_iteratorINS8_10device_ptrIiEEEESD_jNS1_19radix_merge_compareILb1ELb1EiNS0_19identity_decomposerEEEEE10hipError_tT0_T1_T2_jT3_P12ihipStream_tbPNSt15iterator_traitsISI_E10value_typeEPNSO_ISJ_E10value_typeEPSK_NS1_7vsmem_tEENKUlT_SI_SJ_SK_E_clIPiSD_S10_SD_EESH_SX_SI_SJ_SK_EUlSX_E0_NS1_11comp_targetILNS1_3genE8ELNS1_11target_archE1030ELNS1_3gpuE2ELNS1_3repE0EEENS1_38merge_mergepath_config_static_selectorELNS0_4arch9wavefront6targetE0EEEvSJ_.numbered_sgpr, 24
	.set _ZN7rocprim17ROCPRIM_400000_NS6detail17trampoline_kernelINS0_14default_configENS1_38merge_sort_block_merge_config_selectorIiiEEZZNS1_27merge_sort_block_merge_implIS3_N6thrust23THRUST_200600_302600_NS6detail15normal_iteratorINS8_10device_ptrIiEEEESD_jNS1_19radix_merge_compareILb1ELb1EiNS0_19identity_decomposerEEEEE10hipError_tT0_T1_T2_jT3_P12ihipStream_tbPNSt15iterator_traitsISI_E10value_typeEPNSO_ISJ_E10value_typeEPSK_NS1_7vsmem_tEENKUlT_SI_SJ_SK_E_clIPiSD_S10_SD_EESH_SX_SI_SJ_SK_EUlSX_E0_NS1_11comp_targetILNS1_3genE8ELNS1_11target_archE1030ELNS1_3gpuE2ELNS1_3repE0EEENS1_38merge_mergepath_config_static_selectorELNS0_4arch9wavefront6targetE0EEEvSJ_.num_named_barrier, 0
	.set _ZN7rocprim17ROCPRIM_400000_NS6detail17trampoline_kernelINS0_14default_configENS1_38merge_sort_block_merge_config_selectorIiiEEZZNS1_27merge_sort_block_merge_implIS3_N6thrust23THRUST_200600_302600_NS6detail15normal_iteratorINS8_10device_ptrIiEEEESD_jNS1_19radix_merge_compareILb1ELb1EiNS0_19identity_decomposerEEEEE10hipError_tT0_T1_T2_jT3_P12ihipStream_tbPNSt15iterator_traitsISI_E10value_typeEPNSO_ISJ_E10value_typeEPSK_NS1_7vsmem_tEENKUlT_SI_SJ_SK_E_clIPiSD_S10_SD_EESH_SX_SI_SJ_SK_EUlSX_E0_NS1_11comp_targetILNS1_3genE8ELNS1_11target_archE1030ELNS1_3gpuE2ELNS1_3repE0EEENS1_38merge_mergepath_config_static_selectorELNS0_4arch9wavefront6targetE0EEEvSJ_.private_seg_size, 0
	.set _ZN7rocprim17ROCPRIM_400000_NS6detail17trampoline_kernelINS0_14default_configENS1_38merge_sort_block_merge_config_selectorIiiEEZZNS1_27merge_sort_block_merge_implIS3_N6thrust23THRUST_200600_302600_NS6detail15normal_iteratorINS8_10device_ptrIiEEEESD_jNS1_19radix_merge_compareILb1ELb1EiNS0_19identity_decomposerEEEEE10hipError_tT0_T1_T2_jT3_P12ihipStream_tbPNSt15iterator_traitsISI_E10value_typeEPNSO_ISJ_E10value_typeEPSK_NS1_7vsmem_tEENKUlT_SI_SJ_SK_E_clIPiSD_S10_SD_EESH_SX_SI_SJ_SK_EUlSX_E0_NS1_11comp_targetILNS1_3genE8ELNS1_11target_archE1030ELNS1_3gpuE2ELNS1_3repE0EEENS1_38merge_mergepath_config_static_selectorELNS0_4arch9wavefront6targetE0EEEvSJ_.uses_vcc, 1
	.set _ZN7rocprim17ROCPRIM_400000_NS6detail17trampoline_kernelINS0_14default_configENS1_38merge_sort_block_merge_config_selectorIiiEEZZNS1_27merge_sort_block_merge_implIS3_N6thrust23THRUST_200600_302600_NS6detail15normal_iteratorINS8_10device_ptrIiEEEESD_jNS1_19radix_merge_compareILb1ELb1EiNS0_19identity_decomposerEEEEE10hipError_tT0_T1_T2_jT3_P12ihipStream_tbPNSt15iterator_traitsISI_E10value_typeEPNSO_ISJ_E10value_typeEPSK_NS1_7vsmem_tEENKUlT_SI_SJ_SK_E_clIPiSD_S10_SD_EESH_SX_SI_SJ_SK_EUlSX_E0_NS1_11comp_targetILNS1_3genE8ELNS1_11target_archE1030ELNS1_3gpuE2ELNS1_3repE0EEENS1_38merge_mergepath_config_static_selectorELNS0_4arch9wavefront6targetE0EEEvSJ_.uses_flat_scratch, 0
	.set _ZN7rocprim17ROCPRIM_400000_NS6detail17trampoline_kernelINS0_14default_configENS1_38merge_sort_block_merge_config_selectorIiiEEZZNS1_27merge_sort_block_merge_implIS3_N6thrust23THRUST_200600_302600_NS6detail15normal_iteratorINS8_10device_ptrIiEEEESD_jNS1_19radix_merge_compareILb1ELb1EiNS0_19identity_decomposerEEEEE10hipError_tT0_T1_T2_jT3_P12ihipStream_tbPNSt15iterator_traitsISI_E10value_typeEPNSO_ISJ_E10value_typeEPSK_NS1_7vsmem_tEENKUlT_SI_SJ_SK_E_clIPiSD_S10_SD_EESH_SX_SI_SJ_SK_EUlSX_E0_NS1_11comp_targetILNS1_3genE8ELNS1_11target_archE1030ELNS1_3gpuE2ELNS1_3repE0EEENS1_38merge_mergepath_config_static_selectorELNS0_4arch9wavefront6targetE0EEEvSJ_.has_dyn_sized_stack, 0
	.set _ZN7rocprim17ROCPRIM_400000_NS6detail17trampoline_kernelINS0_14default_configENS1_38merge_sort_block_merge_config_selectorIiiEEZZNS1_27merge_sort_block_merge_implIS3_N6thrust23THRUST_200600_302600_NS6detail15normal_iteratorINS8_10device_ptrIiEEEESD_jNS1_19radix_merge_compareILb1ELb1EiNS0_19identity_decomposerEEEEE10hipError_tT0_T1_T2_jT3_P12ihipStream_tbPNSt15iterator_traitsISI_E10value_typeEPNSO_ISJ_E10value_typeEPSK_NS1_7vsmem_tEENKUlT_SI_SJ_SK_E_clIPiSD_S10_SD_EESH_SX_SI_SJ_SK_EUlSX_E0_NS1_11comp_targetILNS1_3genE8ELNS1_11target_archE1030ELNS1_3gpuE2ELNS1_3repE0EEENS1_38merge_mergepath_config_static_selectorELNS0_4arch9wavefront6targetE0EEEvSJ_.has_recursion, 0
	.set _ZN7rocprim17ROCPRIM_400000_NS6detail17trampoline_kernelINS0_14default_configENS1_38merge_sort_block_merge_config_selectorIiiEEZZNS1_27merge_sort_block_merge_implIS3_N6thrust23THRUST_200600_302600_NS6detail15normal_iteratorINS8_10device_ptrIiEEEESD_jNS1_19radix_merge_compareILb1ELb1EiNS0_19identity_decomposerEEEEE10hipError_tT0_T1_T2_jT3_P12ihipStream_tbPNSt15iterator_traitsISI_E10value_typeEPNSO_ISJ_E10value_typeEPSK_NS1_7vsmem_tEENKUlT_SI_SJ_SK_E_clIPiSD_S10_SD_EESH_SX_SI_SJ_SK_EUlSX_E0_NS1_11comp_targetILNS1_3genE8ELNS1_11target_archE1030ELNS1_3gpuE2ELNS1_3repE0EEENS1_38merge_mergepath_config_static_selectorELNS0_4arch9wavefront6targetE0EEEvSJ_.has_indirect_call, 0
	.section	.AMDGPU.csdata,"",@progbits
; Kernel info:
; codeLenInByte = 1188
; TotalNumSgprs: 26
; NumVgprs: 12
; ScratchSize: 0
; MemoryBound: 0
; FloatMode: 240
; IeeeMode: 1
; LDSByteSize: 4112 bytes/workgroup (compile time only)
; SGPRBlocks: 0
; VGPRBlocks: 1
; NumSGPRsForWavesPerEU: 26
; NumVGPRsForWavesPerEU: 12
; Occupancy: 16
; WaveLimiterHint : 1
; COMPUTE_PGM_RSRC2:SCRATCH_EN: 0
; COMPUTE_PGM_RSRC2:USER_SGPR: 6
; COMPUTE_PGM_RSRC2:TRAP_HANDLER: 0
; COMPUTE_PGM_RSRC2:TGID_X_EN: 1
; COMPUTE_PGM_RSRC2:TGID_Y_EN: 1
; COMPUTE_PGM_RSRC2:TGID_Z_EN: 1
; COMPUTE_PGM_RSRC2:TIDIG_COMP_CNT: 0
	.section	.text._ZN7rocprim17ROCPRIM_400000_NS6detail17trampoline_kernelINS0_14default_configENS1_38merge_sort_block_merge_config_selectorIiiEEZZNS1_27merge_sort_block_merge_implIS3_N6thrust23THRUST_200600_302600_NS6detail15normal_iteratorINS8_10device_ptrIiEEEESD_jNS1_19radix_merge_compareILb1ELb1EiNS0_19identity_decomposerEEEEE10hipError_tT0_T1_T2_jT3_P12ihipStream_tbPNSt15iterator_traitsISI_E10value_typeEPNSO_ISJ_E10value_typeEPSK_NS1_7vsmem_tEENKUlT_SI_SJ_SK_E_clIPiSD_S10_SD_EESH_SX_SI_SJ_SK_EUlSX_E1_NS1_11comp_targetILNS1_3genE0ELNS1_11target_archE4294967295ELNS1_3gpuE0ELNS1_3repE0EEENS1_36merge_oddeven_config_static_selectorELNS0_4arch9wavefront6targetE0EEEvSJ_,"axG",@progbits,_ZN7rocprim17ROCPRIM_400000_NS6detail17trampoline_kernelINS0_14default_configENS1_38merge_sort_block_merge_config_selectorIiiEEZZNS1_27merge_sort_block_merge_implIS3_N6thrust23THRUST_200600_302600_NS6detail15normal_iteratorINS8_10device_ptrIiEEEESD_jNS1_19radix_merge_compareILb1ELb1EiNS0_19identity_decomposerEEEEE10hipError_tT0_T1_T2_jT3_P12ihipStream_tbPNSt15iterator_traitsISI_E10value_typeEPNSO_ISJ_E10value_typeEPSK_NS1_7vsmem_tEENKUlT_SI_SJ_SK_E_clIPiSD_S10_SD_EESH_SX_SI_SJ_SK_EUlSX_E1_NS1_11comp_targetILNS1_3genE0ELNS1_11target_archE4294967295ELNS1_3gpuE0ELNS1_3repE0EEENS1_36merge_oddeven_config_static_selectorELNS0_4arch9wavefront6targetE0EEEvSJ_,comdat
	.protected	_ZN7rocprim17ROCPRIM_400000_NS6detail17trampoline_kernelINS0_14default_configENS1_38merge_sort_block_merge_config_selectorIiiEEZZNS1_27merge_sort_block_merge_implIS3_N6thrust23THRUST_200600_302600_NS6detail15normal_iteratorINS8_10device_ptrIiEEEESD_jNS1_19radix_merge_compareILb1ELb1EiNS0_19identity_decomposerEEEEE10hipError_tT0_T1_T2_jT3_P12ihipStream_tbPNSt15iterator_traitsISI_E10value_typeEPNSO_ISJ_E10value_typeEPSK_NS1_7vsmem_tEENKUlT_SI_SJ_SK_E_clIPiSD_S10_SD_EESH_SX_SI_SJ_SK_EUlSX_E1_NS1_11comp_targetILNS1_3genE0ELNS1_11target_archE4294967295ELNS1_3gpuE0ELNS1_3repE0EEENS1_36merge_oddeven_config_static_selectorELNS0_4arch9wavefront6targetE0EEEvSJ_ ; -- Begin function _ZN7rocprim17ROCPRIM_400000_NS6detail17trampoline_kernelINS0_14default_configENS1_38merge_sort_block_merge_config_selectorIiiEEZZNS1_27merge_sort_block_merge_implIS3_N6thrust23THRUST_200600_302600_NS6detail15normal_iteratorINS8_10device_ptrIiEEEESD_jNS1_19radix_merge_compareILb1ELb1EiNS0_19identity_decomposerEEEEE10hipError_tT0_T1_T2_jT3_P12ihipStream_tbPNSt15iterator_traitsISI_E10value_typeEPNSO_ISJ_E10value_typeEPSK_NS1_7vsmem_tEENKUlT_SI_SJ_SK_E_clIPiSD_S10_SD_EESH_SX_SI_SJ_SK_EUlSX_E1_NS1_11comp_targetILNS1_3genE0ELNS1_11target_archE4294967295ELNS1_3gpuE0ELNS1_3repE0EEENS1_36merge_oddeven_config_static_selectorELNS0_4arch9wavefront6targetE0EEEvSJ_
	.globl	_ZN7rocprim17ROCPRIM_400000_NS6detail17trampoline_kernelINS0_14default_configENS1_38merge_sort_block_merge_config_selectorIiiEEZZNS1_27merge_sort_block_merge_implIS3_N6thrust23THRUST_200600_302600_NS6detail15normal_iteratorINS8_10device_ptrIiEEEESD_jNS1_19radix_merge_compareILb1ELb1EiNS0_19identity_decomposerEEEEE10hipError_tT0_T1_T2_jT3_P12ihipStream_tbPNSt15iterator_traitsISI_E10value_typeEPNSO_ISJ_E10value_typeEPSK_NS1_7vsmem_tEENKUlT_SI_SJ_SK_E_clIPiSD_S10_SD_EESH_SX_SI_SJ_SK_EUlSX_E1_NS1_11comp_targetILNS1_3genE0ELNS1_11target_archE4294967295ELNS1_3gpuE0ELNS1_3repE0EEENS1_36merge_oddeven_config_static_selectorELNS0_4arch9wavefront6targetE0EEEvSJ_
	.p2align	8
	.type	_ZN7rocprim17ROCPRIM_400000_NS6detail17trampoline_kernelINS0_14default_configENS1_38merge_sort_block_merge_config_selectorIiiEEZZNS1_27merge_sort_block_merge_implIS3_N6thrust23THRUST_200600_302600_NS6detail15normal_iteratorINS8_10device_ptrIiEEEESD_jNS1_19radix_merge_compareILb1ELb1EiNS0_19identity_decomposerEEEEE10hipError_tT0_T1_T2_jT3_P12ihipStream_tbPNSt15iterator_traitsISI_E10value_typeEPNSO_ISJ_E10value_typeEPSK_NS1_7vsmem_tEENKUlT_SI_SJ_SK_E_clIPiSD_S10_SD_EESH_SX_SI_SJ_SK_EUlSX_E1_NS1_11comp_targetILNS1_3genE0ELNS1_11target_archE4294967295ELNS1_3gpuE0ELNS1_3repE0EEENS1_36merge_oddeven_config_static_selectorELNS0_4arch9wavefront6targetE0EEEvSJ_,@function
_ZN7rocprim17ROCPRIM_400000_NS6detail17trampoline_kernelINS0_14default_configENS1_38merge_sort_block_merge_config_selectorIiiEEZZNS1_27merge_sort_block_merge_implIS3_N6thrust23THRUST_200600_302600_NS6detail15normal_iteratorINS8_10device_ptrIiEEEESD_jNS1_19radix_merge_compareILb1ELb1EiNS0_19identity_decomposerEEEEE10hipError_tT0_T1_T2_jT3_P12ihipStream_tbPNSt15iterator_traitsISI_E10value_typeEPNSO_ISJ_E10value_typeEPSK_NS1_7vsmem_tEENKUlT_SI_SJ_SK_E_clIPiSD_S10_SD_EESH_SX_SI_SJ_SK_EUlSX_E1_NS1_11comp_targetILNS1_3genE0ELNS1_11target_archE4294967295ELNS1_3gpuE0ELNS1_3repE0EEENS1_36merge_oddeven_config_static_selectorELNS0_4arch9wavefront6targetE0EEEvSJ_: ; @_ZN7rocprim17ROCPRIM_400000_NS6detail17trampoline_kernelINS0_14default_configENS1_38merge_sort_block_merge_config_selectorIiiEEZZNS1_27merge_sort_block_merge_implIS3_N6thrust23THRUST_200600_302600_NS6detail15normal_iteratorINS8_10device_ptrIiEEEESD_jNS1_19radix_merge_compareILb1ELb1EiNS0_19identity_decomposerEEEEE10hipError_tT0_T1_T2_jT3_P12ihipStream_tbPNSt15iterator_traitsISI_E10value_typeEPNSO_ISJ_E10value_typeEPSK_NS1_7vsmem_tEENKUlT_SI_SJ_SK_E_clIPiSD_S10_SD_EESH_SX_SI_SJ_SK_EUlSX_E1_NS1_11comp_targetILNS1_3genE0ELNS1_11target_archE4294967295ELNS1_3gpuE0ELNS1_3repE0EEENS1_36merge_oddeven_config_static_selectorELNS0_4arch9wavefront6targetE0EEEvSJ_
; %bb.0:
	.section	.rodata,"a",@progbits
	.p2align	6, 0x0
	.amdhsa_kernel _ZN7rocprim17ROCPRIM_400000_NS6detail17trampoline_kernelINS0_14default_configENS1_38merge_sort_block_merge_config_selectorIiiEEZZNS1_27merge_sort_block_merge_implIS3_N6thrust23THRUST_200600_302600_NS6detail15normal_iteratorINS8_10device_ptrIiEEEESD_jNS1_19radix_merge_compareILb1ELb1EiNS0_19identity_decomposerEEEEE10hipError_tT0_T1_T2_jT3_P12ihipStream_tbPNSt15iterator_traitsISI_E10value_typeEPNSO_ISJ_E10value_typeEPSK_NS1_7vsmem_tEENKUlT_SI_SJ_SK_E_clIPiSD_S10_SD_EESH_SX_SI_SJ_SK_EUlSX_E1_NS1_11comp_targetILNS1_3genE0ELNS1_11target_archE4294967295ELNS1_3gpuE0ELNS1_3repE0EEENS1_36merge_oddeven_config_static_selectorELNS0_4arch9wavefront6targetE0EEEvSJ_
		.amdhsa_group_segment_fixed_size 0
		.amdhsa_private_segment_fixed_size 0
		.amdhsa_kernarg_size 48
		.amdhsa_user_sgpr_count 6
		.amdhsa_user_sgpr_private_segment_buffer 1
		.amdhsa_user_sgpr_dispatch_ptr 0
		.amdhsa_user_sgpr_queue_ptr 0
		.amdhsa_user_sgpr_kernarg_segment_ptr 1
		.amdhsa_user_sgpr_dispatch_id 0
		.amdhsa_user_sgpr_flat_scratch_init 0
		.amdhsa_user_sgpr_private_segment_size 0
		.amdhsa_wavefront_size32 1
		.amdhsa_uses_dynamic_stack 0
		.amdhsa_system_sgpr_private_segment_wavefront_offset 0
		.amdhsa_system_sgpr_workgroup_id_x 1
		.amdhsa_system_sgpr_workgroup_id_y 0
		.amdhsa_system_sgpr_workgroup_id_z 0
		.amdhsa_system_sgpr_workgroup_info 0
		.amdhsa_system_vgpr_workitem_id 0
		.amdhsa_next_free_vgpr 1
		.amdhsa_next_free_sgpr 1
		.amdhsa_reserve_vcc 0
		.amdhsa_reserve_flat_scratch 0
		.amdhsa_float_round_mode_32 0
		.amdhsa_float_round_mode_16_64 0
		.amdhsa_float_denorm_mode_32 3
		.amdhsa_float_denorm_mode_16_64 3
		.amdhsa_dx10_clamp 1
		.amdhsa_ieee_mode 1
		.amdhsa_fp16_overflow 0
		.amdhsa_workgroup_processor_mode 1
		.amdhsa_memory_ordered 1
		.amdhsa_forward_progress 1
		.amdhsa_shared_vgpr_count 0
		.amdhsa_exception_fp_ieee_invalid_op 0
		.amdhsa_exception_fp_denorm_src 0
		.amdhsa_exception_fp_ieee_div_zero 0
		.amdhsa_exception_fp_ieee_overflow 0
		.amdhsa_exception_fp_ieee_underflow 0
		.amdhsa_exception_fp_ieee_inexact 0
		.amdhsa_exception_int_div_zero 0
	.end_amdhsa_kernel
	.section	.text._ZN7rocprim17ROCPRIM_400000_NS6detail17trampoline_kernelINS0_14default_configENS1_38merge_sort_block_merge_config_selectorIiiEEZZNS1_27merge_sort_block_merge_implIS3_N6thrust23THRUST_200600_302600_NS6detail15normal_iteratorINS8_10device_ptrIiEEEESD_jNS1_19radix_merge_compareILb1ELb1EiNS0_19identity_decomposerEEEEE10hipError_tT0_T1_T2_jT3_P12ihipStream_tbPNSt15iterator_traitsISI_E10value_typeEPNSO_ISJ_E10value_typeEPSK_NS1_7vsmem_tEENKUlT_SI_SJ_SK_E_clIPiSD_S10_SD_EESH_SX_SI_SJ_SK_EUlSX_E1_NS1_11comp_targetILNS1_3genE0ELNS1_11target_archE4294967295ELNS1_3gpuE0ELNS1_3repE0EEENS1_36merge_oddeven_config_static_selectorELNS0_4arch9wavefront6targetE0EEEvSJ_,"axG",@progbits,_ZN7rocprim17ROCPRIM_400000_NS6detail17trampoline_kernelINS0_14default_configENS1_38merge_sort_block_merge_config_selectorIiiEEZZNS1_27merge_sort_block_merge_implIS3_N6thrust23THRUST_200600_302600_NS6detail15normal_iteratorINS8_10device_ptrIiEEEESD_jNS1_19radix_merge_compareILb1ELb1EiNS0_19identity_decomposerEEEEE10hipError_tT0_T1_T2_jT3_P12ihipStream_tbPNSt15iterator_traitsISI_E10value_typeEPNSO_ISJ_E10value_typeEPSK_NS1_7vsmem_tEENKUlT_SI_SJ_SK_E_clIPiSD_S10_SD_EESH_SX_SI_SJ_SK_EUlSX_E1_NS1_11comp_targetILNS1_3genE0ELNS1_11target_archE4294967295ELNS1_3gpuE0ELNS1_3repE0EEENS1_36merge_oddeven_config_static_selectorELNS0_4arch9wavefront6targetE0EEEvSJ_,comdat
.Lfunc_end949:
	.size	_ZN7rocprim17ROCPRIM_400000_NS6detail17trampoline_kernelINS0_14default_configENS1_38merge_sort_block_merge_config_selectorIiiEEZZNS1_27merge_sort_block_merge_implIS3_N6thrust23THRUST_200600_302600_NS6detail15normal_iteratorINS8_10device_ptrIiEEEESD_jNS1_19radix_merge_compareILb1ELb1EiNS0_19identity_decomposerEEEEE10hipError_tT0_T1_T2_jT3_P12ihipStream_tbPNSt15iterator_traitsISI_E10value_typeEPNSO_ISJ_E10value_typeEPSK_NS1_7vsmem_tEENKUlT_SI_SJ_SK_E_clIPiSD_S10_SD_EESH_SX_SI_SJ_SK_EUlSX_E1_NS1_11comp_targetILNS1_3genE0ELNS1_11target_archE4294967295ELNS1_3gpuE0ELNS1_3repE0EEENS1_36merge_oddeven_config_static_selectorELNS0_4arch9wavefront6targetE0EEEvSJ_, .Lfunc_end949-_ZN7rocprim17ROCPRIM_400000_NS6detail17trampoline_kernelINS0_14default_configENS1_38merge_sort_block_merge_config_selectorIiiEEZZNS1_27merge_sort_block_merge_implIS3_N6thrust23THRUST_200600_302600_NS6detail15normal_iteratorINS8_10device_ptrIiEEEESD_jNS1_19radix_merge_compareILb1ELb1EiNS0_19identity_decomposerEEEEE10hipError_tT0_T1_T2_jT3_P12ihipStream_tbPNSt15iterator_traitsISI_E10value_typeEPNSO_ISJ_E10value_typeEPSK_NS1_7vsmem_tEENKUlT_SI_SJ_SK_E_clIPiSD_S10_SD_EESH_SX_SI_SJ_SK_EUlSX_E1_NS1_11comp_targetILNS1_3genE0ELNS1_11target_archE4294967295ELNS1_3gpuE0ELNS1_3repE0EEENS1_36merge_oddeven_config_static_selectorELNS0_4arch9wavefront6targetE0EEEvSJ_
                                        ; -- End function
	.set _ZN7rocprim17ROCPRIM_400000_NS6detail17trampoline_kernelINS0_14default_configENS1_38merge_sort_block_merge_config_selectorIiiEEZZNS1_27merge_sort_block_merge_implIS3_N6thrust23THRUST_200600_302600_NS6detail15normal_iteratorINS8_10device_ptrIiEEEESD_jNS1_19radix_merge_compareILb1ELb1EiNS0_19identity_decomposerEEEEE10hipError_tT0_T1_T2_jT3_P12ihipStream_tbPNSt15iterator_traitsISI_E10value_typeEPNSO_ISJ_E10value_typeEPSK_NS1_7vsmem_tEENKUlT_SI_SJ_SK_E_clIPiSD_S10_SD_EESH_SX_SI_SJ_SK_EUlSX_E1_NS1_11comp_targetILNS1_3genE0ELNS1_11target_archE4294967295ELNS1_3gpuE0ELNS1_3repE0EEENS1_36merge_oddeven_config_static_selectorELNS0_4arch9wavefront6targetE0EEEvSJ_.num_vgpr, 0
	.set _ZN7rocprim17ROCPRIM_400000_NS6detail17trampoline_kernelINS0_14default_configENS1_38merge_sort_block_merge_config_selectorIiiEEZZNS1_27merge_sort_block_merge_implIS3_N6thrust23THRUST_200600_302600_NS6detail15normal_iteratorINS8_10device_ptrIiEEEESD_jNS1_19radix_merge_compareILb1ELb1EiNS0_19identity_decomposerEEEEE10hipError_tT0_T1_T2_jT3_P12ihipStream_tbPNSt15iterator_traitsISI_E10value_typeEPNSO_ISJ_E10value_typeEPSK_NS1_7vsmem_tEENKUlT_SI_SJ_SK_E_clIPiSD_S10_SD_EESH_SX_SI_SJ_SK_EUlSX_E1_NS1_11comp_targetILNS1_3genE0ELNS1_11target_archE4294967295ELNS1_3gpuE0ELNS1_3repE0EEENS1_36merge_oddeven_config_static_selectorELNS0_4arch9wavefront6targetE0EEEvSJ_.num_agpr, 0
	.set _ZN7rocprim17ROCPRIM_400000_NS6detail17trampoline_kernelINS0_14default_configENS1_38merge_sort_block_merge_config_selectorIiiEEZZNS1_27merge_sort_block_merge_implIS3_N6thrust23THRUST_200600_302600_NS6detail15normal_iteratorINS8_10device_ptrIiEEEESD_jNS1_19radix_merge_compareILb1ELb1EiNS0_19identity_decomposerEEEEE10hipError_tT0_T1_T2_jT3_P12ihipStream_tbPNSt15iterator_traitsISI_E10value_typeEPNSO_ISJ_E10value_typeEPSK_NS1_7vsmem_tEENKUlT_SI_SJ_SK_E_clIPiSD_S10_SD_EESH_SX_SI_SJ_SK_EUlSX_E1_NS1_11comp_targetILNS1_3genE0ELNS1_11target_archE4294967295ELNS1_3gpuE0ELNS1_3repE0EEENS1_36merge_oddeven_config_static_selectorELNS0_4arch9wavefront6targetE0EEEvSJ_.numbered_sgpr, 0
	.set _ZN7rocprim17ROCPRIM_400000_NS6detail17trampoline_kernelINS0_14default_configENS1_38merge_sort_block_merge_config_selectorIiiEEZZNS1_27merge_sort_block_merge_implIS3_N6thrust23THRUST_200600_302600_NS6detail15normal_iteratorINS8_10device_ptrIiEEEESD_jNS1_19radix_merge_compareILb1ELb1EiNS0_19identity_decomposerEEEEE10hipError_tT0_T1_T2_jT3_P12ihipStream_tbPNSt15iterator_traitsISI_E10value_typeEPNSO_ISJ_E10value_typeEPSK_NS1_7vsmem_tEENKUlT_SI_SJ_SK_E_clIPiSD_S10_SD_EESH_SX_SI_SJ_SK_EUlSX_E1_NS1_11comp_targetILNS1_3genE0ELNS1_11target_archE4294967295ELNS1_3gpuE0ELNS1_3repE0EEENS1_36merge_oddeven_config_static_selectorELNS0_4arch9wavefront6targetE0EEEvSJ_.num_named_barrier, 0
	.set _ZN7rocprim17ROCPRIM_400000_NS6detail17trampoline_kernelINS0_14default_configENS1_38merge_sort_block_merge_config_selectorIiiEEZZNS1_27merge_sort_block_merge_implIS3_N6thrust23THRUST_200600_302600_NS6detail15normal_iteratorINS8_10device_ptrIiEEEESD_jNS1_19radix_merge_compareILb1ELb1EiNS0_19identity_decomposerEEEEE10hipError_tT0_T1_T2_jT3_P12ihipStream_tbPNSt15iterator_traitsISI_E10value_typeEPNSO_ISJ_E10value_typeEPSK_NS1_7vsmem_tEENKUlT_SI_SJ_SK_E_clIPiSD_S10_SD_EESH_SX_SI_SJ_SK_EUlSX_E1_NS1_11comp_targetILNS1_3genE0ELNS1_11target_archE4294967295ELNS1_3gpuE0ELNS1_3repE0EEENS1_36merge_oddeven_config_static_selectorELNS0_4arch9wavefront6targetE0EEEvSJ_.private_seg_size, 0
	.set _ZN7rocprim17ROCPRIM_400000_NS6detail17trampoline_kernelINS0_14default_configENS1_38merge_sort_block_merge_config_selectorIiiEEZZNS1_27merge_sort_block_merge_implIS3_N6thrust23THRUST_200600_302600_NS6detail15normal_iteratorINS8_10device_ptrIiEEEESD_jNS1_19radix_merge_compareILb1ELb1EiNS0_19identity_decomposerEEEEE10hipError_tT0_T1_T2_jT3_P12ihipStream_tbPNSt15iterator_traitsISI_E10value_typeEPNSO_ISJ_E10value_typeEPSK_NS1_7vsmem_tEENKUlT_SI_SJ_SK_E_clIPiSD_S10_SD_EESH_SX_SI_SJ_SK_EUlSX_E1_NS1_11comp_targetILNS1_3genE0ELNS1_11target_archE4294967295ELNS1_3gpuE0ELNS1_3repE0EEENS1_36merge_oddeven_config_static_selectorELNS0_4arch9wavefront6targetE0EEEvSJ_.uses_vcc, 0
	.set _ZN7rocprim17ROCPRIM_400000_NS6detail17trampoline_kernelINS0_14default_configENS1_38merge_sort_block_merge_config_selectorIiiEEZZNS1_27merge_sort_block_merge_implIS3_N6thrust23THRUST_200600_302600_NS6detail15normal_iteratorINS8_10device_ptrIiEEEESD_jNS1_19radix_merge_compareILb1ELb1EiNS0_19identity_decomposerEEEEE10hipError_tT0_T1_T2_jT3_P12ihipStream_tbPNSt15iterator_traitsISI_E10value_typeEPNSO_ISJ_E10value_typeEPSK_NS1_7vsmem_tEENKUlT_SI_SJ_SK_E_clIPiSD_S10_SD_EESH_SX_SI_SJ_SK_EUlSX_E1_NS1_11comp_targetILNS1_3genE0ELNS1_11target_archE4294967295ELNS1_3gpuE0ELNS1_3repE0EEENS1_36merge_oddeven_config_static_selectorELNS0_4arch9wavefront6targetE0EEEvSJ_.uses_flat_scratch, 0
	.set _ZN7rocprim17ROCPRIM_400000_NS6detail17trampoline_kernelINS0_14default_configENS1_38merge_sort_block_merge_config_selectorIiiEEZZNS1_27merge_sort_block_merge_implIS3_N6thrust23THRUST_200600_302600_NS6detail15normal_iteratorINS8_10device_ptrIiEEEESD_jNS1_19radix_merge_compareILb1ELb1EiNS0_19identity_decomposerEEEEE10hipError_tT0_T1_T2_jT3_P12ihipStream_tbPNSt15iterator_traitsISI_E10value_typeEPNSO_ISJ_E10value_typeEPSK_NS1_7vsmem_tEENKUlT_SI_SJ_SK_E_clIPiSD_S10_SD_EESH_SX_SI_SJ_SK_EUlSX_E1_NS1_11comp_targetILNS1_3genE0ELNS1_11target_archE4294967295ELNS1_3gpuE0ELNS1_3repE0EEENS1_36merge_oddeven_config_static_selectorELNS0_4arch9wavefront6targetE0EEEvSJ_.has_dyn_sized_stack, 0
	.set _ZN7rocprim17ROCPRIM_400000_NS6detail17trampoline_kernelINS0_14default_configENS1_38merge_sort_block_merge_config_selectorIiiEEZZNS1_27merge_sort_block_merge_implIS3_N6thrust23THRUST_200600_302600_NS6detail15normal_iteratorINS8_10device_ptrIiEEEESD_jNS1_19radix_merge_compareILb1ELb1EiNS0_19identity_decomposerEEEEE10hipError_tT0_T1_T2_jT3_P12ihipStream_tbPNSt15iterator_traitsISI_E10value_typeEPNSO_ISJ_E10value_typeEPSK_NS1_7vsmem_tEENKUlT_SI_SJ_SK_E_clIPiSD_S10_SD_EESH_SX_SI_SJ_SK_EUlSX_E1_NS1_11comp_targetILNS1_3genE0ELNS1_11target_archE4294967295ELNS1_3gpuE0ELNS1_3repE0EEENS1_36merge_oddeven_config_static_selectorELNS0_4arch9wavefront6targetE0EEEvSJ_.has_recursion, 0
	.set _ZN7rocprim17ROCPRIM_400000_NS6detail17trampoline_kernelINS0_14default_configENS1_38merge_sort_block_merge_config_selectorIiiEEZZNS1_27merge_sort_block_merge_implIS3_N6thrust23THRUST_200600_302600_NS6detail15normal_iteratorINS8_10device_ptrIiEEEESD_jNS1_19radix_merge_compareILb1ELb1EiNS0_19identity_decomposerEEEEE10hipError_tT0_T1_T2_jT3_P12ihipStream_tbPNSt15iterator_traitsISI_E10value_typeEPNSO_ISJ_E10value_typeEPSK_NS1_7vsmem_tEENKUlT_SI_SJ_SK_E_clIPiSD_S10_SD_EESH_SX_SI_SJ_SK_EUlSX_E1_NS1_11comp_targetILNS1_3genE0ELNS1_11target_archE4294967295ELNS1_3gpuE0ELNS1_3repE0EEENS1_36merge_oddeven_config_static_selectorELNS0_4arch9wavefront6targetE0EEEvSJ_.has_indirect_call, 0
	.section	.AMDGPU.csdata,"",@progbits
; Kernel info:
; codeLenInByte = 0
; TotalNumSgprs: 0
; NumVgprs: 0
; ScratchSize: 0
; MemoryBound: 0
; FloatMode: 240
; IeeeMode: 1
; LDSByteSize: 0 bytes/workgroup (compile time only)
; SGPRBlocks: 0
; VGPRBlocks: 0
; NumSGPRsForWavesPerEU: 1
; NumVGPRsForWavesPerEU: 1
; Occupancy: 16
; WaveLimiterHint : 0
; COMPUTE_PGM_RSRC2:SCRATCH_EN: 0
; COMPUTE_PGM_RSRC2:USER_SGPR: 6
; COMPUTE_PGM_RSRC2:TRAP_HANDLER: 0
; COMPUTE_PGM_RSRC2:TGID_X_EN: 1
; COMPUTE_PGM_RSRC2:TGID_Y_EN: 0
; COMPUTE_PGM_RSRC2:TGID_Z_EN: 0
; COMPUTE_PGM_RSRC2:TIDIG_COMP_CNT: 0
	.section	.text._ZN7rocprim17ROCPRIM_400000_NS6detail17trampoline_kernelINS0_14default_configENS1_38merge_sort_block_merge_config_selectorIiiEEZZNS1_27merge_sort_block_merge_implIS3_N6thrust23THRUST_200600_302600_NS6detail15normal_iteratorINS8_10device_ptrIiEEEESD_jNS1_19radix_merge_compareILb1ELb1EiNS0_19identity_decomposerEEEEE10hipError_tT0_T1_T2_jT3_P12ihipStream_tbPNSt15iterator_traitsISI_E10value_typeEPNSO_ISJ_E10value_typeEPSK_NS1_7vsmem_tEENKUlT_SI_SJ_SK_E_clIPiSD_S10_SD_EESH_SX_SI_SJ_SK_EUlSX_E1_NS1_11comp_targetILNS1_3genE10ELNS1_11target_archE1201ELNS1_3gpuE5ELNS1_3repE0EEENS1_36merge_oddeven_config_static_selectorELNS0_4arch9wavefront6targetE0EEEvSJ_,"axG",@progbits,_ZN7rocprim17ROCPRIM_400000_NS6detail17trampoline_kernelINS0_14default_configENS1_38merge_sort_block_merge_config_selectorIiiEEZZNS1_27merge_sort_block_merge_implIS3_N6thrust23THRUST_200600_302600_NS6detail15normal_iteratorINS8_10device_ptrIiEEEESD_jNS1_19radix_merge_compareILb1ELb1EiNS0_19identity_decomposerEEEEE10hipError_tT0_T1_T2_jT3_P12ihipStream_tbPNSt15iterator_traitsISI_E10value_typeEPNSO_ISJ_E10value_typeEPSK_NS1_7vsmem_tEENKUlT_SI_SJ_SK_E_clIPiSD_S10_SD_EESH_SX_SI_SJ_SK_EUlSX_E1_NS1_11comp_targetILNS1_3genE10ELNS1_11target_archE1201ELNS1_3gpuE5ELNS1_3repE0EEENS1_36merge_oddeven_config_static_selectorELNS0_4arch9wavefront6targetE0EEEvSJ_,comdat
	.protected	_ZN7rocprim17ROCPRIM_400000_NS6detail17trampoline_kernelINS0_14default_configENS1_38merge_sort_block_merge_config_selectorIiiEEZZNS1_27merge_sort_block_merge_implIS3_N6thrust23THRUST_200600_302600_NS6detail15normal_iteratorINS8_10device_ptrIiEEEESD_jNS1_19radix_merge_compareILb1ELb1EiNS0_19identity_decomposerEEEEE10hipError_tT0_T1_T2_jT3_P12ihipStream_tbPNSt15iterator_traitsISI_E10value_typeEPNSO_ISJ_E10value_typeEPSK_NS1_7vsmem_tEENKUlT_SI_SJ_SK_E_clIPiSD_S10_SD_EESH_SX_SI_SJ_SK_EUlSX_E1_NS1_11comp_targetILNS1_3genE10ELNS1_11target_archE1201ELNS1_3gpuE5ELNS1_3repE0EEENS1_36merge_oddeven_config_static_selectorELNS0_4arch9wavefront6targetE0EEEvSJ_ ; -- Begin function _ZN7rocprim17ROCPRIM_400000_NS6detail17trampoline_kernelINS0_14default_configENS1_38merge_sort_block_merge_config_selectorIiiEEZZNS1_27merge_sort_block_merge_implIS3_N6thrust23THRUST_200600_302600_NS6detail15normal_iteratorINS8_10device_ptrIiEEEESD_jNS1_19radix_merge_compareILb1ELb1EiNS0_19identity_decomposerEEEEE10hipError_tT0_T1_T2_jT3_P12ihipStream_tbPNSt15iterator_traitsISI_E10value_typeEPNSO_ISJ_E10value_typeEPSK_NS1_7vsmem_tEENKUlT_SI_SJ_SK_E_clIPiSD_S10_SD_EESH_SX_SI_SJ_SK_EUlSX_E1_NS1_11comp_targetILNS1_3genE10ELNS1_11target_archE1201ELNS1_3gpuE5ELNS1_3repE0EEENS1_36merge_oddeven_config_static_selectorELNS0_4arch9wavefront6targetE0EEEvSJ_
	.globl	_ZN7rocprim17ROCPRIM_400000_NS6detail17trampoline_kernelINS0_14default_configENS1_38merge_sort_block_merge_config_selectorIiiEEZZNS1_27merge_sort_block_merge_implIS3_N6thrust23THRUST_200600_302600_NS6detail15normal_iteratorINS8_10device_ptrIiEEEESD_jNS1_19radix_merge_compareILb1ELb1EiNS0_19identity_decomposerEEEEE10hipError_tT0_T1_T2_jT3_P12ihipStream_tbPNSt15iterator_traitsISI_E10value_typeEPNSO_ISJ_E10value_typeEPSK_NS1_7vsmem_tEENKUlT_SI_SJ_SK_E_clIPiSD_S10_SD_EESH_SX_SI_SJ_SK_EUlSX_E1_NS1_11comp_targetILNS1_3genE10ELNS1_11target_archE1201ELNS1_3gpuE5ELNS1_3repE0EEENS1_36merge_oddeven_config_static_selectorELNS0_4arch9wavefront6targetE0EEEvSJ_
	.p2align	8
	.type	_ZN7rocprim17ROCPRIM_400000_NS6detail17trampoline_kernelINS0_14default_configENS1_38merge_sort_block_merge_config_selectorIiiEEZZNS1_27merge_sort_block_merge_implIS3_N6thrust23THRUST_200600_302600_NS6detail15normal_iteratorINS8_10device_ptrIiEEEESD_jNS1_19radix_merge_compareILb1ELb1EiNS0_19identity_decomposerEEEEE10hipError_tT0_T1_T2_jT3_P12ihipStream_tbPNSt15iterator_traitsISI_E10value_typeEPNSO_ISJ_E10value_typeEPSK_NS1_7vsmem_tEENKUlT_SI_SJ_SK_E_clIPiSD_S10_SD_EESH_SX_SI_SJ_SK_EUlSX_E1_NS1_11comp_targetILNS1_3genE10ELNS1_11target_archE1201ELNS1_3gpuE5ELNS1_3repE0EEENS1_36merge_oddeven_config_static_selectorELNS0_4arch9wavefront6targetE0EEEvSJ_,@function
_ZN7rocprim17ROCPRIM_400000_NS6detail17trampoline_kernelINS0_14default_configENS1_38merge_sort_block_merge_config_selectorIiiEEZZNS1_27merge_sort_block_merge_implIS3_N6thrust23THRUST_200600_302600_NS6detail15normal_iteratorINS8_10device_ptrIiEEEESD_jNS1_19radix_merge_compareILb1ELb1EiNS0_19identity_decomposerEEEEE10hipError_tT0_T1_T2_jT3_P12ihipStream_tbPNSt15iterator_traitsISI_E10value_typeEPNSO_ISJ_E10value_typeEPSK_NS1_7vsmem_tEENKUlT_SI_SJ_SK_E_clIPiSD_S10_SD_EESH_SX_SI_SJ_SK_EUlSX_E1_NS1_11comp_targetILNS1_3genE10ELNS1_11target_archE1201ELNS1_3gpuE5ELNS1_3repE0EEENS1_36merge_oddeven_config_static_selectorELNS0_4arch9wavefront6targetE0EEEvSJ_: ; @_ZN7rocprim17ROCPRIM_400000_NS6detail17trampoline_kernelINS0_14default_configENS1_38merge_sort_block_merge_config_selectorIiiEEZZNS1_27merge_sort_block_merge_implIS3_N6thrust23THRUST_200600_302600_NS6detail15normal_iteratorINS8_10device_ptrIiEEEESD_jNS1_19radix_merge_compareILb1ELb1EiNS0_19identity_decomposerEEEEE10hipError_tT0_T1_T2_jT3_P12ihipStream_tbPNSt15iterator_traitsISI_E10value_typeEPNSO_ISJ_E10value_typeEPSK_NS1_7vsmem_tEENKUlT_SI_SJ_SK_E_clIPiSD_S10_SD_EESH_SX_SI_SJ_SK_EUlSX_E1_NS1_11comp_targetILNS1_3genE10ELNS1_11target_archE1201ELNS1_3gpuE5ELNS1_3repE0EEENS1_36merge_oddeven_config_static_selectorELNS0_4arch9wavefront6targetE0EEEvSJ_
; %bb.0:
	.section	.rodata,"a",@progbits
	.p2align	6, 0x0
	.amdhsa_kernel _ZN7rocprim17ROCPRIM_400000_NS6detail17trampoline_kernelINS0_14default_configENS1_38merge_sort_block_merge_config_selectorIiiEEZZNS1_27merge_sort_block_merge_implIS3_N6thrust23THRUST_200600_302600_NS6detail15normal_iteratorINS8_10device_ptrIiEEEESD_jNS1_19radix_merge_compareILb1ELb1EiNS0_19identity_decomposerEEEEE10hipError_tT0_T1_T2_jT3_P12ihipStream_tbPNSt15iterator_traitsISI_E10value_typeEPNSO_ISJ_E10value_typeEPSK_NS1_7vsmem_tEENKUlT_SI_SJ_SK_E_clIPiSD_S10_SD_EESH_SX_SI_SJ_SK_EUlSX_E1_NS1_11comp_targetILNS1_3genE10ELNS1_11target_archE1201ELNS1_3gpuE5ELNS1_3repE0EEENS1_36merge_oddeven_config_static_selectorELNS0_4arch9wavefront6targetE0EEEvSJ_
		.amdhsa_group_segment_fixed_size 0
		.amdhsa_private_segment_fixed_size 0
		.amdhsa_kernarg_size 48
		.amdhsa_user_sgpr_count 6
		.amdhsa_user_sgpr_private_segment_buffer 1
		.amdhsa_user_sgpr_dispatch_ptr 0
		.amdhsa_user_sgpr_queue_ptr 0
		.amdhsa_user_sgpr_kernarg_segment_ptr 1
		.amdhsa_user_sgpr_dispatch_id 0
		.amdhsa_user_sgpr_flat_scratch_init 0
		.amdhsa_user_sgpr_private_segment_size 0
		.amdhsa_wavefront_size32 1
		.amdhsa_uses_dynamic_stack 0
		.amdhsa_system_sgpr_private_segment_wavefront_offset 0
		.amdhsa_system_sgpr_workgroup_id_x 1
		.amdhsa_system_sgpr_workgroup_id_y 0
		.amdhsa_system_sgpr_workgroup_id_z 0
		.amdhsa_system_sgpr_workgroup_info 0
		.amdhsa_system_vgpr_workitem_id 0
		.amdhsa_next_free_vgpr 1
		.amdhsa_next_free_sgpr 1
		.amdhsa_reserve_vcc 0
		.amdhsa_reserve_flat_scratch 0
		.amdhsa_float_round_mode_32 0
		.amdhsa_float_round_mode_16_64 0
		.amdhsa_float_denorm_mode_32 3
		.amdhsa_float_denorm_mode_16_64 3
		.amdhsa_dx10_clamp 1
		.amdhsa_ieee_mode 1
		.amdhsa_fp16_overflow 0
		.amdhsa_workgroup_processor_mode 1
		.amdhsa_memory_ordered 1
		.amdhsa_forward_progress 1
		.amdhsa_shared_vgpr_count 0
		.amdhsa_exception_fp_ieee_invalid_op 0
		.amdhsa_exception_fp_denorm_src 0
		.amdhsa_exception_fp_ieee_div_zero 0
		.amdhsa_exception_fp_ieee_overflow 0
		.amdhsa_exception_fp_ieee_underflow 0
		.amdhsa_exception_fp_ieee_inexact 0
		.amdhsa_exception_int_div_zero 0
	.end_amdhsa_kernel
	.section	.text._ZN7rocprim17ROCPRIM_400000_NS6detail17trampoline_kernelINS0_14default_configENS1_38merge_sort_block_merge_config_selectorIiiEEZZNS1_27merge_sort_block_merge_implIS3_N6thrust23THRUST_200600_302600_NS6detail15normal_iteratorINS8_10device_ptrIiEEEESD_jNS1_19radix_merge_compareILb1ELb1EiNS0_19identity_decomposerEEEEE10hipError_tT0_T1_T2_jT3_P12ihipStream_tbPNSt15iterator_traitsISI_E10value_typeEPNSO_ISJ_E10value_typeEPSK_NS1_7vsmem_tEENKUlT_SI_SJ_SK_E_clIPiSD_S10_SD_EESH_SX_SI_SJ_SK_EUlSX_E1_NS1_11comp_targetILNS1_3genE10ELNS1_11target_archE1201ELNS1_3gpuE5ELNS1_3repE0EEENS1_36merge_oddeven_config_static_selectorELNS0_4arch9wavefront6targetE0EEEvSJ_,"axG",@progbits,_ZN7rocprim17ROCPRIM_400000_NS6detail17trampoline_kernelINS0_14default_configENS1_38merge_sort_block_merge_config_selectorIiiEEZZNS1_27merge_sort_block_merge_implIS3_N6thrust23THRUST_200600_302600_NS6detail15normal_iteratorINS8_10device_ptrIiEEEESD_jNS1_19radix_merge_compareILb1ELb1EiNS0_19identity_decomposerEEEEE10hipError_tT0_T1_T2_jT3_P12ihipStream_tbPNSt15iterator_traitsISI_E10value_typeEPNSO_ISJ_E10value_typeEPSK_NS1_7vsmem_tEENKUlT_SI_SJ_SK_E_clIPiSD_S10_SD_EESH_SX_SI_SJ_SK_EUlSX_E1_NS1_11comp_targetILNS1_3genE10ELNS1_11target_archE1201ELNS1_3gpuE5ELNS1_3repE0EEENS1_36merge_oddeven_config_static_selectorELNS0_4arch9wavefront6targetE0EEEvSJ_,comdat
.Lfunc_end950:
	.size	_ZN7rocprim17ROCPRIM_400000_NS6detail17trampoline_kernelINS0_14default_configENS1_38merge_sort_block_merge_config_selectorIiiEEZZNS1_27merge_sort_block_merge_implIS3_N6thrust23THRUST_200600_302600_NS6detail15normal_iteratorINS8_10device_ptrIiEEEESD_jNS1_19radix_merge_compareILb1ELb1EiNS0_19identity_decomposerEEEEE10hipError_tT0_T1_T2_jT3_P12ihipStream_tbPNSt15iterator_traitsISI_E10value_typeEPNSO_ISJ_E10value_typeEPSK_NS1_7vsmem_tEENKUlT_SI_SJ_SK_E_clIPiSD_S10_SD_EESH_SX_SI_SJ_SK_EUlSX_E1_NS1_11comp_targetILNS1_3genE10ELNS1_11target_archE1201ELNS1_3gpuE5ELNS1_3repE0EEENS1_36merge_oddeven_config_static_selectorELNS0_4arch9wavefront6targetE0EEEvSJ_, .Lfunc_end950-_ZN7rocprim17ROCPRIM_400000_NS6detail17trampoline_kernelINS0_14default_configENS1_38merge_sort_block_merge_config_selectorIiiEEZZNS1_27merge_sort_block_merge_implIS3_N6thrust23THRUST_200600_302600_NS6detail15normal_iteratorINS8_10device_ptrIiEEEESD_jNS1_19radix_merge_compareILb1ELb1EiNS0_19identity_decomposerEEEEE10hipError_tT0_T1_T2_jT3_P12ihipStream_tbPNSt15iterator_traitsISI_E10value_typeEPNSO_ISJ_E10value_typeEPSK_NS1_7vsmem_tEENKUlT_SI_SJ_SK_E_clIPiSD_S10_SD_EESH_SX_SI_SJ_SK_EUlSX_E1_NS1_11comp_targetILNS1_3genE10ELNS1_11target_archE1201ELNS1_3gpuE5ELNS1_3repE0EEENS1_36merge_oddeven_config_static_selectorELNS0_4arch9wavefront6targetE0EEEvSJ_
                                        ; -- End function
	.set _ZN7rocprim17ROCPRIM_400000_NS6detail17trampoline_kernelINS0_14default_configENS1_38merge_sort_block_merge_config_selectorIiiEEZZNS1_27merge_sort_block_merge_implIS3_N6thrust23THRUST_200600_302600_NS6detail15normal_iteratorINS8_10device_ptrIiEEEESD_jNS1_19radix_merge_compareILb1ELb1EiNS0_19identity_decomposerEEEEE10hipError_tT0_T1_T2_jT3_P12ihipStream_tbPNSt15iterator_traitsISI_E10value_typeEPNSO_ISJ_E10value_typeEPSK_NS1_7vsmem_tEENKUlT_SI_SJ_SK_E_clIPiSD_S10_SD_EESH_SX_SI_SJ_SK_EUlSX_E1_NS1_11comp_targetILNS1_3genE10ELNS1_11target_archE1201ELNS1_3gpuE5ELNS1_3repE0EEENS1_36merge_oddeven_config_static_selectorELNS0_4arch9wavefront6targetE0EEEvSJ_.num_vgpr, 0
	.set _ZN7rocprim17ROCPRIM_400000_NS6detail17trampoline_kernelINS0_14default_configENS1_38merge_sort_block_merge_config_selectorIiiEEZZNS1_27merge_sort_block_merge_implIS3_N6thrust23THRUST_200600_302600_NS6detail15normal_iteratorINS8_10device_ptrIiEEEESD_jNS1_19radix_merge_compareILb1ELb1EiNS0_19identity_decomposerEEEEE10hipError_tT0_T1_T2_jT3_P12ihipStream_tbPNSt15iterator_traitsISI_E10value_typeEPNSO_ISJ_E10value_typeEPSK_NS1_7vsmem_tEENKUlT_SI_SJ_SK_E_clIPiSD_S10_SD_EESH_SX_SI_SJ_SK_EUlSX_E1_NS1_11comp_targetILNS1_3genE10ELNS1_11target_archE1201ELNS1_3gpuE5ELNS1_3repE0EEENS1_36merge_oddeven_config_static_selectorELNS0_4arch9wavefront6targetE0EEEvSJ_.num_agpr, 0
	.set _ZN7rocprim17ROCPRIM_400000_NS6detail17trampoline_kernelINS0_14default_configENS1_38merge_sort_block_merge_config_selectorIiiEEZZNS1_27merge_sort_block_merge_implIS3_N6thrust23THRUST_200600_302600_NS6detail15normal_iteratorINS8_10device_ptrIiEEEESD_jNS1_19radix_merge_compareILb1ELb1EiNS0_19identity_decomposerEEEEE10hipError_tT0_T1_T2_jT3_P12ihipStream_tbPNSt15iterator_traitsISI_E10value_typeEPNSO_ISJ_E10value_typeEPSK_NS1_7vsmem_tEENKUlT_SI_SJ_SK_E_clIPiSD_S10_SD_EESH_SX_SI_SJ_SK_EUlSX_E1_NS1_11comp_targetILNS1_3genE10ELNS1_11target_archE1201ELNS1_3gpuE5ELNS1_3repE0EEENS1_36merge_oddeven_config_static_selectorELNS0_4arch9wavefront6targetE0EEEvSJ_.numbered_sgpr, 0
	.set _ZN7rocprim17ROCPRIM_400000_NS6detail17trampoline_kernelINS0_14default_configENS1_38merge_sort_block_merge_config_selectorIiiEEZZNS1_27merge_sort_block_merge_implIS3_N6thrust23THRUST_200600_302600_NS6detail15normal_iteratorINS8_10device_ptrIiEEEESD_jNS1_19radix_merge_compareILb1ELb1EiNS0_19identity_decomposerEEEEE10hipError_tT0_T1_T2_jT3_P12ihipStream_tbPNSt15iterator_traitsISI_E10value_typeEPNSO_ISJ_E10value_typeEPSK_NS1_7vsmem_tEENKUlT_SI_SJ_SK_E_clIPiSD_S10_SD_EESH_SX_SI_SJ_SK_EUlSX_E1_NS1_11comp_targetILNS1_3genE10ELNS1_11target_archE1201ELNS1_3gpuE5ELNS1_3repE0EEENS1_36merge_oddeven_config_static_selectorELNS0_4arch9wavefront6targetE0EEEvSJ_.num_named_barrier, 0
	.set _ZN7rocprim17ROCPRIM_400000_NS6detail17trampoline_kernelINS0_14default_configENS1_38merge_sort_block_merge_config_selectorIiiEEZZNS1_27merge_sort_block_merge_implIS3_N6thrust23THRUST_200600_302600_NS6detail15normal_iteratorINS8_10device_ptrIiEEEESD_jNS1_19radix_merge_compareILb1ELb1EiNS0_19identity_decomposerEEEEE10hipError_tT0_T1_T2_jT3_P12ihipStream_tbPNSt15iterator_traitsISI_E10value_typeEPNSO_ISJ_E10value_typeEPSK_NS1_7vsmem_tEENKUlT_SI_SJ_SK_E_clIPiSD_S10_SD_EESH_SX_SI_SJ_SK_EUlSX_E1_NS1_11comp_targetILNS1_3genE10ELNS1_11target_archE1201ELNS1_3gpuE5ELNS1_3repE0EEENS1_36merge_oddeven_config_static_selectorELNS0_4arch9wavefront6targetE0EEEvSJ_.private_seg_size, 0
	.set _ZN7rocprim17ROCPRIM_400000_NS6detail17trampoline_kernelINS0_14default_configENS1_38merge_sort_block_merge_config_selectorIiiEEZZNS1_27merge_sort_block_merge_implIS3_N6thrust23THRUST_200600_302600_NS6detail15normal_iteratorINS8_10device_ptrIiEEEESD_jNS1_19radix_merge_compareILb1ELb1EiNS0_19identity_decomposerEEEEE10hipError_tT0_T1_T2_jT3_P12ihipStream_tbPNSt15iterator_traitsISI_E10value_typeEPNSO_ISJ_E10value_typeEPSK_NS1_7vsmem_tEENKUlT_SI_SJ_SK_E_clIPiSD_S10_SD_EESH_SX_SI_SJ_SK_EUlSX_E1_NS1_11comp_targetILNS1_3genE10ELNS1_11target_archE1201ELNS1_3gpuE5ELNS1_3repE0EEENS1_36merge_oddeven_config_static_selectorELNS0_4arch9wavefront6targetE0EEEvSJ_.uses_vcc, 0
	.set _ZN7rocprim17ROCPRIM_400000_NS6detail17trampoline_kernelINS0_14default_configENS1_38merge_sort_block_merge_config_selectorIiiEEZZNS1_27merge_sort_block_merge_implIS3_N6thrust23THRUST_200600_302600_NS6detail15normal_iteratorINS8_10device_ptrIiEEEESD_jNS1_19radix_merge_compareILb1ELb1EiNS0_19identity_decomposerEEEEE10hipError_tT0_T1_T2_jT3_P12ihipStream_tbPNSt15iterator_traitsISI_E10value_typeEPNSO_ISJ_E10value_typeEPSK_NS1_7vsmem_tEENKUlT_SI_SJ_SK_E_clIPiSD_S10_SD_EESH_SX_SI_SJ_SK_EUlSX_E1_NS1_11comp_targetILNS1_3genE10ELNS1_11target_archE1201ELNS1_3gpuE5ELNS1_3repE0EEENS1_36merge_oddeven_config_static_selectorELNS0_4arch9wavefront6targetE0EEEvSJ_.uses_flat_scratch, 0
	.set _ZN7rocprim17ROCPRIM_400000_NS6detail17trampoline_kernelINS0_14default_configENS1_38merge_sort_block_merge_config_selectorIiiEEZZNS1_27merge_sort_block_merge_implIS3_N6thrust23THRUST_200600_302600_NS6detail15normal_iteratorINS8_10device_ptrIiEEEESD_jNS1_19radix_merge_compareILb1ELb1EiNS0_19identity_decomposerEEEEE10hipError_tT0_T1_T2_jT3_P12ihipStream_tbPNSt15iterator_traitsISI_E10value_typeEPNSO_ISJ_E10value_typeEPSK_NS1_7vsmem_tEENKUlT_SI_SJ_SK_E_clIPiSD_S10_SD_EESH_SX_SI_SJ_SK_EUlSX_E1_NS1_11comp_targetILNS1_3genE10ELNS1_11target_archE1201ELNS1_3gpuE5ELNS1_3repE0EEENS1_36merge_oddeven_config_static_selectorELNS0_4arch9wavefront6targetE0EEEvSJ_.has_dyn_sized_stack, 0
	.set _ZN7rocprim17ROCPRIM_400000_NS6detail17trampoline_kernelINS0_14default_configENS1_38merge_sort_block_merge_config_selectorIiiEEZZNS1_27merge_sort_block_merge_implIS3_N6thrust23THRUST_200600_302600_NS6detail15normal_iteratorINS8_10device_ptrIiEEEESD_jNS1_19radix_merge_compareILb1ELb1EiNS0_19identity_decomposerEEEEE10hipError_tT0_T1_T2_jT3_P12ihipStream_tbPNSt15iterator_traitsISI_E10value_typeEPNSO_ISJ_E10value_typeEPSK_NS1_7vsmem_tEENKUlT_SI_SJ_SK_E_clIPiSD_S10_SD_EESH_SX_SI_SJ_SK_EUlSX_E1_NS1_11comp_targetILNS1_3genE10ELNS1_11target_archE1201ELNS1_3gpuE5ELNS1_3repE0EEENS1_36merge_oddeven_config_static_selectorELNS0_4arch9wavefront6targetE0EEEvSJ_.has_recursion, 0
	.set _ZN7rocprim17ROCPRIM_400000_NS6detail17trampoline_kernelINS0_14default_configENS1_38merge_sort_block_merge_config_selectorIiiEEZZNS1_27merge_sort_block_merge_implIS3_N6thrust23THRUST_200600_302600_NS6detail15normal_iteratorINS8_10device_ptrIiEEEESD_jNS1_19radix_merge_compareILb1ELb1EiNS0_19identity_decomposerEEEEE10hipError_tT0_T1_T2_jT3_P12ihipStream_tbPNSt15iterator_traitsISI_E10value_typeEPNSO_ISJ_E10value_typeEPSK_NS1_7vsmem_tEENKUlT_SI_SJ_SK_E_clIPiSD_S10_SD_EESH_SX_SI_SJ_SK_EUlSX_E1_NS1_11comp_targetILNS1_3genE10ELNS1_11target_archE1201ELNS1_3gpuE5ELNS1_3repE0EEENS1_36merge_oddeven_config_static_selectorELNS0_4arch9wavefront6targetE0EEEvSJ_.has_indirect_call, 0
	.section	.AMDGPU.csdata,"",@progbits
; Kernel info:
; codeLenInByte = 0
; TotalNumSgprs: 0
; NumVgprs: 0
; ScratchSize: 0
; MemoryBound: 0
; FloatMode: 240
; IeeeMode: 1
; LDSByteSize: 0 bytes/workgroup (compile time only)
; SGPRBlocks: 0
; VGPRBlocks: 0
; NumSGPRsForWavesPerEU: 1
; NumVGPRsForWavesPerEU: 1
; Occupancy: 16
; WaveLimiterHint : 0
; COMPUTE_PGM_RSRC2:SCRATCH_EN: 0
; COMPUTE_PGM_RSRC2:USER_SGPR: 6
; COMPUTE_PGM_RSRC2:TRAP_HANDLER: 0
; COMPUTE_PGM_RSRC2:TGID_X_EN: 1
; COMPUTE_PGM_RSRC2:TGID_Y_EN: 0
; COMPUTE_PGM_RSRC2:TGID_Z_EN: 0
; COMPUTE_PGM_RSRC2:TIDIG_COMP_CNT: 0
	.section	.text._ZN7rocprim17ROCPRIM_400000_NS6detail17trampoline_kernelINS0_14default_configENS1_38merge_sort_block_merge_config_selectorIiiEEZZNS1_27merge_sort_block_merge_implIS3_N6thrust23THRUST_200600_302600_NS6detail15normal_iteratorINS8_10device_ptrIiEEEESD_jNS1_19radix_merge_compareILb1ELb1EiNS0_19identity_decomposerEEEEE10hipError_tT0_T1_T2_jT3_P12ihipStream_tbPNSt15iterator_traitsISI_E10value_typeEPNSO_ISJ_E10value_typeEPSK_NS1_7vsmem_tEENKUlT_SI_SJ_SK_E_clIPiSD_S10_SD_EESH_SX_SI_SJ_SK_EUlSX_E1_NS1_11comp_targetILNS1_3genE5ELNS1_11target_archE942ELNS1_3gpuE9ELNS1_3repE0EEENS1_36merge_oddeven_config_static_selectorELNS0_4arch9wavefront6targetE0EEEvSJ_,"axG",@progbits,_ZN7rocprim17ROCPRIM_400000_NS6detail17trampoline_kernelINS0_14default_configENS1_38merge_sort_block_merge_config_selectorIiiEEZZNS1_27merge_sort_block_merge_implIS3_N6thrust23THRUST_200600_302600_NS6detail15normal_iteratorINS8_10device_ptrIiEEEESD_jNS1_19radix_merge_compareILb1ELb1EiNS0_19identity_decomposerEEEEE10hipError_tT0_T1_T2_jT3_P12ihipStream_tbPNSt15iterator_traitsISI_E10value_typeEPNSO_ISJ_E10value_typeEPSK_NS1_7vsmem_tEENKUlT_SI_SJ_SK_E_clIPiSD_S10_SD_EESH_SX_SI_SJ_SK_EUlSX_E1_NS1_11comp_targetILNS1_3genE5ELNS1_11target_archE942ELNS1_3gpuE9ELNS1_3repE0EEENS1_36merge_oddeven_config_static_selectorELNS0_4arch9wavefront6targetE0EEEvSJ_,comdat
	.protected	_ZN7rocprim17ROCPRIM_400000_NS6detail17trampoline_kernelINS0_14default_configENS1_38merge_sort_block_merge_config_selectorIiiEEZZNS1_27merge_sort_block_merge_implIS3_N6thrust23THRUST_200600_302600_NS6detail15normal_iteratorINS8_10device_ptrIiEEEESD_jNS1_19radix_merge_compareILb1ELb1EiNS0_19identity_decomposerEEEEE10hipError_tT0_T1_T2_jT3_P12ihipStream_tbPNSt15iterator_traitsISI_E10value_typeEPNSO_ISJ_E10value_typeEPSK_NS1_7vsmem_tEENKUlT_SI_SJ_SK_E_clIPiSD_S10_SD_EESH_SX_SI_SJ_SK_EUlSX_E1_NS1_11comp_targetILNS1_3genE5ELNS1_11target_archE942ELNS1_3gpuE9ELNS1_3repE0EEENS1_36merge_oddeven_config_static_selectorELNS0_4arch9wavefront6targetE0EEEvSJ_ ; -- Begin function _ZN7rocprim17ROCPRIM_400000_NS6detail17trampoline_kernelINS0_14default_configENS1_38merge_sort_block_merge_config_selectorIiiEEZZNS1_27merge_sort_block_merge_implIS3_N6thrust23THRUST_200600_302600_NS6detail15normal_iteratorINS8_10device_ptrIiEEEESD_jNS1_19radix_merge_compareILb1ELb1EiNS0_19identity_decomposerEEEEE10hipError_tT0_T1_T2_jT3_P12ihipStream_tbPNSt15iterator_traitsISI_E10value_typeEPNSO_ISJ_E10value_typeEPSK_NS1_7vsmem_tEENKUlT_SI_SJ_SK_E_clIPiSD_S10_SD_EESH_SX_SI_SJ_SK_EUlSX_E1_NS1_11comp_targetILNS1_3genE5ELNS1_11target_archE942ELNS1_3gpuE9ELNS1_3repE0EEENS1_36merge_oddeven_config_static_selectorELNS0_4arch9wavefront6targetE0EEEvSJ_
	.globl	_ZN7rocprim17ROCPRIM_400000_NS6detail17trampoline_kernelINS0_14default_configENS1_38merge_sort_block_merge_config_selectorIiiEEZZNS1_27merge_sort_block_merge_implIS3_N6thrust23THRUST_200600_302600_NS6detail15normal_iteratorINS8_10device_ptrIiEEEESD_jNS1_19radix_merge_compareILb1ELb1EiNS0_19identity_decomposerEEEEE10hipError_tT0_T1_T2_jT3_P12ihipStream_tbPNSt15iterator_traitsISI_E10value_typeEPNSO_ISJ_E10value_typeEPSK_NS1_7vsmem_tEENKUlT_SI_SJ_SK_E_clIPiSD_S10_SD_EESH_SX_SI_SJ_SK_EUlSX_E1_NS1_11comp_targetILNS1_3genE5ELNS1_11target_archE942ELNS1_3gpuE9ELNS1_3repE0EEENS1_36merge_oddeven_config_static_selectorELNS0_4arch9wavefront6targetE0EEEvSJ_
	.p2align	8
	.type	_ZN7rocprim17ROCPRIM_400000_NS6detail17trampoline_kernelINS0_14default_configENS1_38merge_sort_block_merge_config_selectorIiiEEZZNS1_27merge_sort_block_merge_implIS3_N6thrust23THRUST_200600_302600_NS6detail15normal_iteratorINS8_10device_ptrIiEEEESD_jNS1_19radix_merge_compareILb1ELb1EiNS0_19identity_decomposerEEEEE10hipError_tT0_T1_T2_jT3_P12ihipStream_tbPNSt15iterator_traitsISI_E10value_typeEPNSO_ISJ_E10value_typeEPSK_NS1_7vsmem_tEENKUlT_SI_SJ_SK_E_clIPiSD_S10_SD_EESH_SX_SI_SJ_SK_EUlSX_E1_NS1_11comp_targetILNS1_3genE5ELNS1_11target_archE942ELNS1_3gpuE9ELNS1_3repE0EEENS1_36merge_oddeven_config_static_selectorELNS0_4arch9wavefront6targetE0EEEvSJ_,@function
_ZN7rocprim17ROCPRIM_400000_NS6detail17trampoline_kernelINS0_14default_configENS1_38merge_sort_block_merge_config_selectorIiiEEZZNS1_27merge_sort_block_merge_implIS3_N6thrust23THRUST_200600_302600_NS6detail15normal_iteratorINS8_10device_ptrIiEEEESD_jNS1_19radix_merge_compareILb1ELb1EiNS0_19identity_decomposerEEEEE10hipError_tT0_T1_T2_jT3_P12ihipStream_tbPNSt15iterator_traitsISI_E10value_typeEPNSO_ISJ_E10value_typeEPSK_NS1_7vsmem_tEENKUlT_SI_SJ_SK_E_clIPiSD_S10_SD_EESH_SX_SI_SJ_SK_EUlSX_E1_NS1_11comp_targetILNS1_3genE5ELNS1_11target_archE942ELNS1_3gpuE9ELNS1_3repE0EEENS1_36merge_oddeven_config_static_selectorELNS0_4arch9wavefront6targetE0EEEvSJ_: ; @_ZN7rocprim17ROCPRIM_400000_NS6detail17trampoline_kernelINS0_14default_configENS1_38merge_sort_block_merge_config_selectorIiiEEZZNS1_27merge_sort_block_merge_implIS3_N6thrust23THRUST_200600_302600_NS6detail15normal_iteratorINS8_10device_ptrIiEEEESD_jNS1_19radix_merge_compareILb1ELb1EiNS0_19identity_decomposerEEEEE10hipError_tT0_T1_T2_jT3_P12ihipStream_tbPNSt15iterator_traitsISI_E10value_typeEPNSO_ISJ_E10value_typeEPSK_NS1_7vsmem_tEENKUlT_SI_SJ_SK_E_clIPiSD_S10_SD_EESH_SX_SI_SJ_SK_EUlSX_E1_NS1_11comp_targetILNS1_3genE5ELNS1_11target_archE942ELNS1_3gpuE9ELNS1_3repE0EEENS1_36merge_oddeven_config_static_selectorELNS0_4arch9wavefront6targetE0EEEvSJ_
; %bb.0:
	.section	.rodata,"a",@progbits
	.p2align	6, 0x0
	.amdhsa_kernel _ZN7rocprim17ROCPRIM_400000_NS6detail17trampoline_kernelINS0_14default_configENS1_38merge_sort_block_merge_config_selectorIiiEEZZNS1_27merge_sort_block_merge_implIS3_N6thrust23THRUST_200600_302600_NS6detail15normal_iteratorINS8_10device_ptrIiEEEESD_jNS1_19radix_merge_compareILb1ELb1EiNS0_19identity_decomposerEEEEE10hipError_tT0_T1_T2_jT3_P12ihipStream_tbPNSt15iterator_traitsISI_E10value_typeEPNSO_ISJ_E10value_typeEPSK_NS1_7vsmem_tEENKUlT_SI_SJ_SK_E_clIPiSD_S10_SD_EESH_SX_SI_SJ_SK_EUlSX_E1_NS1_11comp_targetILNS1_3genE5ELNS1_11target_archE942ELNS1_3gpuE9ELNS1_3repE0EEENS1_36merge_oddeven_config_static_selectorELNS0_4arch9wavefront6targetE0EEEvSJ_
		.amdhsa_group_segment_fixed_size 0
		.amdhsa_private_segment_fixed_size 0
		.amdhsa_kernarg_size 48
		.amdhsa_user_sgpr_count 6
		.amdhsa_user_sgpr_private_segment_buffer 1
		.amdhsa_user_sgpr_dispatch_ptr 0
		.amdhsa_user_sgpr_queue_ptr 0
		.amdhsa_user_sgpr_kernarg_segment_ptr 1
		.amdhsa_user_sgpr_dispatch_id 0
		.amdhsa_user_sgpr_flat_scratch_init 0
		.amdhsa_user_sgpr_private_segment_size 0
		.amdhsa_wavefront_size32 1
		.amdhsa_uses_dynamic_stack 0
		.amdhsa_system_sgpr_private_segment_wavefront_offset 0
		.amdhsa_system_sgpr_workgroup_id_x 1
		.amdhsa_system_sgpr_workgroup_id_y 0
		.amdhsa_system_sgpr_workgroup_id_z 0
		.amdhsa_system_sgpr_workgroup_info 0
		.amdhsa_system_vgpr_workitem_id 0
		.amdhsa_next_free_vgpr 1
		.amdhsa_next_free_sgpr 1
		.amdhsa_reserve_vcc 0
		.amdhsa_reserve_flat_scratch 0
		.amdhsa_float_round_mode_32 0
		.amdhsa_float_round_mode_16_64 0
		.amdhsa_float_denorm_mode_32 3
		.amdhsa_float_denorm_mode_16_64 3
		.amdhsa_dx10_clamp 1
		.amdhsa_ieee_mode 1
		.amdhsa_fp16_overflow 0
		.amdhsa_workgroup_processor_mode 1
		.amdhsa_memory_ordered 1
		.amdhsa_forward_progress 1
		.amdhsa_shared_vgpr_count 0
		.amdhsa_exception_fp_ieee_invalid_op 0
		.amdhsa_exception_fp_denorm_src 0
		.amdhsa_exception_fp_ieee_div_zero 0
		.amdhsa_exception_fp_ieee_overflow 0
		.amdhsa_exception_fp_ieee_underflow 0
		.amdhsa_exception_fp_ieee_inexact 0
		.amdhsa_exception_int_div_zero 0
	.end_amdhsa_kernel
	.section	.text._ZN7rocprim17ROCPRIM_400000_NS6detail17trampoline_kernelINS0_14default_configENS1_38merge_sort_block_merge_config_selectorIiiEEZZNS1_27merge_sort_block_merge_implIS3_N6thrust23THRUST_200600_302600_NS6detail15normal_iteratorINS8_10device_ptrIiEEEESD_jNS1_19radix_merge_compareILb1ELb1EiNS0_19identity_decomposerEEEEE10hipError_tT0_T1_T2_jT3_P12ihipStream_tbPNSt15iterator_traitsISI_E10value_typeEPNSO_ISJ_E10value_typeEPSK_NS1_7vsmem_tEENKUlT_SI_SJ_SK_E_clIPiSD_S10_SD_EESH_SX_SI_SJ_SK_EUlSX_E1_NS1_11comp_targetILNS1_3genE5ELNS1_11target_archE942ELNS1_3gpuE9ELNS1_3repE0EEENS1_36merge_oddeven_config_static_selectorELNS0_4arch9wavefront6targetE0EEEvSJ_,"axG",@progbits,_ZN7rocprim17ROCPRIM_400000_NS6detail17trampoline_kernelINS0_14default_configENS1_38merge_sort_block_merge_config_selectorIiiEEZZNS1_27merge_sort_block_merge_implIS3_N6thrust23THRUST_200600_302600_NS6detail15normal_iteratorINS8_10device_ptrIiEEEESD_jNS1_19radix_merge_compareILb1ELb1EiNS0_19identity_decomposerEEEEE10hipError_tT0_T1_T2_jT3_P12ihipStream_tbPNSt15iterator_traitsISI_E10value_typeEPNSO_ISJ_E10value_typeEPSK_NS1_7vsmem_tEENKUlT_SI_SJ_SK_E_clIPiSD_S10_SD_EESH_SX_SI_SJ_SK_EUlSX_E1_NS1_11comp_targetILNS1_3genE5ELNS1_11target_archE942ELNS1_3gpuE9ELNS1_3repE0EEENS1_36merge_oddeven_config_static_selectorELNS0_4arch9wavefront6targetE0EEEvSJ_,comdat
.Lfunc_end951:
	.size	_ZN7rocprim17ROCPRIM_400000_NS6detail17trampoline_kernelINS0_14default_configENS1_38merge_sort_block_merge_config_selectorIiiEEZZNS1_27merge_sort_block_merge_implIS3_N6thrust23THRUST_200600_302600_NS6detail15normal_iteratorINS8_10device_ptrIiEEEESD_jNS1_19radix_merge_compareILb1ELb1EiNS0_19identity_decomposerEEEEE10hipError_tT0_T1_T2_jT3_P12ihipStream_tbPNSt15iterator_traitsISI_E10value_typeEPNSO_ISJ_E10value_typeEPSK_NS1_7vsmem_tEENKUlT_SI_SJ_SK_E_clIPiSD_S10_SD_EESH_SX_SI_SJ_SK_EUlSX_E1_NS1_11comp_targetILNS1_3genE5ELNS1_11target_archE942ELNS1_3gpuE9ELNS1_3repE0EEENS1_36merge_oddeven_config_static_selectorELNS0_4arch9wavefront6targetE0EEEvSJ_, .Lfunc_end951-_ZN7rocprim17ROCPRIM_400000_NS6detail17trampoline_kernelINS0_14default_configENS1_38merge_sort_block_merge_config_selectorIiiEEZZNS1_27merge_sort_block_merge_implIS3_N6thrust23THRUST_200600_302600_NS6detail15normal_iteratorINS8_10device_ptrIiEEEESD_jNS1_19radix_merge_compareILb1ELb1EiNS0_19identity_decomposerEEEEE10hipError_tT0_T1_T2_jT3_P12ihipStream_tbPNSt15iterator_traitsISI_E10value_typeEPNSO_ISJ_E10value_typeEPSK_NS1_7vsmem_tEENKUlT_SI_SJ_SK_E_clIPiSD_S10_SD_EESH_SX_SI_SJ_SK_EUlSX_E1_NS1_11comp_targetILNS1_3genE5ELNS1_11target_archE942ELNS1_3gpuE9ELNS1_3repE0EEENS1_36merge_oddeven_config_static_selectorELNS0_4arch9wavefront6targetE0EEEvSJ_
                                        ; -- End function
	.set _ZN7rocprim17ROCPRIM_400000_NS6detail17trampoline_kernelINS0_14default_configENS1_38merge_sort_block_merge_config_selectorIiiEEZZNS1_27merge_sort_block_merge_implIS3_N6thrust23THRUST_200600_302600_NS6detail15normal_iteratorINS8_10device_ptrIiEEEESD_jNS1_19radix_merge_compareILb1ELb1EiNS0_19identity_decomposerEEEEE10hipError_tT0_T1_T2_jT3_P12ihipStream_tbPNSt15iterator_traitsISI_E10value_typeEPNSO_ISJ_E10value_typeEPSK_NS1_7vsmem_tEENKUlT_SI_SJ_SK_E_clIPiSD_S10_SD_EESH_SX_SI_SJ_SK_EUlSX_E1_NS1_11comp_targetILNS1_3genE5ELNS1_11target_archE942ELNS1_3gpuE9ELNS1_3repE0EEENS1_36merge_oddeven_config_static_selectorELNS0_4arch9wavefront6targetE0EEEvSJ_.num_vgpr, 0
	.set _ZN7rocprim17ROCPRIM_400000_NS6detail17trampoline_kernelINS0_14default_configENS1_38merge_sort_block_merge_config_selectorIiiEEZZNS1_27merge_sort_block_merge_implIS3_N6thrust23THRUST_200600_302600_NS6detail15normal_iteratorINS8_10device_ptrIiEEEESD_jNS1_19radix_merge_compareILb1ELb1EiNS0_19identity_decomposerEEEEE10hipError_tT0_T1_T2_jT3_P12ihipStream_tbPNSt15iterator_traitsISI_E10value_typeEPNSO_ISJ_E10value_typeEPSK_NS1_7vsmem_tEENKUlT_SI_SJ_SK_E_clIPiSD_S10_SD_EESH_SX_SI_SJ_SK_EUlSX_E1_NS1_11comp_targetILNS1_3genE5ELNS1_11target_archE942ELNS1_3gpuE9ELNS1_3repE0EEENS1_36merge_oddeven_config_static_selectorELNS0_4arch9wavefront6targetE0EEEvSJ_.num_agpr, 0
	.set _ZN7rocprim17ROCPRIM_400000_NS6detail17trampoline_kernelINS0_14default_configENS1_38merge_sort_block_merge_config_selectorIiiEEZZNS1_27merge_sort_block_merge_implIS3_N6thrust23THRUST_200600_302600_NS6detail15normal_iteratorINS8_10device_ptrIiEEEESD_jNS1_19radix_merge_compareILb1ELb1EiNS0_19identity_decomposerEEEEE10hipError_tT0_T1_T2_jT3_P12ihipStream_tbPNSt15iterator_traitsISI_E10value_typeEPNSO_ISJ_E10value_typeEPSK_NS1_7vsmem_tEENKUlT_SI_SJ_SK_E_clIPiSD_S10_SD_EESH_SX_SI_SJ_SK_EUlSX_E1_NS1_11comp_targetILNS1_3genE5ELNS1_11target_archE942ELNS1_3gpuE9ELNS1_3repE0EEENS1_36merge_oddeven_config_static_selectorELNS0_4arch9wavefront6targetE0EEEvSJ_.numbered_sgpr, 0
	.set _ZN7rocprim17ROCPRIM_400000_NS6detail17trampoline_kernelINS0_14default_configENS1_38merge_sort_block_merge_config_selectorIiiEEZZNS1_27merge_sort_block_merge_implIS3_N6thrust23THRUST_200600_302600_NS6detail15normal_iteratorINS8_10device_ptrIiEEEESD_jNS1_19radix_merge_compareILb1ELb1EiNS0_19identity_decomposerEEEEE10hipError_tT0_T1_T2_jT3_P12ihipStream_tbPNSt15iterator_traitsISI_E10value_typeEPNSO_ISJ_E10value_typeEPSK_NS1_7vsmem_tEENKUlT_SI_SJ_SK_E_clIPiSD_S10_SD_EESH_SX_SI_SJ_SK_EUlSX_E1_NS1_11comp_targetILNS1_3genE5ELNS1_11target_archE942ELNS1_3gpuE9ELNS1_3repE0EEENS1_36merge_oddeven_config_static_selectorELNS0_4arch9wavefront6targetE0EEEvSJ_.num_named_barrier, 0
	.set _ZN7rocprim17ROCPRIM_400000_NS6detail17trampoline_kernelINS0_14default_configENS1_38merge_sort_block_merge_config_selectorIiiEEZZNS1_27merge_sort_block_merge_implIS3_N6thrust23THRUST_200600_302600_NS6detail15normal_iteratorINS8_10device_ptrIiEEEESD_jNS1_19radix_merge_compareILb1ELb1EiNS0_19identity_decomposerEEEEE10hipError_tT0_T1_T2_jT3_P12ihipStream_tbPNSt15iterator_traitsISI_E10value_typeEPNSO_ISJ_E10value_typeEPSK_NS1_7vsmem_tEENKUlT_SI_SJ_SK_E_clIPiSD_S10_SD_EESH_SX_SI_SJ_SK_EUlSX_E1_NS1_11comp_targetILNS1_3genE5ELNS1_11target_archE942ELNS1_3gpuE9ELNS1_3repE0EEENS1_36merge_oddeven_config_static_selectorELNS0_4arch9wavefront6targetE0EEEvSJ_.private_seg_size, 0
	.set _ZN7rocprim17ROCPRIM_400000_NS6detail17trampoline_kernelINS0_14default_configENS1_38merge_sort_block_merge_config_selectorIiiEEZZNS1_27merge_sort_block_merge_implIS3_N6thrust23THRUST_200600_302600_NS6detail15normal_iteratorINS8_10device_ptrIiEEEESD_jNS1_19radix_merge_compareILb1ELb1EiNS0_19identity_decomposerEEEEE10hipError_tT0_T1_T2_jT3_P12ihipStream_tbPNSt15iterator_traitsISI_E10value_typeEPNSO_ISJ_E10value_typeEPSK_NS1_7vsmem_tEENKUlT_SI_SJ_SK_E_clIPiSD_S10_SD_EESH_SX_SI_SJ_SK_EUlSX_E1_NS1_11comp_targetILNS1_3genE5ELNS1_11target_archE942ELNS1_3gpuE9ELNS1_3repE0EEENS1_36merge_oddeven_config_static_selectorELNS0_4arch9wavefront6targetE0EEEvSJ_.uses_vcc, 0
	.set _ZN7rocprim17ROCPRIM_400000_NS6detail17trampoline_kernelINS0_14default_configENS1_38merge_sort_block_merge_config_selectorIiiEEZZNS1_27merge_sort_block_merge_implIS3_N6thrust23THRUST_200600_302600_NS6detail15normal_iteratorINS8_10device_ptrIiEEEESD_jNS1_19radix_merge_compareILb1ELb1EiNS0_19identity_decomposerEEEEE10hipError_tT0_T1_T2_jT3_P12ihipStream_tbPNSt15iterator_traitsISI_E10value_typeEPNSO_ISJ_E10value_typeEPSK_NS1_7vsmem_tEENKUlT_SI_SJ_SK_E_clIPiSD_S10_SD_EESH_SX_SI_SJ_SK_EUlSX_E1_NS1_11comp_targetILNS1_3genE5ELNS1_11target_archE942ELNS1_3gpuE9ELNS1_3repE0EEENS1_36merge_oddeven_config_static_selectorELNS0_4arch9wavefront6targetE0EEEvSJ_.uses_flat_scratch, 0
	.set _ZN7rocprim17ROCPRIM_400000_NS6detail17trampoline_kernelINS0_14default_configENS1_38merge_sort_block_merge_config_selectorIiiEEZZNS1_27merge_sort_block_merge_implIS3_N6thrust23THRUST_200600_302600_NS6detail15normal_iteratorINS8_10device_ptrIiEEEESD_jNS1_19radix_merge_compareILb1ELb1EiNS0_19identity_decomposerEEEEE10hipError_tT0_T1_T2_jT3_P12ihipStream_tbPNSt15iterator_traitsISI_E10value_typeEPNSO_ISJ_E10value_typeEPSK_NS1_7vsmem_tEENKUlT_SI_SJ_SK_E_clIPiSD_S10_SD_EESH_SX_SI_SJ_SK_EUlSX_E1_NS1_11comp_targetILNS1_3genE5ELNS1_11target_archE942ELNS1_3gpuE9ELNS1_3repE0EEENS1_36merge_oddeven_config_static_selectorELNS0_4arch9wavefront6targetE0EEEvSJ_.has_dyn_sized_stack, 0
	.set _ZN7rocprim17ROCPRIM_400000_NS6detail17trampoline_kernelINS0_14default_configENS1_38merge_sort_block_merge_config_selectorIiiEEZZNS1_27merge_sort_block_merge_implIS3_N6thrust23THRUST_200600_302600_NS6detail15normal_iteratorINS8_10device_ptrIiEEEESD_jNS1_19radix_merge_compareILb1ELb1EiNS0_19identity_decomposerEEEEE10hipError_tT0_T1_T2_jT3_P12ihipStream_tbPNSt15iterator_traitsISI_E10value_typeEPNSO_ISJ_E10value_typeEPSK_NS1_7vsmem_tEENKUlT_SI_SJ_SK_E_clIPiSD_S10_SD_EESH_SX_SI_SJ_SK_EUlSX_E1_NS1_11comp_targetILNS1_3genE5ELNS1_11target_archE942ELNS1_3gpuE9ELNS1_3repE0EEENS1_36merge_oddeven_config_static_selectorELNS0_4arch9wavefront6targetE0EEEvSJ_.has_recursion, 0
	.set _ZN7rocprim17ROCPRIM_400000_NS6detail17trampoline_kernelINS0_14default_configENS1_38merge_sort_block_merge_config_selectorIiiEEZZNS1_27merge_sort_block_merge_implIS3_N6thrust23THRUST_200600_302600_NS6detail15normal_iteratorINS8_10device_ptrIiEEEESD_jNS1_19radix_merge_compareILb1ELb1EiNS0_19identity_decomposerEEEEE10hipError_tT0_T1_T2_jT3_P12ihipStream_tbPNSt15iterator_traitsISI_E10value_typeEPNSO_ISJ_E10value_typeEPSK_NS1_7vsmem_tEENKUlT_SI_SJ_SK_E_clIPiSD_S10_SD_EESH_SX_SI_SJ_SK_EUlSX_E1_NS1_11comp_targetILNS1_3genE5ELNS1_11target_archE942ELNS1_3gpuE9ELNS1_3repE0EEENS1_36merge_oddeven_config_static_selectorELNS0_4arch9wavefront6targetE0EEEvSJ_.has_indirect_call, 0
	.section	.AMDGPU.csdata,"",@progbits
; Kernel info:
; codeLenInByte = 0
; TotalNumSgprs: 0
; NumVgprs: 0
; ScratchSize: 0
; MemoryBound: 0
; FloatMode: 240
; IeeeMode: 1
; LDSByteSize: 0 bytes/workgroup (compile time only)
; SGPRBlocks: 0
; VGPRBlocks: 0
; NumSGPRsForWavesPerEU: 1
; NumVGPRsForWavesPerEU: 1
; Occupancy: 16
; WaveLimiterHint : 0
; COMPUTE_PGM_RSRC2:SCRATCH_EN: 0
; COMPUTE_PGM_RSRC2:USER_SGPR: 6
; COMPUTE_PGM_RSRC2:TRAP_HANDLER: 0
; COMPUTE_PGM_RSRC2:TGID_X_EN: 1
; COMPUTE_PGM_RSRC2:TGID_Y_EN: 0
; COMPUTE_PGM_RSRC2:TGID_Z_EN: 0
; COMPUTE_PGM_RSRC2:TIDIG_COMP_CNT: 0
	.section	.text._ZN7rocprim17ROCPRIM_400000_NS6detail17trampoline_kernelINS0_14default_configENS1_38merge_sort_block_merge_config_selectorIiiEEZZNS1_27merge_sort_block_merge_implIS3_N6thrust23THRUST_200600_302600_NS6detail15normal_iteratorINS8_10device_ptrIiEEEESD_jNS1_19radix_merge_compareILb1ELb1EiNS0_19identity_decomposerEEEEE10hipError_tT0_T1_T2_jT3_P12ihipStream_tbPNSt15iterator_traitsISI_E10value_typeEPNSO_ISJ_E10value_typeEPSK_NS1_7vsmem_tEENKUlT_SI_SJ_SK_E_clIPiSD_S10_SD_EESH_SX_SI_SJ_SK_EUlSX_E1_NS1_11comp_targetILNS1_3genE4ELNS1_11target_archE910ELNS1_3gpuE8ELNS1_3repE0EEENS1_36merge_oddeven_config_static_selectorELNS0_4arch9wavefront6targetE0EEEvSJ_,"axG",@progbits,_ZN7rocprim17ROCPRIM_400000_NS6detail17trampoline_kernelINS0_14default_configENS1_38merge_sort_block_merge_config_selectorIiiEEZZNS1_27merge_sort_block_merge_implIS3_N6thrust23THRUST_200600_302600_NS6detail15normal_iteratorINS8_10device_ptrIiEEEESD_jNS1_19radix_merge_compareILb1ELb1EiNS0_19identity_decomposerEEEEE10hipError_tT0_T1_T2_jT3_P12ihipStream_tbPNSt15iterator_traitsISI_E10value_typeEPNSO_ISJ_E10value_typeEPSK_NS1_7vsmem_tEENKUlT_SI_SJ_SK_E_clIPiSD_S10_SD_EESH_SX_SI_SJ_SK_EUlSX_E1_NS1_11comp_targetILNS1_3genE4ELNS1_11target_archE910ELNS1_3gpuE8ELNS1_3repE0EEENS1_36merge_oddeven_config_static_selectorELNS0_4arch9wavefront6targetE0EEEvSJ_,comdat
	.protected	_ZN7rocprim17ROCPRIM_400000_NS6detail17trampoline_kernelINS0_14default_configENS1_38merge_sort_block_merge_config_selectorIiiEEZZNS1_27merge_sort_block_merge_implIS3_N6thrust23THRUST_200600_302600_NS6detail15normal_iteratorINS8_10device_ptrIiEEEESD_jNS1_19radix_merge_compareILb1ELb1EiNS0_19identity_decomposerEEEEE10hipError_tT0_T1_T2_jT3_P12ihipStream_tbPNSt15iterator_traitsISI_E10value_typeEPNSO_ISJ_E10value_typeEPSK_NS1_7vsmem_tEENKUlT_SI_SJ_SK_E_clIPiSD_S10_SD_EESH_SX_SI_SJ_SK_EUlSX_E1_NS1_11comp_targetILNS1_3genE4ELNS1_11target_archE910ELNS1_3gpuE8ELNS1_3repE0EEENS1_36merge_oddeven_config_static_selectorELNS0_4arch9wavefront6targetE0EEEvSJ_ ; -- Begin function _ZN7rocprim17ROCPRIM_400000_NS6detail17trampoline_kernelINS0_14default_configENS1_38merge_sort_block_merge_config_selectorIiiEEZZNS1_27merge_sort_block_merge_implIS3_N6thrust23THRUST_200600_302600_NS6detail15normal_iteratorINS8_10device_ptrIiEEEESD_jNS1_19radix_merge_compareILb1ELb1EiNS0_19identity_decomposerEEEEE10hipError_tT0_T1_T2_jT3_P12ihipStream_tbPNSt15iterator_traitsISI_E10value_typeEPNSO_ISJ_E10value_typeEPSK_NS1_7vsmem_tEENKUlT_SI_SJ_SK_E_clIPiSD_S10_SD_EESH_SX_SI_SJ_SK_EUlSX_E1_NS1_11comp_targetILNS1_3genE4ELNS1_11target_archE910ELNS1_3gpuE8ELNS1_3repE0EEENS1_36merge_oddeven_config_static_selectorELNS0_4arch9wavefront6targetE0EEEvSJ_
	.globl	_ZN7rocprim17ROCPRIM_400000_NS6detail17trampoline_kernelINS0_14default_configENS1_38merge_sort_block_merge_config_selectorIiiEEZZNS1_27merge_sort_block_merge_implIS3_N6thrust23THRUST_200600_302600_NS6detail15normal_iteratorINS8_10device_ptrIiEEEESD_jNS1_19radix_merge_compareILb1ELb1EiNS0_19identity_decomposerEEEEE10hipError_tT0_T1_T2_jT3_P12ihipStream_tbPNSt15iterator_traitsISI_E10value_typeEPNSO_ISJ_E10value_typeEPSK_NS1_7vsmem_tEENKUlT_SI_SJ_SK_E_clIPiSD_S10_SD_EESH_SX_SI_SJ_SK_EUlSX_E1_NS1_11comp_targetILNS1_3genE4ELNS1_11target_archE910ELNS1_3gpuE8ELNS1_3repE0EEENS1_36merge_oddeven_config_static_selectorELNS0_4arch9wavefront6targetE0EEEvSJ_
	.p2align	8
	.type	_ZN7rocprim17ROCPRIM_400000_NS6detail17trampoline_kernelINS0_14default_configENS1_38merge_sort_block_merge_config_selectorIiiEEZZNS1_27merge_sort_block_merge_implIS3_N6thrust23THRUST_200600_302600_NS6detail15normal_iteratorINS8_10device_ptrIiEEEESD_jNS1_19radix_merge_compareILb1ELb1EiNS0_19identity_decomposerEEEEE10hipError_tT0_T1_T2_jT3_P12ihipStream_tbPNSt15iterator_traitsISI_E10value_typeEPNSO_ISJ_E10value_typeEPSK_NS1_7vsmem_tEENKUlT_SI_SJ_SK_E_clIPiSD_S10_SD_EESH_SX_SI_SJ_SK_EUlSX_E1_NS1_11comp_targetILNS1_3genE4ELNS1_11target_archE910ELNS1_3gpuE8ELNS1_3repE0EEENS1_36merge_oddeven_config_static_selectorELNS0_4arch9wavefront6targetE0EEEvSJ_,@function
_ZN7rocprim17ROCPRIM_400000_NS6detail17trampoline_kernelINS0_14default_configENS1_38merge_sort_block_merge_config_selectorIiiEEZZNS1_27merge_sort_block_merge_implIS3_N6thrust23THRUST_200600_302600_NS6detail15normal_iteratorINS8_10device_ptrIiEEEESD_jNS1_19radix_merge_compareILb1ELb1EiNS0_19identity_decomposerEEEEE10hipError_tT0_T1_T2_jT3_P12ihipStream_tbPNSt15iterator_traitsISI_E10value_typeEPNSO_ISJ_E10value_typeEPSK_NS1_7vsmem_tEENKUlT_SI_SJ_SK_E_clIPiSD_S10_SD_EESH_SX_SI_SJ_SK_EUlSX_E1_NS1_11comp_targetILNS1_3genE4ELNS1_11target_archE910ELNS1_3gpuE8ELNS1_3repE0EEENS1_36merge_oddeven_config_static_selectorELNS0_4arch9wavefront6targetE0EEEvSJ_: ; @_ZN7rocprim17ROCPRIM_400000_NS6detail17trampoline_kernelINS0_14default_configENS1_38merge_sort_block_merge_config_selectorIiiEEZZNS1_27merge_sort_block_merge_implIS3_N6thrust23THRUST_200600_302600_NS6detail15normal_iteratorINS8_10device_ptrIiEEEESD_jNS1_19radix_merge_compareILb1ELb1EiNS0_19identity_decomposerEEEEE10hipError_tT0_T1_T2_jT3_P12ihipStream_tbPNSt15iterator_traitsISI_E10value_typeEPNSO_ISJ_E10value_typeEPSK_NS1_7vsmem_tEENKUlT_SI_SJ_SK_E_clIPiSD_S10_SD_EESH_SX_SI_SJ_SK_EUlSX_E1_NS1_11comp_targetILNS1_3genE4ELNS1_11target_archE910ELNS1_3gpuE8ELNS1_3repE0EEENS1_36merge_oddeven_config_static_selectorELNS0_4arch9wavefront6targetE0EEEvSJ_
; %bb.0:
	.section	.rodata,"a",@progbits
	.p2align	6, 0x0
	.amdhsa_kernel _ZN7rocprim17ROCPRIM_400000_NS6detail17trampoline_kernelINS0_14default_configENS1_38merge_sort_block_merge_config_selectorIiiEEZZNS1_27merge_sort_block_merge_implIS3_N6thrust23THRUST_200600_302600_NS6detail15normal_iteratorINS8_10device_ptrIiEEEESD_jNS1_19radix_merge_compareILb1ELb1EiNS0_19identity_decomposerEEEEE10hipError_tT0_T1_T2_jT3_P12ihipStream_tbPNSt15iterator_traitsISI_E10value_typeEPNSO_ISJ_E10value_typeEPSK_NS1_7vsmem_tEENKUlT_SI_SJ_SK_E_clIPiSD_S10_SD_EESH_SX_SI_SJ_SK_EUlSX_E1_NS1_11comp_targetILNS1_3genE4ELNS1_11target_archE910ELNS1_3gpuE8ELNS1_3repE0EEENS1_36merge_oddeven_config_static_selectorELNS0_4arch9wavefront6targetE0EEEvSJ_
		.amdhsa_group_segment_fixed_size 0
		.amdhsa_private_segment_fixed_size 0
		.amdhsa_kernarg_size 48
		.amdhsa_user_sgpr_count 6
		.amdhsa_user_sgpr_private_segment_buffer 1
		.amdhsa_user_sgpr_dispatch_ptr 0
		.amdhsa_user_sgpr_queue_ptr 0
		.amdhsa_user_sgpr_kernarg_segment_ptr 1
		.amdhsa_user_sgpr_dispatch_id 0
		.amdhsa_user_sgpr_flat_scratch_init 0
		.amdhsa_user_sgpr_private_segment_size 0
		.amdhsa_wavefront_size32 1
		.amdhsa_uses_dynamic_stack 0
		.amdhsa_system_sgpr_private_segment_wavefront_offset 0
		.amdhsa_system_sgpr_workgroup_id_x 1
		.amdhsa_system_sgpr_workgroup_id_y 0
		.amdhsa_system_sgpr_workgroup_id_z 0
		.amdhsa_system_sgpr_workgroup_info 0
		.amdhsa_system_vgpr_workitem_id 0
		.amdhsa_next_free_vgpr 1
		.amdhsa_next_free_sgpr 1
		.amdhsa_reserve_vcc 0
		.amdhsa_reserve_flat_scratch 0
		.amdhsa_float_round_mode_32 0
		.amdhsa_float_round_mode_16_64 0
		.amdhsa_float_denorm_mode_32 3
		.amdhsa_float_denorm_mode_16_64 3
		.amdhsa_dx10_clamp 1
		.amdhsa_ieee_mode 1
		.amdhsa_fp16_overflow 0
		.amdhsa_workgroup_processor_mode 1
		.amdhsa_memory_ordered 1
		.amdhsa_forward_progress 1
		.amdhsa_shared_vgpr_count 0
		.amdhsa_exception_fp_ieee_invalid_op 0
		.amdhsa_exception_fp_denorm_src 0
		.amdhsa_exception_fp_ieee_div_zero 0
		.amdhsa_exception_fp_ieee_overflow 0
		.amdhsa_exception_fp_ieee_underflow 0
		.amdhsa_exception_fp_ieee_inexact 0
		.amdhsa_exception_int_div_zero 0
	.end_amdhsa_kernel
	.section	.text._ZN7rocprim17ROCPRIM_400000_NS6detail17trampoline_kernelINS0_14default_configENS1_38merge_sort_block_merge_config_selectorIiiEEZZNS1_27merge_sort_block_merge_implIS3_N6thrust23THRUST_200600_302600_NS6detail15normal_iteratorINS8_10device_ptrIiEEEESD_jNS1_19radix_merge_compareILb1ELb1EiNS0_19identity_decomposerEEEEE10hipError_tT0_T1_T2_jT3_P12ihipStream_tbPNSt15iterator_traitsISI_E10value_typeEPNSO_ISJ_E10value_typeEPSK_NS1_7vsmem_tEENKUlT_SI_SJ_SK_E_clIPiSD_S10_SD_EESH_SX_SI_SJ_SK_EUlSX_E1_NS1_11comp_targetILNS1_3genE4ELNS1_11target_archE910ELNS1_3gpuE8ELNS1_3repE0EEENS1_36merge_oddeven_config_static_selectorELNS0_4arch9wavefront6targetE0EEEvSJ_,"axG",@progbits,_ZN7rocprim17ROCPRIM_400000_NS6detail17trampoline_kernelINS0_14default_configENS1_38merge_sort_block_merge_config_selectorIiiEEZZNS1_27merge_sort_block_merge_implIS3_N6thrust23THRUST_200600_302600_NS6detail15normal_iteratorINS8_10device_ptrIiEEEESD_jNS1_19radix_merge_compareILb1ELb1EiNS0_19identity_decomposerEEEEE10hipError_tT0_T1_T2_jT3_P12ihipStream_tbPNSt15iterator_traitsISI_E10value_typeEPNSO_ISJ_E10value_typeEPSK_NS1_7vsmem_tEENKUlT_SI_SJ_SK_E_clIPiSD_S10_SD_EESH_SX_SI_SJ_SK_EUlSX_E1_NS1_11comp_targetILNS1_3genE4ELNS1_11target_archE910ELNS1_3gpuE8ELNS1_3repE0EEENS1_36merge_oddeven_config_static_selectorELNS0_4arch9wavefront6targetE0EEEvSJ_,comdat
.Lfunc_end952:
	.size	_ZN7rocprim17ROCPRIM_400000_NS6detail17trampoline_kernelINS0_14default_configENS1_38merge_sort_block_merge_config_selectorIiiEEZZNS1_27merge_sort_block_merge_implIS3_N6thrust23THRUST_200600_302600_NS6detail15normal_iteratorINS8_10device_ptrIiEEEESD_jNS1_19radix_merge_compareILb1ELb1EiNS0_19identity_decomposerEEEEE10hipError_tT0_T1_T2_jT3_P12ihipStream_tbPNSt15iterator_traitsISI_E10value_typeEPNSO_ISJ_E10value_typeEPSK_NS1_7vsmem_tEENKUlT_SI_SJ_SK_E_clIPiSD_S10_SD_EESH_SX_SI_SJ_SK_EUlSX_E1_NS1_11comp_targetILNS1_3genE4ELNS1_11target_archE910ELNS1_3gpuE8ELNS1_3repE0EEENS1_36merge_oddeven_config_static_selectorELNS0_4arch9wavefront6targetE0EEEvSJ_, .Lfunc_end952-_ZN7rocprim17ROCPRIM_400000_NS6detail17trampoline_kernelINS0_14default_configENS1_38merge_sort_block_merge_config_selectorIiiEEZZNS1_27merge_sort_block_merge_implIS3_N6thrust23THRUST_200600_302600_NS6detail15normal_iteratorINS8_10device_ptrIiEEEESD_jNS1_19radix_merge_compareILb1ELb1EiNS0_19identity_decomposerEEEEE10hipError_tT0_T1_T2_jT3_P12ihipStream_tbPNSt15iterator_traitsISI_E10value_typeEPNSO_ISJ_E10value_typeEPSK_NS1_7vsmem_tEENKUlT_SI_SJ_SK_E_clIPiSD_S10_SD_EESH_SX_SI_SJ_SK_EUlSX_E1_NS1_11comp_targetILNS1_3genE4ELNS1_11target_archE910ELNS1_3gpuE8ELNS1_3repE0EEENS1_36merge_oddeven_config_static_selectorELNS0_4arch9wavefront6targetE0EEEvSJ_
                                        ; -- End function
	.set _ZN7rocprim17ROCPRIM_400000_NS6detail17trampoline_kernelINS0_14default_configENS1_38merge_sort_block_merge_config_selectorIiiEEZZNS1_27merge_sort_block_merge_implIS3_N6thrust23THRUST_200600_302600_NS6detail15normal_iteratorINS8_10device_ptrIiEEEESD_jNS1_19radix_merge_compareILb1ELb1EiNS0_19identity_decomposerEEEEE10hipError_tT0_T1_T2_jT3_P12ihipStream_tbPNSt15iterator_traitsISI_E10value_typeEPNSO_ISJ_E10value_typeEPSK_NS1_7vsmem_tEENKUlT_SI_SJ_SK_E_clIPiSD_S10_SD_EESH_SX_SI_SJ_SK_EUlSX_E1_NS1_11comp_targetILNS1_3genE4ELNS1_11target_archE910ELNS1_3gpuE8ELNS1_3repE0EEENS1_36merge_oddeven_config_static_selectorELNS0_4arch9wavefront6targetE0EEEvSJ_.num_vgpr, 0
	.set _ZN7rocprim17ROCPRIM_400000_NS6detail17trampoline_kernelINS0_14default_configENS1_38merge_sort_block_merge_config_selectorIiiEEZZNS1_27merge_sort_block_merge_implIS3_N6thrust23THRUST_200600_302600_NS6detail15normal_iteratorINS8_10device_ptrIiEEEESD_jNS1_19radix_merge_compareILb1ELb1EiNS0_19identity_decomposerEEEEE10hipError_tT0_T1_T2_jT3_P12ihipStream_tbPNSt15iterator_traitsISI_E10value_typeEPNSO_ISJ_E10value_typeEPSK_NS1_7vsmem_tEENKUlT_SI_SJ_SK_E_clIPiSD_S10_SD_EESH_SX_SI_SJ_SK_EUlSX_E1_NS1_11comp_targetILNS1_3genE4ELNS1_11target_archE910ELNS1_3gpuE8ELNS1_3repE0EEENS1_36merge_oddeven_config_static_selectorELNS0_4arch9wavefront6targetE0EEEvSJ_.num_agpr, 0
	.set _ZN7rocprim17ROCPRIM_400000_NS6detail17trampoline_kernelINS0_14default_configENS1_38merge_sort_block_merge_config_selectorIiiEEZZNS1_27merge_sort_block_merge_implIS3_N6thrust23THRUST_200600_302600_NS6detail15normal_iteratorINS8_10device_ptrIiEEEESD_jNS1_19radix_merge_compareILb1ELb1EiNS0_19identity_decomposerEEEEE10hipError_tT0_T1_T2_jT3_P12ihipStream_tbPNSt15iterator_traitsISI_E10value_typeEPNSO_ISJ_E10value_typeEPSK_NS1_7vsmem_tEENKUlT_SI_SJ_SK_E_clIPiSD_S10_SD_EESH_SX_SI_SJ_SK_EUlSX_E1_NS1_11comp_targetILNS1_3genE4ELNS1_11target_archE910ELNS1_3gpuE8ELNS1_3repE0EEENS1_36merge_oddeven_config_static_selectorELNS0_4arch9wavefront6targetE0EEEvSJ_.numbered_sgpr, 0
	.set _ZN7rocprim17ROCPRIM_400000_NS6detail17trampoline_kernelINS0_14default_configENS1_38merge_sort_block_merge_config_selectorIiiEEZZNS1_27merge_sort_block_merge_implIS3_N6thrust23THRUST_200600_302600_NS6detail15normal_iteratorINS8_10device_ptrIiEEEESD_jNS1_19radix_merge_compareILb1ELb1EiNS0_19identity_decomposerEEEEE10hipError_tT0_T1_T2_jT3_P12ihipStream_tbPNSt15iterator_traitsISI_E10value_typeEPNSO_ISJ_E10value_typeEPSK_NS1_7vsmem_tEENKUlT_SI_SJ_SK_E_clIPiSD_S10_SD_EESH_SX_SI_SJ_SK_EUlSX_E1_NS1_11comp_targetILNS1_3genE4ELNS1_11target_archE910ELNS1_3gpuE8ELNS1_3repE0EEENS1_36merge_oddeven_config_static_selectorELNS0_4arch9wavefront6targetE0EEEvSJ_.num_named_barrier, 0
	.set _ZN7rocprim17ROCPRIM_400000_NS6detail17trampoline_kernelINS0_14default_configENS1_38merge_sort_block_merge_config_selectorIiiEEZZNS1_27merge_sort_block_merge_implIS3_N6thrust23THRUST_200600_302600_NS6detail15normal_iteratorINS8_10device_ptrIiEEEESD_jNS1_19radix_merge_compareILb1ELb1EiNS0_19identity_decomposerEEEEE10hipError_tT0_T1_T2_jT3_P12ihipStream_tbPNSt15iterator_traitsISI_E10value_typeEPNSO_ISJ_E10value_typeEPSK_NS1_7vsmem_tEENKUlT_SI_SJ_SK_E_clIPiSD_S10_SD_EESH_SX_SI_SJ_SK_EUlSX_E1_NS1_11comp_targetILNS1_3genE4ELNS1_11target_archE910ELNS1_3gpuE8ELNS1_3repE0EEENS1_36merge_oddeven_config_static_selectorELNS0_4arch9wavefront6targetE0EEEvSJ_.private_seg_size, 0
	.set _ZN7rocprim17ROCPRIM_400000_NS6detail17trampoline_kernelINS0_14default_configENS1_38merge_sort_block_merge_config_selectorIiiEEZZNS1_27merge_sort_block_merge_implIS3_N6thrust23THRUST_200600_302600_NS6detail15normal_iteratorINS8_10device_ptrIiEEEESD_jNS1_19radix_merge_compareILb1ELb1EiNS0_19identity_decomposerEEEEE10hipError_tT0_T1_T2_jT3_P12ihipStream_tbPNSt15iterator_traitsISI_E10value_typeEPNSO_ISJ_E10value_typeEPSK_NS1_7vsmem_tEENKUlT_SI_SJ_SK_E_clIPiSD_S10_SD_EESH_SX_SI_SJ_SK_EUlSX_E1_NS1_11comp_targetILNS1_3genE4ELNS1_11target_archE910ELNS1_3gpuE8ELNS1_3repE0EEENS1_36merge_oddeven_config_static_selectorELNS0_4arch9wavefront6targetE0EEEvSJ_.uses_vcc, 0
	.set _ZN7rocprim17ROCPRIM_400000_NS6detail17trampoline_kernelINS0_14default_configENS1_38merge_sort_block_merge_config_selectorIiiEEZZNS1_27merge_sort_block_merge_implIS3_N6thrust23THRUST_200600_302600_NS6detail15normal_iteratorINS8_10device_ptrIiEEEESD_jNS1_19radix_merge_compareILb1ELb1EiNS0_19identity_decomposerEEEEE10hipError_tT0_T1_T2_jT3_P12ihipStream_tbPNSt15iterator_traitsISI_E10value_typeEPNSO_ISJ_E10value_typeEPSK_NS1_7vsmem_tEENKUlT_SI_SJ_SK_E_clIPiSD_S10_SD_EESH_SX_SI_SJ_SK_EUlSX_E1_NS1_11comp_targetILNS1_3genE4ELNS1_11target_archE910ELNS1_3gpuE8ELNS1_3repE0EEENS1_36merge_oddeven_config_static_selectorELNS0_4arch9wavefront6targetE0EEEvSJ_.uses_flat_scratch, 0
	.set _ZN7rocprim17ROCPRIM_400000_NS6detail17trampoline_kernelINS0_14default_configENS1_38merge_sort_block_merge_config_selectorIiiEEZZNS1_27merge_sort_block_merge_implIS3_N6thrust23THRUST_200600_302600_NS6detail15normal_iteratorINS8_10device_ptrIiEEEESD_jNS1_19radix_merge_compareILb1ELb1EiNS0_19identity_decomposerEEEEE10hipError_tT0_T1_T2_jT3_P12ihipStream_tbPNSt15iterator_traitsISI_E10value_typeEPNSO_ISJ_E10value_typeEPSK_NS1_7vsmem_tEENKUlT_SI_SJ_SK_E_clIPiSD_S10_SD_EESH_SX_SI_SJ_SK_EUlSX_E1_NS1_11comp_targetILNS1_3genE4ELNS1_11target_archE910ELNS1_3gpuE8ELNS1_3repE0EEENS1_36merge_oddeven_config_static_selectorELNS0_4arch9wavefront6targetE0EEEvSJ_.has_dyn_sized_stack, 0
	.set _ZN7rocprim17ROCPRIM_400000_NS6detail17trampoline_kernelINS0_14default_configENS1_38merge_sort_block_merge_config_selectorIiiEEZZNS1_27merge_sort_block_merge_implIS3_N6thrust23THRUST_200600_302600_NS6detail15normal_iteratorINS8_10device_ptrIiEEEESD_jNS1_19radix_merge_compareILb1ELb1EiNS0_19identity_decomposerEEEEE10hipError_tT0_T1_T2_jT3_P12ihipStream_tbPNSt15iterator_traitsISI_E10value_typeEPNSO_ISJ_E10value_typeEPSK_NS1_7vsmem_tEENKUlT_SI_SJ_SK_E_clIPiSD_S10_SD_EESH_SX_SI_SJ_SK_EUlSX_E1_NS1_11comp_targetILNS1_3genE4ELNS1_11target_archE910ELNS1_3gpuE8ELNS1_3repE0EEENS1_36merge_oddeven_config_static_selectorELNS0_4arch9wavefront6targetE0EEEvSJ_.has_recursion, 0
	.set _ZN7rocprim17ROCPRIM_400000_NS6detail17trampoline_kernelINS0_14default_configENS1_38merge_sort_block_merge_config_selectorIiiEEZZNS1_27merge_sort_block_merge_implIS3_N6thrust23THRUST_200600_302600_NS6detail15normal_iteratorINS8_10device_ptrIiEEEESD_jNS1_19radix_merge_compareILb1ELb1EiNS0_19identity_decomposerEEEEE10hipError_tT0_T1_T2_jT3_P12ihipStream_tbPNSt15iterator_traitsISI_E10value_typeEPNSO_ISJ_E10value_typeEPSK_NS1_7vsmem_tEENKUlT_SI_SJ_SK_E_clIPiSD_S10_SD_EESH_SX_SI_SJ_SK_EUlSX_E1_NS1_11comp_targetILNS1_3genE4ELNS1_11target_archE910ELNS1_3gpuE8ELNS1_3repE0EEENS1_36merge_oddeven_config_static_selectorELNS0_4arch9wavefront6targetE0EEEvSJ_.has_indirect_call, 0
	.section	.AMDGPU.csdata,"",@progbits
; Kernel info:
; codeLenInByte = 0
; TotalNumSgprs: 0
; NumVgprs: 0
; ScratchSize: 0
; MemoryBound: 0
; FloatMode: 240
; IeeeMode: 1
; LDSByteSize: 0 bytes/workgroup (compile time only)
; SGPRBlocks: 0
; VGPRBlocks: 0
; NumSGPRsForWavesPerEU: 1
; NumVGPRsForWavesPerEU: 1
; Occupancy: 16
; WaveLimiterHint : 0
; COMPUTE_PGM_RSRC2:SCRATCH_EN: 0
; COMPUTE_PGM_RSRC2:USER_SGPR: 6
; COMPUTE_PGM_RSRC2:TRAP_HANDLER: 0
; COMPUTE_PGM_RSRC2:TGID_X_EN: 1
; COMPUTE_PGM_RSRC2:TGID_Y_EN: 0
; COMPUTE_PGM_RSRC2:TGID_Z_EN: 0
; COMPUTE_PGM_RSRC2:TIDIG_COMP_CNT: 0
	.section	.text._ZN7rocprim17ROCPRIM_400000_NS6detail17trampoline_kernelINS0_14default_configENS1_38merge_sort_block_merge_config_selectorIiiEEZZNS1_27merge_sort_block_merge_implIS3_N6thrust23THRUST_200600_302600_NS6detail15normal_iteratorINS8_10device_ptrIiEEEESD_jNS1_19radix_merge_compareILb1ELb1EiNS0_19identity_decomposerEEEEE10hipError_tT0_T1_T2_jT3_P12ihipStream_tbPNSt15iterator_traitsISI_E10value_typeEPNSO_ISJ_E10value_typeEPSK_NS1_7vsmem_tEENKUlT_SI_SJ_SK_E_clIPiSD_S10_SD_EESH_SX_SI_SJ_SK_EUlSX_E1_NS1_11comp_targetILNS1_3genE3ELNS1_11target_archE908ELNS1_3gpuE7ELNS1_3repE0EEENS1_36merge_oddeven_config_static_selectorELNS0_4arch9wavefront6targetE0EEEvSJ_,"axG",@progbits,_ZN7rocprim17ROCPRIM_400000_NS6detail17trampoline_kernelINS0_14default_configENS1_38merge_sort_block_merge_config_selectorIiiEEZZNS1_27merge_sort_block_merge_implIS3_N6thrust23THRUST_200600_302600_NS6detail15normal_iteratorINS8_10device_ptrIiEEEESD_jNS1_19radix_merge_compareILb1ELb1EiNS0_19identity_decomposerEEEEE10hipError_tT0_T1_T2_jT3_P12ihipStream_tbPNSt15iterator_traitsISI_E10value_typeEPNSO_ISJ_E10value_typeEPSK_NS1_7vsmem_tEENKUlT_SI_SJ_SK_E_clIPiSD_S10_SD_EESH_SX_SI_SJ_SK_EUlSX_E1_NS1_11comp_targetILNS1_3genE3ELNS1_11target_archE908ELNS1_3gpuE7ELNS1_3repE0EEENS1_36merge_oddeven_config_static_selectorELNS0_4arch9wavefront6targetE0EEEvSJ_,comdat
	.protected	_ZN7rocprim17ROCPRIM_400000_NS6detail17trampoline_kernelINS0_14default_configENS1_38merge_sort_block_merge_config_selectorIiiEEZZNS1_27merge_sort_block_merge_implIS3_N6thrust23THRUST_200600_302600_NS6detail15normal_iteratorINS8_10device_ptrIiEEEESD_jNS1_19radix_merge_compareILb1ELb1EiNS0_19identity_decomposerEEEEE10hipError_tT0_T1_T2_jT3_P12ihipStream_tbPNSt15iterator_traitsISI_E10value_typeEPNSO_ISJ_E10value_typeEPSK_NS1_7vsmem_tEENKUlT_SI_SJ_SK_E_clIPiSD_S10_SD_EESH_SX_SI_SJ_SK_EUlSX_E1_NS1_11comp_targetILNS1_3genE3ELNS1_11target_archE908ELNS1_3gpuE7ELNS1_3repE0EEENS1_36merge_oddeven_config_static_selectorELNS0_4arch9wavefront6targetE0EEEvSJ_ ; -- Begin function _ZN7rocprim17ROCPRIM_400000_NS6detail17trampoline_kernelINS0_14default_configENS1_38merge_sort_block_merge_config_selectorIiiEEZZNS1_27merge_sort_block_merge_implIS3_N6thrust23THRUST_200600_302600_NS6detail15normal_iteratorINS8_10device_ptrIiEEEESD_jNS1_19radix_merge_compareILb1ELb1EiNS0_19identity_decomposerEEEEE10hipError_tT0_T1_T2_jT3_P12ihipStream_tbPNSt15iterator_traitsISI_E10value_typeEPNSO_ISJ_E10value_typeEPSK_NS1_7vsmem_tEENKUlT_SI_SJ_SK_E_clIPiSD_S10_SD_EESH_SX_SI_SJ_SK_EUlSX_E1_NS1_11comp_targetILNS1_3genE3ELNS1_11target_archE908ELNS1_3gpuE7ELNS1_3repE0EEENS1_36merge_oddeven_config_static_selectorELNS0_4arch9wavefront6targetE0EEEvSJ_
	.globl	_ZN7rocprim17ROCPRIM_400000_NS6detail17trampoline_kernelINS0_14default_configENS1_38merge_sort_block_merge_config_selectorIiiEEZZNS1_27merge_sort_block_merge_implIS3_N6thrust23THRUST_200600_302600_NS6detail15normal_iteratorINS8_10device_ptrIiEEEESD_jNS1_19radix_merge_compareILb1ELb1EiNS0_19identity_decomposerEEEEE10hipError_tT0_T1_T2_jT3_P12ihipStream_tbPNSt15iterator_traitsISI_E10value_typeEPNSO_ISJ_E10value_typeEPSK_NS1_7vsmem_tEENKUlT_SI_SJ_SK_E_clIPiSD_S10_SD_EESH_SX_SI_SJ_SK_EUlSX_E1_NS1_11comp_targetILNS1_3genE3ELNS1_11target_archE908ELNS1_3gpuE7ELNS1_3repE0EEENS1_36merge_oddeven_config_static_selectorELNS0_4arch9wavefront6targetE0EEEvSJ_
	.p2align	8
	.type	_ZN7rocprim17ROCPRIM_400000_NS6detail17trampoline_kernelINS0_14default_configENS1_38merge_sort_block_merge_config_selectorIiiEEZZNS1_27merge_sort_block_merge_implIS3_N6thrust23THRUST_200600_302600_NS6detail15normal_iteratorINS8_10device_ptrIiEEEESD_jNS1_19radix_merge_compareILb1ELb1EiNS0_19identity_decomposerEEEEE10hipError_tT0_T1_T2_jT3_P12ihipStream_tbPNSt15iterator_traitsISI_E10value_typeEPNSO_ISJ_E10value_typeEPSK_NS1_7vsmem_tEENKUlT_SI_SJ_SK_E_clIPiSD_S10_SD_EESH_SX_SI_SJ_SK_EUlSX_E1_NS1_11comp_targetILNS1_3genE3ELNS1_11target_archE908ELNS1_3gpuE7ELNS1_3repE0EEENS1_36merge_oddeven_config_static_selectorELNS0_4arch9wavefront6targetE0EEEvSJ_,@function
_ZN7rocprim17ROCPRIM_400000_NS6detail17trampoline_kernelINS0_14default_configENS1_38merge_sort_block_merge_config_selectorIiiEEZZNS1_27merge_sort_block_merge_implIS3_N6thrust23THRUST_200600_302600_NS6detail15normal_iteratorINS8_10device_ptrIiEEEESD_jNS1_19radix_merge_compareILb1ELb1EiNS0_19identity_decomposerEEEEE10hipError_tT0_T1_T2_jT3_P12ihipStream_tbPNSt15iterator_traitsISI_E10value_typeEPNSO_ISJ_E10value_typeEPSK_NS1_7vsmem_tEENKUlT_SI_SJ_SK_E_clIPiSD_S10_SD_EESH_SX_SI_SJ_SK_EUlSX_E1_NS1_11comp_targetILNS1_3genE3ELNS1_11target_archE908ELNS1_3gpuE7ELNS1_3repE0EEENS1_36merge_oddeven_config_static_selectorELNS0_4arch9wavefront6targetE0EEEvSJ_: ; @_ZN7rocprim17ROCPRIM_400000_NS6detail17trampoline_kernelINS0_14default_configENS1_38merge_sort_block_merge_config_selectorIiiEEZZNS1_27merge_sort_block_merge_implIS3_N6thrust23THRUST_200600_302600_NS6detail15normal_iteratorINS8_10device_ptrIiEEEESD_jNS1_19radix_merge_compareILb1ELb1EiNS0_19identity_decomposerEEEEE10hipError_tT0_T1_T2_jT3_P12ihipStream_tbPNSt15iterator_traitsISI_E10value_typeEPNSO_ISJ_E10value_typeEPSK_NS1_7vsmem_tEENKUlT_SI_SJ_SK_E_clIPiSD_S10_SD_EESH_SX_SI_SJ_SK_EUlSX_E1_NS1_11comp_targetILNS1_3genE3ELNS1_11target_archE908ELNS1_3gpuE7ELNS1_3repE0EEENS1_36merge_oddeven_config_static_selectorELNS0_4arch9wavefront6targetE0EEEvSJ_
; %bb.0:
	.section	.rodata,"a",@progbits
	.p2align	6, 0x0
	.amdhsa_kernel _ZN7rocprim17ROCPRIM_400000_NS6detail17trampoline_kernelINS0_14default_configENS1_38merge_sort_block_merge_config_selectorIiiEEZZNS1_27merge_sort_block_merge_implIS3_N6thrust23THRUST_200600_302600_NS6detail15normal_iteratorINS8_10device_ptrIiEEEESD_jNS1_19radix_merge_compareILb1ELb1EiNS0_19identity_decomposerEEEEE10hipError_tT0_T1_T2_jT3_P12ihipStream_tbPNSt15iterator_traitsISI_E10value_typeEPNSO_ISJ_E10value_typeEPSK_NS1_7vsmem_tEENKUlT_SI_SJ_SK_E_clIPiSD_S10_SD_EESH_SX_SI_SJ_SK_EUlSX_E1_NS1_11comp_targetILNS1_3genE3ELNS1_11target_archE908ELNS1_3gpuE7ELNS1_3repE0EEENS1_36merge_oddeven_config_static_selectorELNS0_4arch9wavefront6targetE0EEEvSJ_
		.amdhsa_group_segment_fixed_size 0
		.amdhsa_private_segment_fixed_size 0
		.amdhsa_kernarg_size 48
		.amdhsa_user_sgpr_count 6
		.amdhsa_user_sgpr_private_segment_buffer 1
		.amdhsa_user_sgpr_dispatch_ptr 0
		.amdhsa_user_sgpr_queue_ptr 0
		.amdhsa_user_sgpr_kernarg_segment_ptr 1
		.amdhsa_user_sgpr_dispatch_id 0
		.amdhsa_user_sgpr_flat_scratch_init 0
		.amdhsa_user_sgpr_private_segment_size 0
		.amdhsa_wavefront_size32 1
		.amdhsa_uses_dynamic_stack 0
		.amdhsa_system_sgpr_private_segment_wavefront_offset 0
		.amdhsa_system_sgpr_workgroup_id_x 1
		.amdhsa_system_sgpr_workgroup_id_y 0
		.amdhsa_system_sgpr_workgroup_id_z 0
		.amdhsa_system_sgpr_workgroup_info 0
		.amdhsa_system_vgpr_workitem_id 0
		.amdhsa_next_free_vgpr 1
		.amdhsa_next_free_sgpr 1
		.amdhsa_reserve_vcc 0
		.amdhsa_reserve_flat_scratch 0
		.amdhsa_float_round_mode_32 0
		.amdhsa_float_round_mode_16_64 0
		.amdhsa_float_denorm_mode_32 3
		.amdhsa_float_denorm_mode_16_64 3
		.amdhsa_dx10_clamp 1
		.amdhsa_ieee_mode 1
		.amdhsa_fp16_overflow 0
		.amdhsa_workgroup_processor_mode 1
		.amdhsa_memory_ordered 1
		.amdhsa_forward_progress 1
		.amdhsa_shared_vgpr_count 0
		.amdhsa_exception_fp_ieee_invalid_op 0
		.amdhsa_exception_fp_denorm_src 0
		.amdhsa_exception_fp_ieee_div_zero 0
		.amdhsa_exception_fp_ieee_overflow 0
		.amdhsa_exception_fp_ieee_underflow 0
		.amdhsa_exception_fp_ieee_inexact 0
		.amdhsa_exception_int_div_zero 0
	.end_amdhsa_kernel
	.section	.text._ZN7rocprim17ROCPRIM_400000_NS6detail17trampoline_kernelINS0_14default_configENS1_38merge_sort_block_merge_config_selectorIiiEEZZNS1_27merge_sort_block_merge_implIS3_N6thrust23THRUST_200600_302600_NS6detail15normal_iteratorINS8_10device_ptrIiEEEESD_jNS1_19radix_merge_compareILb1ELb1EiNS0_19identity_decomposerEEEEE10hipError_tT0_T1_T2_jT3_P12ihipStream_tbPNSt15iterator_traitsISI_E10value_typeEPNSO_ISJ_E10value_typeEPSK_NS1_7vsmem_tEENKUlT_SI_SJ_SK_E_clIPiSD_S10_SD_EESH_SX_SI_SJ_SK_EUlSX_E1_NS1_11comp_targetILNS1_3genE3ELNS1_11target_archE908ELNS1_3gpuE7ELNS1_3repE0EEENS1_36merge_oddeven_config_static_selectorELNS0_4arch9wavefront6targetE0EEEvSJ_,"axG",@progbits,_ZN7rocprim17ROCPRIM_400000_NS6detail17trampoline_kernelINS0_14default_configENS1_38merge_sort_block_merge_config_selectorIiiEEZZNS1_27merge_sort_block_merge_implIS3_N6thrust23THRUST_200600_302600_NS6detail15normal_iteratorINS8_10device_ptrIiEEEESD_jNS1_19radix_merge_compareILb1ELb1EiNS0_19identity_decomposerEEEEE10hipError_tT0_T1_T2_jT3_P12ihipStream_tbPNSt15iterator_traitsISI_E10value_typeEPNSO_ISJ_E10value_typeEPSK_NS1_7vsmem_tEENKUlT_SI_SJ_SK_E_clIPiSD_S10_SD_EESH_SX_SI_SJ_SK_EUlSX_E1_NS1_11comp_targetILNS1_3genE3ELNS1_11target_archE908ELNS1_3gpuE7ELNS1_3repE0EEENS1_36merge_oddeven_config_static_selectorELNS0_4arch9wavefront6targetE0EEEvSJ_,comdat
.Lfunc_end953:
	.size	_ZN7rocprim17ROCPRIM_400000_NS6detail17trampoline_kernelINS0_14default_configENS1_38merge_sort_block_merge_config_selectorIiiEEZZNS1_27merge_sort_block_merge_implIS3_N6thrust23THRUST_200600_302600_NS6detail15normal_iteratorINS8_10device_ptrIiEEEESD_jNS1_19radix_merge_compareILb1ELb1EiNS0_19identity_decomposerEEEEE10hipError_tT0_T1_T2_jT3_P12ihipStream_tbPNSt15iterator_traitsISI_E10value_typeEPNSO_ISJ_E10value_typeEPSK_NS1_7vsmem_tEENKUlT_SI_SJ_SK_E_clIPiSD_S10_SD_EESH_SX_SI_SJ_SK_EUlSX_E1_NS1_11comp_targetILNS1_3genE3ELNS1_11target_archE908ELNS1_3gpuE7ELNS1_3repE0EEENS1_36merge_oddeven_config_static_selectorELNS0_4arch9wavefront6targetE0EEEvSJ_, .Lfunc_end953-_ZN7rocprim17ROCPRIM_400000_NS6detail17trampoline_kernelINS0_14default_configENS1_38merge_sort_block_merge_config_selectorIiiEEZZNS1_27merge_sort_block_merge_implIS3_N6thrust23THRUST_200600_302600_NS6detail15normal_iteratorINS8_10device_ptrIiEEEESD_jNS1_19radix_merge_compareILb1ELb1EiNS0_19identity_decomposerEEEEE10hipError_tT0_T1_T2_jT3_P12ihipStream_tbPNSt15iterator_traitsISI_E10value_typeEPNSO_ISJ_E10value_typeEPSK_NS1_7vsmem_tEENKUlT_SI_SJ_SK_E_clIPiSD_S10_SD_EESH_SX_SI_SJ_SK_EUlSX_E1_NS1_11comp_targetILNS1_3genE3ELNS1_11target_archE908ELNS1_3gpuE7ELNS1_3repE0EEENS1_36merge_oddeven_config_static_selectorELNS0_4arch9wavefront6targetE0EEEvSJ_
                                        ; -- End function
	.set _ZN7rocprim17ROCPRIM_400000_NS6detail17trampoline_kernelINS0_14default_configENS1_38merge_sort_block_merge_config_selectorIiiEEZZNS1_27merge_sort_block_merge_implIS3_N6thrust23THRUST_200600_302600_NS6detail15normal_iteratorINS8_10device_ptrIiEEEESD_jNS1_19radix_merge_compareILb1ELb1EiNS0_19identity_decomposerEEEEE10hipError_tT0_T1_T2_jT3_P12ihipStream_tbPNSt15iterator_traitsISI_E10value_typeEPNSO_ISJ_E10value_typeEPSK_NS1_7vsmem_tEENKUlT_SI_SJ_SK_E_clIPiSD_S10_SD_EESH_SX_SI_SJ_SK_EUlSX_E1_NS1_11comp_targetILNS1_3genE3ELNS1_11target_archE908ELNS1_3gpuE7ELNS1_3repE0EEENS1_36merge_oddeven_config_static_selectorELNS0_4arch9wavefront6targetE0EEEvSJ_.num_vgpr, 0
	.set _ZN7rocprim17ROCPRIM_400000_NS6detail17trampoline_kernelINS0_14default_configENS1_38merge_sort_block_merge_config_selectorIiiEEZZNS1_27merge_sort_block_merge_implIS3_N6thrust23THRUST_200600_302600_NS6detail15normal_iteratorINS8_10device_ptrIiEEEESD_jNS1_19radix_merge_compareILb1ELb1EiNS0_19identity_decomposerEEEEE10hipError_tT0_T1_T2_jT3_P12ihipStream_tbPNSt15iterator_traitsISI_E10value_typeEPNSO_ISJ_E10value_typeEPSK_NS1_7vsmem_tEENKUlT_SI_SJ_SK_E_clIPiSD_S10_SD_EESH_SX_SI_SJ_SK_EUlSX_E1_NS1_11comp_targetILNS1_3genE3ELNS1_11target_archE908ELNS1_3gpuE7ELNS1_3repE0EEENS1_36merge_oddeven_config_static_selectorELNS0_4arch9wavefront6targetE0EEEvSJ_.num_agpr, 0
	.set _ZN7rocprim17ROCPRIM_400000_NS6detail17trampoline_kernelINS0_14default_configENS1_38merge_sort_block_merge_config_selectorIiiEEZZNS1_27merge_sort_block_merge_implIS3_N6thrust23THRUST_200600_302600_NS6detail15normal_iteratorINS8_10device_ptrIiEEEESD_jNS1_19radix_merge_compareILb1ELb1EiNS0_19identity_decomposerEEEEE10hipError_tT0_T1_T2_jT3_P12ihipStream_tbPNSt15iterator_traitsISI_E10value_typeEPNSO_ISJ_E10value_typeEPSK_NS1_7vsmem_tEENKUlT_SI_SJ_SK_E_clIPiSD_S10_SD_EESH_SX_SI_SJ_SK_EUlSX_E1_NS1_11comp_targetILNS1_3genE3ELNS1_11target_archE908ELNS1_3gpuE7ELNS1_3repE0EEENS1_36merge_oddeven_config_static_selectorELNS0_4arch9wavefront6targetE0EEEvSJ_.numbered_sgpr, 0
	.set _ZN7rocprim17ROCPRIM_400000_NS6detail17trampoline_kernelINS0_14default_configENS1_38merge_sort_block_merge_config_selectorIiiEEZZNS1_27merge_sort_block_merge_implIS3_N6thrust23THRUST_200600_302600_NS6detail15normal_iteratorINS8_10device_ptrIiEEEESD_jNS1_19radix_merge_compareILb1ELb1EiNS0_19identity_decomposerEEEEE10hipError_tT0_T1_T2_jT3_P12ihipStream_tbPNSt15iterator_traitsISI_E10value_typeEPNSO_ISJ_E10value_typeEPSK_NS1_7vsmem_tEENKUlT_SI_SJ_SK_E_clIPiSD_S10_SD_EESH_SX_SI_SJ_SK_EUlSX_E1_NS1_11comp_targetILNS1_3genE3ELNS1_11target_archE908ELNS1_3gpuE7ELNS1_3repE0EEENS1_36merge_oddeven_config_static_selectorELNS0_4arch9wavefront6targetE0EEEvSJ_.num_named_barrier, 0
	.set _ZN7rocprim17ROCPRIM_400000_NS6detail17trampoline_kernelINS0_14default_configENS1_38merge_sort_block_merge_config_selectorIiiEEZZNS1_27merge_sort_block_merge_implIS3_N6thrust23THRUST_200600_302600_NS6detail15normal_iteratorINS8_10device_ptrIiEEEESD_jNS1_19radix_merge_compareILb1ELb1EiNS0_19identity_decomposerEEEEE10hipError_tT0_T1_T2_jT3_P12ihipStream_tbPNSt15iterator_traitsISI_E10value_typeEPNSO_ISJ_E10value_typeEPSK_NS1_7vsmem_tEENKUlT_SI_SJ_SK_E_clIPiSD_S10_SD_EESH_SX_SI_SJ_SK_EUlSX_E1_NS1_11comp_targetILNS1_3genE3ELNS1_11target_archE908ELNS1_3gpuE7ELNS1_3repE0EEENS1_36merge_oddeven_config_static_selectorELNS0_4arch9wavefront6targetE0EEEvSJ_.private_seg_size, 0
	.set _ZN7rocprim17ROCPRIM_400000_NS6detail17trampoline_kernelINS0_14default_configENS1_38merge_sort_block_merge_config_selectorIiiEEZZNS1_27merge_sort_block_merge_implIS3_N6thrust23THRUST_200600_302600_NS6detail15normal_iteratorINS8_10device_ptrIiEEEESD_jNS1_19radix_merge_compareILb1ELb1EiNS0_19identity_decomposerEEEEE10hipError_tT0_T1_T2_jT3_P12ihipStream_tbPNSt15iterator_traitsISI_E10value_typeEPNSO_ISJ_E10value_typeEPSK_NS1_7vsmem_tEENKUlT_SI_SJ_SK_E_clIPiSD_S10_SD_EESH_SX_SI_SJ_SK_EUlSX_E1_NS1_11comp_targetILNS1_3genE3ELNS1_11target_archE908ELNS1_3gpuE7ELNS1_3repE0EEENS1_36merge_oddeven_config_static_selectorELNS0_4arch9wavefront6targetE0EEEvSJ_.uses_vcc, 0
	.set _ZN7rocprim17ROCPRIM_400000_NS6detail17trampoline_kernelINS0_14default_configENS1_38merge_sort_block_merge_config_selectorIiiEEZZNS1_27merge_sort_block_merge_implIS3_N6thrust23THRUST_200600_302600_NS6detail15normal_iteratorINS8_10device_ptrIiEEEESD_jNS1_19radix_merge_compareILb1ELb1EiNS0_19identity_decomposerEEEEE10hipError_tT0_T1_T2_jT3_P12ihipStream_tbPNSt15iterator_traitsISI_E10value_typeEPNSO_ISJ_E10value_typeEPSK_NS1_7vsmem_tEENKUlT_SI_SJ_SK_E_clIPiSD_S10_SD_EESH_SX_SI_SJ_SK_EUlSX_E1_NS1_11comp_targetILNS1_3genE3ELNS1_11target_archE908ELNS1_3gpuE7ELNS1_3repE0EEENS1_36merge_oddeven_config_static_selectorELNS0_4arch9wavefront6targetE0EEEvSJ_.uses_flat_scratch, 0
	.set _ZN7rocprim17ROCPRIM_400000_NS6detail17trampoline_kernelINS0_14default_configENS1_38merge_sort_block_merge_config_selectorIiiEEZZNS1_27merge_sort_block_merge_implIS3_N6thrust23THRUST_200600_302600_NS6detail15normal_iteratorINS8_10device_ptrIiEEEESD_jNS1_19radix_merge_compareILb1ELb1EiNS0_19identity_decomposerEEEEE10hipError_tT0_T1_T2_jT3_P12ihipStream_tbPNSt15iterator_traitsISI_E10value_typeEPNSO_ISJ_E10value_typeEPSK_NS1_7vsmem_tEENKUlT_SI_SJ_SK_E_clIPiSD_S10_SD_EESH_SX_SI_SJ_SK_EUlSX_E1_NS1_11comp_targetILNS1_3genE3ELNS1_11target_archE908ELNS1_3gpuE7ELNS1_3repE0EEENS1_36merge_oddeven_config_static_selectorELNS0_4arch9wavefront6targetE0EEEvSJ_.has_dyn_sized_stack, 0
	.set _ZN7rocprim17ROCPRIM_400000_NS6detail17trampoline_kernelINS0_14default_configENS1_38merge_sort_block_merge_config_selectorIiiEEZZNS1_27merge_sort_block_merge_implIS3_N6thrust23THRUST_200600_302600_NS6detail15normal_iteratorINS8_10device_ptrIiEEEESD_jNS1_19radix_merge_compareILb1ELb1EiNS0_19identity_decomposerEEEEE10hipError_tT0_T1_T2_jT3_P12ihipStream_tbPNSt15iterator_traitsISI_E10value_typeEPNSO_ISJ_E10value_typeEPSK_NS1_7vsmem_tEENKUlT_SI_SJ_SK_E_clIPiSD_S10_SD_EESH_SX_SI_SJ_SK_EUlSX_E1_NS1_11comp_targetILNS1_3genE3ELNS1_11target_archE908ELNS1_3gpuE7ELNS1_3repE0EEENS1_36merge_oddeven_config_static_selectorELNS0_4arch9wavefront6targetE0EEEvSJ_.has_recursion, 0
	.set _ZN7rocprim17ROCPRIM_400000_NS6detail17trampoline_kernelINS0_14default_configENS1_38merge_sort_block_merge_config_selectorIiiEEZZNS1_27merge_sort_block_merge_implIS3_N6thrust23THRUST_200600_302600_NS6detail15normal_iteratorINS8_10device_ptrIiEEEESD_jNS1_19radix_merge_compareILb1ELb1EiNS0_19identity_decomposerEEEEE10hipError_tT0_T1_T2_jT3_P12ihipStream_tbPNSt15iterator_traitsISI_E10value_typeEPNSO_ISJ_E10value_typeEPSK_NS1_7vsmem_tEENKUlT_SI_SJ_SK_E_clIPiSD_S10_SD_EESH_SX_SI_SJ_SK_EUlSX_E1_NS1_11comp_targetILNS1_3genE3ELNS1_11target_archE908ELNS1_3gpuE7ELNS1_3repE0EEENS1_36merge_oddeven_config_static_selectorELNS0_4arch9wavefront6targetE0EEEvSJ_.has_indirect_call, 0
	.section	.AMDGPU.csdata,"",@progbits
; Kernel info:
; codeLenInByte = 0
; TotalNumSgprs: 0
; NumVgprs: 0
; ScratchSize: 0
; MemoryBound: 0
; FloatMode: 240
; IeeeMode: 1
; LDSByteSize: 0 bytes/workgroup (compile time only)
; SGPRBlocks: 0
; VGPRBlocks: 0
; NumSGPRsForWavesPerEU: 1
; NumVGPRsForWavesPerEU: 1
; Occupancy: 16
; WaveLimiterHint : 0
; COMPUTE_PGM_RSRC2:SCRATCH_EN: 0
; COMPUTE_PGM_RSRC2:USER_SGPR: 6
; COMPUTE_PGM_RSRC2:TRAP_HANDLER: 0
; COMPUTE_PGM_RSRC2:TGID_X_EN: 1
; COMPUTE_PGM_RSRC2:TGID_Y_EN: 0
; COMPUTE_PGM_RSRC2:TGID_Z_EN: 0
; COMPUTE_PGM_RSRC2:TIDIG_COMP_CNT: 0
	.section	.text._ZN7rocprim17ROCPRIM_400000_NS6detail17trampoline_kernelINS0_14default_configENS1_38merge_sort_block_merge_config_selectorIiiEEZZNS1_27merge_sort_block_merge_implIS3_N6thrust23THRUST_200600_302600_NS6detail15normal_iteratorINS8_10device_ptrIiEEEESD_jNS1_19radix_merge_compareILb1ELb1EiNS0_19identity_decomposerEEEEE10hipError_tT0_T1_T2_jT3_P12ihipStream_tbPNSt15iterator_traitsISI_E10value_typeEPNSO_ISJ_E10value_typeEPSK_NS1_7vsmem_tEENKUlT_SI_SJ_SK_E_clIPiSD_S10_SD_EESH_SX_SI_SJ_SK_EUlSX_E1_NS1_11comp_targetILNS1_3genE2ELNS1_11target_archE906ELNS1_3gpuE6ELNS1_3repE0EEENS1_36merge_oddeven_config_static_selectorELNS0_4arch9wavefront6targetE0EEEvSJ_,"axG",@progbits,_ZN7rocprim17ROCPRIM_400000_NS6detail17trampoline_kernelINS0_14default_configENS1_38merge_sort_block_merge_config_selectorIiiEEZZNS1_27merge_sort_block_merge_implIS3_N6thrust23THRUST_200600_302600_NS6detail15normal_iteratorINS8_10device_ptrIiEEEESD_jNS1_19radix_merge_compareILb1ELb1EiNS0_19identity_decomposerEEEEE10hipError_tT0_T1_T2_jT3_P12ihipStream_tbPNSt15iterator_traitsISI_E10value_typeEPNSO_ISJ_E10value_typeEPSK_NS1_7vsmem_tEENKUlT_SI_SJ_SK_E_clIPiSD_S10_SD_EESH_SX_SI_SJ_SK_EUlSX_E1_NS1_11comp_targetILNS1_3genE2ELNS1_11target_archE906ELNS1_3gpuE6ELNS1_3repE0EEENS1_36merge_oddeven_config_static_selectorELNS0_4arch9wavefront6targetE0EEEvSJ_,comdat
	.protected	_ZN7rocprim17ROCPRIM_400000_NS6detail17trampoline_kernelINS0_14default_configENS1_38merge_sort_block_merge_config_selectorIiiEEZZNS1_27merge_sort_block_merge_implIS3_N6thrust23THRUST_200600_302600_NS6detail15normal_iteratorINS8_10device_ptrIiEEEESD_jNS1_19radix_merge_compareILb1ELb1EiNS0_19identity_decomposerEEEEE10hipError_tT0_T1_T2_jT3_P12ihipStream_tbPNSt15iterator_traitsISI_E10value_typeEPNSO_ISJ_E10value_typeEPSK_NS1_7vsmem_tEENKUlT_SI_SJ_SK_E_clIPiSD_S10_SD_EESH_SX_SI_SJ_SK_EUlSX_E1_NS1_11comp_targetILNS1_3genE2ELNS1_11target_archE906ELNS1_3gpuE6ELNS1_3repE0EEENS1_36merge_oddeven_config_static_selectorELNS0_4arch9wavefront6targetE0EEEvSJ_ ; -- Begin function _ZN7rocprim17ROCPRIM_400000_NS6detail17trampoline_kernelINS0_14default_configENS1_38merge_sort_block_merge_config_selectorIiiEEZZNS1_27merge_sort_block_merge_implIS3_N6thrust23THRUST_200600_302600_NS6detail15normal_iteratorINS8_10device_ptrIiEEEESD_jNS1_19radix_merge_compareILb1ELb1EiNS0_19identity_decomposerEEEEE10hipError_tT0_T1_T2_jT3_P12ihipStream_tbPNSt15iterator_traitsISI_E10value_typeEPNSO_ISJ_E10value_typeEPSK_NS1_7vsmem_tEENKUlT_SI_SJ_SK_E_clIPiSD_S10_SD_EESH_SX_SI_SJ_SK_EUlSX_E1_NS1_11comp_targetILNS1_3genE2ELNS1_11target_archE906ELNS1_3gpuE6ELNS1_3repE0EEENS1_36merge_oddeven_config_static_selectorELNS0_4arch9wavefront6targetE0EEEvSJ_
	.globl	_ZN7rocprim17ROCPRIM_400000_NS6detail17trampoline_kernelINS0_14default_configENS1_38merge_sort_block_merge_config_selectorIiiEEZZNS1_27merge_sort_block_merge_implIS3_N6thrust23THRUST_200600_302600_NS6detail15normal_iteratorINS8_10device_ptrIiEEEESD_jNS1_19radix_merge_compareILb1ELb1EiNS0_19identity_decomposerEEEEE10hipError_tT0_T1_T2_jT3_P12ihipStream_tbPNSt15iterator_traitsISI_E10value_typeEPNSO_ISJ_E10value_typeEPSK_NS1_7vsmem_tEENKUlT_SI_SJ_SK_E_clIPiSD_S10_SD_EESH_SX_SI_SJ_SK_EUlSX_E1_NS1_11comp_targetILNS1_3genE2ELNS1_11target_archE906ELNS1_3gpuE6ELNS1_3repE0EEENS1_36merge_oddeven_config_static_selectorELNS0_4arch9wavefront6targetE0EEEvSJ_
	.p2align	8
	.type	_ZN7rocprim17ROCPRIM_400000_NS6detail17trampoline_kernelINS0_14default_configENS1_38merge_sort_block_merge_config_selectorIiiEEZZNS1_27merge_sort_block_merge_implIS3_N6thrust23THRUST_200600_302600_NS6detail15normal_iteratorINS8_10device_ptrIiEEEESD_jNS1_19radix_merge_compareILb1ELb1EiNS0_19identity_decomposerEEEEE10hipError_tT0_T1_T2_jT3_P12ihipStream_tbPNSt15iterator_traitsISI_E10value_typeEPNSO_ISJ_E10value_typeEPSK_NS1_7vsmem_tEENKUlT_SI_SJ_SK_E_clIPiSD_S10_SD_EESH_SX_SI_SJ_SK_EUlSX_E1_NS1_11comp_targetILNS1_3genE2ELNS1_11target_archE906ELNS1_3gpuE6ELNS1_3repE0EEENS1_36merge_oddeven_config_static_selectorELNS0_4arch9wavefront6targetE0EEEvSJ_,@function
_ZN7rocprim17ROCPRIM_400000_NS6detail17trampoline_kernelINS0_14default_configENS1_38merge_sort_block_merge_config_selectorIiiEEZZNS1_27merge_sort_block_merge_implIS3_N6thrust23THRUST_200600_302600_NS6detail15normal_iteratorINS8_10device_ptrIiEEEESD_jNS1_19radix_merge_compareILb1ELb1EiNS0_19identity_decomposerEEEEE10hipError_tT0_T1_T2_jT3_P12ihipStream_tbPNSt15iterator_traitsISI_E10value_typeEPNSO_ISJ_E10value_typeEPSK_NS1_7vsmem_tEENKUlT_SI_SJ_SK_E_clIPiSD_S10_SD_EESH_SX_SI_SJ_SK_EUlSX_E1_NS1_11comp_targetILNS1_3genE2ELNS1_11target_archE906ELNS1_3gpuE6ELNS1_3repE0EEENS1_36merge_oddeven_config_static_selectorELNS0_4arch9wavefront6targetE0EEEvSJ_: ; @_ZN7rocprim17ROCPRIM_400000_NS6detail17trampoline_kernelINS0_14default_configENS1_38merge_sort_block_merge_config_selectorIiiEEZZNS1_27merge_sort_block_merge_implIS3_N6thrust23THRUST_200600_302600_NS6detail15normal_iteratorINS8_10device_ptrIiEEEESD_jNS1_19radix_merge_compareILb1ELb1EiNS0_19identity_decomposerEEEEE10hipError_tT0_T1_T2_jT3_P12ihipStream_tbPNSt15iterator_traitsISI_E10value_typeEPNSO_ISJ_E10value_typeEPSK_NS1_7vsmem_tEENKUlT_SI_SJ_SK_E_clIPiSD_S10_SD_EESH_SX_SI_SJ_SK_EUlSX_E1_NS1_11comp_targetILNS1_3genE2ELNS1_11target_archE906ELNS1_3gpuE6ELNS1_3repE0EEENS1_36merge_oddeven_config_static_selectorELNS0_4arch9wavefront6targetE0EEEvSJ_
; %bb.0:
	.section	.rodata,"a",@progbits
	.p2align	6, 0x0
	.amdhsa_kernel _ZN7rocprim17ROCPRIM_400000_NS6detail17trampoline_kernelINS0_14default_configENS1_38merge_sort_block_merge_config_selectorIiiEEZZNS1_27merge_sort_block_merge_implIS3_N6thrust23THRUST_200600_302600_NS6detail15normal_iteratorINS8_10device_ptrIiEEEESD_jNS1_19radix_merge_compareILb1ELb1EiNS0_19identity_decomposerEEEEE10hipError_tT0_T1_T2_jT3_P12ihipStream_tbPNSt15iterator_traitsISI_E10value_typeEPNSO_ISJ_E10value_typeEPSK_NS1_7vsmem_tEENKUlT_SI_SJ_SK_E_clIPiSD_S10_SD_EESH_SX_SI_SJ_SK_EUlSX_E1_NS1_11comp_targetILNS1_3genE2ELNS1_11target_archE906ELNS1_3gpuE6ELNS1_3repE0EEENS1_36merge_oddeven_config_static_selectorELNS0_4arch9wavefront6targetE0EEEvSJ_
		.amdhsa_group_segment_fixed_size 0
		.amdhsa_private_segment_fixed_size 0
		.amdhsa_kernarg_size 48
		.amdhsa_user_sgpr_count 6
		.amdhsa_user_sgpr_private_segment_buffer 1
		.amdhsa_user_sgpr_dispatch_ptr 0
		.amdhsa_user_sgpr_queue_ptr 0
		.amdhsa_user_sgpr_kernarg_segment_ptr 1
		.amdhsa_user_sgpr_dispatch_id 0
		.amdhsa_user_sgpr_flat_scratch_init 0
		.amdhsa_user_sgpr_private_segment_size 0
		.amdhsa_wavefront_size32 1
		.amdhsa_uses_dynamic_stack 0
		.amdhsa_system_sgpr_private_segment_wavefront_offset 0
		.amdhsa_system_sgpr_workgroup_id_x 1
		.amdhsa_system_sgpr_workgroup_id_y 0
		.amdhsa_system_sgpr_workgroup_id_z 0
		.amdhsa_system_sgpr_workgroup_info 0
		.amdhsa_system_vgpr_workitem_id 0
		.amdhsa_next_free_vgpr 1
		.amdhsa_next_free_sgpr 1
		.amdhsa_reserve_vcc 0
		.amdhsa_reserve_flat_scratch 0
		.amdhsa_float_round_mode_32 0
		.amdhsa_float_round_mode_16_64 0
		.amdhsa_float_denorm_mode_32 3
		.amdhsa_float_denorm_mode_16_64 3
		.amdhsa_dx10_clamp 1
		.amdhsa_ieee_mode 1
		.amdhsa_fp16_overflow 0
		.amdhsa_workgroup_processor_mode 1
		.amdhsa_memory_ordered 1
		.amdhsa_forward_progress 1
		.amdhsa_shared_vgpr_count 0
		.amdhsa_exception_fp_ieee_invalid_op 0
		.amdhsa_exception_fp_denorm_src 0
		.amdhsa_exception_fp_ieee_div_zero 0
		.amdhsa_exception_fp_ieee_overflow 0
		.amdhsa_exception_fp_ieee_underflow 0
		.amdhsa_exception_fp_ieee_inexact 0
		.amdhsa_exception_int_div_zero 0
	.end_amdhsa_kernel
	.section	.text._ZN7rocprim17ROCPRIM_400000_NS6detail17trampoline_kernelINS0_14default_configENS1_38merge_sort_block_merge_config_selectorIiiEEZZNS1_27merge_sort_block_merge_implIS3_N6thrust23THRUST_200600_302600_NS6detail15normal_iteratorINS8_10device_ptrIiEEEESD_jNS1_19radix_merge_compareILb1ELb1EiNS0_19identity_decomposerEEEEE10hipError_tT0_T1_T2_jT3_P12ihipStream_tbPNSt15iterator_traitsISI_E10value_typeEPNSO_ISJ_E10value_typeEPSK_NS1_7vsmem_tEENKUlT_SI_SJ_SK_E_clIPiSD_S10_SD_EESH_SX_SI_SJ_SK_EUlSX_E1_NS1_11comp_targetILNS1_3genE2ELNS1_11target_archE906ELNS1_3gpuE6ELNS1_3repE0EEENS1_36merge_oddeven_config_static_selectorELNS0_4arch9wavefront6targetE0EEEvSJ_,"axG",@progbits,_ZN7rocprim17ROCPRIM_400000_NS6detail17trampoline_kernelINS0_14default_configENS1_38merge_sort_block_merge_config_selectorIiiEEZZNS1_27merge_sort_block_merge_implIS3_N6thrust23THRUST_200600_302600_NS6detail15normal_iteratorINS8_10device_ptrIiEEEESD_jNS1_19radix_merge_compareILb1ELb1EiNS0_19identity_decomposerEEEEE10hipError_tT0_T1_T2_jT3_P12ihipStream_tbPNSt15iterator_traitsISI_E10value_typeEPNSO_ISJ_E10value_typeEPSK_NS1_7vsmem_tEENKUlT_SI_SJ_SK_E_clIPiSD_S10_SD_EESH_SX_SI_SJ_SK_EUlSX_E1_NS1_11comp_targetILNS1_3genE2ELNS1_11target_archE906ELNS1_3gpuE6ELNS1_3repE0EEENS1_36merge_oddeven_config_static_selectorELNS0_4arch9wavefront6targetE0EEEvSJ_,comdat
.Lfunc_end954:
	.size	_ZN7rocprim17ROCPRIM_400000_NS6detail17trampoline_kernelINS0_14default_configENS1_38merge_sort_block_merge_config_selectorIiiEEZZNS1_27merge_sort_block_merge_implIS3_N6thrust23THRUST_200600_302600_NS6detail15normal_iteratorINS8_10device_ptrIiEEEESD_jNS1_19radix_merge_compareILb1ELb1EiNS0_19identity_decomposerEEEEE10hipError_tT0_T1_T2_jT3_P12ihipStream_tbPNSt15iterator_traitsISI_E10value_typeEPNSO_ISJ_E10value_typeEPSK_NS1_7vsmem_tEENKUlT_SI_SJ_SK_E_clIPiSD_S10_SD_EESH_SX_SI_SJ_SK_EUlSX_E1_NS1_11comp_targetILNS1_3genE2ELNS1_11target_archE906ELNS1_3gpuE6ELNS1_3repE0EEENS1_36merge_oddeven_config_static_selectorELNS0_4arch9wavefront6targetE0EEEvSJ_, .Lfunc_end954-_ZN7rocprim17ROCPRIM_400000_NS6detail17trampoline_kernelINS0_14default_configENS1_38merge_sort_block_merge_config_selectorIiiEEZZNS1_27merge_sort_block_merge_implIS3_N6thrust23THRUST_200600_302600_NS6detail15normal_iteratorINS8_10device_ptrIiEEEESD_jNS1_19radix_merge_compareILb1ELb1EiNS0_19identity_decomposerEEEEE10hipError_tT0_T1_T2_jT3_P12ihipStream_tbPNSt15iterator_traitsISI_E10value_typeEPNSO_ISJ_E10value_typeEPSK_NS1_7vsmem_tEENKUlT_SI_SJ_SK_E_clIPiSD_S10_SD_EESH_SX_SI_SJ_SK_EUlSX_E1_NS1_11comp_targetILNS1_3genE2ELNS1_11target_archE906ELNS1_3gpuE6ELNS1_3repE0EEENS1_36merge_oddeven_config_static_selectorELNS0_4arch9wavefront6targetE0EEEvSJ_
                                        ; -- End function
	.set _ZN7rocprim17ROCPRIM_400000_NS6detail17trampoline_kernelINS0_14default_configENS1_38merge_sort_block_merge_config_selectorIiiEEZZNS1_27merge_sort_block_merge_implIS3_N6thrust23THRUST_200600_302600_NS6detail15normal_iteratorINS8_10device_ptrIiEEEESD_jNS1_19radix_merge_compareILb1ELb1EiNS0_19identity_decomposerEEEEE10hipError_tT0_T1_T2_jT3_P12ihipStream_tbPNSt15iterator_traitsISI_E10value_typeEPNSO_ISJ_E10value_typeEPSK_NS1_7vsmem_tEENKUlT_SI_SJ_SK_E_clIPiSD_S10_SD_EESH_SX_SI_SJ_SK_EUlSX_E1_NS1_11comp_targetILNS1_3genE2ELNS1_11target_archE906ELNS1_3gpuE6ELNS1_3repE0EEENS1_36merge_oddeven_config_static_selectorELNS0_4arch9wavefront6targetE0EEEvSJ_.num_vgpr, 0
	.set _ZN7rocprim17ROCPRIM_400000_NS6detail17trampoline_kernelINS0_14default_configENS1_38merge_sort_block_merge_config_selectorIiiEEZZNS1_27merge_sort_block_merge_implIS3_N6thrust23THRUST_200600_302600_NS6detail15normal_iteratorINS8_10device_ptrIiEEEESD_jNS1_19radix_merge_compareILb1ELb1EiNS0_19identity_decomposerEEEEE10hipError_tT0_T1_T2_jT3_P12ihipStream_tbPNSt15iterator_traitsISI_E10value_typeEPNSO_ISJ_E10value_typeEPSK_NS1_7vsmem_tEENKUlT_SI_SJ_SK_E_clIPiSD_S10_SD_EESH_SX_SI_SJ_SK_EUlSX_E1_NS1_11comp_targetILNS1_3genE2ELNS1_11target_archE906ELNS1_3gpuE6ELNS1_3repE0EEENS1_36merge_oddeven_config_static_selectorELNS0_4arch9wavefront6targetE0EEEvSJ_.num_agpr, 0
	.set _ZN7rocprim17ROCPRIM_400000_NS6detail17trampoline_kernelINS0_14default_configENS1_38merge_sort_block_merge_config_selectorIiiEEZZNS1_27merge_sort_block_merge_implIS3_N6thrust23THRUST_200600_302600_NS6detail15normal_iteratorINS8_10device_ptrIiEEEESD_jNS1_19radix_merge_compareILb1ELb1EiNS0_19identity_decomposerEEEEE10hipError_tT0_T1_T2_jT3_P12ihipStream_tbPNSt15iterator_traitsISI_E10value_typeEPNSO_ISJ_E10value_typeEPSK_NS1_7vsmem_tEENKUlT_SI_SJ_SK_E_clIPiSD_S10_SD_EESH_SX_SI_SJ_SK_EUlSX_E1_NS1_11comp_targetILNS1_3genE2ELNS1_11target_archE906ELNS1_3gpuE6ELNS1_3repE0EEENS1_36merge_oddeven_config_static_selectorELNS0_4arch9wavefront6targetE0EEEvSJ_.numbered_sgpr, 0
	.set _ZN7rocprim17ROCPRIM_400000_NS6detail17trampoline_kernelINS0_14default_configENS1_38merge_sort_block_merge_config_selectorIiiEEZZNS1_27merge_sort_block_merge_implIS3_N6thrust23THRUST_200600_302600_NS6detail15normal_iteratorINS8_10device_ptrIiEEEESD_jNS1_19radix_merge_compareILb1ELb1EiNS0_19identity_decomposerEEEEE10hipError_tT0_T1_T2_jT3_P12ihipStream_tbPNSt15iterator_traitsISI_E10value_typeEPNSO_ISJ_E10value_typeEPSK_NS1_7vsmem_tEENKUlT_SI_SJ_SK_E_clIPiSD_S10_SD_EESH_SX_SI_SJ_SK_EUlSX_E1_NS1_11comp_targetILNS1_3genE2ELNS1_11target_archE906ELNS1_3gpuE6ELNS1_3repE0EEENS1_36merge_oddeven_config_static_selectorELNS0_4arch9wavefront6targetE0EEEvSJ_.num_named_barrier, 0
	.set _ZN7rocprim17ROCPRIM_400000_NS6detail17trampoline_kernelINS0_14default_configENS1_38merge_sort_block_merge_config_selectorIiiEEZZNS1_27merge_sort_block_merge_implIS3_N6thrust23THRUST_200600_302600_NS6detail15normal_iteratorINS8_10device_ptrIiEEEESD_jNS1_19radix_merge_compareILb1ELb1EiNS0_19identity_decomposerEEEEE10hipError_tT0_T1_T2_jT3_P12ihipStream_tbPNSt15iterator_traitsISI_E10value_typeEPNSO_ISJ_E10value_typeEPSK_NS1_7vsmem_tEENKUlT_SI_SJ_SK_E_clIPiSD_S10_SD_EESH_SX_SI_SJ_SK_EUlSX_E1_NS1_11comp_targetILNS1_3genE2ELNS1_11target_archE906ELNS1_3gpuE6ELNS1_3repE0EEENS1_36merge_oddeven_config_static_selectorELNS0_4arch9wavefront6targetE0EEEvSJ_.private_seg_size, 0
	.set _ZN7rocprim17ROCPRIM_400000_NS6detail17trampoline_kernelINS0_14default_configENS1_38merge_sort_block_merge_config_selectorIiiEEZZNS1_27merge_sort_block_merge_implIS3_N6thrust23THRUST_200600_302600_NS6detail15normal_iteratorINS8_10device_ptrIiEEEESD_jNS1_19radix_merge_compareILb1ELb1EiNS0_19identity_decomposerEEEEE10hipError_tT0_T1_T2_jT3_P12ihipStream_tbPNSt15iterator_traitsISI_E10value_typeEPNSO_ISJ_E10value_typeEPSK_NS1_7vsmem_tEENKUlT_SI_SJ_SK_E_clIPiSD_S10_SD_EESH_SX_SI_SJ_SK_EUlSX_E1_NS1_11comp_targetILNS1_3genE2ELNS1_11target_archE906ELNS1_3gpuE6ELNS1_3repE0EEENS1_36merge_oddeven_config_static_selectorELNS0_4arch9wavefront6targetE0EEEvSJ_.uses_vcc, 0
	.set _ZN7rocprim17ROCPRIM_400000_NS6detail17trampoline_kernelINS0_14default_configENS1_38merge_sort_block_merge_config_selectorIiiEEZZNS1_27merge_sort_block_merge_implIS3_N6thrust23THRUST_200600_302600_NS6detail15normal_iteratorINS8_10device_ptrIiEEEESD_jNS1_19radix_merge_compareILb1ELb1EiNS0_19identity_decomposerEEEEE10hipError_tT0_T1_T2_jT3_P12ihipStream_tbPNSt15iterator_traitsISI_E10value_typeEPNSO_ISJ_E10value_typeEPSK_NS1_7vsmem_tEENKUlT_SI_SJ_SK_E_clIPiSD_S10_SD_EESH_SX_SI_SJ_SK_EUlSX_E1_NS1_11comp_targetILNS1_3genE2ELNS1_11target_archE906ELNS1_3gpuE6ELNS1_3repE0EEENS1_36merge_oddeven_config_static_selectorELNS0_4arch9wavefront6targetE0EEEvSJ_.uses_flat_scratch, 0
	.set _ZN7rocprim17ROCPRIM_400000_NS6detail17trampoline_kernelINS0_14default_configENS1_38merge_sort_block_merge_config_selectorIiiEEZZNS1_27merge_sort_block_merge_implIS3_N6thrust23THRUST_200600_302600_NS6detail15normal_iteratorINS8_10device_ptrIiEEEESD_jNS1_19radix_merge_compareILb1ELb1EiNS0_19identity_decomposerEEEEE10hipError_tT0_T1_T2_jT3_P12ihipStream_tbPNSt15iterator_traitsISI_E10value_typeEPNSO_ISJ_E10value_typeEPSK_NS1_7vsmem_tEENKUlT_SI_SJ_SK_E_clIPiSD_S10_SD_EESH_SX_SI_SJ_SK_EUlSX_E1_NS1_11comp_targetILNS1_3genE2ELNS1_11target_archE906ELNS1_3gpuE6ELNS1_3repE0EEENS1_36merge_oddeven_config_static_selectorELNS0_4arch9wavefront6targetE0EEEvSJ_.has_dyn_sized_stack, 0
	.set _ZN7rocprim17ROCPRIM_400000_NS6detail17trampoline_kernelINS0_14default_configENS1_38merge_sort_block_merge_config_selectorIiiEEZZNS1_27merge_sort_block_merge_implIS3_N6thrust23THRUST_200600_302600_NS6detail15normal_iteratorINS8_10device_ptrIiEEEESD_jNS1_19radix_merge_compareILb1ELb1EiNS0_19identity_decomposerEEEEE10hipError_tT0_T1_T2_jT3_P12ihipStream_tbPNSt15iterator_traitsISI_E10value_typeEPNSO_ISJ_E10value_typeEPSK_NS1_7vsmem_tEENKUlT_SI_SJ_SK_E_clIPiSD_S10_SD_EESH_SX_SI_SJ_SK_EUlSX_E1_NS1_11comp_targetILNS1_3genE2ELNS1_11target_archE906ELNS1_3gpuE6ELNS1_3repE0EEENS1_36merge_oddeven_config_static_selectorELNS0_4arch9wavefront6targetE0EEEvSJ_.has_recursion, 0
	.set _ZN7rocprim17ROCPRIM_400000_NS6detail17trampoline_kernelINS0_14default_configENS1_38merge_sort_block_merge_config_selectorIiiEEZZNS1_27merge_sort_block_merge_implIS3_N6thrust23THRUST_200600_302600_NS6detail15normal_iteratorINS8_10device_ptrIiEEEESD_jNS1_19radix_merge_compareILb1ELb1EiNS0_19identity_decomposerEEEEE10hipError_tT0_T1_T2_jT3_P12ihipStream_tbPNSt15iterator_traitsISI_E10value_typeEPNSO_ISJ_E10value_typeEPSK_NS1_7vsmem_tEENKUlT_SI_SJ_SK_E_clIPiSD_S10_SD_EESH_SX_SI_SJ_SK_EUlSX_E1_NS1_11comp_targetILNS1_3genE2ELNS1_11target_archE906ELNS1_3gpuE6ELNS1_3repE0EEENS1_36merge_oddeven_config_static_selectorELNS0_4arch9wavefront6targetE0EEEvSJ_.has_indirect_call, 0
	.section	.AMDGPU.csdata,"",@progbits
; Kernel info:
; codeLenInByte = 0
; TotalNumSgprs: 0
; NumVgprs: 0
; ScratchSize: 0
; MemoryBound: 0
; FloatMode: 240
; IeeeMode: 1
; LDSByteSize: 0 bytes/workgroup (compile time only)
; SGPRBlocks: 0
; VGPRBlocks: 0
; NumSGPRsForWavesPerEU: 1
; NumVGPRsForWavesPerEU: 1
; Occupancy: 16
; WaveLimiterHint : 0
; COMPUTE_PGM_RSRC2:SCRATCH_EN: 0
; COMPUTE_PGM_RSRC2:USER_SGPR: 6
; COMPUTE_PGM_RSRC2:TRAP_HANDLER: 0
; COMPUTE_PGM_RSRC2:TGID_X_EN: 1
; COMPUTE_PGM_RSRC2:TGID_Y_EN: 0
; COMPUTE_PGM_RSRC2:TGID_Z_EN: 0
; COMPUTE_PGM_RSRC2:TIDIG_COMP_CNT: 0
	.section	.text._ZN7rocprim17ROCPRIM_400000_NS6detail17trampoline_kernelINS0_14default_configENS1_38merge_sort_block_merge_config_selectorIiiEEZZNS1_27merge_sort_block_merge_implIS3_N6thrust23THRUST_200600_302600_NS6detail15normal_iteratorINS8_10device_ptrIiEEEESD_jNS1_19radix_merge_compareILb1ELb1EiNS0_19identity_decomposerEEEEE10hipError_tT0_T1_T2_jT3_P12ihipStream_tbPNSt15iterator_traitsISI_E10value_typeEPNSO_ISJ_E10value_typeEPSK_NS1_7vsmem_tEENKUlT_SI_SJ_SK_E_clIPiSD_S10_SD_EESH_SX_SI_SJ_SK_EUlSX_E1_NS1_11comp_targetILNS1_3genE9ELNS1_11target_archE1100ELNS1_3gpuE3ELNS1_3repE0EEENS1_36merge_oddeven_config_static_selectorELNS0_4arch9wavefront6targetE0EEEvSJ_,"axG",@progbits,_ZN7rocprim17ROCPRIM_400000_NS6detail17trampoline_kernelINS0_14default_configENS1_38merge_sort_block_merge_config_selectorIiiEEZZNS1_27merge_sort_block_merge_implIS3_N6thrust23THRUST_200600_302600_NS6detail15normal_iteratorINS8_10device_ptrIiEEEESD_jNS1_19radix_merge_compareILb1ELb1EiNS0_19identity_decomposerEEEEE10hipError_tT0_T1_T2_jT3_P12ihipStream_tbPNSt15iterator_traitsISI_E10value_typeEPNSO_ISJ_E10value_typeEPSK_NS1_7vsmem_tEENKUlT_SI_SJ_SK_E_clIPiSD_S10_SD_EESH_SX_SI_SJ_SK_EUlSX_E1_NS1_11comp_targetILNS1_3genE9ELNS1_11target_archE1100ELNS1_3gpuE3ELNS1_3repE0EEENS1_36merge_oddeven_config_static_selectorELNS0_4arch9wavefront6targetE0EEEvSJ_,comdat
	.protected	_ZN7rocprim17ROCPRIM_400000_NS6detail17trampoline_kernelINS0_14default_configENS1_38merge_sort_block_merge_config_selectorIiiEEZZNS1_27merge_sort_block_merge_implIS3_N6thrust23THRUST_200600_302600_NS6detail15normal_iteratorINS8_10device_ptrIiEEEESD_jNS1_19radix_merge_compareILb1ELb1EiNS0_19identity_decomposerEEEEE10hipError_tT0_T1_T2_jT3_P12ihipStream_tbPNSt15iterator_traitsISI_E10value_typeEPNSO_ISJ_E10value_typeEPSK_NS1_7vsmem_tEENKUlT_SI_SJ_SK_E_clIPiSD_S10_SD_EESH_SX_SI_SJ_SK_EUlSX_E1_NS1_11comp_targetILNS1_3genE9ELNS1_11target_archE1100ELNS1_3gpuE3ELNS1_3repE0EEENS1_36merge_oddeven_config_static_selectorELNS0_4arch9wavefront6targetE0EEEvSJ_ ; -- Begin function _ZN7rocprim17ROCPRIM_400000_NS6detail17trampoline_kernelINS0_14default_configENS1_38merge_sort_block_merge_config_selectorIiiEEZZNS1_27merge_sort_block_merge_implIS3_N6thrust23THRUST_200600_302600_NS6detail15normal_iteratorINS8_10device_ptrIiEEEESD_jNS1_19radix_merge_compareILb1ELb1EiNS0_19identity_decomposerEEEEE10hipError_tT0_T1_T2_jT3_P12ihipStream_tbPNSt15iterator_traitsISI_E10value_typeEPNSO_ISJ_E10value_typeEPSK_NS1_7vsmem_tEENKUlT_SI_SJ_SK_E_clIPiSD_S10_SD_EESH_SX_SI_SJ_SK_EUlSX_E1_NS1_11comp_targetILNS1_3genE9ELNS1_11target_archE1100ELNS1_3gpuE3ELNS1_3repE0EEENS1_36merge_oddeven_config_static_selectorELNS0_4arch9wavefront6targetE0EEEvSJ_
	.globl	_ZN7rocprim17ROCPRIM_400000_NS6detail17trampoline_kernelINS0_14default_configENS1_38merge_sort_block_merge_config_selectorIiiEEZZNS1_27merge_sort_block_merge_implIS3_N6thrust23THRUST_200600_302600_NS6detail15normal_iteratorINS8_10device_ptrIiEEEESD_jNS1_19radix_merge_compareILb1ELb1EiNS0_19identity_decomposerEEEEE10hipError_tT0_T1_T2_jT3_P12ihipStream_tbPNSt15iterator_traitsISI_E10value_typeEPNSO_ISJ_E10value_typeEPSK_NS1_7vsmem_tEENKUlT_SI_SJ_SK_E_clIPiSD_S10_SD_EESH_SX_SI_SJ_SK_EUlSX_E1_NS1_11comp_targetILNS1_3genE9ELNS1_11target_archE1100ELNS1_3gpuE3ELNS1_3repE0EEENS1_36merge_oddeven_config_static_selectorELNS0_4arch9wavefront6targetE0EEEvSJ_
	.p2align	8
	.type	_ZN7rocprim17ROCPRIM_400000_NS6detail17trampoline_kernelINS0_14default_configENS1_38merge_sort_block_merge_config_selectorIiiEEZZNS1_27merge_sort_block_merge_implIS3_N6thrust23THRUST_200600_302600_NS6detail15normal_iteratorINS8_10device_ptrIiEEEESD_jNS1_19radix_merge_compareILb1ELb1EiNS0_19identity_decomposerEEEEE10hipError_tT0_T1_T2_jT3_P12ihipStream_tbPNSt15iterator_traitsISI_E10value_typeEPNSO_ISJ_E10value_typeEPSK_NS1_7vsmem_tEENKUlT_SI_SJ_SK_E_clIPiSD_S10_SD_EESH_SX_SI_SJ_SK_EUlSX_E1_NS1_11comp_targetILNS1_3genE9ELNS1_11target_archE1100ELNS1_3gpuE3ELNS1_3repE0EEENS1_36merge_oddeven_config_static_selectorELNS0_4arch9wavefront6targetE0EEEvSJ_,@function
_ZN7rocprim17ROCPRIM_400000_NS6detail17trampoline_kernelINS0_14default_configENS1_38merge_sort_block_merge_config_selectorIiiEEZZNS1_27merge_sort_block_merge_implIS3_N6thrust23THRUST_200600_302600_NS6detail15normal_iteratorINS8_10device_ptrIiEEEESD_jNS1_19radix_merge_compareILb1ELb1EiNS0_19identity_decomposerEEEEE10hipError_tT0_T1_T2_jT3_P12ihipStream_tbPNSt15iterator_traitsISI_E10value_typeEPNSO_ISJ_E10value_typeEPSK_NS1_7vsmem_tEENKUlT_SI_SJ_SK_E_clIPiSD_S10_SD_EESH_SX_SI_SJ_SK_EUlSX_E1_NS1_11comp_targetILNS1_3genE9ELNS1_11target_archE1100ELNS1_3gpuE3ELNS1_3repE0EEENS1_36merge_oddeven_config_static_selectorELNS0_4arch9wavefront6targetE0EEEvSJ_: ; @_ZN7rocprim17ROCPRIM_400000_NS6detail17trampoline_kernelINS0_14default_configENS1_38merge_sort_block_merge_config_selectorIiiEEZZNS1_27merge_sort_block_merge_implIS3_N6thrust23THRUST_200600_302600_NS6detail15normal_iteratorINS8_10device_ptrIiEEEESD_jNS1_19radix_merge_compareILb1ELb1EiNS0_19identity_decomposerEEEEE10hipError_tT0_T1_T2_jT3_P12ihipStream_tbPNSt15iterator_traitsISI_E10value_typeEPNSO_ISJ_E10value_typeEPSK_NS1_7vsmem_tEENKUlT_SI_SJ_SK_E_clIPiSD_S10_SD_EESH_SX_SI_SJ_SK_EUlSX_E1_NS1_11comp_targetILNS1_3genE9ELNS1_11target_archE1100ELNS1_3gpuE3ELNS1_3repE0EEENS1_36merge_oddeven_config_static_selectorELNS0_4arch9wavefront6targetE0EEEvSJ_
; %bb.0:
	.section	.rodata,"a",@progbits
	.p2align	6, 0x0
	.amdhsa_kernel _ZN7rocprim17ROCPRIM_400000_NS6detail17trampoline_kernelINS0_14default_configENS1_38merge_sort_block_merge_config_selectorIiiEEZZNS1_27merge_sort_block_merge_implIS3_N6thrust23THRUST_200600_302600_NS6detail15normal_iteratorINS8_10device_ptrIiEEEESD_jNS1_19radix_merge_compareILb1ELb1EiNS0_19identity_decomposerEEEEE10hipError_tT0_T1_T2_jT3_P12ihipStream_tbPNSt15iterator_traitsISI_E10value_typeEPNSO_ISJ_E10value_typeEPSK_NS1_7vsmem_tEENKUlT_SI_SJ_SK_E_clIPiSD_S10_SD_EESH_SX_SI_SJ_SK_EUlSX_E1_NS1_11comp_targetILNS1_3genE9ELNS1_11target_archE1100ELNS1_3gpuE3ELNS1_3repE0EEENS1_36merge_oddeven_config_static_selectorELNS0_4arch9wavefront6targetE0EEEvSJ_
		.amdhsa_group_segment_fixed_size 0
		.amdhsa_private_segment_fixed_size 0
		.amdhsa_kernarg_size 48
		.amdhsa_user_sgpr_count 6
		.amdhsa_user_sgpr_private_segment_buffer 1
		.amdhsa_user_sgpr_dispatch_ptr 0
		.amdhsa_user_sgpr_queue_ptr 0
		.amdhsa_user_sgpr_kernarg_segment_ptr 1
		.amdhsa_user_sgpr_dispatch_id 0
		.amdhsa_user_sgpr_flat_scratch_init 0
		.amdhsa_user_sgpr_private_segment_size 0
		.amdhsa_wavefront_size32 1
		.amdhsa_uses_dynamic_stack 0
		.amdhsa_system_sgpr_private_segment_wavefront_offset 0
		.amdhsa_system_sgpr_workgroup_id_x 1
		.amdhsa_system_sgpr_workgroup_id_y 0
		.amdhsa_system_sgpr_workgroup_id_z 0
		.amdhsa_system_sgpr_workgroup_info 0
		.amdhsa_system_vgpr_workitem_id 0
		.amdhsa_next_free_vgpr 1
		.amdhsa_next_free_sgpr 1
		.amdhsa_reserve_vcc 0
		.amdhsa_reserve_flat_scratch 0
		.amdhsa_float_round_mode_32 0
		.amdhsa_float_round_mode_16_64 0
		.amdhsa_float_denorm_mode_32 3
		.amdhsa_float_denorm_mode_16_64 3
		.amdhsa_dx10_clamp 1
		.amdhsa_ieee_mode 1
		.amdhsa_fp16_overflow 0
		.amdhsa_workgroup_processor_mode 1
		.amdhsa_memory_ordered 1
		.amdhsa_forward_progress 1
		.amdhsa_shared_vgpr_count 0
		.amdhsa_exception_fp_ieee_invalid_op 0
		.amdhsa_exception_fp_denorm_src 0
		.amdhsa_exception_fp_ieee_div_zero 0
		.amdhsa_exception_fp_ieee_overflow 0
		.amdhsa_exception_fp_ieee_underflow 0
		.amdhsa_exception_fp_ieee_inexact 0
		.amdhsa_exception_int_div_zero 0
	.end_amdhsa_kernel
	.section	.text._ZN7rocprim17ROCPRIM_400000_NS6detail17trampoline_kernelINS0_14default_configENS1_38merge_sort_block_merge_config_selectorIiiEEZZNS1_27merge_sort_block_merge_implIS3_N6thrust23THRUST_200600_302600_NS6detail15normal_iteratorINS8_10device_ptrIiEEEESD_jNS1_19radix_merge_compareILb1ELb1EiNS0_19identity_decomposerEEEEE10hipError_tT0_T1_T2_jT3_P12ihipStream_tbPNSt15iterator_traitsISI_E10value_typeEPNSO_ISJ_E10value_typeEPSK_NS1_7vsmem_tEENKUlT_SI_SJ_SK_E_clIPiSD_S10_SD_EESH_SX_SI_SJ_SK_EUlSX_E1_NS1_11comp_targetILNS1_3genE9ELNS1_11target_archE1100ELNS1_3gpuE3ELNS1_3repE0EEENS1_36merge_oddeven_config_static_selectorELNS0_4arch9wavefront6targetE0EEEvSJ_,"axG",@progbits,_ZN7rocprim17ROCPRIM_400000_NS6detail17trampoline_kernelINS0_14default_configENS1_38merge_sort_block_merge_config_selectorIiiEEZZNS1_27merge_sort_block_merge_implIS3_N6thrust23THRUST_200600_302600_NS6detail15normal_iteratorINS8_10device_ptrIiEEEESD_jNS1_19radix_merge_compareILb1ELb1EiNS0_19identity_decomposerEEEEE10hipError_tT0_T1_T2_jT3_P12ihipStream_tbPNSt15iterator_traitsISI_E10value_typeEPNSO_ISJ_E10value_typeEPSK_NS1_7vsmem_tEENKUlT_SI_SJ_SK_E_clIPiSD_S10_SD_EESH_SX_SI_SJ_SK_EUlSX_E1_NS1_11comp_targetILNS1_3genE9ELNS1_11target_archE1100ELNS1_3gpuE3ELNS1_3repE0EEENS1_36merge_oddeven_config_static_selectorELNS0_4arch9wavefront6targetE0EEEvSJ_,comdat
.Lfunc_end955:
	.size	_ZN7rocprim17ROCPRIM_400000_NS6detail17trampoline_kernelINS0_14default_configENS1_38merge_sort_block_merge_config_selectorIiiEEZZNS1_27merge_sort_block_merge_implIS3_N6thrust23THRUST_200600_302600_NS6detail15normal_iteratorINS8_10device_ptrIiEEEESD_jNS1_19radix_merge_compareILb1ELb1EiNS0_19identity_decomposerEEEEE10hipError_tT0_T1_T2_jT3_P12ihipStream_tbPNSt15iterator_traitsISI_E10value_typeEPNSO_ISJ_E10value_typeEPSK_NS1_7vsmem_tEENKUlT_SI_SJ_SK_E_clIPiSD_S10_SD_EESH_SX_SI_SJ_SK_EUlSX_E1_NS1_11comp_targetILNS1_3genE9ELNS1_11target_archE1100ELNS1_3gpuE3ELNS1_3repE0EEENS1_36merge_oddeven_config_static_selectorELNS0_4arch9wavefront6targetE0EEEvSJ_, .Lfunc_end955-_ZN7rocprim17ROCPRIM_400000_NS6detail17trampoline_kernelINS0_14default_configENS1_38merge_sort_block_merge_config_selectorIiiEEZZNS1_27merge_sort_block_merge_implIS3_N6thrust23THRUST_200600_302600_NS6detail15normal_iteratorINS8_10device_ptrIiEEEESD_jNS1_19radix_merge_compareILb1ELb1EiNS0_19identity_decomposerEEEEE10hipError_tT0_T1_T2_jT3_P12ihipStream_tbPNSt15iterator_traitsISI_E10value_typeEPNSO_ISJ_E10value_typeEPSK_NS1_7vsmem_tEENKUlT_SI_SJ_SK_E_clIPiSD_S10_SD_EESH_SX_SI_SJ_SK_EUlSX_E1_NS1_11comp_targetILNS1_3genE9ELNS1_11target_archE1100ELNS1_3gpuE3ELNS1_3repE0EEENS1_36merge_oddeven_config_static_selectorELNS0_4arch9wavefront6targetE0EEEvSJ_
                                        ; -- End function
	.set _ZN7rocprim17ROCPRIM_400000_NS6detail17trampoline_kernelINS0_14default_configENS1_38merge_sort_block_merge_config_selectorIiiEEZZNS1_27merge_sort_block_merge_implIS3_N6thrust23THRUST_200600_302600_NS6detail15normal_iteratorINS8_10device_ptrIiEEEESD_jNS1_19radix_merge_compareILb1ELb1EiNS0_19identity_decomposerEEEEE10hipError_tT0_T1_T2_jT3_P12ihipStream_tbPNSt15iterator_traitsISI_E10value_typeEPNSO_ISJ_E10value_typeEPSK_NS1_7vsmem_tEENKUlT_SI_SJ_SK_E_clIPiSD_S10_SD_EESH_SX_SI_SJ_SK_EUlSX_E1_NS1_11comp_targetILNS1_3genE9ELNS1_11target_archE1100ELNS1_3gpuE3ELNS1_3repE0EEENS1_36merge_oddeven_config_static_selectorELNS0_4arch9wavefront6targetE0EEEvSJ_.num_vgpr, 0
	.set _ZN7rocprim17ROCPRIM_400000_NS6detail17trampoline_kernelINS0_14default_configENS1_38merge_sort_block_merge_config_selectorIiiEEZZNS1_27merge_sort_block_merge_implIS3_N6thrust23THRUST_200600_302600_NS6detail15normal_iteratorINS8_10device_ptrIiEEEESD_jNS1_19radix_merge_compareILb1ELb1EiNS0_19identity_decomposerEEEEE10hipError_tT0_T1_T2_jT3_P12ihipStream_tbPNSt15iterator_traitsISI_E10value_typeEPNSO_ISJ_E10value_typeEPSK_NS1_7vsmem_tEENKUlT_SI_SJ_SK_E_clIPiSD_S10_SD_EESH_SX_SI_SJ_SK_EUlSX_E1_NS1_11comp_targetILNS1_3genE9ELNS1_11target_archE1100ELNS1_3gpuE3ELNS1_3repE0EEENS1_36merge_oddeven_config_static_selectorELNS0_4arch9wavefront6targetE0EEEvSJ_.num_agpr, 0
	.set _ZN7rocprim17ROCPRIM_400000_NS6detail17trampoline_kernelINS0_14default_configENS1_38merge_sort_block_merge_config_selectorIiiEEZZNS1_27merge_sort_block_merge_implIS3_N6thrust23THRUST_200600_302600_NS6detail15normal_iteratorINS8_10device_ptrIiEEEESD_jNS1_19radix_merge_compareILb1ELb1EiNS0_19identity_decomposerEEEEE10hipError_tT0_T1_T2_jT3_P12ihipStream_tbPNSt15iterator_traitsISI_E10value_typeEPNSO_ISJ_E10value_typeEPSK_NS1_7vsmem_tEENKUlT_SI_SJ_SK_E_clIPiSD_S10_SD_EESH_SX_SI_SJ_SK_EUlSX_E1_NS1_11comp_targetILNS1_3genE9ELNS1_11target_archE1100ELNS1_3gpuE3ELNS1_3repE0EEENS1_36merge_oddeven_config_static_selectorELNS0_4arch9wavefront6targetE0EEEvSJ_.numbered_sgpr, 0
	.set _ZN7rocprim17ROCPRIM_400000_NS6detail17trampoline_kernelINS0_14default_configENS1_38merge_sort_block_merge_config_selectorIiiEEZZNS1_27merge_sort_block_merge_implIS3_N6thrust23THRUST_200600_302600_NS6detail15normal_iteratorINS8_10device_ptrIiEEEESD_jNS1_19radix_merge_compareILb1ELb1EiNS0_19identity_decomposerEEEEE10hipError_tT0_T1_T2_jT3_P12ihipStream_tbPNSt15iterator_traitsISI_E10value_typeEPNSO_ISJ_E10value_typeEPSK_NS1_7vsmem_tEENKUlT_SI_SJ_SK_E_clIPiSD_S10_SD_EESH_SX_SI_SJ_SK_EUlSX_E1_NS1_11comp_targetILNS1_3genE9ELNS1_11target_archE1100ELNS1_3gpuE3ELNS1_3repE0EEENS1_36merge_oddeven_config_static_selectorELNS0_4arch9wavefront6targetE0EEEvSJ_.num_named_barrier, 0
	.set _ZN7rocprim17ROCPRIM_400000_NS6detail17trampoline_kernelINS0_14default_configENS1_38merge_sort_block_merge_config_selectorIiiEEZZNS1_27merge_sort_block_merge_implIS3_N6thrust23THRUST_200600_302600_NS6detail15normal_iteratorINS8_10device_ptrIiEEEESD_jNS1_19radix_merge_compareILb1ELb1EiNS0_19identity_decomposerEEEEE10hipError_tT0_T1_T2_jT3_P12ihipStream_tbPNSt15iterator_traitsISI_E10value_typeEPNSO_ISJ_E10value_typeEPSK_NS1_7vsmem_tEENKUlT_SI_SJ_SK_E_clIPiSD_S10_SD_EESH_SX_SI_SJ_SK_EUlSX_E1_NS1_11comp_targetILNS1_3genE9ELNS1_11target_archE1100ELNS1_3gpuE3ELNS1_3repE0EEENS1_36merge_oddeven_config_static_selectorELNS0_4arch9wavefront6targetE0EEEvSJ_.private_seg_size, 0
	.set _ZN7rocprim17ROCPRIM_400000_NS6detail17trampoline_kernelINS0_14default_configENS1_38merge_sort_block_merge_config_selectorIiiEEZZNS1_27merge_sort_block_merge_implIS3_N6thrust23THRUST_200600_302600_NS6detail15normal_iteratorINS8_10device_ptrIiEEEESD_jNS1_19radix_merge_compareILb1ELb1EiNS0_19identity_decomposerEEEEE10hipError_tT0_T1_T2_jT3_P12ihipStream_tbPNSt15iterator_traitsISI_E10value_typeEPNSO_ISJ_E10value_typeEPSK_NS1_7vsmem_tEENKUlT_SI_SJ_SK_E_clIPiSD_S10_SD_EESH_SX_SI_SJ_SK_EUlSX_E1_NS1_11comp_targetILNS1_3genE9ELNS1_11target_archE1100ELNS1_3gpuE3ELNS1_3repE0EEENS1_36merge_oddeven_config_static_selectorELNS0_4arch9wavefront6targetE0EEEvSJ_.uses_vcc, 0
	.set _ZN7rocprim17ROCPRIM_400000_NS6detail17trampoline_kernelINS0_14default_configENS1_38merge_sort_block_merge_config_selectorIiiEEZZNS1_27merge_sort_block_merge_implIS3_N6thrust23THRUST_200600_302600_NS6detail15normal_iteratorINS8_10device_ptrIiEEEESD_jNS1_19radix_merge_compareILb1ELb1EiNS0_19identity_decomposerEEEEE10hipError_tT0_T1_T2_jT3_P12ihipStream_tbPNSt15iterator_traitsISI_E10value_typeEPNSO_ISJ_E10value_typeEPSK_NS1_7vsmem_tEENKUlT_SI_SJ_SK_E_clIPiSD_S10_SD_EESH_SX_SI_SJ_SK_EUlSX_E1_NS1_11comp_targetILNS1_3genE9ELNS1_11target_archE1100ELNS1_3gpuE3ELNS1_3repE0EEENS1_36merge_oddeven_config_static_selectorELNS0_4arch9wavefront6targetE0EEEvSJ_.uses_flat_scratch, 0
	.set _ZN7rocprim17ROCPRIM_400000_NS6detail17trampoline_kernelINS0_14default_configENS1_38merge_sort_block_merge_config_selectorIiiEEZZNS1_27merge_sort_block_merge_implIS3_N6thrust23THRUST_200600_302600_NS6detail15normal_iteratorINS8_10device_ptrIiEEEESD_jNS1_19radix_merge_compareILb1ELb1EiNS0_19identity_decomposerEEEEE10hipError_tT0_T1_T2_jT3_P12ihipStream_tbPNSt15iterator_traitsISI_E10value_typeEPNSO_ISJ_E10value_typeEPSK_NS1_7vsmem_tEENKUlT_SI_SJ_SK_E_clIPiSD_S10_SD_EESH_SX_SI_SJ_SK_EUlSX_E1_NS1_11comp_targetILNS1_3genE9ELNS1_11target_archE1100ELNS1_3gpuE3ELNS1_3repE0EEENS1_36merge_oddeven_config_static_selectorELNS0_4arch9wavefront6targetE0EEEvSJ_.has_dyn_sized_stack, 0
	.set _ZN7rocprim17ROCPRIM_400000_NS6detail17trampoline_kernelINS0_14default_configENS1_38merge_sort_block_merge_config_selectorIiiEEZZNS1_27merge_sort_block_merge_implIS3_N6thrust23THRUST_200600_302600_NS6detail15normal_iteratorINS8_10device_ptrIiEEEESD_jNS1_19radix_merge_compareILb1ELb1EiNS0_19identity_decomposerEEEEE10hipError_tT0_T1_T2_jT3_P12ihipStream_tbPNSt15iterator_traitsISI_E10value_typeEPNSO_ISJ_E10value_typeEPSK_NS1_7vsmem_tEENKUlT_SI_SJ_SK_E_clIPiSD_S10_SD_EESH_SX_SI_SJ_SK_EUlSX_E1_NS1_11comp_targetILNS1_3genE9ELNS1_11target_archE1100ELNS1_3gpuE3ELNS1_3repE0EEENS1_36merge_oddeven_config_static_selectorELNS0_4arch9wavefront6targetE0EEEvSJ_.has_recursion, 0
	.set _ZN7rocprim17ROCPRIM_400000_NS6detail17trampoline_kernelINS0_14default_configENS1_38merge_sort_block_merge_config_selectorIiiEEZZNS1_27merge_sort_block_merge_implIS3_N6thrust23THRUST_200600_302600_NS6detail15normal_iteratorINS8_10device_ptrIiEEEESD_jNS1_19radix_merge_compareILb1ELb1EiNS0_19identity_decomposerEEEEE10hipError_tT0_T1_T2_jT3_P12ihipStream_tbPNSt15iterator_traitsISI_E10value_typeEPNSO_ISJ_E10value_typeEPSK_NS1_7vsmem_tEENKUlT_SI_SJ_SK_E_clIPiSD_S10_SD_EESH_SX_SI_SJ_SK_EUlSX_E1_NS1_11comp_targetILNS1_3genE9ELNS1_11target_archE1100ELNS1_3gpuE3ELNS1_3repE0EEENS1_36merge_oddeven_config_static_selectorELNS0_4arch9wavefront6targetE0EEEvSJ_.has_indirect_call, 0
	.section	.AMDGPU.csdata,"",@progbits
; Kernel info:
; codeLenInByte = 0
; TotalNumSgprs: 0
; NumVgprs: 0
; ScratchSize: 0
; MemoryBound: 0
; FloatMode: 240
; IeeeMode: 1
; LDSByteSize: 0 bytes/workgroup (compile time only)
; SGPRBlocks: 0
; VGPRBlocks: 0
; NumSGPRsForWavesPerEU: 1
; NumVGPRsForWavesPerEU: 1
; Occupancy: 16
; WaveLimiterHint : 0
; COMPUTE_PGM_RSRC2:SCRATCH_EN: 0
; COMPUTE_PGM_RSRC2:USER_SGPR: 6
; COMPUTE_PGM_RSRC2:TRAP_HANDLER: 0
; COMPUTE_PGM_RSRC2:TGID_X_EN: 1
; COMPUTE_PGM_RSRC2:TGID_Y_EN: 0
; COMPUTE_PGM_RSRC2:TGID_Z_EN: 0
; COMPUTE_PGM_RSRC2:TIDIG_COMP_CNT: 0
	.section	.text._ZN7rocprim17ROCPRIM_400000_NS6detail17trampoline_kernelINS0_14default_configENS1_38merge_sort_block_merge_config_selectorIiiEEZZNS1_27merge_sort_block_merge_implIS3_N6thrust23THRUST_200600_302600_NS6detail15normal_iteratorINS8_10device_ptrIiEEEESD_jNS1_19radix_merge_compareILb1ELb1EiNS0_19identity_decomposerEEEEE10hipError_tT0_T1_T2_jT3_P12ihipStream_tbPNSt15iterator_traitsISI_E10value_typeEPNSO_ISJ_E10value_typeEPSK_NS1_7vsmem_tEENKUlT_SI_SJ_SK_E_clIPiSD_S10_SD_EESH_SX_SI_SJ_SK_EUlSX_E1_NS1_11comp_targetILNS1_3genE8ELNS1_11target_archE1030ELNS1_3gpuE2ELNS1_3repE0EEENS1_36merge_oddeven_config_static_selectorELNS0_4arch9wavefront6targetE0EEEvSJ_,"axG",@progbits,_ZN7rocprim17ROCPRIM_400000_NS6detail17trampoline_kernelINS0_14default_configENS1_38merge_sort_block_merge_config_selectorIiiEEZZNS1_27merge_sort_block_merge_implIS3_N6thrust23THRUST_200600_302600_NS6detail15normal_iteratorINS8_10device_ptrIiEEEESD_jNS1_19radix_merge_compareILb1ELb1EiNS0_19identity_decomposerEEEEE10hipError_tT0_T1_T2_jT3_P12ihipStream_tbPNSt15iterator_traitsISI_E10value_typeEPNSO_ISJ_E10value_typeEPSK_NS1_7vsmem_tEENKUlT_SI_SJ_SK_E_clIPiSD_S10_SD_EESH_SX_SI_SJ_SK_EUlSX_E1_NS1_11comp_targetILNS1_3genE8ELNS1_11target_archE1030ELNS1_3gpuE2ELNS1_3repE0EEENS1_36merge_oddeven_config_static_selectorELNS0_4arch9wavefront6targetE0EEEvSJ_,comdat
	.protected	_ZN7rocprim17ROCPRIM_400000_NS6detail17trampoline_kernelINS0_14default_configENS1_38merge_sort_block_merge_config_selectorIiiEEZZNS1_27merge_sort_block_merge_implIS3_N6thrust23THRUST_200600_302600_NS6detail15normal_iteratorINS8_10device_ptrIiEEEESD_jNS1_19radix_merge_compareILb1ELb1EiNS0_19identity_decomposerEEEEE10hipError_tT0_T1_T2_jT3_P12ihipStream_tbPNSt15iterator_traitsISI_E10value_typeEPNSO_ISJ_E10value_typeEPSK_NS1_7vsmem_tEENKUlT_SI_SJ_SK_E_clIPiSD_S10_SD_EESH_SX_SI_SJ_SK_EUlSX_E1_NS1_11comp_targetILNS1_3genE8ELNS1_11target_archE1030ELNS1_3gpuE2ELNS1_3repE0EEENS1_36merge_oddeven_config_static_selectorELNS0_4arch9wavefront6targetE0EEEvSJ_ ; -- Begin function _ZN7rocprim17ROCPRIM_400000_NS6detail17trampoline_kernelINS0_14default_configENS1_38merge_sort_block_merge_config_selectorIiiEEZZNS1_27merge_sort_block_merge_implIS3_N6thrust23THRUST_200600_302600_NS6detail15normal_iteratorINS8_10device_ptrIiEEEESD_jNS1_19radix_merge_compareILb1ELb1EiNS0_19identity_decomposerEEEEE10hipError_tT0_T1_T2_jT3_P12ihipStream_tbPNSt15iterator_traitsISI_E10value_typeEPNSO_ISJ_E10value_typeEPSK_NS1_7vsmem_tEENKUlT_SI_SJ_SK_E_clIPiSD_S10_SD_EESH_SX_SI_SJ_SK_EUlSX_E1_NS1_11comp_targetILNS1_3genE8ELNS1_11target_archE1030ELNS1_3gpuE2ELNS1_3repE0EEENS1_36merge_oddeven_config_static_selectorELNS0_4arch9wavefront6targetE0EEEvSJ_
	.globl	_ZN7rocprim17ROCPRIM_400000_NS6detail17trampoline_kernelINS0_14default_configENS1_38merge_sort_block_merge_config_selectorIiiEEZZNS1_27merge_sort_block_merge_implIS3_N6thrust23THRUST_200600_302600_NS6detail15normal_iteratorINS8_10device_ptrIiEEEESD_jNS1_19radix_merge_compareILb1ELb1EiNS0_19identity_decomposerEEEEE10hipError_tT0_T1_T2_jT3_P12ihipStream_tbPNSt15iterator_traitsISI_E10value_typeEPNSO_ISJ_E10value_typeEPSK_NS1_7vsmem_tEENKUlT_SI_SJ_SK_E_clIPiSD_S10_SD_EESH_SX_SI_SJ_SK_EUlSX_E1_NS1_11comp_targetILNS1_3genE8ELNS1_11target_archE1030ELNS1_3gpuE2ELNS1_3repE0EEENS1_36merge_oddeven_config_static_selectorELNS0_4arch9wavefront6targetE0EEEvSJ_
	.p2align	8
	.type	_ZN7rocprim17ROCPRIM_400000_NS6detail17trampoline_kernelINS0_14default_configENS1_38merge_sort_block_merge_config_selectorIiiEEZZNS1_27merge_sort_block_merge_implIS3_N6thrust23THRUST_200600_302600_NS6detail15normal_iteratorINS8_10device_ptrIiEEEESD_jNS1_19radix_merge_compareILb1ELb1EiNS0_19identity_decomposerEEEEE10hipError_tT0_T1_T2_jT3_P12ihipStream_tbPNSt15iterator_traitsISI_E10value_typeEPNSO_ISJ_E10value_typeEPSK_NS1_7vsmem_tEENKUlT_SI_SJ_SK_E_clIPiSD_S10_SD_EESH_SX_SI_SJ_SK_EUlSX_E1_NS1_11comp_targetILNS1_3genE8ELNS1_11target_archE1030ELNS1_3gpuE2ELNS1_3repE0EEENS1_36merge_oddeven_config_static_selectorELNS0_4arch9wavefront6targetE0EEEvSJ_,@function
_ZN7rocprim17ROCPRIM_400000_NS6detail17trampoline_kernelINS0_14default_configENS1_38merge_sort_block_merge_config_selectorIiiEEZZNS1_27merge_sort_block_merge_implIS3_N6thrust23THRUST_200600_302600_NS6detail15normal_iteratorINS8_10device_ptrIiEEEESD_jNS1_19radix_merge_compareILb1ELb1EiNS0_19identity_decomposerEEEEE10hipError_tT0_T1_T2_jT3_P12ihipStream_tbPNSt15iterator_traitsISI_E10value_typeEPNSO_ISJ_E10value_typeEPSK_NS1_7vsmem_tEENKUlT_SI_SJ_SK_E_clIPiSD_S10_SD_EESH_SX_SI_SJ_SK_EUlSX_E1_NS1_11comp_targetILNS1_3genE8ELNS1_11target_archE1030ELNS1_3gpuE2ELNS1_3repE0EEENS1_36merge_oddeven_config_static_selectorELNS0_4arch9wavefront6targetE0EEEvSJ_: ; @_ZN7rocprim17ROCPRIM_400000_NS6detail17trampoline_kernelINS0_14default_configENS1_38merge_sort_block_merge_config_selectorIiiEEZZNS1_27merge_sort_block_merge_implIS3_N6thrust23THRUST_200600_302600_NS6detail15normal_iteratorINS8_10device_ptrIiEEEESD_jNS1_19radix_merge_compareILb1ELb1EiNS0_19identity_decomposerEEEEE10hipError_tT0_T1_T2_jT3_P12ihipStream_tbPNSt15iterator_traitsISI_E10value_typeEPNSO_ISJ_E10value_typeEPSK_NS1_7vsmem_tEENKUlT_SI_SJ_SK_E_clIPiSD_S10_SD_EESH_SX_SI_SJ_SK_EUlSX_E1_NS1_11comp_targetILNS1_3genE8ELNS1_11target_archE1030ELNS1_3gpuE2ELNS1_3repE0EEENS1_36merge_oddeven_config_static_selectorELNS0_4arch9wavefront6targetE0EEEvSJ_
; %bb.0:
	s_load_dword s16, s[4:5], 0x20
	s_waitcnt lgkmcnt(0)
	s_lshr_b32 s0, s16, 8
	s_cmp_eq_u32 s6, s0
	s_cselect_b32 s7, -1, 0
	s_cmp_lg_u32 s6, s0
	s_cselect_b32 s0, -1, 0
	s_lshl_b32 s2, s6, 8
	s_sub_i32 s1, s16, s2
	v_cmp_gt_u32_e64 s1, s1, v0
	s_or_b32 s0, s0, s1
	s_and_saveexec_b32 s3, s0
	s_cbranch_execz .LBB956_24
; %bb.1:
	s_load_dwordx8 s[8:15], s[4:5], 0x0
	s_mov_b32 s3, 0
	v_lshlrev_b32_e32 v1, 2, v0
	s_lshl_b64 s[18:19], s[2:3], 2
	v_add_nc_u32_e32 v0, s2, v0
	s_mov_b32 s2, -1
	s_waitcnt lgkmcnt(0)
	s_add_u32 s20, s8, s18
	s_addc_u32 s21, s9, s19
	s_add_u32 s12, s12, s18
	s_addc_u32 s13, s13, s19
	s_clause 0x1
	global_load_dword v2, v1, s[12:13]
	global_load_dword v3, v1, s[20:21]
	s_load_dword s12, s[4:5], 0x24
	s_waitcnt lgkmcnt(0)
	s_lshr_b32 s0, s12, 8
	s_sub_i32 s3, 0, s0
	s_and_b32 s3, s6, s3
	s_and_b32 s0, s3, s0
	s_lshl_b32 s6, s3, 8
	s_sub_i32 s3, 0, s12
	s_cmp_eq_u32 s0, 0
	s_cselect_b32 s0, -1, 0
	s_and_b32 s13, s0, exec_lo
	s_cselect_b32 s3, s12, s3
	s_add_i32 s3, s3, s6
	s_cmp_gt_u32 s16, s3
	s_cbranch_scc1 .LBB956_9
; %bb.2:
	s_and_b32 vcc_lo, exec_lo, s7
	s_cbranch_vccz .LBB956_6
; %bb.3:
	s_mov_b32 s2, exec_lo
	v_cmpx_gt_u32_e64 s16, v0
	s_cbranch_execz .LBB956_5
; %bb.4:
	v_mov_b32_e32 v1, 0
	v_lshlrev_b64 v[4:5], 2, v[0:1]
	v_add_co_u32 v6, vcc_lo, s10, v4
	v_add_co_ci_u32_e64 v7, null, s11, v5, vcc_lo
	v_add_co_u32 v4, vcc_lo, s14, v4
	v_add_co_ci_u32_e64 v5, null, s15, v5, vcc_lo
	s_waitcnt vmcnt(0)
	global_store_dword v[6:7], v3, off
	global_store_dword v[4:5], v2, off
.LBB956_5:
	s_or_b32 exec_lo, exec_lo, s2
	s_mov_b32 s2, 0
.LBB956_6:
	s_andn2_b32 vcc_lo, exec_lo, s2
	s_cbranch_vccnz .LBB956_8
; %bb.7:
	v_mov_b32_e32 v1, 0
	v_lshlrev_b64 v[4:5], 2, v[0:1]
	v_add_co_u32 v6, vcc_lo, s10, v4
	v_add_co_ci_u32_e64 v7, null, s11, v5, vcc_lo
	v_add_co_u32 v4, vcc_lo, s14, v4
	v_add_co_ci_u32_e64 v5, null, s15, v5, vcc_lo
	s_waitcnt vmcnt(0)
	global_store_dword v[6:7], v3, off
	global_store_dword v[4:5], v2, off
.LBB956_8:
	s_mov_b32 s2, 0
.LBB956_9:
	s_andn2_b32 vcc_lo, exec_lo, s2
	s_cbranch_vccnz .LBB956_24
; %bb.10:
	s_load_dword s2, s[4:5], 0x28
	s_min_u32 s4, s3, s16
	s_and_b32 vcc_lo, exec_lo, s7
	s_add_i32 s5, s6, s4
	s_min_u32 s6, s6, s4
	v_subrev_nc_u32_e32 v0, s5, v0
	s_add_i32 s5, s4, s12
	s_min_u32 s5, s5, s16
	v_add_nc_u32_e32 v4, s6, v0
	s_mov_b32 s6, -1
	s_waitcnt vmcnt(0) lgkmcnt(0)
	v_and_b32_e32 v5, s2, v3
	s_cbranch_vccz .LBB956_18
; %bb.11:
	s_and_saveexec_b32 s6, s1
	s_cbranch_execz .LBB956_17
; %bb.12:
	v_mov_b32_e32 v6, s4
	s_cmp_ge_u32 s3, s5
	s_cbranch_scc1 .LBB956_16
; %bb.13:
	v_mov_b32_e32 v7, s5
	v_mov_b32_e32 v6, s4
	;; [unrolled: 1-line block ×3, first 2 shown]
	s_mov_b32 s1, 0
	.p2align	6
.LBB956_14:                             ; =>This Inner Loop Header: Depth=1
	v_add_nc_u32_e32 v0, v6, v7
	v_lshrrev_b32_e32 v0, 1, v0
	v_lshlrev_b64 v[8:9], 2, v[0:1]
	v_add_co_u32 v8, vcc_lo, s8, v8
	v_add_co_ci_u32_e64 v9, null, s9, v9, vcc_lo
	global_load_dword v8, v[8:9], off
	s_waitcnt vmcnt(0)
	v_and_b32_e32 v8, s2, v8
	v_cmp_gt_i32_e32 vcc_lo, v8, v5
	v_cndmask_b32_e64 v9, 0, 1, vcc_lo
	v_cmp_le_i32_e32 vcc_lo, v5, v8
	v_cndmask_b32_e64 v8, 0, 1, vcc_lo
	v_cndmask_b32_e64 v8, v8, v9, s0
	v_add_nc_u32_e32 v9, 1, v0
	v_and_b32_e32 v8, 1, v8
	v_cmp_eq_u32_e32 vcc_lo, 1, v8
	v_cndmask_b32_e32 v7, v0, v7, vcc_lo
	v_cndmask_b32_e32 v6, v6, v9, vcc_lo
	v_cmp_ge_u32_e32 vcc_lo, v6, v7
	s_or_b32 s1, vcc_lo, s1
	s_andn2_b32 exec_lo, exec_lo, s1
	s_cbranch_execnz .LBB956_14
; %bb.15:
	s_or_b32 exec_lo, exec_lo, s1
.LBB956_16:
	v_add_nc_u32_e32 v0, v6, v4
	v_mov_b32_e32 v1, 0
	v_lshlrev_b64 v[0:1], 2, v[0:1]
	v_add_co_u32 v6, vcc_lo, s10, v0
	v_add_co_ci_u32_e64 v7, null, s11, v1, vcc_lo
	v_add_co_u32 v0, vcc_lo, s14, v0
	v_add_co_ci_u32_e64 v1, null, s15, v1, vcc_lo
	global_store_dword v[6:7], v3, off
	global_store_dword v[0:1], v2, off
.LBB956_17:
	s_or_b32 exec_lo, exec_lo, s6
	s_mov_b32 s6, 0
.LBB956_18:
	s_andn2_b32 vcc_lo, exec_lo, s6
	s_cbranch_vccnz .LBB956_24
; %bb.19:
	v_mov_b32_e32 v6, s4
	s_cmp_ge_u32 s3, s5
	s_cbranch_scc1 .LBB956_23
; %bb.20:
	v_mov_b32_e32 v7, s5
	v_mov_b32_e32 v6, s4
	;; [unrolled: 1-line block ×3, first 2 shown]
	s_mov_b32 s1, 0
	.p2align	6
.LBB956_21:                             ; =>This Inner Loop Header: Depth=1
	v_add_nc_u32_e32 v0, v6, v7
	v_lshrrev_b32_e32 v0, 1, v0
	v_lshlrev_b64 v[8:9], 2, v[0:1]
	v_add_co_u32 v8, vcc_lo, s8, v8
	v_add_co_ci_u32_e64 v9, null, s9, v9, vcc_lo
	global_load_dword v8, v[8:9], off
	s_waitcnt vmcnt(0)
	v_and_b32_e32 v8, s2, v8
	v_cmp_gt_i32_e32 vcc_lo, v8, v5
	v_cndmask_b32_e64 v9, 0, 1, vcc_lo
	v_cmp_le_i32_e32 vcc_lo, v5, v8
	v_cndmask_b32_e64 v8, 0, 1, vcc_lo
	v_cndmask_b32_e64 v8, v8, v9, s0
	v_add_nc_u32_e32 v9, 1, v0
	v_and_b32_e32 v8, 1, v8
	v_cmp_eq_u32_e32 vcc_lo, 1, v8
	v_cndmask_b32_e32 v7, v0, v7, vcc_lo
	v_cndmask_b32_e32 v6, v6, v9, vcc_lo
	v_cmp_ge_u32_e32 vcc_lo, v6, v7
	s_or_b32 s1, vcc_lo, s1
	s_andn2_b32 exec_lo, exec_lo, s1
	s_cbranch_execnz .LBB956_21
; %bb.22:
	s_or_b32 exec_lo, exec_lo, s1
.LBB956_23:
	v_add_nc_u32_e32 v0, v6, v4
	v_mov_b32_e32 v1, 0
	v_lshlrev_b64 v[0:1], 2, v[0:1]
	v_add_co_u32 v4, vcc_lo, s10, v0
	v_add_co_ci_u32_e64 v5, null, s11, v1, vcc_lo
	v_add_co_u32 v0, vcc_lo, s14, v0
	v_add_co_ci_u32_e64 v1, null, s15, v1, vcc_lo
	global_store_dword v[4:5], v3, off
	global_store_dword v[0:1], v2, off
.LBB956_24:
	s_endpgm
	.section	.rodata,"a",@progbits
	.p2align	6, 0x0
	.amdhsa_kernel _ZN7rocprim17ROCPRIM_400000_NS6detail17trampoline_kernelINS0_14default_configENS1_38merge_sort_block_merge_config_selectorIiiEEZZNS1_27merge_sort_block_merge_implIS3_N6thrust23THRUST_200600_302600_NS6detail15normal_iteratorINS8_10device_ptrIiEEEESD_jNS1_19radix_merge_compareILb1ELb1EiNS0_19identity_decomposerEEEEE10hipError_tT0_T1_T2_jT3_P12ihipStream_tbPNSt15iterator_traitsISI_E10value_typeEPNSO_ISJ_E10value_typeEPSK_NS1_7vsmem_tEENKUlT_SI_SJ_SK_E_clIPiSD_S10_SD_EESH_SX_SI_SJ_SK_EUlSX_E1_NS1_11comp_targetILNS1_3genE8ELNS1_11target_archE1030ELNS1_3gpuE2ELNS1_3repE0EEENS1_36merge_oddeven_config_static_selectorELNS0_4arch9wavefront6targetE0EEEvSJ_
		.amdhsa_group_segment_fixed_size 0
		.amdhsa_private_segment_fixed_size 0
		.amdhsa_kernarg_size 48
		.amdhsa_user_sgpr_count 6
		.amdhsa_user_sgpr_private_segment_buffer 1
		.amdhsa_user_sgpr_dispatch_ptr 0
		.amdhsa_user_sgpr_queue_ptr 0
		.amdhsa_user_sgpr_kernarg_segment_ptr 1
		.amdhsa_user_sgpr_dispatch_id 0
		.amdhsa_user_sgpr_flat_scratch_init 0
		.amdhsa_user_sgpr_private_segment_size 0
		.amdhsa_wavefront_size32 1
		.amdhsa_uses_dynamic_stack 0
		.amdhsa_system_sgpr_private_segment_wavefront_offset 0
		.amdhsa_system_sgpr_workgroup_id_x 1
		.amdhsa_system_sgpr_workgroup_id_y 0
		.amdhsa_system_sgpr_workgroup_id_z 0
		.amdhsa_system_sgpr_workgroup_info 0
		.amdhsa_system_vgpr_workitem_id 0
		.amdhsa_next_free_vgpr 10
		.amdhsa_next_free_sgpr 22
		.amdhsa_reserve_vcc 1
		.amdhsa_reserve_flat_scratch 0
		.amdhsa_float_round_mode_32 0
		.amdhsa_float_round_mode_16_64 0
		.amdhsa_float_denorm_mode_32 3
		.amdhsa_float_denorm_mode_16_64 3
		.amdhsa_dx10_clamp 1
		.amdhsa_ieee_mode 1
		.amdhsa_fp16_overflow 0
		.amdhsa_workgroup_processor_mode 1
		.amdhsa_memory_ordered 1
		.amdhsa_forward_progress 1
		.amdhsa_shared_vgpr_count 0
		.amdhsa_exception_fp_ieee_invalid_op 0
		.amdhsa_exception_fp_denorm_src 0
		.amdhsa_exception_fp_ieee_div_zero 0
		.amdhsa_exception_fp_ieee_overflow 0
		.amdhsa_exception_fp_ieee_underflow 0
		.amdhsa_exception_fp_ieee_inexact 0
		.amdhsa_exception_int_div_zero 0
	.end_amdhsa_kernel
	.section	.text._ZN7rocprim17ROCPRIM_400000_NS6detail17trampoline_kernelINS0_14default_configENS1_38merge_sort_block_merge_config_selectorIiiEEZZNS1_27merge_sort_block_merge_implIS3_N6thrust23THRUST_200600_302600_NS6detail15normal_iteratorINS8_10device_ptrIiEEEESD_jNS1_19radix_merge_compareILb1ELb1EiNS0_19identity_decomposerEEEEE10hipError_tT0_T1_T2_jT3_P12ihipStream_tbPNSt15iterator_traitsISI_E10value_typeEPNSO_ISJ_E10value_typeEPSK_NS1_7vsmem_tEENKUlT_SI_SJ_SK_E_clIPiSD_S10_SD_EESH_SX_SI_SJ_SK_EUlSX_E1_NS1_11comp_targetILNS1_3genE8ELNS1_11target_archE1030ELNS1_3gpuE2ELNS1_3repE0EEENS1_36merge_oddeven_config_static_selectorELNS0_4arch9wavefront6targetE0EEEvSJ_,"axG",@progbits,_ZN7rocprim17ROCPRIM_400000_NS6detail17trampoline_kernelINS0_14default_configENS1_38merge_sort_block_merge_config_selectorIiiEEZZNS1_27merge_sort_block_merge_implIS3_N6thrust23THRUST_200600_302600_NS6detail15normal_iteratorINS8_10device_ptrIiEEEESD_jNS1_19radix_merge_compareILb1ELb1EiNS0_19identity_decomposerEEEEE10hipError_tT0_T1_T2_jT3_P12ihipStream_tbPNSt15iterator_traitsISI_E10value_typeEPNSO_ISJ_E10value_typeEPSK_NS1_7vsmem_tEENKUlT_SI_SJ_SK_E_clIPiSD_S10_SD_EESH_SX_SI_SJ_SK_EUlSX_E1_NS1_11comp_targetILNS1_3genE8ELNS1_11target_archE1030ELNS1_3gpuE2ELNS1_3repE0EEENS1_36merge_oddeven_config_static_selectorELNS0_4arch9wavefront6targetE0EEEvSJ_,comdat
.Lfunc_end956:
	.size	_ZN7rocprim17ROCPRIM_400000_NS6detail17trampoline_kernelINS0_14default_configENS1_38merge_sort_block_merge_config_selectorIiiEEZZNS1_27merge_sort_block_merge_implIS3_N6thrust23THRUST_200600_302600_NS6detail15normal_iteratorINS8_10device_ptrIiEEEESD_jNS1_19radix_merge_compareILb1ELb1EiNS0_19identity_decomposerEEEEE10hipError_tT0_T1_T2_jT3_P12ihipStream_tbPNSt15iterator_traitsISI_E10value_typeEPNSO_ISJ_E10value_typeEPSK_NS1_7vsmem_tEENKUlT_SI_SJ_SK_E_clIPiSD_S10_SD_EESH_SX_SI_SJ_SK_EUlSX_E1_NS1_11comp_targetILNS1_3genE8ELNS1_11target_archE1030ELNS1_3gpuE2ELNS1_3repE0EEENS1_36merge_oddeven_config_static_selectorELNS0_4arch9wavefront6targetE0EEEvSJ_, .Lfunc_end956-_ZN7rocprim17ROCPRIM_400000_NS6detail17trampoline_kernelINS0_14default_configENS1_38merge_sort_block_merge_config_selectorIiiEEZZNS1_27merge_sort_block_merge_implIS3_N6thrust23THRUST_200600_302600_NS6detail15normal_iteratorINS8_10device_ptrIiEEEESD_jNS1_19radix_merge_compareILb1ELb1EiNS0_19identity_decomposerEEEEE10hipError_tT0_T1_T2_jT3_P12ihipStream_tbPNSt15iterator_traitsISI_E10value_typeEPNSO_ISJ_E10value_typeEPSK_NS1_7vsmem_tEENKUlT_SI_SJ_SK_E_clIPiSD_S10_SD_EESH_SX_SI_SJ_SK_EUlSX_E1_NS1_11comp_targetILNS1_3genE8ELNS1_11target_archE1030ELNS1_3gpuE2ELNS1_3repE0EEENS1_36merge_oddeven_config_static_selectorELNS0_4arch9wavefront6targetE0EEEvSJ_
                                        ; -- End function
	.set _ZN7rocprim17ROCPRIM_400000_NS6detail17trampoline_kernelINS0_14default_configENS1_38merge_sort_block_merge_config_selectorIiiEEZZNS1_27merge_sort_block_merge_implIS3_N6thrust23THRUST_200600_302600_NS6detail15normal_iteratorINS8_10device_ptrIiEEEESD_jNS1_19radix_merge_compareILb1ELb1EiNS0_19identity_decomposerEEEEE10hipError_tT0_T1_T2_jT3_P12ihipStream_tbPNSt15iterator_traitsISI_E10value_typeEPNSO_ISJ_E10value_typeEPSK_NS1_7vsmem_tEENKUlT_SI_SJ_SK_E_clIPiSD_S10_SD_EESH_SX_SI_SJ_SK_EUlSX_E1_NS1_11comp_targetILNS1_3genE8ELNS1_11target_archE1030ELNS1_3gpuE2ELNS1_3repE0EEENS1_36merge_oddeven_config_static_selectorELNS0_4arch9wavefront6targetE0EEEvSJ_.num_vgpr, 10
	.set _ZN7rocprim17ROCPRIM_400000_NS6detail17trampoline_kernelINS0_14default_configENS1_38merge_sort_block_merge_config_selectorIiiEEZZNS1_27merge_sort_block_merge_implIS3_N6thrust23THRUST_200600_302600_NS6detail15normal_iteratorINS8_10device_ptrIiEEEESD_jNS1_19radix_merge_compareILb1ELb1EiNS0_19identity_decomposerEEEEE10hipError_tT0_T1_T2_jT3_P12ihipStream_tbPNSt15iterator_traitsISI_E10value_typeEPNSO_ISJ_E10value_typeEPSK_NS1_7vsmem_tEENKUlT_SI_SJ_SK_E_clIPiSD_S10_SD_EESH_SX_SI_SJ_SK_EUlSX_E1_NS1_11comp_targetILNS1_3genE8ELNS1_11target_archE1030ELNS1_3gpuE2ELNS1_3repE0EEENS1_36merge_oddeven_config_static_selectorELNS0_4arch9wavefront6targetE0EEEvSJ_.num_agpr, 0
	.set _ZN7rocprim17ROCPRIM_400000_NS6detail17trampoline_kernelINS0_14default_configENS1_38merge_sort_block_merge_config_selectorIiiEEZZNS1_27merge_sort_block_merge_implIS3_N6thrust23THRUST_200600_302600_NS6detail15normal_iteratorINS8_10device_ptrIiEEEESD_jNS1_19radix_merge_compareILb1ELb1EiNS0_19identity_decomposerEEEEE10hipError_tT0_T1_T2_jT3_P12ihipStream_tbPNSt15iterator_traitsISI_E10value_typeEPNSO_ISJ_E10value_typeEPSK_NS1_7vsmem_tEENKUlT_SI_SJ_SK_E_clIPiSD_S10_SD_EESH_SX_SI_SJ_SK_EUlSX_E1_NS1_11comp_targetILNS1_3genE8ELNS1_11target_archE1030ELNS1_3gpuE2ELNS1_3repE0EEENS1_36merge_oddeven_config_static_selectorELNS0_4arch9wavefront6targetE0EEEvSJ_.numbered_sgpr, 22
	.set _ZN7rocprim17ROCPRIM_400000_NS6detail17trampoline_kernelINS0_14default_configENS1_38merge_sort_block_merge_config_selectorIiiEEZZNS1_27merge_sort_block_merge_implIS3_N6thrust23THRUST_200600_302600_NS6detail15normal_iteratorINS8_10device_ptrIiEEEESD_jNS1_19radix_merge_compareILb1ELb1EiNS0_19identity_decomposerEEEEE10hipError_tT0_T1_T2_jT3_P12ihipStream_tbPNSt15iterator_traitsISI_E10value_typeEPNSO_ISJ_E10value_typeEPSK_NS1_7vsmem_tEENKUlT_SI_SJ_SK_E_clIPiSD_S10_SD_EESH_SX_SI_SJ_SK_EUlSX_E1_NS1_11comp_targetILNS1_3genE8ELNS1_11target_archE1030ELNS1_3gpuE2ELNS1_3repE0EEENS1_36merge_oddeven_config_static_selectorELNS0_4arch9wavefront6targetE0EEEvSJ_.num_named_barrier, 0
	.set _ZN7rocprim17ROCPRIM_400000_NS6detail17trampoline_kernelINS0_14default_configENS1_38merge_sort_block_merge_config_selectorIiiEEZZNS1_27merge_sort_block_merge_implIS3_N6thrust23THRUST_200600_302600_NS6detail15normal_iteratorINS8_10device_ptrIiEEEESD_jNS1_19radix_merge_compareILb1ELb1EiNS0_19identity_decomposerEEEEE10hipError_tT0_T1_T2_jT3_P12ihipStream_tbPNSt15iterator_traitsISI_E10value_typeEPNSO_ISJ_E10value_typeEPSK_NS1_7vsmem_tEENKUlT_SI_SJ_SK_E_clIPiSD_S10_SD_EESH_SX_SI_SJ_SK_EUlSX_E1_NS1_11comp_targetILNS1_3genE8ELNS1_11target_archE1030ELNS1_3gpuE2ELNS1_3repE0EEENS1_36merge_oddeven_config_static_selectorELNS0_4arch9wavefront6targetE0EEEvSJ_.private_seg_size, 0
	.set _ZN7rocprim17ROCPRIM_400000_NS6detail17trampoline_kernelINS0_14default_configENS1_38merge_sort_block_merge_config_selectorIiiEEZZNS1_27merge_sort_block_merge_implIS3_N6thrust23THRUST_200600_302600_NS6detail15normal_iteratorINS8_10device_ptrIiEEEESD_jNS1_19radix_merge_compareILb1ELb1EiNS0_19identity_decomposerEEEEE10hipError_tT0_T1_T2_jT3_P12ihipStream_tbPNSt15iterator_traitsISI_E10value_typeEPNSO_ISJ_E10value_typeEPSK_NS1_7vsmem_tEENKUlT_SI_SJ_SK_E_clIPiSD_S10_SD_EESH_SX_SI_SJ_SK_EUlSX_E1_NS1_11comp_targetILNS1_3genE8ELNS1_11target_archE1030ELNS1_3gpuE2ELNS1_3repE0EEENS1_36merge_oddeven_config_static_selectorELNS0_4arch9wavefront6targetE0EEEvSJ_.uses_vcc, 1
	.set _ZN7rocprim17ROCPRIM_400000_NS6detail17trampoline_kernelINS0_14default_configENS1_38merge_sort_block_merge_config_selectorIiiEEZZNS1_27merge_sort_block_merge_implIS3_N6thrust23THRUST_200600_302600_NS6detail15normal_iteratorINS8_10device_ptrIiEEEESD_jNS1_19radix_merge_compareILb1ELb1EiNS0_19identity_decomposerEEEEE10hipError_tT0_T1_T2_jT3_P12ihipStream_tbPNSt15iterator_traitsISI_E10value_typeEPNSO_ISJ_E10value_typeEPSK_NS1_7vsmem_tEENKUlT_SI_SJ_SK_E_clIPiSD_S10_SD_EESH_SX_SI_SJ_SK_EUlSX_E1_NS1_11comp_targetILNS1_3genE8ELNS1_11target_archE1030ELNS1_3gpuE2ELNS1_3repE0EEENS1_36merge_oddeven_config_static_selectorELNS0_4arch9wavefront6targetE0EEEvSJ_.uses_flat_scratch, 0
	.set _ZN7rocprim17ROCPRIM_400000_NS6detail17trampoline_kernelINS0_14default_configENS1_38merge_sort_block_merge_config_selectorIiiEEZZNS1_27merge_sort_block_merge_implIS3_N6thrust23THRUST_200600_302600_NS6detail15normal_iteratorINS8_10device_ptrIiEEEESD_jNS1_19radix_merge_compareILb1ELb1EiNS0_19identity_decomposerEEEEE10hipError_tT0_T1_T2_jT3_P12ihipStream_tbPNSt15iterator_traitsISI_E10value_typeEPNSO_ISJ_E10value_typeEPSK_NS1_7vsmem_tEENKUlT_SI_SJ_SK_E_clIPiSD_S10_SD_EESH_SX_SI_SJ_SK_EUlSX_E1_NS1_11comp_targetILNS1_3genE8ELNS1_11target_archE1030ELNS1_3gpuE2ELNS1_3repE0EEENS1_36merge_oddeven_config_static_selectorELNS0_4arch9wavefront6targetE0EEEvSJ_.has_dyn_sized_stack, 0
	.set _ZN7rocprim17ROCPRIM_400000_NS6detail17trampoline_kernelINS0_14default_configENS1_38merge_sort_block_merge_config_selectorIiiEEZZNS1_27merge_sort_block_merge_implIS3_N6thrust23THRUST_200600_302600_NS6detail15normal_iteratorINS8_10device_ptrIiEEEESD_jNS1_19radix_merge_compareILb1ELb1EiNS0_19identity_decomposerEEEEE10hipError_tT0_T1_T2_jT3_P12ihipStream_tbPNSt15iterator_traitsISI_E10value_typeEPNSO_ISJ_E10value_typeEPSK_NS1_7vsmem_tEENKUlT_SI_SJ_SK_E_clIPiSD_S10_SD_EESH_SX_SI_SJ_SK_EUlSX_E1_NS1_11comp_targetILNS1_3genE8ELNS1_11target_archE1030ELNS1_3gpuE2ELNS1_3repE0EEENS1_36merge_oddeven_config_static_selectorELNS0_4arch9wavefront6targetE0EEEvSJ_.has_recursion, 0
	.set _ZN7rocprim17ROCPRIM_400000_NS6detail17trampoline_kernelINS0_14default_configENS1_38merge_sort_block_merge_config_selectorIiiEEZZNS1_27merge_sort_block_merge_implIS3_N6thrust23THRUST_200600_302600_NS6detail15normal_iteratorINS8_10device_ptrIiEEEESD_jNS1_19radix_merge_compareILb1ELb1EiNS0_19identity_decomposerEEEEE10hipError_tT0_T1_T2_jT3_P12ihipStream_tbPNSt15iterator_traitsISI_E10value_typeEPNSO_ISJ_E10value_typeEPSK_NS1_7vsmem_tEENKUlT_SI_SJ_SK_E_clIPiSD_S10_SD_EESH_SX_SI_SJ_SK_EUlSX_E1_NS1_11comp_targetILNS1_3genE8ELNS1_11target_archE1030ELNS1_3gpuE2ELNS1_3repE0EEENS1_36merge_oddeven_config_static_selectorELNS0_4arch9wavefront6targetE0EEEvSJ_.has_indirect_call, 0
	.section	.AMDGPU.csdata,"",@progbits
; Kernel info:
; codeLenInByte = 956
; TotalNumSgprs: 24
; NumVgprs: 10
; ScratchSize: 0
; MemoryBound: 0
; FloatMode: 240
; IeeeMode: 1
; LDSByteSize: 0 bytes/workgroup (compile time only)
; SGPRBlocks: 0
; VGPRBlocks: 1
; NumSGPRsForWavesPerEU: 24
; NumVGPRsForWavesPerEU: 10
; Occupancy: 16
; WaveLimiterHint : 0
; COMPUTE_PGM_RSRC2:SCRATCH_EN: 0
; COMPUTE_PGM_RSRC2:USER_SGPR: 6
; COMPUTE_PGM_RSRC2:TRAP_HANDLER: 0
; COMPUTE_PGM_RSRC2:TGID_X_EN: 1
; COMPUTE_PGM_RSRC2:TGID_Y_EN: 0
; COMPUTE_PGM_RSRC2:TGID_Z_EN: 0
; COMPUTE_PGM_RSRC2:TIDIG_COMP_CNT: 0
	.section	.text._ZN7rocprim17ROCPRIM_400000_NS6detail17trampoline_kernelINS0_14default_configENS1_38merge_sort_block_merge_config_selectorIiiEEZZNS1_27merge_sort_block_merge_implIS3_N6thrust23THRUST_200600_302600_NS6detail15normal_iteratorINS8_10device_ptrIiEEEESD_jNS1_19radix_merge_compareILb1ELb1EiNS0_19identity_decomposerEEEEE10hipError_tT0_T1_T2_jT3_P12ihipStream_tbPNSt15iterator_traitsISI_E10value_typeEPNSO_ISJ_E10value_typeEPSK_NS1_7vsmem_tEENKUlT_SI_SJ_SK_E_clISD_PiSD_S10_EESH_SX_SI_SJ_SK_EUlSX_E_NS1_11comp_targetILNS1_3genE0ELNS1_11target_archE4294967295ELNS1_3gpuE0ELNS1_3repE0EEENS1_48merge_mergepath_partition_config_static_selectorELNS0_4arch9wavefront6targetE0EEEvSJ_,"axG",@progbits,_ZN7rocprim17ROCPRIM_400000_NS6detail17trampoline_kernelINS0_14default_configENS1_38merge_sort_block_merge_config_selectorIiiEEZZNS1_27merge_sort_block_merge_implIS3_N6thrust23THRUST_200600_302600_NS6detail15normal_iteratorINS8_10device_ptrIiEEEESD_jNS1_19radix_merge_compareILb1ELb1EiNS0_19identity_decomposerEEEEE10hipError_tT0_T1_T2_jT3_P12ihipStream_tbPNSt15iterator_traitsISI_E10value_typeEPNSO_ISJ_E10value_typeEPSK_NS1_7vsmem_tEENKUlT_SI_SJ_SK_E_clISD_PiSD_S10_EESH_SX_SI_SJ_SK_EUlSX_E_NS1_11comp_targetILNS1_3genE0ELNS1_11target_archE4294967295ELNS1_3gpuE0ELNS1_3repE0EEENS1_48merge_mergepath_partition_config_static_selectorELNS0_4arch9wavefront6targetE0EEEvSJ_,comdat
	.protected	_ZN7rocprim17ROCPRIM_400000_NS6detail17trampoline_kernelINS0_14default_configENS1_38merge_sort_block_merge_config_selectorIiiEEZZNS1_27merge_sort_block_merge_implIS3_N6thrust23THRUST_200600_302600_NS6detail15normal_iteratorINS8_10device_ptrIiEEEESD_jNS1_19radix_merge_compareILb1ELb1EiNS0_19identity_decomposerEEEEE10hipError_tT0_T1_T2_jT3_P12ihipStream_tbPNSt15iterator_traitsISI_E10value_typeEPNSO_ISJ_E10value_typeEPSK_NS1_7vsmem_tEENKUlT_SI_SJ_SK_E_clISD_PiSD_S10_EESH_SX_SI_SJ_SK_EUlSX_E_NS1_11comp_targetILNS1_3genE0ELNS1_11target_archE4294967295ELNS1_3gpuE0ELNS1_3repE0EEENS1_48merge_mergepath_partition_config_static_selectorELNS0_4arch9wavefront6targetE0EEEvSJ_ ; -- Begin function _ZN7rocprim17ROCPRIM_400000_NS6detail17trampoline_kernelINS0_14default_configENS1_38merge_sort_block_merge_config_selectorIiiEEZZNS1_27merge_sort_block_merge_implIS3_N6thrust23THRUST_200600_302600_NS6detail15normal_iteratorINS8_10device_ptrIiEEEESD_jNS1_19radix_merge_compareILb1ELb1EiNS0_19identity_decomposerEEEEE10hipError_tT0_T1_T2_jT3_P12ihipStream_tbPNSt15iterator_traitsISI_E10value_typeEPNSO_ISJ_E10value_typeEPSK_NS1_7vsmem_tEENKUlT_SI_SJ_SK_E_clISD_PiSD_S10_EESH_SX_SI_SJ_SK_EUlSX_E_NS1_11comp_targetILNS1_3genE0ELNS1_11target_archE4294967295ELNS1_3gpuE0ELNS1_3repE0EEENS1_48merge_mergepath_partition_config_static_selectorELNS0_4arch9wavefront6targetE0EEEvSJ_
	.globl	_ZN7rocprim17ROCPRIM_400000_NS6detail17trampoline_kernelINS0_14default_configENS1_38merge_sort_block_merge_config_selectorIiiEEZZNS1_27merge_sort_block_merge_implIS3_N6thrust23THRUST_200600_302600_NS6detail15normal_iteratorINS8_10device_ptrIiEEEESD_jNS1_19radix_merge_compareILb1ELb1EiNS0_19identity_decomposerEEEEE10hipError_tT0_T1_T2_jT3_P12ihipStream_tbPNSt15iterator_traitsISI_E10value_typeEPNSO_ISJ_E10value_typeEPSK_NS1_7vsmem_tEENKUlT_SI_SJ_SK_E_clISD_PiSD_S10_EESH_SX_SI_SJ_SK_EUlSX_E_NS1_11comp_targetILNS1_3genE0ELNS1_11target_archE4294967295ELNS1_3gpuE0ELNS1_3repE0EEENS1_48merge_mergepath_partition_config_static_selectorELNS0_4arch9wavefront6targetE0EEEvSJ_
	.p2align	8
	.type	_ZN7rocprim17ROCPRIM_400000_NS6detail17trampoline_kernelINS0_14default_configENS1_38merge_sort_block_merge_config_selectorIiiEEZZNS1_27merge_sort_block_merge_implIS3_N6thrust23THRUST_200600_302600_NS6detail15normal_iteratorINS8_10device_ptrIiEEEESD_jNS1_19radix_merge_compareILb1ELb1EiNS0_19identity_decomposerEEEEE10hipError_tT0_T1_T2_jT3_P12ihipStream_tbPNSt15iterator_traitsISI_E10value_typeEPNSO_ISJ_E10value_typeEPSK_NS1_7vsmem_tEENKUlT_SI_SJ_SK_E_clISD_PiSD_S10_EESH_SX_SI_SJ_SK_EUlSX_E_NS1_11comp_targetILNS1_3genE0ELNS1_11target_archE4294967295ELNS1_3gpuE0ELNS1_3repE0EEENS1_48merge_mergepath_partition_config_static_selectorELNS0_4arch9wavefront6targetE0EEEvSJ_,@function
_ZN7rocprim17ROCPRIM_400000_NS6detail17trampoline_kernelINS0_14default_configENS1_38merge_sort_block_merge_config_selectorIiiEEZZNS1_27merge_sort_block_merge_implIS3_N6thrust23THRUST_200600_302600_NS6detail15normal_iteratorINS8_10device_ptrIiEEEESD_jNS1_19radix_merge_compareILb1ELb1EiNS0_19identity_decomposerEEEEE10hipError_tT0_T1_T2_jT3_P12ihipStream_tbPNSt15iterator_traitsISI_E10value_typeEPNSO_ISJ_E10value_typeEPSK_NS1_7vsmem_tEENKUlT_SI_SJ_SK_E_clISD_PiSD_S10_EESH_SX_SI_SJ_SK_EUlSX_E_NS1_11comp_targetILNS1_3genE0ELNS1_11target_archE4294967295ELNS1_3gpuE0ELNS1_3repE0EEENS1_48merge_mergepath_partition_config_static_selectorELNS0_4arch9wavefront6targetE0EEEvSJ_: ; @_ZN7rocprim17ROCPRIM_400000_NS6detail17trampoline_kernelINS0_14default_configENS1_38merge_sort_block_merge_config_selectorIiiEEZZNS1_27merge_sort_block_merge_implIS3_N6thrust23THRUST_200600_302600_NS6detail15normal_iteratorINS8_10device_ptrIiEEEESD_jNS1_19radix_merge_compareILb1ELb1EiNS0_19identity_decomposerEEEEE10hipError_tT0_T1_T2_jT3_P12ihipStream_tbPNSt15iterator_traitsISI_E10value_typeEPNSO_ISJ_E10value_typeEPSK_NS1_7vsmem_tEENKUlT_SI_SJ_SK_E_clISD_PiSD_S10_EESH_SX_SI_SJ_SK_EUlSX_E_NS1_11comp_targetILNS1_3genE0ELNS1_11target_archE4294967295ELNS1_3gpuE0ELNS1_3repE0EEENS1_48merge_mergepath_partition_config_static_selectorELNS0_4arch9wavefront6targetE0EEEvSJ_
; %bb.0:
	.section	.rodata,"a",@progbits
	.p2align	6, 0x0
	.amdhsa_kernel _ZN7rocprim17ROCPRIM_400000_NS6detail17trampoline_kernelINS0_14default_configENS1_38merge_sort_block_merge_config_selectorIiiEEZZNS1_27merge_sort_block_merge_implIS3_N6thrust23THRUST_200600_302600_NS6detail15normal_iteratorINS8_10device_ptrIiEEEESD_jNS1_19radix_merge_compareILb1ELb1EiNS0_19identity_decomposerEEEEE10hipError_tT0_T1_T2_jT3_P12ihipStream_tbPNSt15iterator_traitsISI_E10value_typeEPNSO_ISJ_E10value_typeEPSK_NS1_7vsmem_tEENKUlT_SI_SJ_SK_E_clISD_PiSD_S10_EESH_SX_SI_SJ_SK_EUlSX_E_NS1_11comp_targetILNS1_3genE0ELNS1_11target_archE4294967295ELNS1_3gpuE0ELNS1_3repE0EEENS1_48merge_mergepath_partition_config_static_selectorELNS0_4arch9wavefront6targetE0EEEvSJ_
		.amdhsa_group_segment_fixed_size 0
		.amdhsa_private_segment_fixed_size 0
		.amdhsa_kernarg_size 40
		.amdhsa_user_sgpr_count 6
		.amdhsa_user_sgpr_private_segment_buffer 1
		.amdhsa_user_sgpr_dispatch_ptr 0
		.amdhsa_user_sgpr_queue_ptr 0
		.amdhsa_user_sgpr_kernarg_segment_ptr 1
		.amdhsa_user_sgpr_dispatch_id 0
		.amdhsa_user_sgpr_flat_scratch_init 0
		.amdhsa_user_sgpr_private_segment_size 0
		.amdhsa_wavefront_size32 1
		.amdhsa_uses_dynamic_stack 0
		.amdhsa_system_sgpr_private_segment_wavefront_offset 0
		.amdhsa_system_sgpr_workgroup_id_x 1
		.amdhsa_system_sgpr_workgroup_id_y 0
		.amdhsa_system_sgpr_workgroup_id_z 0
		.amdhsa_system_sgpr_workgroup_info 0
		.amdhsa_system_vgpr_workitem_id 0
		.amdhsa_next_free_vgpr 1
		.amdhsa_next_free_sgpr 1
		.amdhsa_reserve_vcc 0
		.amdhsa_reserve_flat_scratch 0
		.amdhsa_float_round_mode_32 0
		.amdhsa_float_round_mode_16_64 0
		.amdhsa_float_denorm_mode_32 3
		.amdhsa_float_denorm_mode_16_64 3
		.amdhsa_dx10_clamp 1
		.amdhsa_ieee_mode 1
		.amdhsa_fp16_overflow 0
		.amdhsa_workgroup_processor_mode 1
		.amdhsa_memory_ordered 1
		.amdhsa_forward_progress 1
		.amdhsa_shared_vgpr_count 0
		.amdhsa_exception_fp_ieee_invalid_op 0
		.amdhsa_exception_fp_denorm_src 0
		.amdhsa_exception_fp_ieee_div_zero 0
		.amdhsa_exception_fp_ieee_overflow 0
		.amdhsa_exception_fp_ieee_underflow 0
		.amdhsa_exception_fp_ieee_inexact 0
		.amdhsa_exception_int_div_zero 0
	.end_amdhsa_kernel
	.section	.text._ZN7rocprim17ROCPRIM_400000_NS6detail17trampoline_kernelINS0_14default_configENS1_38merge_sort_block_merge_config_selectorIiiEEZZNS1_27merge_sort_block_merge_implIS3_N6thrust23THRUST_200600_302600_NS6detail15normal_iteratorINS8_10device_ptrIiEEEESD_jNS1_19radix_merge_compareILb1ELb1EiNS0_19identity_decomposerEEEEE10hipError_tT0_T1_T2_jT3_P12ihipStream_tbPNSt15iterator_traitsISI_E10value_typeEPNSO_ISJ_E10value_typeEPSK_NS1_7vsmem_tEENKUlT_SI_SJ_SK_E_clISD_PiSD_S10_EESH_SX_SI_SJ_SK_EUlSX_E_NS1_11comp_targetILNS1_3genE0ELNS1_11target_archE4294967295ELNS1_3gpuE0ELNS1_3repE0EEENS1_48merge_mergepath_partition_config_static_selectorELNS0_4arch9wavefront6targetE0EEEvSJ_,"axG",@progbits,_ZN7rocprim17ROCPRIM_400000_NS6detail17trampoline_kernelINS0_14default_configENS1_38merge_sort_block_merge_config_selectorIiiEEZZNS1_27merge_sort_block_merge_implIS3_N6thrust23THRUST_200600_302600_NS6detail15normal_iteratorINS8_10device_ptrIiEEEESD_jNS1_19radix_merge_compareILb1ELb1EiNS0_19identity_decomposerEEEEE10hipError_tT0_T1_T2_jT3_P12ihipStream_tbPNSt15iterator_traitsISI_E10value_typeEPNSO_ISJ_E10value_typeEPSK_NS1_7vsmem_tEENKUlT_SI_SJ_SK_E_clISD_PiSD_S10_EESH_SX_SI_SJ_SK_EUlSX_E_NS1_11comp_targetILNS1_3genE0ELNS1_11target_archE4294967295ELNS1_3gpuE0ELNS1_3repE0EEENS1_48merge_mergepath_partition_config_static_selectorELNS0_4arch9wavefront6targetE0EEEvSJ_,comdat
.Lfunc_end957:
	.size	_ZN7rocprim17ROCPRIM_400000_NS6detail17trampoline_kernelINS0_14default_configENS1_38merge_sort_block_merge_config_selectorIiiEEZZNS1_27merge_sort_block_merge_implIS3_N6thrust23THRUST_200600_302600_NS6detail15normal_iteratorINS8_10device_ptrIiEEEESD_jNS1_19radix_merge_compareILb1ELb1EiNS0_19identity_decomposerEEEEE10hipError_tT0_T1_T2_jT3_P12ihipStream_tbPNSt15iterator_traitsISI_E10value_typeEPNSO_ISJ_E10value_typeEPSK_NS1_7vsmem_tEENKUlT_SI_SJ_SK_E_clISD_PiSD_S10_EESH_SX_SI_SJ_SK_EUlSX_E_NS1_11comp_targetILNS1_3genE0ELNS1_11target_archE4294967295ELNS1_3gpuE0ELNS1_3repE0EEENS1_48merge_mergepath_partition_config_static_selectorELNS0_4arch9wavefront6targetE0EEEvSJ_, .Lfunc_end957-_ZN7rocprim17ROCPRIM_400000_NS6detail17trampoline_kernelINS0_14default_configENS1_38merge_sort_block_merge_config_selectorIiiEEZZNS1_27merge_sort_block_merge_implIS3_N6thrust23THRUST_200600_302600_NS6detail15normal_iteratorINS8_10device_ptrIiEEEESD_jNS1_19radix_merge_compareILb1ELb1EiNS0_19identity_decomposerEEEEE10hipError_tT0_T1_T2_jT3_P12ihipStream_tbPNSt15iterator_traitsISI_E10value_typeEPNSO_ISJ_E10value_typeEPSK_NS1_7vsmem_tEENKUlT_SI_SJ_SK_E_clISD_PiSD_S10_EESH_SX_SI_SJ_SK_EUlSX_E_NS1_11comp_targetILNS1_3genE0ELNS1_11target_archE4294967295ELNS1_3gpuE0ELNS1_3repE0EEENS1_48merge_mergepath_partition_config_static_selectorELNS0_4arch9wavefront6targetE0EEEvSJ_
                                        ; -- End function
	.set _ZN7rocprim17ROCPRIM_400000_NS6detail17trampoline_kernelINS0_14default_configENS1_38merge_sort_block_merge_config_selectorIiiEEZZNS1_27merge_sort_block_merge_implIS3_N6thrust23THRUST_200600_302600_NS6detail15normal_iteratorINS8_10device_ptrIiEEEESD_jNS1_19radix_merge_compareILb1ELb1EiNS0_19identity_decomposerEEEEE10hipError_tT0_T1_T2_jT3_P12ihipStream_tbPNSt15iterator_traitsISI_E10value_typeEPNSO_ISJ_E10value_typeEPSK_NS1_7vsmem_tEENKUlT_SI_SJ_SK_E_clISD_PiSD_S10_EESH_SX_SI_SJ_SK_EUlSX_E_NS1_11comp_targetILNS1_3genE0ELNS1_11target_archE4294967295ELNS1_3gpuE0ELNS1_3repE0EEENS1_48merge_mergepath_partition_config_static_selectorELNS0_4arch9wavefront6targetE0EEEvSJ_.num_vgpr, 0
	.set _ZN7rocprim17ROCPRIM_400000_NS6detail17trampoline_kernelINS0_14default_configENS1_38merge_sort_block_merge_config_selectorIiiEEZZNS1_27merge_sort_block_merge_implIS3_N6thrust23THRUST_200600_302600_NS6detail15normal_iteratorINS8_10device_ptrIiEEEESD_jNS1_19radix_merge_compareILb1ELb1EiNS0_19identity_decomposerEEEEE10hipError_tT0_T1_T2_jT3_P12ihipStream_tbPNSt15iterator_traitsISI_E10value_typeEPNSO_ISJ_E10value_typeEPSK_NS1_7vsmem_tEENKUlT_SI_SJ_SK_E_clISD_PiSD_S10_EESH_SX_SI_SJ_SK_EUlSX_E_NS1_11comp_targetILNS1_3genE0ELNS1_11target_archE4294967295ELNS1_3gpuE0ELNS1_3repE0EEENS1_48merge_mergepath_partition_config_static_selectorELNS0_4arch9wavefront6targetE0EEEvSJ_.num_agpr, 0
	.set _ZN7rocprim17ROCPRIM_400000_NS6detail17trampoline_kernelINS0_14default_configENS1_38merge_sort_block_merge_config_selectorIiiEEZZNS1_27merge_sort_block_merge_implIS3_N6thrust23THRUST_200600_302600_NS6detail15normal_iteratorINS8_10device_ptrIiEEEESD_jNS1_19radix_merge_compareILb1ELb1EiNS0_19identity_decomposerEEEEE10hipError_tT0_T1_T2_jT3_P12ihipStream_tbPNSt15iterator_traitsISI_E10value_typeEPNSO_ISJ_E10value_typeEPSK_NS1_7vsmem_tEENKUlT_SI_SJ_SK_E_clISD_PiSD_S10_EESH_SX_SI_SJ_SK_EUlSX_E_NS1_11comp_targetILNS1_3genE0ELNS1_11target_archE4294967295ELNS1_3gpuE0ELNS1_3repE0EEENS1_48merge_mergepath_partition_config_static_selectorELNS0_4arch9wavefront6targetE0EEEvSJ_.numbered_sgpr, 0
	.set _ZN7rocprim17ROCPRIM_400000_NS6detail17trampoline_kernelINS0_14default_configENS1_38merge_sort_block_merge_config_selectorIiiEEZZNS1_27merge_sort_block_merge_implIS3_N6thrust23THRUST_200600_302600_NS6detail15normal_iteratorINS8_10device_ptrIiEEEESD_jNS1_19radix_merge_compareILb1ELb1EiNS0_19identity_decomposerEEEEE10hipError_tT0_T1_T2_jT3_P12ihipStream_tbPNSt15iterator_traitsISI_E10value_typeEPNSO_ISJ_E10value_typeEPSK_NS1_7vsmem_tEENKUlT_SI_SJ_SK_E_clISD_PiSD_S10_EESH_SX_SI_SJ_SK_EUlSX_E_NS1_11comp_targetILNS1_3genE0ELNS1_11target_archE4294967295ELNS1_3gpuE0ELNS1_3repE0EEENS1_48merge_mergepath_partition_config_static_selectorELNS0_4arch9wavefront6targetE0EEEvSJ_.num_named_barrier, 0
	.set _ZN7rocprim17ROCPRIM_400000_NS6detail17trampoline_kernelINS0_14default_configENS1_38merge_sort_block_merge_config_selectorIiiEEZZNS1_27merge_sort_block_merge_implIS3_N6thrust23THRUST_200600_302600_NS6detail15normal_iteratorINS8_10device_ptrIiEEEESD_jNS1_19radix_merge_compareILb1ELb1EiNS0_19identity_decomposerEEEEE10hipError_tT0_T1_T2_jT3_P12ihipStream_tbPNSt15iterator_traitsISI_E10value_typeEPNSO_ISJ_E10value_typeEPSK_NS1_7vsmem_tEENKUlT_SI_SJ_SK_E_clISD_PiSD_S10_EESH_SX_SI_SJ_SK_EUlSX_E_NS1_11comp_targetILNS1_3genE0ELNS1_11target_archE4294967295ELNS1_3gpuE0ELNS1_3repE0EEENS1_48merge_mergepath_partition_config_static_selectorELNS0_4arch9wavefront6targetE0EEEvSJ_.private_seg_size, 0
	.set _ZN7rocprim17ROCPRIM_400000_NS6detail17trampoline_kernelINS0_14default_configENS1_38merge_sort_block_merge_config_selectorIiiEEZZNS1_27merge_sort_block_merge_implIS3_N6thrust23THRUST_200600_302600_NS6detail15normal_iteratorINS8_10device_ptrIiEEEESD_jNS1_19radix_merge_compareILb1ELb1EiNS0_19identity_decomposerEEEEE10hipError_tT0_T1_T2_jT3_P12ihipStream_tbPNSt15iterator_traitsISI_E10value_typeEPNSO_ISJ_E10value_typeEPSK_NS1_7vsmem_tEENKUlT_SI_SJ_SK_E_clISD_PiSD_S10_EESH_SX_SI_SJ_SK_EUlSX_E_NS1_11comp_targetILNS1_3genE0ELNS1_11target_archE4294967295ELNS1_3gpuE0ELNS1_3repE0EEENS1_48merge_mergepath_partition_config_static_selectorELNS0_4arch9wavefront6targetE0EEEvSJ_.uses_vcc, 0
	.set _ZN7rocprim17ROCPRIM_400000_NS6detail17trampoline_kernelINS0_14default_configENS1_38merge_sort_block_merge_config_selectorIiiEEZZNS1_27merge_sort_block_merge_implIS3_N6thrust23THRUST_200600_302600_NS6detail15normal_iteratorINS8_10device_ptrIiEEEESD_jNS1_19radix_merge_compareILb1ELb1EiNS0_19identity_decomposerEEEEE10hipError_tT0_T1_T2_jT3_P12ihipStream_tbPNSt15iterator_traitsISI_E10value_typeEPNSO_ISJ_E10value_typeEPSK_NS1_7vsmem_tEENKUlT_SI_SJ_SK_E_clISD_PiSD_S10_EESH_SX_SI_SJ_SK_EUlSX_E_NS1_11comp_targetILNS1_3genE0ELNS1_11target_archE4294967295ELNS1_3gpuE0ELNS1_3repE0EEENS1_48merge_mergepath_partition_config_static_selectorELNS0_4arch9wavefront6targetE0EEEvSJ_.uses_flat_scratch, 0
	.set _ZN7rocprim17ROCPRIM_400000_NS6detail17trampoline_kernelINS0_14default_configENS1_38merge_sort_block_merge_config_selectorIiiEEZZNS1_27merge_sort_block_merge_implIS3_N6thrust23THRUST_200600_302600_NS6detail15normal_iteratorINS8_10device_ptrIiEEEESD_jNS1_19radix_merge_compareILb1ELb1EiNS0_19identity_decomposerEEEEE10hipError_tT0_T1_T2_jT3_P12ihipStream_tbPNSt15iterator_traitsISI_E10value_typeEPNSO_ISJ_E10value_typeEPSK_NS1_7vsmem_tEENKUlT_SI_SJ_SK_E_clISD_PiSD_S10_EESH_SX_SI_SJ_SK_EUlSX_E_NS1_11comp_targetILNS1_3genE0ELNS1_11target_archE4294967295ELNS1_3gpuE0ELNS1_3repE0EEENS1_48merge_mergepath_partition_config_static_selectorELNS0_4arch9wavefront6targetE0EEEvSJ_.has_dyn_sized_stack, 0
	.set _ZN7rocprim17ROCPRIM_400000_NS6detail17trampoline_kernelINS0_14default_configENS1_38merge_sort_block_merge_config_selectorIiiEEZZNS1_27merge_sort_block_merge_implIS3_N6thrust23THRUST_200600_302600_NS6detail15normal_iteratorINS8_10device_ptrIiEEEESD_jNS1_19radix_merge_compareILb1ELb1EiNS0_19identity_decomposerEEEEE10hipError_tT0_T1_T2_jT3_P12ihipStream_tbPNSt15iterator_traitsISI_E10value_typeEPNSO_ISJ_E10value_typeEPSK_NS1_7vsmem_tEENKUlT_SI_SJ_SK_E_clISD_PiSD_S10_EESH_SX_SI_SJ_SK_EUlSX_E_NS1_11comp_targetILNS1_3genE0ELNS1_11target_archE4294967295ELNS1_3gpuE0ELNS1_3repE0EEENS1_48merge_mergepath_partition_config_static_selectorELNS0_4arch9wavefront6targetE0EEEvSJ_.has_recursion, 0
	.set _ZN7rocprim17ROCPRIM_400000_NS6detail17trampoline_kernelINS0_14default_configENS1_38merge_sort_block_merge_config_selectorIiiEEZZNS1_27merge_sort_block_merge_implIS3_N6thrust23THRUST_200600_302600_NS6detail15normal_iteratorINS8_10device_ptrIiEEEESD_jNS1_19radix_merge_compareILb1ELb1EiNS0_19identity_decomposerEEEEE10hipError_tT0_T1_T2_jT3_P12ihipStream_tbPNSt15iterator_traitsISI_E10value_typeEPNSO_ISJ_E10value_typeEPSK_NS1_7vsmem_tEENKUlT_SI_SJ_SK_E_clISD_PiSD_S10_EESH_SX_SI_SJ_SK_EUlSX_E_NS1_11comp_targetILNS1_3genE0ELNS1_11target_archE4294967295ELNS1_3gpuE0ELNS1_3repE0EEENS1_48merge_mergepath_partition_config_static_selectorELNS0_4arch9wavefront6targetE0EEEvSJ_.has_indirect_call, 0
	.section	.AMDGPU.csdata,"",@progbits
; Kernel info:
; codeLenInByte = 0
; TotalNumSgprs: 0
; NumVgprs: 0
; ScratchSize: 0
; MemoryBound: 0
; FloatMode: 240
; IeeeMode: 1
; LDSByteSize: 0 bytes/workgroup (compile time only)
; SGPRBlocks: 0
; VGPRBlocks: 0
; NumSGPRsForWavesPerEU: 1
; NumVGPRsForWavesPerEU: 1
; Occupancy: 16
; WaveLimiterHint : 0
; COMPUTE_PGM_RSRC2:SCRATCH_EN: 0
; COMPUTE_PGM_RSRC2:USER_SGPR: 6
; COMPUTE_PGM_RSRC2:TRAP_HANDLER: 0
; COMPUTE_PGM_RSRC2:TGID_X_EN: 1
; COMPUTE_PGM_RSRC2:TGID_Y_EN: 0
; COMPUTE_PGM_RSRC2:TGID_Z_EN: 0
; COMPUTE_PGM_RSRC2:TIDIG_COMP_CNT: 0
	.section	.text._ZN7rocprim17ROCPRIM_400000_NS6detail17trampoline_kernelINS0_14default_configENS1_38merge_sort_block_merge_config_selectorIiiEEZZNS1_27merge_sort_block_merge_implIS3_N6thrust23THRUST_200600_302600_NS6detail15normal_iteratorINS8_10device_ptrIiEEEESD_jNS1_19radix_merge_compareILb1ELb1EiNS0_19identity_decomposerEEEEE10hipError_tT0_T1_T2_jT3_P12ihipStream_tbPNSt15iterator_traitsISI_E10value_typeEPNSO_ISJ_E10value_typeEPSK_NS1_7vsmem_tEENKUlT_SI_SJ_SK_E_clISD_PiSD_S10_EESH_SX_SI_SJ_SK_EUlSX_E_NS1_11comp_targetILNS1_3genE10ELNS1_11target_archE1201ELNS1_3gpuE5ELNS1_3repE0EEENS1_48merge_mergepath_partition_config_static_selectorELNS0_4arch9wavefront6targetE0EEEvSJ_,"axG",@progbits,_ZN7rocprim17ROCPRIM_400000_NS6detail17trampoline_kernelINS0_14default_configENS1_38merge_sort_block_merge_config_selectorIiiEEZZNS1_27merge_sort_block_merge_implIS3_N6thrust23THRUST_200600_302600_NS6detail15normal_iteratorINS8_10device_ptrIiEEEESD_jNS1_19radix_merge_compareILb1ELb1EiNS0_19identity_decomposerEEEEE10hipError_tT0_T1_T2_jT3_P12ihipStream_tbPNSt15iterator_traitsISI_E10value_typeEPNSO_ISJ_E10value_typeEPSK_NS1_7vsmem_tEENKUlT_SI_SJ_SK_E_clISD_PiSD_S10_EESH_SX_SI_SJ_SK_EUlSX_E_NS1_11comp_targetILNS1_3genE10ELNS1_11target_archE1201ELNS1_3gpuE5ELNS1_3repE0EEENS1_48merge_mergepath_partition_config_static_selectorELNS0_4arch9wavefront6targetE0EEEvSJ_,comdat
	.protected	_ZN7rocprim17ROCPRIM_400000_NS6detail17trampoline_kernelINS0_14default_configENS1_38merge_sort_block_merge_config_selectorIiiEEZZNS1_27merge_sort_block_merge_implIS3_N6thrust23THRUST_200600_302600_NS6detail15normal_iteratorINS8_10device_ptrIiEEEESD_jNS1_19radix_merge_compareILb1ELb1EiNS0_19identity_decomposerEEEEE10hipError_tT0_T1_T2_jT3_P12ihipStream_tbPNSt15iterator_traitsISI_E10value_typeEPNSO_ISJ_E10value_typeEPSK_NS1_7vsmem_tEENKUlT_SI_SJ_SK_E_clISD_PiSD_S10_EESH_SX_SI_SJ_SK_EUlSX_E_NS1_11comp_targetILNS1_3genE10ELNS1_11target_archE1201ELNS1_3gpuE5ELNS1_3repE0EEENS1_48merge_mergepath_partition_config_static_selectorELNS0_4arch9wavefront6targetE0EEEvSJ_ ; -- Begin function _ZN7rocprim17ROCPRIM_400000_NS6detail17trampoline_kernelINS0_14default_configENS1_38merge_sort_block_merge_config_selectorIiiEEZZNS1_27merge_sort_block_merge_implIS3_N6thrust23THRUST_200600_302600_NS6detail15normal_iteratorINS8_10device_ptrIiEEEESD_jNS1_19radix_merge_compareILb1ELb1EiNS0_19identity_decomposerEEEEE10hipError_tT0_T1_T2_jT3_P12ihipStream_tbPNSt15iterator_traitsISI_E10value_typeEPNSO_ISJ_E10value_typeEPSK_NS1_7vsmem_tEENKUlT_SI_SJ_SK_E_clISD_PiSD_S10_EESH_SX_SI_SJ_SK_EUlSX_E_NS1_11comp_targetILNS1_3genE10ELNS1_11target_archE1201ELNS1_3gpuE5ELNS1_3repE0EEENS1_48merge_mergepath_partition_config_static_selectorELNS0_4arch9wavefront6targetE0EEEvSJ_
	.globl	_ZN7rocprim17ROCPRIM_400000_NS6detail17trampoline_kernelINS0_14default_configENS1_38merge_sort_block_merge_config_selectorIiiEEZZNS1_27merge_sort_block_merge_implIS3_N6thrust23THRUST_200600_302600_NS6detail15normal_iteratorINS8_10device_ptrIiEEEESD_jNS1_19radix_merge_compareILb1ELb1EiNS0_19identity_decomposerEEEEE10hipError_tT0_T1_T2_jT3_P12ihipStream_tbPNSt15iterator_traitsISI_E10value_typeEPNSO_ISJ_E10value_typeEPSK_NS1_7vsmem_tEENKUlT_SI_SJ_SK_E_clISD_PiSD_S10_EESH_SX_SI_SJ_SK_EUlSX_E_NS1_11comp_targetILNS1_3genE10ELNS1_11target_archE1201ELNS1_3gpuE5ELNS1_3repE0EEENS1_48merge_mergepath_partition_config_static_selectorELNS0_4arch9wavefront6targetE0EEEvSJ_
	.p2align	8
	.type	_ZN7rocprim17ROCPRIM_400000_NS6detail17trampoline_kernelINS0_14default_configENS1_38merge_sort_block_merge_config_selectorIiiEEZZNS1_27merge_sort_block_merge_implIS3_N6thrust23THRUST_200600_302600_NS6detail15normal_iteratorINS8_10device_ptrIiEEEESD_jNS1_19radix_merge_compareILb1ELb1EiNS0_19identity_decomposerEEEEE10hipError_tT0_T1_T2_jT3_P12ihipStream_tbPNSt15iterator_traitsISI_E10value_typeEPNSO_ISJ_E10value_typeEPSK_NS1_7vsmem_tEENKUlT_SI_SJ_SK_E_clISD_PiSD_S10_EESH_SX_SI_SJ_SK_EUlSX_E_NS1_11comp_targetILNS1_3genE10ELNS1_11target_archE1201ELNS1_3gpuE5ELNS1_3repE0EEENS1_48merge_mergepath_partition_config_static_selectorELNS0_4arch9wavefront6targetE0EEEvSJ_,@function
_ZN7rocprim17ROCPRIM_400000_NS6detail17trampoline_kernelINS0_14default_configENS1_38merge_sort_block_merge_config_selectorIiiEEZZNS1_27merge_sort_block_merge_implIS3_N6thrust23THRUST_200600_302600_NS6detail15normal_iteratorINS8_10device_ptrIiEEEESD_jNS1_19radix_merge_compareILb1ELb1EiNS0_19identity_decomposerEEEEE10hipError_tT0_T1_T2_jT3_P12ihipStream_tbPNSt15iterator_traitsISI_E10value_typeEPNSO_ISJ_E10value_typeEPSK_NS1_7vsmem_tEENKUlT_SI_SJ_SK_E_clISD_PiSD_S10_EESH_SX_SI_SJ_SK_EUlSX_E_NS1_11comp_targetILNS1_3genE10ELNS1_11target_archE1201ELNS1_3gpuE5ELNS1_3repE0EEENS1_48merge_mergepath_partition_config_static_selectorELNS0_4arch9wavefront6targetE0EEEvSJ_: ; @_ZN7rocprim17ROCPRIM_400000_NS6detail17trampoline_kernelINS0_14default_configENS1_38merge_sort_block_merge_config_selectorIiiEEZZNS1_27merge_sort_block_merge_implIS3_N6thrust23THRUST_200600_302600_NS6detail15normal_iteratorINS8_10device_ptrIiEEEESD_jNS1_19radix_merge_compareILb1ELb1EiNS0_19identity_decomposerEEEEE10hipError_tT0_T1_T2_jT3_P12ihipStream_tbPNSt15iterator_traitsISI_E10value_typeEPNSO_ISJ_E10value_typeEPSK_NS1_7vsmem_tEENKUlT_SI_SJ_SK_E_clISD_PiSD_S10_EESH_SX_SI_SJ_SK_EUlSX_E_NS1_11comp_targetILNS1_3genE10ELNS1_11target_archE1201ELNS1_3gpuE5ELNS1_3repE0EEENS1_48merge_mergepath_partition_config_static_selectorELNS0_4arch9wavefront6targetE0EEEvSJ_
; %bb.0:
	.section	.rodata,"a",@progbits
	.p2align	6, 0x0
	.amdhsa_kernel _ZN7rocprim17ROCPRIM_400000_NS6detail17trampoline_kernelINS0_14default_configENS1_38merge_sort_block_merge_config_selectorIiiEEZZNS1_27merge_sort_block_merge_implIS3_N6thrust23THRUST_200600_302600_NS6detail15normal_iteratorINS8_10device_ptrIiEEEESD_jNS1_19radix_merge_compareILb1ELb1EiNS0_19identity_decomposerEEEEE10hipError_tT0_T1_T2_jT3_P12ihipStream_tbPNSt15iterator_traitsISI_E10value_typeEPNSO_ISJ_E10value_typeEPSK_NS1_7vsmem_tEENKUlT_SI_SJ_SK_E_clISD_PiSD_S10_EESH_SX_SI_SJ_SK_EUlSX_E_NS1_11comp_targetILNS1_3genE10ELNS1_11target_archE1201ELNS1_3gpuE5ELNS1_3repE0EEENS1_48merge_mergepath_partition_config_static_selectorELNS0_4arch9wavefront6targetE0EEEvSJ_
		.amdhsa_group_segment_fixed_size 0
		.amdhsa_private_segment_fixed_size 0
		.amdhsa_kernarg_size 40
		.amdhsa_user_sgpr_count 6
		.amdhsa_user_sgpr_private_segment_buffer 1
		.amdhsa_user_sgpr_dispatch_ptr 0
		.amdhsa_user_sgpr_queue_ptr 0
		.amdhsa_user_sgpr_kernarg_segment_ptr 1
		.amdhsa_user_sgpr_dispatch_id 0
		.amdhsa_user_sgpr_flat_scratch_init 0
		.amdhsa_user_sgpr_private_segment_size 0
		.amdhsa_wavefront_size32 1
		.amdhsa_uses_dynamic_stack 0
		.amdhsa_system_sgpr_private_segment_wavefront_offset 0
		.amdhsa_system_sgpr_workgroup_id_x 1
		.amdhsa_system_sgpr_workgroup_id_y 0
		.amdhsa_system_sgpr_workgroup_id_z 0
		.amdhsa_system_sgpr_workgroup_info 0
		.amdhsa_system_vgpr_workitem_id 0
		.amdhsa_next_free_vgpr 1
		.amdhsa_next_free_sgpr 1
		.amdhsa_reserve_vcc 0
		.amdhsa_reserve_flat_scratch 0
		.amdhsa_float_round_mode_32 0
		.amdhsa_float_round_mode_16_64 0
		.amdhsa_float_denorm_mode_32 3
		.amdhsa_float_denorm_mode_16_64 3
		.amdhsa_dx10_clamp 1
		.amdhsa_ieee_mode 1
		.amdhsa_fp16_overflow 0
		.amdhsa_workgroup_processor_mode 1
		.amdhsa_memory_ordered 1
		.amdhsa_forward_progress 1
		.amdhsa_shared_vgpr_count 0
		.amdhsa_exception_fp_ieee_invalid_op 0
		.amdhsa_exception_fp_denorm_src 0
		.amdhsa_exception_fp_ieee_div_zero 0
		.amdhsa_exception_fp_ieee_overflow 0
		.amdhsa_exception_fp_ieee_underflow 0
		.amdhsa_exception_fp_ieee_inexact 0
		.amdhsa_exception_int_div_zero 0
	.end_amdhsa_kernel
	.section	.text._ZN7rocprim17ROCPRIM_400000_NS6detail17trampoline_kernelINS0_14default_configENS1_38merge_sort_block_merge_config_selectorIiiEEZZNS1_27merge_sort_block_merge_implIS3_N6thrust23THRUST_200600_302600_NS6detail15normal_iteratorINS8_10device_ptrIiEEEESD_jNS1_19radix_merge_compareILb1ELb1EiNS0_19identity_decomposerEEEEE10hipError_tT0_T1_T2_jT3_P12ihipStream_tbPNSt15iterator_traitsISI_E10value_typeEPNSO_ISJ_E10value_typeEPSK_NS1_7vsmem_tEENKUlT_SI_SJ_SK_E_clISD_PiSD_S10_EESH_SX_SI_SJ_SK_EUlSX_E_NS1_11comp_targetILNS1_3genE10ELNS1_11target_archE1201ELNS1_3gpuE5ELNS1_3repE0EEENS1_48merge_mergepath_partition_config_static_selectorELNS0_4arch9wavefront6targetE0EEEvSJ_,"axG",@progbits,_ZN7rocprim17ROCPRIM_400000_NS6detail17trampoline_kernelINS0_14default_configENS1_38merge_sort_block_merge_config_selectorIiiEEZZNS1_27merge_sort_block_merge_implIS3_N6thrust23THRUST_200600_302600_NS6detail15normal_iteratorINS8_10device_ptrIiEEEESD_jNS1_19radix_merge_compareILb1ELb1EiNS0_19identity_decomposerEEEEE10hipError_tT0_T1_T2_jT3_P12ihipStream_tbPNSt15iterator_traitsISI_E10value_typeEPNSO_ISJ_E10value_typeEPSK_NS1_7vsmem_tEENKUlT_SI_SJ_SK_E_clISD_PiSD_S10_EESH_SX_SI_SJ_SK_EUlSX_E_NS1_11comp_targetILNS1_3genE10ELNS1_11target_archE1201ELNS1_3gpuE5ELNS1_3repE0EEENS1_48merge_mergepath_partition_config_static_selectorELNS0_4arch9wavefront6targetE0EEEvSJ_,comdat
.Lfunc_end958:
	.size	_ZN7rocprim17ROCPRIM_400000_NS6detail17trampoline_kernelINS0_14default_configENS1_38merge_sort_block_merge_config_selectorIiiEEZZNS1_27merge_sort_block_merge_implIS3_N6thrust23THRUST_200600_302600_NS6detail15normal_iteratorINS8_10device_ptrIiEEEESD_jNS1_19radix_merge_compareILb1ELb1EiNS0_19identity_decomposerEEEEE10hipError_tT0_T1_T2_jT3_P12ihipStream_tbPNSt15iterator_traitsISI_E10value_typeEPNSO_ISJ_E10value_typeEPSK_NS1_7vsmem_tEENKUlT_SI_SJ_SK_E_clISD_PiSD_S10_EESH_SX_SI_SJ_SK_EUlSX_E_NS1_11comp_targetILNS1_3genE10ELNS1_11target_archE1201ELNS1_3gpuE5ELNS1_3repE0EEENS1_48merge_mergepath_partition_config_static_selectorELNS0_4arch9wavefront6targetE0EEEvSJ_, .Lfunc_end958-_ZN7rocprim17ROCPRIM_400000_NS6detail17trampoline_kernelINS0_14default_configENS1_38merge_sort_block_merge_config_selectorIiiEEZZNS1_27merge_sort_block_merge_implIS3_N6thrust23THRUST_200600_302600_NS6detail15normal_iteratorINS8_10device_ptrIiEEEESD_jNS1_19radix_merge_compareILb1ELb1EiNS0_19identity_decomposerEEEEE10hipError_tT0_T1_T2_jT3_P12ihipStream_tbPNSt15iterator_traitsISI_E10value_typeEPNSO_ISJ_E10value_typeEPSK_NS1_7vsmem_tEENKUlT_SI_SJ_SK_E_clISD_PiSD_S10_EESH_SX_SI_SJ_SK_EUlSX_E_NS1_11comp_targetILNS1_3genE10ELNS1_11target_archE1201ELNS1_3gpuE5ELNS1_3repE0EEENS1_48merge_mergepath_partition_config_static_selectorELNS0_4arch9wavefront6targetE0EEEvSJ_
                                        ; -- End function
	.set _ZN7rocprim17ROCPRIM_400000_NS6detail17trampoline_kernelINS0_14default_configENS1_38merge_sort_block_merge_config_selectorIiiEEZZNS1_27merge_sort_block_merge_implIS3_N6thrust23THRUST_200600_302600_NS6detail15normal_iteratorINS8_10device_ptrIiEEEESD_jNS1_19radix_merge_compareILb1ELb1EiNS0_19identity_decomposerEEEEE10hipError_tT0_T1_T2_jT3_P12ihipStream_tbPNSt15iterator_traitsISI_E10value_typeEPNSO_ISJ_E10value_typeEPSK_NS1_7vsmem_tEENKUlT_SI_SJ_SK_E_clISD_PiSD_S10_EESH_SX_SI_SJ_SK_EUlSX_E_NS1_11comp_targetILNS1_3genE10ELNS1_11target_archE1201ELNS1_3gpuE5ELNS1_3repE0EEENS1_48merge_mergepath_partition_config_static_selectorELNS0_4arch9wavefront6targetE0EEEvSJ_.num_vgpr, 0
	.set _ZN7rocprim17ROCPRIM_400000_NS6detail17trampoline_kernelINS0_14default_configENS1_38merge_sort_block_merge_config_selectorIiiEEZZNS1_27merge_sort_block_merge_implIS3_N6thrust23THRUST_200600_302600_NS6detail15normal_iteratorINS8_10device_ptrIiEEEESD_jNS1_19radix_merge_compareILb1ELb1EiNS0_19identity_decomposerEEEEE10hipError_tT0_T1_T2_jT3_P12ihipStream_tbPNSt15iterator_traitsISI_E10value_typeEPNSO_ISJ_E10value_typeEPSK_NS1_7vsmem_tEENKUlT_SI_SJ_SK_E_clISD_PiSD_S10_EESH_SX_SI_SJ_SK_EUlSX_E_NS1_11comp_targetILNS1_3genE10ELNS1_11target_archE1201ELNS1_3gpuE5ELNS1_3repE0EEENS1_48merge_mergepath_partition_config_static_selectorELNS0_4arch9wavefront6targetE0EEEvSJ_.num_agpr, 0
	.set _ZN7rocprim17ROCPRIM_400000_NS6detail17trampoline_kernelINS0_14default_configENS1_38merge_sort_block_merge_config_selectorIiiEEZZNS1_27merge_sort_block_merge_implIS3_N6thrust23THRUST_200600_302600_NS6detail15normal_iteratorINS8_10device_ptrIiEEEESD_jNS1_19radix_merge_compareILb1ELb1EiNS0_19identity_decomposerEEEEE10hipError_tT0_T1_T2_jT3_P12ihipStream_tbPNSt15iterator_traitsISI_E10value_typeEPNSO_ISJ_E10value_typeEPSK_NS1_7vsmem_tEENKUlT_SI_SJ_SK_E_clISD_PiSD_S10_EESH_SX_SI_SJ_SK_EUlSX_E_NS1_11comp_targetILNS1_3genE10ELNS1_11target_archE1201ELNS1_3gpuE5ELNS1_3repE0EEENS1_48merge_mergepath_partition_config_static_selectorELNS0_4arch9wavefront6targetE0EEEvSJ_.numbered_sgpr, 0
	.set _ZN7rocprim17ROCPRIM_400000_NS6detail17trampoline_kernelINS0_14default_configENS1_38merge_sort_block_merge_config_selectorIiiEEZZNS1_27merge_sort_block_merge_implIS3_N6thrust23THRUST_200600_302600_NS6detail15normal_iteratorINS8_10device_ptrIiEEEESD_jNS1_19radix_merge_compareILb1ELb1EiNS0_19identity_decomposerEEEEE10hipError_tT0_T1_T2_jT3_P12ihipStream_tbPNSt15iterator_traitsISI_E10value_typeEPNSO_ISJ_E10value_typeEPSK_NS1_7vsmem_tEENKUlT_SI_SJ_SK_E_clISD_PiSD_S10_EESH_SX_SI_SJ_SK_EUlSX_E_NS1_11comp_targetILNS1_3genE10ELNS1_11target_archE1201ELNS1_3gpuE5ELNS1_3repE0EEENS1_48merge_mergepath_partition_config_static_selectorELNS0_4arch9wavefront6targetE0EEEvSJ_.num_named_barrier, 0
	.set _ZN7rocprim17ROCPRIM_400000_NS6detail17trampoline_kernelINS0_14default_configENS1_38merge_sort_block_merge_config_selectorIiiEEZZNS1_27merge_sort_block_merge_implIS3_N6thrust23THRUST_200600_302600_NS6detail15normal_iteratorINS8_10device_ptrIiEEEESD_jNS1_19radix_merge_compareILb1ELb1EiNS0_19identity_decomposerEEEEE10hipError_tT0_T1_T2_jT3_P12ihipStream_tbPNSt15iterator_traitsISI_E10value_typeEPNSO_ISJ_E10value_typeEPSK_NS1_7vsmem_tEENKUlT_SI_SJ_SK_E_clISD_PiSD_S10_EESH_SX_SI_SJ_SK_EUlSX_E_NS1_11comp_targetILNS1_3genE10ELNS1_11target_archE1201ELNS1_3gpuE5ELNS1_3repE0EEENS1_48merge_mergepath_partition_config_static_selectorELNS0_4arch9wavefront6targetE0EEEvSJ_.private_seg_size, 0
	.set _ZN7rocprim17ROCPRIM_400000_NS6detail17trampoline_kernelINS0_14default_configENS1_38merge_sort_block_merge_config_selectorIiiEEZZNS1_27merge_sort_block_merge_implIS3_N6thrust23THRUST_200600_302600_NS6detail15normal_iteratorINS8_10device_ptrIiEEEESD_jNS1_19radix_merge_compareILb1ELb1EiNS0_19identity_decomposerEEEEE10hipError_tT0_T1_T2_jT3_P12ihipStream_tbPNSt15iterator_traitsISI_E10value_typeEPNSO_ISJ_E10value_typeEPSK_NS1_7vsmem_tEENKUlT_SI_SJ_SK_E_clISD_PiSD_S10_EESH_SX_SI_SJ_SK_EUlSX_E_NS1_11comp_targetILNS1_3genE10ELNS1_11target_archE1201ELNS1_3gpuE5ELNS1_3repE0EEENS1_48merge_mergepath_partition_config_static_selectorELNS0_4arch9wavefront6targetE0EEEvSJ_.uses_vcc, 0
	.set _ZN7rocprim17ROCPRIM_400000_NS6detail17trampoline_kernelINS0_14default_configENS1_38merge_sort_block_merge_config_selectorIiiEEZZNS1_27merge_sort_block_merge_implIS3_N6thrust23THRUST_200600_302600_NS6detail15normal_iteratorINS8_10device_ptrIiEEEESD_jNS1_19radix_merge_compareILb1ELb1EiNS0_19identity_decomposerEEEEE10hipError_tT0_T1_T2_jT3_P12ihipStream_tbPNSt15iterator_traitsISI_E10value_typeEPNSO_ISJ_E10value_typeEPSK_NS1_7vsmem_tEENKUlT_SI_SJ_SK_E_clISD_PiSD_S10_EESH_SX_SI_SJ_SK_EUlSX_E_NS1_11comp_targetILNS1_3genE10ELNS1_11target_archE1201ELNS1_3gpuE5ELNS1_3repE0EEENS1_48merge_mergepath_partition_config_static_selectorELNS0_4arch9wavefront6targetE0EEEvSJ_.uses_flat_scratch, 0
	.set _ZN7rocprim17ROCPRIM_400000_NS6detail17trampoline_kernelINS0_14default_configENS1_38merge_sort_block_merge_config_selectorIiiEEZZNS1_27merge_sort_block_merge_implIS3_N6thrust23THRUST_200600_302600_NS6detail15normal_iteratorINS8_10device_ptrIiEEEESD_jNS1_19radix_merge_compareILb1ELb1EiNS0_19identity_decomposerEEEEE10hipError_tT0_T1_T2_jT3_P12ihipStream_tbPNSt15iterator_traitsISI_E10value_typeEPNSO_ISJ_E10value_typeEPSK_NS1_7vsmem_tEENKUlT_SI_SJ_SK_E_clISD_PiSD_S10_EESH_SX_SI_SJ_SK_EUlSX_E_NS1_11comp_targetILNS1_3genE10ELNS1_11target_archE1201ELNS1_3gpuE5ELNS1_3repE0EEENS1_48merge_mergepath_partition_config_static_selectorELNS0_4arch9wavefront6targetE0EEEvSJ_.has_dyn_sized_stack, 0
	.set _ZN7rocprim17ROCPRIM_400000_NS6detail17trampoline_kernelINS0_14default_configENS1_38merge_sort_block_merge_config_selectorIiiEEZZNS1_27merge_sort_block_merge_implIS3_N6thrust23THRUST_200600_302600_NS6detail15normal_iteratorINS8_10device_ptrIiEEEESD_jNS1_19radix_merge_compareILb1ELb1EiNS0_19identity_decomposerEEEEE10hipError_tT0_T1_T2_jT3_P12ihipStream_tbPNSt15iterator_traitsISI_E10value_typeEPNSO_ISJ_E10value_typeEPSK_NS1_7vsmem_tEENKUlT_SI_SJ_SK_E_clISD_PiSD_S10_EESH_SX_SI_SJ_SK_EUlSX_E_NS1_11comp_targetILNS1_3genE10ELNS1_11target_archE1201ELNS1_3gpuE5ELNS1_3repE0EEENS1_48merge_mergepath_partition_config_static_selectorELNS0_4arch9wavefront6targetE0EEEvSJ_.has_recursion, 0
	.set _ZN7rocprim17ROCPRIM_400000_NS6detail17trampoline_kernelINS0_14default_configENS1_38merge_sort_block_merge_config_selectorIiiEEZZNS1_27merge_sort_block_merge_implIS3_N6thrust23THRUST_200600_302600_NS6detail15normal_iteratorINS8_10device_ptrIiEEEESD_jNS1_19radix_merge_compareILb1ELb1EiNS0_19identity_decomposerEEEEE10hipError_tT0_T1_T2_jT3_P12ihipStream_tbPNSt15iterator_traitsISI_E10value_typeEPNSO_ISJ_E10value_typeEPSK_NS1_7vsmem_tEENKUlT_SI_SJ_SK_E_clISD_PiSD_S10_EESH_SX_SI_SJ_SK_EUlSX_E_NS1_11comp_targetILNS1_3genE10ELNS1_11target_archE1201ELNS1_3gpuE5ELNS1_3repE0EEENS1_48merge_mergepath_partition_config_static_selectorELNS0_4arch9wavefront6targetE0EEEvSJ_.has_indirect_call, 0
	.section	.AMDGPU.csdata,"",@progbits
; Kernel info:
; codeLenInByte = 0
; TotalNumSgprs: 0
; NumVgprs: 0
; ScratchSize: 0
; MemoryBound: 0
; FloatMode: 240
; IeeeMode: 1
; LDSByteSize: 0 bytes/workgroup (compile time only)
; SGPRBlocks: 0
; VGPRBlocks: 0
; NumSGPRsForWavesPerEU: 1
; NumVGPRsForWavesPerEU: 1
; Occupancy: 16
; WaveLimiterHint : 0
; COMPUTE_PGM_RSRC2:SCRATCH_EN: 0
; COMPUTE_PGM_RSRC2:USER_SGPR: 6
; COMPUTE_PGM_RSRC2:TRAP_HANDLER: 0
; COMPUTE_PGM_RSRC2:TGID_X_EN: 1
; COMPUTE_PGM_RSRC2:TGID_Y_EN: 0
; COMPUTE_PGM_RSRC2:TGID_Z_EN: 0
; COMPUTE_PGM_RSRC2:TIDIG_COMP_CNT: 0
	.section	.text._ZN7rocprim17ROCPRIM_400000_NS6detail17trampoline_kernelINS0_14default_configENS1_38merge_sort_block_merge_config_selectorIiiEEZZNS1_27merge_sort_block_merge_implIS3_N6thrust23THRUST_200600_302600_NS6detail15normal_iteratorINS8_10device_ptrIiEEEESD_jNS1_19radix_merge_compareILb1ELb1EiNS0_19identity_decomposerEEEEE10hipError_tT0_T1_T2_jT3_P12ihipStream_tbPNSt15iterator_traitsISI_E10value_typeEPNSO_ISJ_E10value_typeEPSK_NS1_7vsmem_tEENKUlT_SI_SJ_SK_E_clISD_PiSD_S10_EESH_SX_SI_SJ_SK_EUlSX_E_NS1_11comp_targetILNS1_3genE5ELNS1_11target_archE942ELNS1_3gpuE9ELNS1_3repE0EEENS1_48merge_mergepath_partition_config_static_selectorELNS0_4arch9wavefront6targetE0EEEvSJ_,"axG",@progbits,_ZN7rocprim17ROCPRIM_400000_NS6detail17trampoline_kernelINS0_14default_configENS1_38merge_sort_block_merge_config_selectorIiiEEZZNS1_27merge_sort_block_merge_implIS3_N6thrust23THRUST_200600_302600_NS6detail15normal_iteratorINS8_10device_ptrIiEEEESD_jNS1_19radix_merge_compareILb1ELb1EiNS0_19identity_decomposerEEEEE10hipError_tT0_T1_T2_jT3_P12ihipStream_tbPNSt15iterator_traitsISI_E10value_typeEPNSO_ISJ_E10value_typeEPSK_NS1_7vsmem_tEENKUlT_SI_SJ_SK_E_clISD_PiSD_S10_EESH_SX_SI_SJ_SK_EUlSX_E_NS1_11comp_targetILNS1_3genE5ELNS1_11target_archE942ELNS1_3gpuE9ELNS1_3repE0EEENS1_48merge_mergepath_partition_config_static_selectorELNS0_4arch9wavefront6targetE0EEEvSJ_,comdat
	.protected	_ZN7rocprim17ROCPRIM_400000_NS6detail17trampoline_kernelINS0_14default_configENS1_38merge_sort_block_merge_config_selectorIiiEEZZNS1_27merge_sort_block_merge_implIS3_N6thrust23THRUST_200600_302600_NS6detail15normal_iteratorINS8_10device_ptrIiEEEESD_jNS1_19radix_merge_compareILb1ELb1EiNS0_19identity_decomposerEEEEE10hipError_tT0_T1_T2_jT3_P12ihipStream_tbPNSt15iterator_traitsISI_E10value_typeEPNSO_ISJ_E10value_typeEPSK_NS1_7vsmem_tEENKUlT_SI_SJ_SK_E_clISD_PiSD_S10_EESH_SX_SI_SJ_SK_EUlSX_E_NS1_11comp_targetILNS1_3genE5ELNS1_11target_archE942ELNS1_3gpuE9ELNS1_3repE0EEENS1_48merge_mergepath_partition_config_static_selectorELNS0_4arch9wavefront6targetE0EEEvSJ_ ; -- Begin function _ZN7rocprim17ROCPRIM_400000_NS6detail17trampoline_kernelINS0_14default_configENS1_38merge_sort_block_merge_config_selectorIiiEEZZNS1_27merge_sort_block_merge_implIS3_N6thrust23THRUST_200600_302600_NS6detail15normal_iteratorINS8_10device_ptrIiEEEESD_jNS1_19radix_merge_compareILb1ELb1EiNS0_19identity_decomposerEEEEE10hipError_tT0_T1_T2_jT3_P12ihipStream_tbPNSt15iterator_traitsISI_E10value_typeEPNSO_ISJ_E10value_typeEPSK_NS1_7vsmem_tEENKUlT_SI_SJ_SK_E_clISD_PiSD_S10_EESH_SX_SI_SJ_SK_EUlSX_E_NS1_11comp_targetILNS1_3genE5ELNS1_11target_archE942ELNS1_3gpuE9ELNS1_3repE0EEENS1_48merge_mergepath_partition_config_static_selectorELNS0_4arch9wavefront6targetE0EEEvSJ_
	.globl	_ZN7rocprim17ROCPRIM_400000_NS6detail17trampoline_kernelINS0_14default_configENS1_38merge_sort_block_merge_config_selectorIiiEEZZNS1_27merge_sort_block_merge_implIS3_N6thrust23THRUST_200600_302600_NS6detail15normal_iteratorINS8_10device_ptrIiEEEESD_jNS1_19radix_merge_compareILb1ELb1EiNS0_19identity_decomposerEEEEE10hipError_tT0_T1_T2_jT3_P12ihipStream_tbPNSt15iterator_traitsISI_E10value_typeEPNSO_ISJ_E10value_typeEPSK_NS1_7vsmem_tEENKUlT_SI_SJ_SK_E_clISD_PiSD_S10_EESH_SX_SI_SJ_SK_EUlSX_E_NS1_11comp_targetILNS1_3genE5ELNS1_11target_archE942ELNS1_3gpuE9ELNS1_3repE0EEENS1_48merge_mergepath_partition_config_static_selectorELNS0_4arch9wavefront6targetE0EEEvSJ_
	.p2align	8
	.type	_ZN7rocprim17ROCPRIM_400000_NS6detail17trampoline_kernelINS0_14default_configENS1_38merge_sort_block_merge_config_selectorIiiEEZZNS1_27merge_sort_block_merge_implIS3_N6thrust23THRUST_200600_302600_NS6detail15normal_iteratorINS8_10device_ptrIiEEEESD_jNS1_19radix_merge_compareILb1ELb1EiNS0_19identity_decomposerEEEEE10hipError_tT0_T1_T2_jT3_P12ihipStream_tbPNSt15iterator_traitsISI_E10value_typeEPNSO_ISJ_E10value_typeEPSK_NS1_7vsmem_tEENKUlT_SI_SJ_SK_E_clISD_PiSD_S10_EESH_SX_SI_SJ_SK_EUlSX_E_NS1_11comp_targetILNS1_3genE5ELNS1_11target_archE942ELNS1_3gpuE9ELNS1_3repE0EEENS1_48merge_mergepath_partition_config_static_selectorELNS0_4arch9wavefront6targetE0EEEvSJ_,@function
_ZN7rocprim17ROCPRIM_400000_NS6detail17trampoline_kernelINS0_14default_configENS1_38merge_sort_block_merge_config_selectorIiiEEZZNS1_27merge_sort_block_merge_implIS3_N6thrust23THRUST_200600_302600_NS6detail15normal_iteratorINS8_10device_ptrIiEEEESD_jNS1_19radix_merge_compareILb1ELb1EiNS0_19identity_decomposerEEEEE10hipError_tT0_T1_T2_jT3_P12ihipStream_tbPNSt15iterator_traitsISI_E10value_typeEPNSO_ISJ_E10value_typeEPSK_NS1_7vsmem_tEENKUlT_SI_SJ_SK_E_clISD_PiSD_S10_EESH_SX_SI_SJ_SK_EUlSX_E_NS1_11comp_targetILNS1_3genE5ELNS1_11target_archE942ELNS1_3gpuE9ELNS1_3repE0EEENS1_48merge_mergepath_partition_config_static_selectorELNS0_4arch9wavefront6targetE0EEEvSJ_: ; @_ZN7rocprim17ROCPRIM_400000_NS6detail17trampoline_kernelINS0_14default_configENS1_38merge_sort_block_merge_config_selectorIiiEEZZNS1_27merge_sort_block_merge_implIS3_N6thrust23THRUST_200600_302600_NS6detail15normal_iteratorINS8_10device_ptrIiEEEESD_jNS1_19radix_merge_compareILb1ELb1EiNS0_19identity_decomposerEEEEE10hipError_tT0_T1_T2_jT3_P12ihipStream_tbPNSt15iterator_traitsISI_E10value_typeEPNSO_ISJ_E10value_typeEPSK_NS1_7vsmem_tEENKUlT_SI_SJ_SK_E_clISD_PiSD_S10_EESH_SX_SI_SJ_SK_EUlSX_E_NS1_11comp_targetILNS1_3genE5ELNS1_11target_archE942ELNS1_3gpuE9ELNS1_3repE0EEENS1_48merge_mergepath_partition_config_static_selectorELNS0_4arch9wavefront6targetE0EEEvSJ_
; %bb.0:
	.section	.rodata,"a",@progbits
	.p2align	6, 0x0
	.amdhsa_kernel _ZN7rocprim17ROCPRIM_400000_NS6detail17trampoline_kernelINS0_14default_configENS1_38merge_sort_block_merge_config_selectorIiiEEZZNS1_27merge_sort_block_merge_implIS3_N6thrust23THRUST_200600_302600_NS6detail15normal_iteratorINS8_10device_ptrIiEEEESD_jNS1_19radix_merge_compareILb1ELb1EiNS0_19identity_decomposerEEEEE10hipError_tT0_T1_T2_jT3_P12ihipStream_tbPNSt15iterator_traitsISI_E10value_typeEPNSO_ISJ_E10value_typeEPSK_NS1_7vsmem_tEENKUlT_SI_SJ_SK_E_clISD_PiSD_S10_EESH_SX_SI_SJ_SK_EUlSX_E_NS1_11comp_targetILNS1_3genE5ELNS1_11target_archE942ELNS1_3gpuE9ELNS1_3repE0EEENS1_48merge_mergepath_partition_config_static_selectorELNS0_4arch9wavefront6targetE0EEEvSJ_
		.amdhsa_group_segment_fixed_size 0
		.amdhsa_private_segment_fixed_size 0
		.amdhsa_kernarg_size 40
		.amdhsa_user_sgpr_count 6
		.amdhsa_user_sgpr_private_segment_buffer 1
		.amdhsa_user_sgpr_dispatch_ptr 0
		.amdhsa_user_sgpr_queue_ptr 0
		.amdhsa_user_sgpr_kernarg_segment_ptr 1
		.amdhsa_user_sgpr_dispatch_id 0
		.amdhsa_user_sgpr_flat_scratch_init 0
		.amdhsa_user_sgpr_private_segment_size 0
		.amdhsa_wavefront_size32 1
		.amdhsa_uses_dynamic_stack 0
		.amdhsa_system_sgpr_private_segment_wavefront_offset 0
		.amdhsa_system_sgpr_workgroup_id_x 1
		.amdhsa_system_sgpr_workgroup_id_y 0
		.amdhsa_system_sgpr_workgroup_id_z 0
		.amdhsa_system_sgpr_workgroup_info 0
		.amdhsa_system_vgpr_workitem_id 0
		.amdhsa_next_free_vgpr 1
		.amdhsa_next_free_sgpr 1
		.amdhsa_reserve_vcc 0
		.amdhsa_reserve_flat_scratch 0
		.amdhsa_float_round_mode_32 0
		.amdhsa_float_round_mode_16_64 0
		.amdhsa_float_denorm_mode_32 3
		.amdhsa_float_denorm_mode_16_64 3
		.amdhsa_dx10_clamp 1
		.amdhsa_ieee_mode 1
		.amdhsa_fp16_overflow 0
		.amdhsa_workgroup_processor_mode 1
		.amdhsa_memory_ordered 1
		.amdhsa_forward_progress 1
		.amdhsa_shared_vgpr_count 0
		.amdhsa_exception_fp_ieee_invalid_op 0
		.amdhsa_exception_fp_denorm_src 0
		.amdhsa_exception_fp_ieee_div_zero 0
		.amdhsa_exception_fp_ieee_overflow 0
		.amdhsa_exception_fp_ieee_underflow 0
		.amdhsa_exception_fp_ieee_inexact 0
		.amdhsa_exception_int_div_zero 0
	.end_amdhsa_kernel
	.section	.text._ZN7rocprim17ROCPRIM_400000_NS6detail17trampoline_kernelINS0_14default_configENS1_38merge_sort_block_merge_config_selectorIiiEEZZNS1_27merge_sort_block_merge_implIS3_N6thrust23THRUST_200600_302600_NS6detail15normal_iteratorINS8_10device_ptrIiEEEESD_jNS1_19radix_merge_compareILb1ELb1EiNS0_19identity_decomposerEEEEE10hipError_tT0_T1_T2_jT3_P12ihipStream_tbPNSt15iterator_traitsISI_E10value_typeEPNSO_ISJ_E10value_typeEPSK_NS1_7vsmem_tEENKUlT_SI_SJ_SK_E_clISD_PiSD_S10_EESH_SX_SI_SJ_SK_EUlSX_E_NS1_11comp_targetILNS1_3genE5ELNS1_11target_archE942ELNS1_3gpuE9ELNS1_3repE0EEENS1_48merge_mergepath_partition_config_static_selectorELNS0_4arch9wavefront6targetE0EEEvSJ_,"axG",@progbits,_ZN7rocprim17ROCPRIM_400000_NS6detail17trampoline_kernelINS0_14default_configENS1_38merge_sort_block_merge_config_selectorIiiEEZZNS1_27merge_sort_block_merge_implIS3_N6thrust23THRUST_200600_302600_NS6detail15normal_iteratorINS8_10device_ptrIiEEEESD_jNS1_19radix_merge_compareILb1ELb1EiNS0_19identity_decomposerEEEEE10hipError_tT0_T1_T2_jT3_P12ihipStream_tbPNSt15iterator_traitsISI_E10value_typeEPNSO_ISJ_E10value_typeEPSK_NS1_7vsmem_tEENKUlT_SI_SJ_SK_E_clISD_PiSD_S10_EESH_SX_SI_SJ_SK_EUlSX_E_NS1_11comp_targetILNS1_3genE5ELNS1_11target_archE942ELNS1_3gpuE9ELNS1_3repE0EEENS1_48merge_mergepath_partition_config_static_selectorELNS0_4arch9wavefront6targetE0EEEvSJ_,comdat
.Lfunc_end959:
	.size	_ZN7rocprim17ROCPRIM_400000_NS6detail17trampoline_kernelINS0_14default_configENS1_38merge_sort_block_merge_config_selectorIiiEEZZNS1_27merge_sort_block_merge_implIS3_N6thrust23THRUST_200600_302600_NS6detail15normal_iteratorINS8_10device_ptrIiEEEESD_jNS1_19radix_merge_compareILb1ELb1EiNS0_19identity_decomposerEEEEE10hipError_tT0_T1_T2_jT3_P12ihipStream_tbPNSt15iterator_traitsISI_E10value_typeEPNSO_ISJ_E10value_typeEPSK_NS1_7vsmem_tEENKUlT_SI_SJ_SK_E_clISD_PiSD_S10_EESH_SX_SI_SJ_SK_EUlSX_E_NS1_11comp_targetILNS1_3genE5ELNS1_11target_archE942ELNS1_3gpuE9ELNS1_3repE0EEENS1_48merge_mergepath_partition_config_static_selectorELNS0_4arch9wavefront6targetE0EEEvSJ_, .Lfunc_end959-_ZN7rocprim17ROCPRIM_400000_NS6detail17trampoline_kernelINS0_14default_configENS1_38merge_sort_block_merge_config_selectorIiiEEZZNS1_27merge_sort_block_merge_implIS3_N6thrust23THRUST_200600_302600_NS6detail15normal_iteratorINS8_10device_ptrIiEEEESD_jNS1_19radix_merge_compareILb1ELb1EiNS0_19identity_decomposerEEEEE10hipError_tT0_T1_T2_jT3_P12ihipStream_tbPNSt15iterator_traitsISI_E10value_typeEPNSO_ISJ_E10value_typeEPSK_NS1_7vsmem_tEENKUlT_SI_SJ_SK_E_clISD_PiSD_S10_EESH_SX_SI_SJ_SK_EUlSX_E_NS1_11comp_targetILNS1_3genE5ELNS1_11target_archE942ELNS1_3gpuE9ELNS1_3repE0EEENS1_48merge_mergepath_partition_config_static_selectorELNS0_4arch9wavefront6targetE0EEEvSJ_
                                        ; -- End function
	.set _ZN7rocprim17ROCPRIM_400000_NS6detail17trampoline_kernelINS0_14default_configENS1_38merge_sort_block_merge_config_selectorIiiEEZZNS1_27merge_sort_block_merge_implIS3_N6thrust23THRUST_200600_302600_NS6detail15normal_iteratorINS8_10device_ptrIiEEEESD_jNS1_19radix_merge_compareILb1ELb1EiNS0_19identity_decomposerEEEEE10hipError_tT0_T1_T2_jT3_P12ihipStream_tbPNSt15iterator_traitsISI_E10value_typeEPNSO_ISJ_E10value_typeEPSK_NS1_7vsmem_tEENKUlT_SI_SJ_SK_E_clISD_PiSD_S10_EESH_SX_SI_SJ_SK_EUlSX_E_NS1_11comp_targetILNS1_3genE5ELNS1_11target_archE942ELNS1_3gpuE9ELNS1_3repE0EEENS1_48merge_mergepath_partition_config_static_selectorELNS0_4arch9wavefront6targetE0EEEvSJ_.num_vgpr, 0
	.set _ZN7rocprim17ROCPRIM_400000_NS6detail17trampoline_kernelINS0_14default_configENS1_38merge_sort_block_merge_config_selectorIiiEEZZNS1_27merge_sort_block_merge_implIS3_N6thrust23THRUST_200600_302600_NS6detail15normal_iteratorINS8_10device_ptrIiEEEESD_jNS1_19radix_merge_compareILb1ELb1EiNS0_19identity_decomposerEEEEE10hipError_tT0_T1_T2_jT3_P12ihipStream_tbPNSt15iterator_traitsISI_E10value_typeEPNSO_ISJ_E10value_typeEPSK_NS1_7vsmem_tEENKUlT_SI_SJ_SK_E_clISD_PiSD_S10_EESH_SX_SI_SJ_SK_EUlSX_E_NS1_11comp_targetILNS1_3genE5ELNS1_11target_archE942ELNS1_3gpuE9ELNS1_3repE0EEENS1_48merge_mergepath_partition_config_static_selectorELNS0_4arch9wavefront6targetE0EEEvSJ_.num_agpr, 0
	.set _ZN7rocprim17ROCPRIM_400000_NS6detail17trampoline_kernelINS0_14default_configENS1_38merge_sort_block_merge_config_selectorIiiEEZZNS1_27merge_sort_block_merge_implIS3_N6thrust23THRUST_200600_302600_NS6detail15normal_iteratorINS8_10device_ptrIiEEEESD_jNS1_19radix_merge_compareILb1ELb1EiNS0_19identity_decomposerEEEEE10hipError_tT0_T1_T2_jT3_P12ihipStream_tbPNSt15iterator_traitsISI_E10value_typeEPNSO_ISJ_E10value_typeEPSK_NS1_7vsmem_tEENKUlT_SI_SJ_SK_E_clISD_PiSD_S10_EESH_SX_SI_SJ_SK_EUlSX_E_NS1_11comp_targetILNS1_3genE5ELNS1_11target_archE942ELNS1_3gpuE9ELNS1_3repE0EEENS1_48merge_mergepath_partition_config_static_selectorELNS0_4arch9wavefront6targetE0EEEvSJ_.numbered_sgpr, 0
	.set _ZN7rocprim17ROCPRIM_400000_NS6detail17trampoline_kernelINS0_14default_configENS1_38merge_sort_block_merge_config_selectorIiiEEZZNS1_27merge_sort_block_merge_implIS3_N6thrust23THRUST_200600_302600_NS6detail15normal_iteratorINS8_10device_ptrIiEEEESD_jNS1_19radix_merge_compareILb1ELb1EiNS0_19identity_decomposerEEEEE10hipError_tT0_T1_T2_jT3_P12ihipStream_tbPNSt15iterator_traitsISI_E10value_typeEPNSO_ISJ_E10value_typeEPSK_NS1_7vsmem_tEENKUlT_SI_SJ_SK_E_clISD_PiSD_S10_EESH_SX_SI_SJ_SK_EUlSX_E_NS1_11comp_targetILNS1_3genE5ELNS1_11target_archE942ELNS1_3gpuE9ELNS1_3repE0EEENS1_48merge_mergepath_partition_config_static_selectorELNS0_4arch9wavefront6targetE0EEEvSJ_.num_named_barrier, 0
	.set _ZN7rocprim17ROCPRIM_400000_NS6detail17trampoline_kernelINS0_14default_configENS1_38merge_sort_block_merge_config_selectorIiiEEZZNS1_27merge_sort_block_merge_implIS3_N6thrust23THRUST_200600_302600_NS6detail15normal_iteratorINS8_10device_ptrIiEEEESD_jNS1_19radix_merge_compareILb1ELb1EiNS0_19identity_decomposerEEEEE10hipError_tT0_T1_T2_jT3_P12ihipStream_tbPNSt15iterator_traitsISI_E10value_typeEPNSO_ISJ_E10value_typeEPSK_NS1_7vsmem_tEENKUlT_SI_SJ_SK_E_clISD_PiSD_S10_EESH_SX_SI_SJ_SK_EUlSX_E_NS1_11comp_targetILNS1_3genE5ELNS1_11target_archE942ELNS1_3gpuE9ELNS1_3repE0EEENS1_48merge_mergepath_partition_config_static_selectorELNS0_4arch9wavefront6targetE0EEEvSJ_.private_seg_size, 0
	.set _ZN7rocprim17ROCPRIM_400000_NS6detail17trampoline_kernelINS0_14default_configENS1_38merge_sort_block_merge_config_selectorIiiEEZZNS1_27merge_sort_block_merge_implIS3_N6thrust23THRUST_200600_302600_NS6detail15normal_iteratorINS8_10device_ptrIiEEEESD_jNS1_19radix_merge_compareILb1ELb1EiNS0_19identity_decomposerEEEEE10hipError_tT0_T1_T2_jT3_P12ihipStream_tbPNSt15iterator_traitsISI_E10value_typeEPNSO_ISJ_E10value_typeEPSK_NS1_7vsmem_tEENKUlT_SI_SJ_SK_E_clISD_PiSD_S10_EESH_SX_SI_SJ_SK_EUlSX_E_NS1_11comp_targetILNS1_3genE5ELNS1_11target_archE942ELNS1_3gpuE9ELNS1_3repE0EEENS1_48merge_mergepath_partition_config_static_selectorELNS0_4arch9wavefront6targetE0EEEvSJ_.uses_vcc, 0
	.set _ZN7rocprim17ROCPRIM_400000_NS6detail17trampoline_kernelINS0_14default_configENS1_38merge_sort_block_merge_config_selectorIiiEEZZNS1_27merge_sort_block_merge_implIS3_N6thrust23THRUST_200600_302600_NS6detail15normal_iteratorINS8_10device_ptrIiEEEESD_jNS1_19radix_merge_compareILb1ELb1EiNS0_19identity_decomposerEEEEE10hipError_tT0_T1_T2_jT3_P12ihipStream_tbPNSt15iterator_traitsISI_E10value_typeEPNSO_ISJ_E10value_typeEPSK_NS1_7vsmem_tEENKUlT_SI_SJ_SK_E_clISD_PiSD_S10_EESH_SX_SI_SJ_SK_EUlSX_E_NS1_11comp_targetILNS1_3genE5ELNS1_11target_archE942ELNS1_3gpuE9ELNS1_3repE0EEENS1_48merge_mergepath_partition_config_static_selectorELNS0_4arch9wavefront6targetE0EEEvSJ_.uses_flat_scratch, 0
	.set _ZN7rocprim17ROCPRIM_400000_NS6detail17trampoline_kernelINS0_14default_configENS1_38merge_sort_block_merge_config_selectorIiiEEZZNS1_27merge_sort_block_merge_implIS3_N6thrust23THRUST_200600_302600_NS6detail15normal_iteratorINS8_10device_ptrIiEEEESD_jNS1_19radix_merge_compareILb1ELb1EiNS0_19identity_decomposerEEEEE10hipError_tT0_T1_T2_jT3_P12ihipStream_tbPNSt15iterator_traitsISI_E10value_typeEPNSO_ISJ_E10value_typeEPSK_NS1_7vsmem_tEENKUlT_SI_SJ_SK_E_clISD_PiSD_S10_EESH_SX_SI_SJ_SK_EUlSX_E_NS1_11comp_targetILNS1_3genE5ELNS1_11target_archE942ELNS1_3gpuE9ELNS1_3repE0EEENS1_48merge_mergepath_partition_config_static_selectorELNS0_4arch9wavefront6targetE0EEEvSJ_.has_dyn_sized_stack, 0
	.set _ZN7rocprim17ROCPRIM_400000_NS6detail17trampoline_kernelINS0_14default_configENS1_38merge_sort_block_merge_config_selectorIiiEEZZNS1_27merge_sort_block_merge_implIS3_N6thrust23THRUST_200600_302600_NS6detail15normal_iteratorINS8_10device_ptrIiEEEESD_jNS1_19radix_merge_compareILb1ELb1EiNS0_19identity_decomposerEEEEE10hipError_tT0_T1_T2_jT3_P12ihipStream_tbPNSt15iterator_traitsISI_E10value_typeEPNSO_ISJ_E10value_typeEPSK_NS1_7vsmem_tEENKUlT_SI_SJ_SK_E_clISD_PiSD_S10_EESH_SX_SI_SJ_SK_EUlSX_E_NS1_11comp_targetILNS1_3genE5ELNS1_11target_archE942ELNS1_3gpuE9ELNS1_3repE0EEENS1_48merge_mergepath_partition_config_static_selectorELNS0_4arch9wavefront6targetE0EEEvSJ_.has_recursion, 0
	.set _ZN7rocprim17ROCPRIM_400000_NS6detail17trampoline_kernelINS0_14default_configENS1_38merge_sort_block_merge_config_selectorIiiEEZZNS1_27merge_sort_block_merge_implIS3_N6thrust23THRUST_200600_302600_NS6detail15normal_iteratorINS8_10device_ptrIiEEEESD_jNS1_19radix_merge_compareILb1ELb1EiNS0_19identity_decomposerEEEEE10hipError_tT0_T1_T2_jT3_P12ihipStream_tbPNSt15iterator_traitsISI_E10value_typeEPNSO_ISJ_E10value_typeEPSK_NS1_7vsmem_tEENKUlT_SI_SJ_SK_E_clISD_PiSD_S10_EESH_SX_SI_SJ_SK_EUlSX_E_NS1_11comp_targetILNS1_3genE5ELNS1_11target_archE942ELNS1_3gpuE9ELNS1_3repE0EEENS1_48merge_mergepath_partition_config_static_selectorELNS0_4arch9wavefront6targetE0EEEvSJ_.has_indirect_call, 0
	.section	.AMDGPU.csdata,"",@progbits
; Kernel info:
; codeLenInByte = 0
; TotalNumSgprs: 0
; NumVgprs: 0
; ScratchSize: 0
; MemoryBound: 0
; FloatMode: 240
; IeeeMode: 1
; LDSByteSize: 0 bytes/workgroup (compile time only)
; SGPRBlocks: 0
; VGPRBlocks: 0
; NumSGPRsForWavesPerEU: 1
; NumVGPRsForWavesPerEU: 1
; Occupancy: 16
; WaveLimiterHint : 0
; COMPUTE_PGM_RSRC2:SCRATCH_EN: 0
; COMPUTE_PGM_RSRC2:USER_SGPR: 6
; COMPUTE_PGM_RSRC2:TRAP_HANDLER: 0
; COMPUTE_PGM_RSRC2:TGID_X_EN: 1
; COMPUTE_PGM_RSRC2:TGID_Y_EN: 0
; COMPUTE_PGM_RSRC2:TGID_Z_EN: 0
; COMPUTE_PGM_RSRC2:TIDIG_COMP_CNT: 0
	.section	.text._ZN7rocprim17ROCPRIM_400000_NS6detail17trampoline_kernelINS0_14default_configENS1_38merge_sort_block_merge_config_selectorIiiEEZZNS1_27merge_sort_block_merge_implIS3_N6thrust23THRUST_200600_302600_NS6detail15normal_iteratorINS8_10device_ptrIiEEEESD_jNS1_19radix_merge_compareILb1ELb1EiNS0_19identity_decomposerEEEEE10hipError_tT0_T1_T2_jT3_P12ihipStream_tbPNSt15iterator_traitsISI_E10value_typeEPNSO_ISJ_E10value_typeEPSK_NS1_7vsmem_tEENKUlT_SI_SJ_SK_E_clISD_PiSD_S10_EESH_SX_SI_SJ_SK_EUlSX_E_NS1_11comp_targetILNS1_3genE4ELNS1_11target_archE910ELNS1_3gpuE8ELNS1_3repE0EEENS1_48merge_mergepath_partition_config_static_selectorELNS0_4arch9wavefront6targetE0EEEvSJ_,"axG",@progbits,_ZN7rocprim17ROCPRIM_400000_NS6detail17trampoline_kernelINS0_14default_configENS1_38merge_sort_block_merge_config_selectorIiiEEZZNS1_27merge_sort_block_merge_implIS3_N6thrust23THRUST_200600_302600_NS6detail15normal_iteratorINS8_10device_ptrIiEEEESD_jNS1_19radix_merge_compareILb1ELb1EiNS0_19identity_decomposerEEEEE10hipError_tT0_T1_T2_jT3_P12ihipStream_tbPNSt15iterator_traitsISI_E10value_typeEPNSO_ISJ_E10value_typeEPSK_NS1_7vsmem_tEENKUlT_SI_SJ_SK_E_clISD_PiSD_S10_EESH_SX_SI_SJ_SK_EUlSX_E_NS1_11comp_targetILNS1_3genE4ELNS1_11target_archE910ELNS1_3gpuE8ELNS1_3repE0EEENS1_48merge_mergepath_partition_config_static_selectorELNS0_4arch9wavefront6targetE0EEEvSJ_,comdat
	.protected	_ZN7rocprim17ROCPRIM_400000_NS6detail17trampoline_kernelINS0_14default_configENS1_38merge_sort_block_merge_config_selectorIiiEEZZNS1_27merge_sort_block_merge_implIS3_N6thrust23THRUST_200600_302600_NS6detail15normal_iteratorINS8_10device_ptrIiEEEESD_jNS1_19radix_merge_compareILb1ELb1EiNS0_19identity_decomposerEEEEE10hipError_tT0_T1_T2_jT3_P12ihipStream_tbPNSt15iterator_traitsISI_E10value_typeEPNSO_ISJ_E10value_typeEPSK_NS1_7vsmem_tEENKUlT_SI_SJ_SK_E_clISD_PiSD_S10_EESH_SX_SI_SJ_SK_EUlSX_E_NS1_11comp_targetILNS1_3genE4ELNS1_11target_archE910ELNS1_3gpuE8ELNS1_3repE0EEENS1_48merge_mergepath_partition_config_static_selectorELNS0_4arch9wavefront6targetE0EEEvSJ_ ; -- Begin function _ZN7rocprim17ROCPRIM_400000_NS6detail17trampoline_kernelINS0_14default_configENS1_38merge_sort_block_merge_config_selectorIiiEEZZNS1_27merge_sort_block_merge_implIS3_N6thrust23THRUST_200600_302600_NS6detail15normal_iteratorINS8_10device_ptrIiEEEESD_jNS1_19radix_merge_compareILb1ELb1EiNS0_19identity_decomposerEEEEE10hipError_tT0_T1_T2_jT3_P12ihipStream_tbPNSt15iterator_traitsISI_E10value_typeEPNSO_ISJ_E10value_typeEPSK_NS1_7vsmem_tEENKUlT_SI_SJ_SK_E_clISD_PiSD_S10_EESH_SX_SI_SJ_SK_EUlSX_E_NS1_11comp_targetILNS1_3genE4ELNS1_11target_archE910ELNS1_3gpuE8ELNS1_3repE0EEENS1_48merge_mergepath_partition_config_static_selectorELNS0_4arch9wavefront6targetE0EEEvSJ_
	.globl	_ZN7rocprim17ROCPRIM_400000_NS6detail17trampoline_kernelINS0_14default_configENS1_38merge_sort_block_merge_config_selectorIiiEEZZNS1_27merge_sort_block_merge_implIS3_N6thrust23THRUST_200600_302600_NS6detail15normal_iteratorINS8_10device_ptrIiEEEESD_jNS1_19radix_merge_compareILb1ELb1EiNS0_19identity_decomposerEEEEE10hipError_tT0_T1_T2_jT3_P12ihipStream_tbPNSt15iterator_traitsISI_E10value_typeEPNSO_ISJ_E10value_typeEPSK_NS1_7vsmem_tEENKUlT_SI_SJ_SK_E_clISD_PiSD_S10_EESH_SX_SI_SJ_SK_EUlSX_E_NS1_11comp_targetILNS1_3genE4ELNS1_11target_archE910ELNS1_3gpuE8ELNS1_3repE0EEENS1_48merge_mergepath_partition_config_static_selectorELNS0_4arch9wavefront6targetE0EEEvSJ_
	.p2align	8
	.type	_ZN7rocprim17ROCPRIM_400000_NS6detail17trampoline_kernelINS0_14default_configENS1_38merge_sort_block_merge_config_selectorIiiEEZZNS1_27merge_sort_block_merge_implIS3_N6thrust23THRUST_200600_302600_NS6detail15normal_iteratorINS8_10device_ptrIiEEEESD_jNS1_19radix_merge_compareILb1ELb1EiNS0_19identity_decomposerEEEEE10hipError_tT0_T1_T2_jT3_P12ihipStream_tbPNSt15iterator_traitsISI_E10value_typeEPNSO_ISJ_E10value_typeEPSK_NS1_7vsmem_tEENKUlT_SI_SJ_SK_E_clISD_PiSD_S10_EESH_SX_SI_SJ_SK_EUlSX_E_NS1_11comp_targetILNS1_3genE4ELNS1_11target_archE910ELNS1_3gpuE8ELNS1_3repE0EEENS1_48merge_mergepath_partition_config_static_selectorELNS0_4arch9wavefront6targetE0EEEvSJ_,@function
_ZN7rocprim17ROCPRIM_400000_NS6detail17trampoline_kernelINS0_14default_configENS1_38merge_sort_block_merge_config_selectorIiiEEZZNS1_27merge_sort_block_merge_implIS3_N6thrust23THRUST_200600_302600_NS6detail15normal_iteratorINS8_10device_ptrIiEEEESD_jNS1_19radix_merge_compareILb1ELb1EiNS0_19identity_decomposerEEEEE10hipError_tT0_T1_T2_jT3_P12ihipStream_tbPNSt15iterator_traitsISI_E10value_typeEPNSO_ISJ_E10value_typeEPSK_NS1_7vsmem_tEENKUlT_SI_SJ_SK_E_clISD_PiSD_S10_EESH_SX_SI_SJ_SK_EUlSX_E_NS1_11comp_targetILNS1_3genE4ELNS1_11target_archE910ELNS1_3gpuE8ELNS1_3repE0EEENS1_48merge_mergepath_partition_config_static_selectorELNS0_4arch9wavefront6targetE0EEEvSJ_: ; @_ZN7rocprim17ROCPRIM_400000_NS6detail17trampoline_kernelINS0_14default_configENS1_38merge_sort_block_merge_config_selectorIiiEEZZNS1_27merge_sort_block_merge_implIS3_N6thrust23THRUST_200600_302600_NS6detail15normal_iteratorINS8_10device_ptrIiEEEESD_jNS1_19radix_merge_compareILb1ELb1EiNS0_19identity_decomposerEEEEE10hipError_tT0_T1_T2_jT3_P12ihipStream_tbPNSt15iterator_traitsISI_E10value_typeEPNSO_ISJ_E10value_typeEPSK_NS1_7vsmem_tEENKUlT_SI_SJ_SK_E_clISD_PiSD_S10_EESH_SX_SI_SJ_SK_EUlSX_E_NS1_11comp_targetILNS1_3genE4ELNS1_11target_archE910ELNS1_3gpuE8ELNS1_3repE0EEENS1_48merge_mergepath_partition_config_static_selectorELNS0_4arch9wavefront6targetE0EEEvSJ_
; %bb.0:
	.section	.rodata,"a",@progbits
	.p2align	6, 0x0
	.amdhsa_kernel _ZN7rocprim17ROCPRIM_400000_NS6detail17trampoline_kernelINS0_14default_configENS1_38merge_sort_block_merge_config_selectorIiiEEZZNS1_27merge_sort_block_merge_implIS3_N6thrust23THRUST_200600_302600_NS6detail15normal_iteratorINS8_10device_ptrIiEEEESD_jNS1_19radix_merge_compareILb1ELb1EiNS0_19identity_decomposerEEEEE10hipError_tT0_T1_T2_jT3_P12ihipStream_tbPNSt15iterator_traitsISI_E10value_typeEPNSO_ISJ_E10value_typeEPSK_NS1_7vsmem_tEENKUlT_SI_SJ_SK_E_clISD_PiSD_S10_EESH_SX_SI_SJ_SK_EUlSX_E_NS1_11comp_targetILNS1_3genE4ELNS1_11target_archE910ELNS1_3gpuE8ELNS1_3repE0EEENS1_48merge_mergepath_partition_config_static_selectorELNS0_4arch9wavefront6targetE0EEEvSJ_
		.amdhsa_group_segment_fixed_size 0
		.amdhsa_private_segment_fixed_size 0
		.amdhsa_kernarg_size 40
		.amdhsa_user_sgpr_count 6
		.amdhsa_user_sgpr_private_segment_buffer 1
		.amdhsa_user_sgpr_dispatch_ptr 0
		.amdhsa_user_sgpr_queue_ptr 0
		.amdhsa_user_sgpr_kernarg_segment_ptr 1
		.amdhsa_user_sgpr_dispatch_id 0
		.amdhsa_user_sgpr_flat_scratch_init 0
		.amdhsa_user_sgpr_private_segment_size 0
		.amdhsa_wavefront_size32 1
		.amdhsa_uses_dynamic_stack 0
		.amdhsa_system_sgpr_private_segment_wavefront_offset 0
		.amdhsa_system_sgpr_workgroup_id_x 1
		.amdhsa_system_sgpr_workgroup_id_y 0
		.amdhsa_system_sgpr_workgroup_id_z 0
		.amdhsa_system_sgpr_workgroup_info 0
		.amdhsa_system_vgpr_workitem_id 0
		.amdhsa_next_free_vgpr 1
		.amdhsa_next_free_sgpr 1
		.amdhsa_reserve_vcc 0
		.amdhsa_reserve_flat_scratch 0
		.amdhsa_float_round_mode_32 0
		.amdhsa_float_round_mode_16_64 0
		.amdhsa_float_denorm_mode_32 3
		.amdhsa_float_denorm_mode_16_64 3
		.amdhsa_dx10_clamp 1
		.amdhsa_ieee_mode 1
		.amdhsa_fp16_overflow 0
		.amdhsa_workgroup_processor_mode 1
		.amdhsa_memory_ordered 1
		.amdhsa_forward_progress 1
		.amdhsa_shared_vgpr_count 0
		.amdhsa_exception_fp_ieee_invalid_op 0
		.amdhsa_exception_fp_denorm_src 0
		.amdhsa_exception_fp_ieee_div_zero 0
		.amdhsa_exception_fp_ieee_overflow 0
		.amdhsa_exception_fp_ieee_underflow 0
		.amdhsa_exception_fp_ieee_inexact 0
		.amdhsa_exception_int_div_zero 0
	.end_amdhsa_kernel
	.section	.text._ZN7rocprim17ROCPRIM_400000_NS6detail17trampoline_kernelINS0_14default_configENS1_38merge_sort_block_merge_config_selectorIiiEEZZNS1_27merge_sort_block_merge_implIS3_N6thrust23THRUST_200600_302600_NS6detail15normal_iteratorINS8_10device_ptrIiEEEESD_jNS1_19radix_merge_compareILb1ELb1EiNS0_19identity_decomposerEEEEE10hipError_tT0_T1_T2_jT3_P12ihipStream_tbPNSt15iterator_traitsISI_E10value_typeEPNSO_ISJ_E10value_typeEPSK_NS1_7vsmem_tEENKUlT_SI_SJ_SK_E_clISD_PiSD_S10_EESH_SX_SI_SJ_SK_EUlSX_E_NS1_11comp_targetILNS1_3genE4ELNS1_11target_archE910ELNS1_3gpuE8ELNS1_3repE0EEENS1_48merge_mergepath_partition_config_static_selectorELNS0_4arch9wavefront6targetE0EEEvSJ_,"axG",@progbits,_ZN7rocprim17ROCPRIM_400000_NS6detail17trampoline_kernelINS0_14default_configENS1_38merge_sort_block_merge_config_selectorIiiEEZZNS1_27merge_sort_block_merge_implIS3_N6thrust23THRUST_200600_302600_NS6detail15normal_iteratorINS8_10device_ptrIiEEEESD_jNS1_19radix_merge_compareILb1ELb1EiNS0_19identity_decomposerEEEEE10hipError_tT0_T1_T2_jT3_P12ihipStream_tbPNSt15iterator_traitsISI_E10value_typeEPNSO_ISJ_E10value_typeEPSK_NS1_7vsmem_tEENKUlT_SI_SJ_SK_E_clISD_PiSD_S10_EESH_SX_SI_SJ_SK_EUlSX_E_NS1_11comp_targetILNS1_3genE4ELNS1_11target_archE910ELNS1_3gpuE8ELNS1_3repE0EEENS1_48merge_mergepath_partition_config_static_selectorELNS0_4arch9wavefront6targetE0EEEvSJ_,comdat
.Lfunc_end960:
	.size	_ZN7rocprim17ROCPRIM_400000_NS6detail17trampoline_kernelINS0_14default_configENS1_38merge_sort_block_merge_config_selectorIiiEEZZNS1_27merge_sort_block_merge_implIS3_N6thrust23THRUST_200600_302600_NS6detail15normal_iteratorINS8_10device_ptrIiEEEESD_jNS1_19radix_merge_compareILb1ELb1EiNS0_19identity_decomposerEEEEE10hipError_tT0_T1_T2_jT3_P12ihipStream_tbPNSt15iterator_traitsISI_E10value_typeEPNSO_ISJ_E10value_typeEPSK_NS1_7vsmem_tEENKUlT_SI_SJ_SK_E_clISD_PiSD_S10_EESH_SX_SI_SJ_SK_EUlSX_E_NS1_11comp_targetILNS1_3genE4ELNS1_11target_archE910ELNS1_3gpuE8ELNS1_3repE0EEENS1_48merge_mergepath_partition_config_static_selectorELNS0_4arch9wavefront6targetE0EEEvSJ_, .Lfunc_end960-_ZN7rocprim17ROCPRIM_400000_NS6detail17trampoline_kernelINS0_14default_configENS1_38merge_sort_block_merge_config_selectorIiiEEZZNS1_27merge_sort_block_merge_implIS3_N6thrust23THRUST_200600_302600_NS6detail15normal_iteratorINS8_10device_ptrIiEEEESD_jNS1_19radix_merge_compareILb1ELb1EiNS0_19identity_decomposerEEEEE10hipError_tT0_T1_T2_jT3_P12ihipStream_tbPNSt15iterator_traitsISI_E10value_typeEPNSO_ISJ_E10value_typeEPSK_NS1_7vsmem_tEENKUlT_SI_SJ_SK_E_clISD_PiSD_S10_EESH_SX_SI_SJ_SK_EUlSX_E_NS1_11comp_targetILNS1_3genE4ELNS1_11target_archE910ELNS1_3gpuE8ELNS1_3repE0EEENS1_48merge_mergepath_partition_config_static_selectorELNS0_4arch9wavefront6targetE0EEEvSJ_
                                        ; -- End function
	.set _ZN7rocprim17ROCPRIM_400000_NS6detail17trampoline_kernelINS0_14default_configENS1_38merge_sort_block_merge_config_selectorIiiEEZZNS1_27merge_sort_block_merge_implIS3_N6thrust23THRUST_200600_302600_NS6detail15normal_iteratorINS8_10device_ptrIiEEEESD_jNS1_19radix_merge_compareILb1ELb1EiNS0_19identity_decomposerEEEEE10hipError_tT0_T1_T2_jT3_P12ihipStream_tbPNSt15iterator_traitsISI_E10value_typeEPNSO_ISJ_E10value_typeEPSK_NS1_7vsmem_tEENKUlT_SI_SJ_SK_E_clISD_PiSD_S10_EESH_SX_SI_SJ_SK_EUlSX_E_NS1_11comp_targetILNS1_3genE4ELNS1_11target_archE910ELNS1_3gpuE8ELNS1_3repE0EEENS1_48merge_mergepath_partition_config_static_selectorELNS0_4arch9wavefront6targetE0EEEvSJ_.num_vgpr, 0
	.set _ZN7rocprim17ROCPRIM_400000_NS6detail17trampoline_kernelINS0_14default_configENS1_38merge_sort_block_merge_config_selectorIiiEEZZNS1_27merge_sort_block_merge_implIS3_N6thrust23THRUST_200600_302600_NS6detail15normal_iteratorINS8_10device_ptrIiEEEESD_jNS1_19radix_merge_compareILb1ELb1EiNS0_19identity_decomposerEEEEE10hipError_tT0_T1_T2_jT3_P12ihipStream_tbPNSt15iterator_traitsISI_E10value_typeEPNSO_ISJ_E10value_typeEPSK_NS1_7vsmem_tEENKUlT_SI_SJ_SK_E_clISD_PiSD_S10_EESH_SX_SI_SJ_SK_EUlSX_E_NS1_11comp_targetILNS1_3genE4ELNS1_11target_archE910ELNS1_3gpuE8ELNS1_3repE0EEENS1_48merge_mergepath_partition_config_static_selectorELNS0_4arch9wavefront6targetE0EEEvSJ_.num_agpr, 0
	.set _ZN7rocprim17ROCPRIM_400000_NS6detail17trampoline_kernelINS0_14default_configENS1_38merge_sort_block_merge_config_selectorIiiEEZZNS1_27merge_sort_block_merge_implIS3_N6thrust23THRUST_200600_302600_NS6detail15normal_iteratorINS8_10device_ptrIiEEEESD_jNS1_19radix_merge_compareILb1ELb1EiNS0_19identity_decomposerEEEEE10hipError_tT0_T1_T2_jT3_P12ihipStream_tbPNSt15iterator_traitsISI_E10value_typeEPNSO_ISJ_E10value_typeEPSK_NS1_7vsmem_tEENKUlT_SI_SJ_SK_E_clISD_PiSD_S10_EESH_SX_SI_SJ_SK_EUlSX_E_NS1_11comp_targetILNS1_3genE4ELNS1_11target_archE910ELNS1_3gpuE8ELNS1_3repE0EEENS1_48merge_mergepath_partition_config_static_selectorELNS0_4arch9wavefront6targetE0EEEvSJ_.numbered_sgpr, 0
	.set _ZN7rocprim17ROCPRIM_400000_NS6detail17trampoline_kernelINS0_14default_configENS1_38merge_sort_block_merge_config_selectorIiiEEZZNS1_27merge_sort_block_merge_implIS3_N6thrust23THRUST_200600_302600_NS6detail15normal_iteratorINS8_10device_ptrIiEEEESD_jNS1_19radix_merge_compareILb1ELb1EiNS0_19identity_decomposerEEEEE10hipError_tT0_T1_T2_jT3_P12ihipStream_tbPNSt15iterator_traitsISI_E10value_typeEPNSO_ISJ_E10value_typeEPSK_NS1_7vsmem_tEENKUlT_SI_SJ_SK_E_clISD_PiSD_S10_EESH_SX_SI_SJ_SK_EUlSX_E_NS1_11comp_targetILNS1_3genE4ELNS1_11target_archE910ELNS1_3gpuE8ELNS1_3repE0EEENS1_48merge_mergepath_partition_config_static_selectorELNS0_4arch9wavefront6targetE0EEEvSJ_.num_named_barrier, 0
	.set _ZN7rocprim17ROCPRIM_400000_NS6detail17trampoline_kernelINS0_14default_configENS1_38merge_sort_block_merge_config_selectorIiiEEZZNS1_27merge_sort_block_merge_implIS3_N6thrust23THRUST_200600_302600_NS6detail15normal_iteratorINS8_10device_ptrIiEEEESD_jNS1_19radix_merge_compareILb1ELb1EiNS0_19identity_decomposerEEEEE10hipError_tT0_T1_T2_jT3_P12ihipStream_tbPNSt15iterator_traitsISI_E10value_typeEPNSO_ISJ_E10value_typeEPSK_NS1_7vsmem_tEENKUlT_SI_SJ_SK_E_clISD_PiSD_S10_EESH_SX_SI_SJ_SK_EUlSX_E_NS1_11comp_targetILNS1_3genE4ELNS1_11target_archE910ELNS1_3gpuE8ELNS1_3repE0EEENS1_48merge_mergepath_partition_config_static_selectorELNS0_4arch9wavefront6targetE0EEEvSJ_.private_seg_size, 0
	.set _ZN7rocprim17ROCPRIM_400000_NS6detail17trampoline_kernelINS0_14default_configENS1_38merge_sort_block_merge_config_selectorIiiEEZZNS1_27merge_sort_block_merge_implIS3_N6thrust23THRUST_200600_302600_NS6detail15normal_iteratorINS8_10device_ptrIiEEEESD_jNS1_19radix_merge_compareILb1ELb1EiNS0_19identity_decomposerEEEEE10hipError_tT0_T1_T2_jT3_P12ihipStream_tbPNSt15iterator_traitsISI_E10value_typeEPNSO_ISJ_E10value_typeEPSK_NS1_7vsmem_tEENKUlT_SI_SJ_SK_E_clISD_PiSD_S10_EESH_SX_SI_SJ_SK_EUlSX_E_NS1_11comp_targetILNS1_3genE4ELNS1_11target_archE910ELNS1_3gpuE8ELNS1_3repE0EEENS1_48merge_mergepath_partition_config_static_selectorELNS0_4arch9wavefront6targetE0EEEvSJ_.uses_vcc, 0
	.set _ZN7rocprim17ROCPRIM_400000_NS6detail17trampoline_kernelINS0_14default_configENS1_38merge_sort_block_merge_config_selectorIiiEEZZNS1_27merge_sort_block_merge_implIS3_N6thrust23THRUST_200600_302600_NS6detail15normal_iteratorINS8_10device_ptrIiEEEESD_jNS1_19radix_merge_compareILb1ELb1EiNS0_19identity_decomposerEEEEE10hipError_tT0_T1_T2_jT3_P12ihipStream_tbPNSt15iterator_traitsISI_E10value_typeEPNSO_ISJ_E10value_typeEPSK_NS1_7vsmem_tEENKUlT_SI_SJ_SK_E_clISD_PiSD_S10_EESH_SX_SI_SJ_SK_EUlSX_E_NS1_11comp_targetILNS1_3genE4ELNS1_11target_archE910ELNS1_3gpuE8ELNS1_3repE0EEENS1_48merge_mergepath_partition_config_static_selectorELNS0_4arch9wavefront6targetE0EEEvSJ_.uses_flat_scratch, 0
	.set _ZN7rocprim17ROCPRIM_400000_NS6detail17trampoline_kernelINS0_14default_configENS1_38merge_sort_block_merge_config_selectorIiiEEZZNS1_27merge_sort_block_merge_implIS3_N6thrust23THRUST_200600_302600_NS6detail15normal_iteratorINS8_10device_ptrIiEEEESD_jNS1_19radix_merge_compareILb1ELb1EiNS0_19identity_decomposerEEEEE10hipError_tT0_T1_T2_jT3_P12ihipStream_tbPNSt15iterator_traitsISI_E10value_typeEPNSO_ISJ_E10value_typeEPSK_NS1_7vsmem_tEENKUlT_SI_SJ_SK_E_clISD_PiSD_S10_EESH_SX_SI_SJ_SK_EUlSX_E_NS1_11comp_targetILNS1_3genE4ELNS1_11target_archE910ELNS1_3gpuE8ELNS1_3repE0EEENS1_48merge_mergepath_partition_config_static_selectorELNS0_4arch9wavefront6targetE0EEEvSJ_.has_dyn_sized_stack, 0
	.set _ZN7rocprim17ROCPRIM_400000_NS6detail17trampoline_kernelINS0_14default_configENS1_38merge_sort_block_merge_config_selectorIiiEEZZNS1_27merge_sort_block_merge_implIS3_N6thrust23THRUST_200600_302600_NS6detail15normal_iteratorINS8_10device_ptrIiEEEESD_jNS1_19radix_merge_compareILb1ELb1EiNS0_19identity_decomposerEEEEE10hipError_tT0_T1_T2_jT3_P12ihipStream_tbPNSt15iterator_traitsISI_E10value_typeEPNSO_ISJ_E10value_typeEPSK_NS1_7vsmem_tEENKUlT_SI_SJ_SK_E_clISD_PiSD_S10_EESH_SX_SI_SJ_SK_EUlSX_E_NS1_11comp_targetILNS1_3genE4ELNS1_11target_archE910ELNS1_3gpuE8ELNS1_3repE0EEENS1_48merge_mergepath_partition_config_static_selectorELNS0_4arch9wavefront6targetE0EEEvSJ_.has_recursion, 0
	.set _ZN7rocprim17ROCPRIM_400000_NS6detail17trampoline_kernelINS0_14default_configENS1_38merge_sort_block_merge_config_selectorIiiEEZZNS1_27merge_sort_block_merge_implIS3_N6thrust23THRUST_200600_302600_NS6detail15normal_iteratorINS8_10device_ptrIiEEEESD_jNS1_19radix_merge_compareILb1ELb1EiNS0_19identity_decomposerEEEEE10hipError_tT0_T1_T2_jT3_P12ihipStream_tbPNSt15iterator_traitsISI_E10value_typeEPNSO_ISJ_E10value_typeEPSK_NS1_7vsmem_tEENKUlT_SI_SJ_SK_E_clISD_PiSD_S10_EESH_SX_SI_SJ_SK_EUlSX_E_NS1_11comp_targetILNS1_3genE4ELNS1_11target_archE910ELNS1_3gpuE8ELNS1_3repE0EEENS1_48merge_mergepath_partition_config_static_selectorELNS0_4arch9wavefront6targetE0EEEvSJ_.has_indirect_call, 0
	.section	.AMDGPU.csdata,"",@progbits
; Kernel info:
; codeLenInByte = 0
; TotalNumSgprs: 0
; NumVgprs: 0
; ScratchSize: 0
; MemoryBound: 0
; FloatMode: 240
; IeeeMode: 1
; LDSByteSize: 0 bytes/workgroup (compile time only)
; SGPRBlocks: 0
; VGPRBlocks: 0
; NumSGPRsForWavesPerEU: 1
; NumVGPRsForWavesPerEU: 1
; Occupancy: 16
; WaveLimiterHint : 0
; COMPUTE_PGM_RSRC2:SCRATCH_EN: 0
; COMPUTE_PGM_RSRC2:USER_SGPR: 6
; COMPUTE_PGM_RSRC2:TRAP_HANDLER: 0
; COMPUTE_PGM_RSRC2:TGID_X_EN: 1
; COMPUTE_PGM_RSRC2:TGID_Y_EN: 0
; COMPUTE_PGM_RSRC2:TGID_Z_EN: 0
; COMPUTE_PGM_RSRC2:TIDIG_COMP_CNT: 0
	.section	.text._ZN7rocprim17ROCPRIM_400000_NS6detail17trampoline_kernelINS0_14default_configENS1_38merge_sort_block_merge_config_selectorIiiEEZZNS1_27merge_sort_block_merge_implIS3_N6thrust23THRUST_200600_302600_NS6detail15normal_iteratorINS8_10device_ptrIiEEEESD_jNS1_19radix_merge_compareILb1ELb1EiNS0_19identity_decomposerEEEEE10hipError_tT0_T1_T2_jT3_P12ihipStream_tbPNSt15iterator_traitsISI_E10value_typeEPNSO_ISJ_E10value_typeEPSK_NS1_7vsmem_tEENKUlT_SI_SJ_SK_E_clISD_PiSD_S10_EESH_SX_SI_SJ_SK_EUlSX_E_NS1_11comp_targetILNS1_3genE3ELNS1_11target_archE908ELNS1_3gpuE7ELNS1_3repE0EEENS1_48merge_mergepath_partition_config_static_selectorELNS0_4arch9wavefront6targetE0EEEvSJ_,"axG",@progbits,_ZN7rocprim17ROCPRIM_400000_NS6detail17trampoline_kernelINS0_14default_configENS1_38merge_sort_block_merge_config_selectorIiiEEZZNS1_27merge_sort_block_merge_implIS3_N6thrust23THRUST_200600_302600_NS6detail15normal_iteratorINS8_10device_ptrIiEEEESD_jNS1_19radix_merge_compareILb1ELb1EiNS0_19identity_decomposerEEEEE10hipError_tT0_T1_T2_jT3_P12ihipStream_tbPNSt15iterator_traitsISI_E10value_typeEPNSO_ISJ_E10value_typeEPSK_NS1_7vsmem_tEENKUlT_SI_SJ_SK_E_clISD_PiSD_S10_EESH_SX_SI_SJ_SK_EUlSX_E_NS1_11comp_targetILNS1_3genE3ELNS1_11target_archE908ELNS1_3gpuE7ELNS1_3repE0EEENS1_48merge_mergepath_partition_config_static_selectorELNS0_4arch9wavefront6targetE0EEEvSJ_,comdat
	.protected	_ZN7rocprim17ROCPRIM_400000_NS6detail17trampoline_kernelINS0_14default_configENS1_38merge_sort_block_merge_config_selectorIiiEEZZNS1_27merge_sort_block_merge_implIS3_N6thrust23THRUST_200600_302600_NS6detail15normal_iteratorINS8_10device_ptrIiEEEESD_jNS1_19radix_merge_compareILb1ELb1EiNS0_19identity_decomposerEEEEE10hipError_tT0_T1_T2_jT3_P12ihipStream_tbPNSt15iterator_traitsISI_E10value_typeEPNSO_ISJ_E10value_typeEPSK_NS1_7vsmem_tEENKUlT_SI_SJ_SK_E_clISD_PiSD_S10_EESH_SX_SI_SJ_SK_EUlSX_E_NS1_11comp_targetILNS1_3genE3ELNS1_11target_archE908ELNS1_3gpuE7ELNS1_3repE0EEENS1_48merge_mergepath_partition_config_static_selectorELNS0_4arch9wavefront6targetE0EEEvSJ_ ; -- Begin function _ZN7rocprim17ROCPRIM_400000_NS6detail17trampoline_kernelINS0_14default_configENS1_38merge_sort_block_merge_config_selectorIiiEEZZNS1_27merge_sort_block_merge_implIS3_N6thrust23THRUST_200600_302600_NS6detail15normal_iteratorINS8_10device_ptrIiEEEESD_jNS1_19radix_merge_compareILb1ELb1EiNS0_19identity_decomposerEEEEE10hipError_tT0_T1_T2_jT3_P12ihipStream_tbPNSt15iterator_traitsISI_E10value_typeEPNSO_ISJ_E10value_typeEPSK_NS1_7vsmem_tEENKUlT_SI_SJ_SK_E_clISD_PiSD_S10_EESH_SX_SI_SJ_SK_EUlSX_E_NS1_11comp_targetILNS1_3genE3ELNS1_11target_archE908ELNS1_3gpuE7ELNS1_3repE0EEENS1_48merge_mergepath_partition_config_static_selectorELNS0_4arch9wavefront6targetE0EEEvSJ_
	.globl	_ZN7rocprim17ROCPRIM_400000_NS6detail17trampoline_kernelINS0_14default_configENS1_38merge_sort_block_merge_config_selectorIiiEEZZNS1_27merge_sort_block_merge_implIS3_N6thrust23THRUST_200600_302600_NS6detail15normal_iteratorINS8_10device_ptrIiEEEESD_jNS1_19radix_merge_compareILb1ELb1EiNS0_19identity_decomposerEEEEE10hipError_tT0_T1_T2_jT3_P12ihipStream_tbPNSt15iterator_traitsISI_E10value_typeEPNSO_ISJ_E10value_typeEPSK_NS1_7vsmem_tEENKUlT_SI_SJ_SK_E_clISD_PiSD_S10_EESH_SX_SI_SJ_SK_EUlSX_E_NS1_11comp_targetILNS1_3genE3ELNS1_11target_archE908ELNS1_3gpuE7ELNS1_3repE0EEENS1_48merge_mergepath_partition_config_static_selectorELNS0_4arch9wavefront6targetE0EEEvSJ_
	.p2align	8
	.type	_ZN7rocprim17ROCPRIM_400000_NS6detail17trampoline_kernelINS0_14default_configENS1_38merge_sort_block_merge_config_selectorIiiEEZZNS1_27merge_sort_block_merge_implIS3_N6thrust23THRUST_200600_302600_NS6detail15normal_iteratorINS8_10device_ptrIiEEEESD_jNS1_19radix_merge_compareILb1ELb1EiNS0_19identity_decomposerEEEEE10hipError_tT0_T1_T2_jT3_P12ihipStream_tbPNSt15iterator_traitsISI_E10value_typeEPNSO_ISJ_E10value_typeEPSK_NS1_7vsmem_tEENKUlT_SI_SJ_SK_E_clISD_PiSD_S10_EESH_SX_SI_SJ_SK_EUlSX_E_NS1_11comp_targetILNS1_3genE3ELNS1_11target_archE908ELNS1_3gpuE7ELNS1_3repE0EEENS1_48merge_mergepath_partition_config_static_selectorELNS0_4arch9wavefront6targetE0EEEvSJ_,@function
_ZN7rocprim17ROCPRIM_400000_NS6detail17trampoline_kernelINS0_14default_configENS1_38merge_sort_block_merge_config_selectorIiiEEZZNS1_27merge_sort_block_merge_implIS3_N6thrust23THRUST_200600_302600_NS6detail15normal_iteratorINS8_10device_ptrIiEEEESD_jNS1_19radix_merge_compareILb1ELb1EiNS0_19identity_decomposerEEEEE10hipError_tT0_T1_T2_jT3_P12ihipStream_tbPNSt15iterator_traitsISI_E10value_typeEPNSO_ISJ_E10value_typeEPSK_NS1_7vsmem_tEENKUlT_SI_SJ_SK_E_clISD_PiSD_S10_EESH_SX_SI_SJ_SK_EUlSX_E_NS1_11comp_targetILNS1_3genE3ELNS1_11target_archE908ELNS1_3gpuE7ELNS1_3repE0EEENS1_48merge_mergepath_partition_config_static_selectorELNS0_4arch9wavefront6targetE0EEEvSJ_: ; @_ZN7rocprim17ROCPRIM_400000_NS6detail17trampoline_kernelINS0_14default_configENS1_38merge_sort_block_merge_config_selectorIiiEEZZNS1_27merge_sort_block_merge_implIS3_N6thrust23THRUST_200600_302600_NS6detail15normal_iteratorINS8_10device_ptrIiEEEESD_jNS1_19radix_merge_compareILb1ELb1EiNS0_19identity_decomposerEEEEE10hipError_tT0_T1_T2_jT3_P12ihipStream_tbPNSt15iterator_traitsISI_E10value_typeEPNSO_ISJ_E10value_typeEPSK_NS1_7vsmem_tEENKUlT_SI_SJ_SK_E_clISD_PiSD_S10_EESH_SX_SI_SJ_SK_EUlSX_E_NS1_11comp_targetILNS1_3genE3ELNS1_11target_archE908ELNS1_3gpuE7ELNS1_3repE0EEENS1_48merge_mergepath_partition_config_static_selectorELNS0_4arch9wavefront6targetE0EEEvSJ_
; %bb.0:
	.section	.rodata,"a",@progbits
	.p2align	6, 0x0
	.amdhsa_kernel _ZN7rocprim17ROCPRIM_400000_NS6detail17trampoline_kernelINS0_14default_configENS1_38merge_sort_block_merge_config_selectorIiiEEZZNS1_27merge_sort_block_merge_implIS3_N6thrust23THRUST_200600_302600_NS6detail15normal_iteratorINS8_10device_ptrIiEEEESD_jNS1_19radix_merge_compareILb1ELb1EiNS0_19identity_decomposerEEEEE10hipError_tT0_T1_T2_jT3_P12ihipStream_tbPNSt15iterator_traitsISI_E10value_typeEPNSO_ISJ_E10value_typeEPSK_NS1_7vsmem_tEENKUlT_SI_SJ_SK_E_clISD_PiSD_S10_EESH_SX_SI_SJ_SK_EUlSX_E_NS1_11comp_targetILNS1_3genE3ELNS1_11target_archE908ELNS1_3gpuE7ELNS1_3repE0EEENS1_48merge_mergepath_partition_config_static_selectorELNS0_4arch9wavefront6targetE0EEEvSJ_
		.amdhsa_group_segment_fixed_size 0
		.amdhsa_private_segment_fixed_size 0
		.amdhsa_kernarg_size 40
		.amdhsa_user_sgpr_count 6
		.amdhsa_user_sgpr_private_segment_buffer 1
		.amdhsa_user_sgpr_dispatch_ptr 0
		.amdhsa_user_sgpr_queue_ptr 0
		.amdhsa_user_sgpr_kernarg_segment_ptr 1
		.amdhsa_user_sgpr_dispatch_id 0
		.amdhsa_user_sgpr_flat_scratch_init 0
		.amdhsa_user_sgpr_private_segment_size 0
		.amdhsa_wavefront_size32 1
		.amdhsa_uses_dynamic_stack 0
		.amdhsa_system_sgpr_private_segment_wavefront_offset 0
		.amdhsa_system_sgpr_workgroup_id_x 1
		.amdhsa_system_sgpr_workgroup_id_y 0
		.amdhsa_system_sgpr_workgroup_id_z 0
		.amdhsa_system_sgpr_workgroup_info 0
		.amdhsa_system_vgpr_workitem_id 0
		.amdhsa_next_free_vgpr 1
		.amdhsa_next_free_sgpr 1
		.amdhsa_reserve_vcc 0
		.amdhsa_reserve_flat_scratch 0
		.amdhsa_float_round_mode_32 0
		.amdhsa_float_round_mode_16_64 0
		.amdhsa_float_denorm_mode_32 3
		.amdhsa_float_denorm_mode_16_64 3
		.amdhsa_dx10_clamp 1
		.amdhsa_ieee_mode 1
		.amdhsa_fp16_overflow 0
		.amdhsa_workgroup_processor_mode 1
		.amdhsa_memory_ordered 1
		.amdhsa_forward_progress 1
		.amdhsa_shared_vgpr_count 0
		.amdhsa_exception_fp_ieee_invalid_op 0
		.amdhsa_exception_fp_denorm_src 0
		.amdhsa_exception_fp_ieee_div_zero 0
		.amdhsa_exception_fp_ieee_overflow 0
		.amdhsa_exception_fp_ieee_underflow 0
		.amdhsa_exception_fp_ieee_inexact 0
		.amdhsa_exception_int_div_zero 0
	.end_amdhsa_kernel
	.section	.text._ZN7rocprim17ROCPRIM_400000_NS6detail17trampoline_kernelINS0_14default_configENS1_38merge_sort_block_merge_config_selectorIiiEEZZNS1_27merge_sort_block_merge_implIS3_N6thrust23THRUST_200600_302600_NS6detail15normal_iteratorINS8_10device_ptrIiEEEESD_jNS1_19radix_merge_compareILb1ELb1EiNS0_19identity_decomposerEEEEE10hipError_tT0_T1_T2_jT3_P12ihipStream_tbPNSt15iterator_traitsISI_E10value_typeEPNSO_ISJ_E10value_typeEPSK_NS1_7vsmem_tEENKUlT_SI_SJ_SK_E_clISD_PiSD_S10_EESH_SX_SI_SJ_SK_EUlSX_E_NS1_11comp_targetILNS1_3genE3ELNS1_11target_archE908ELNS1_3gpuE7ELNS1_3repE0EEENS1_48merge_mergepath_partition_config_static_selectorELNS0_4arch9wavefront6targetE0EEEvSJ_,"axG",@progbits,_ZN7rocprim17ROCPRIM_400000_NS6detail17trampoline_kernelINS0_14default_configENS1_38merge_sort_block_merge_config_selectorIiiEEZZNS1_27merge_sort_block_merge_implIS3_N6thrust23THRUST_200600_302600_NS6detail15normal_iteratorINS8_10device_ptrIiEEEESD_jNS1_19radix_merge_compareILb1ELb1EiNS0_19identity_decomposerEEEEE10hipError_tT0_T1_T2_jT3_P12ihipStream_tbPNSt15iterator_traitsISI_E10value_typeEPNSO_ISJ_E10value_typeEPSK_NS1_7vsmem_tEENKUlT_SI_SJ_SK_E_clISD_PiSD_S10_EESH_SX_SI_SJ_SK_EUlSX_E_NS1_11comp_targetILNS1_3genE3ELNS1_11target_archE908ELNS1_3gpuE7ELNS1_3repE0EEENS1_48merge_mergepath_partition_config_static_selectorELNS0_4arch9wavefront6targetE0EEEvSJ_,comdat
.Lfunc_end961:
	.size	_ZN7rocprim17ROCPRIM_400000_NS6detail17trampoline_kernelINS0_14default_configENS1_38merge_sort_block_merge_config_selectorIiiEEZZNS1_27merge_sort_block_merge_implIS3_N6thrust23THRUST_200600_302600_NS6detail15normal_iteratorINS8_10device_ptrIiEEEESD_jNS1_19radix_merge_compareILb1ELb1EiNS0_19identity_decomposerEEEEE10hipError_tT0_T1_T2_jT3_P12ihipStream_tbPNSt15iterator_traitsISI_E10value_typeEPNSO_ISJ_E10value_typeEPSK_NS1_7vsmem_tEENKUlT_SI_SJ_SK_E_clISD_PiSD_S10_EESH_SX_SI_SJ_SK_EUlSX_E_NS1_11comp_targetILNS1_3genE3ELNS1_11target_archE908ELNS1_3gpuE7ELNS1_3repE0EEENS1_48merge_mergepath_partition_config_static_selectorELNS0_4arch9wavefront6targetE0EEEvSJ_, .Lfunc_end961-_ZN7rocprim17ROCPRIM_400000_NS6detail17trampoline_kernelINS0_14default_configENS1_38merge_sort_block_merge_config_selectorIiiEEZZNS1_27merge_sort_block_merge_implIS3_N6thrust23THRUST_200600_302600_NS6detail15normal_iteratorINS8_10device_ptrIiEEEESD_jNS1_19radix_merge_compareILb1ELb1EiNS0_19identity_decomposerEEEEE10hipError_tT0_T1_T2_jT3_P12ihipStream_tbPNSt15iterator_traitsISI_E10value_typeEPNSO_ISJ_E10value_typeEPSK_NS1_7vsmem_tEENKUlT_SI_SJ_SK_E_clISD_PiSD_S10_EESH_SX_SI_SJ_SK_EUlSX_E_NS1_11comp_targetILNS1_3genE3ELNS1_11target_archE908ELNS1_3gpuE7ELNS1_3repE0EEENS1_48merge_mergepath_partition_config_static_selectorELNS0_4arch9wavefront6targetE0EEEvSJ_
                                        ; -- End function
	.set _ZN7rocprim17ROCPRIM_400000_NS6detail17trampoline_kernelINS0_14default_configENS1_38merge_sort_block_merge_config_selectorIiiEEZZNS1_27merge_sort_block_merge_implIS3_N6thrust23THRUST_200600_302600_NS6detail15normal_iteratorINS8_10device_ptrIiEEEESD_jNS1_19radix_merge_compareILb1ELb1EiNS0_19identity_decomposerEEEEE10hipError_tT0_T1_T2_jT3_P12ihipStream_tbPNSt15iterator_traitsISI_E10value_typeEPNSO_ISJ_E10value_typeEPSK_NS1_7vsmem_tEENKUlT_SI_SJ_SK_E_clISD_PiSD_S10_EESH_SX_SI_SJ_SK_EUlSX_E_NS1_11comp_targetILNS1_3genE3ELNS1_11target_archE908ELNS1_3gpuE7ELNS1_3repE0EEENS1_48merge_mergepath_partition_config_static_selectorELNS0_4arch9wavefront6targetE0EEEvSJ_.num_vgpr, 0
	.set _ZN7rocprim17ROCPRIM_400000_NS6detail17trampoline_kernelINS0_14default_configENS1_38merge_sort_block_merge_config_selectorIiiEEZZNS1_27merge_sort_block_merge_implIS3_N6thrust23THRUST_200600_302600_NS6detail15normal_iteratorINS8_10device_ptrIiEEEESD_jNS1_19radix_merge_compareILb1ELb1EiNS0_19identity_decomposerEEEEE10hipError_tT0_T1_T2_jT3_P12ihipStream_tbPNSt15iterator_traitsISI_E10value_typeEPNSO_ISJ_E10value_typeEPSK_NS1_7vsmem_tEENKUlT_SI_SJ_SK_E_clISD_PiSD_S10_EESH_SX_SI_SJ_SK_EUlSX_E_NS1_11comp_targetILNS1_3genE3ELNS1_11target_archE908ELNS1_3gpuE7ELNS1_3repE0EEENS1_48merge_mergepath_partition_config_static_selectorELNS0_4arch9wavefront6targetE0EEEvSJ_.num_agpr, 0
	.set _ZN7rocprim17ROCPRIM_400000_NS6detail17trampoline_kernelINS0_14default_configENS1_38merge_sort_block_merge_config_selectorIiiEEZZNS1_27merge_sort_block_merge_implIS3_N6thrust23THRUST_200600_302600_NS6detail15normal_iteratorINS8_10device_ptrIiEEEESD_jNS1_19radix_merge_compareILb1ELb1EiNS0_19identity_decomposerEEEEE10hipError_tT0_T1_T2_jT3_P12ihipStream_tbPNSt15iterator_traitsISI_E10value_typeEPNSO_ISJ_E10value_typeEPSK_NS1_7vsmem_tEENKUlT_SI_SJ_SK_E_clISD_PiSD_S10_EESH_SX_SI_SJ_SK_EUlSX_E_NS1_11comp_targetILNS1_3genE3ELNS1_11target_archE908ELNS1_3gpuE7ELNS1_3repE0EEENS1_48merge_mergepath_partition_config_static_selectorELNS0_4arch9wavefront6targetE0EEEvSJ_.numbered_sgpr, 0
	.set _ZN7rocprim17ROCPRIM_400000_NS6detail17trampoline_kernelINS0_14default_configENS1_38merge_sort_block_merge_config_selectorIiiEEZZNS1_27merge_sort_block_merge_implIS3_N6thrust23THRUST_200600_302600_NS6detail15normal_iteratorINS8_10device_ptrIiEEEESD_jNS1_19radix_merge_compareILb1ELb1EiNS0_19identity_decomposerEEEEE10hipError_tT0_T1_T2_jT3_P12ihipStream_tbPNSt15iterator_traitsISI_E10value_typeEPNSO_ISJ_E10value_typeEPSK_NS1_7vsmem_tEENKUlT_SI_SJ_SK_E_clISD_PiSD_S10_EESH_SX_SI_SJ_SK_EUlSX_E_NS1_11comp_targetILNS1_3genE3ELNS1_11target_archE908ELNS1_3gpuE7ELNS1_3repE0EEENS1_48merge_mergepath_partition_config_static_selectorELNS0_4arch9wavefront6targetE0EEEvSJ_.num_named_barrier, 0
	.set _ZN7rocprim17ROCPRIM_400000_NS6detail17trampoline_kernelINS0_14default_configENS1_38merge_sort_block_merge_config_selectorIiiEEZZNS1_27merge_sort_block_merge_implIS3_N6thrust23THRUST_200600_302600_NS6detail15normal_iteratorINS8_10device_ptrIiEEEESD_jNS1_19radix_merge_compareILb1ELb1EiNS0_19identity_decomposerEEEEE10hipError_tT0_T1_T2_jT3_P12ihipStream_tbPNSt15iterator_traitsISI_E10value_typeEPNSO_ISJ_E10value_typeEPSK_NS1_7vsmem_tEENKUlT_SI_SJ_SK_E_clISD_PiSD_S10_EESH_SX_SI_SJ_SK_EUlSX_E_NS1_11comp_targetILNS1_3genE3ELNS1_11target_archE908ELNS1_3gpuE7ELNS1_3repE0EEENS1_48merge_mergepath_partition_config_static_selectorELNS0_4arch9wavefront6targetE0EEEvSJ_.private_seg_size, 0
	.set _ZN7rocprim17ROCPRIM_400000_NS6detail17trampoline_kernelINS0_14default_configENS1_38merge_sort_block_merge_config_selectorIiiEEZZNS1_27merge_sort_block_merge_implIS3_N6thrust23THRUST_200600_302600_NS6detail15normal_iteratorINS8_10device_ptrIiEEEESD_jNS1_19radix_merge_compareILb1ELb1EiNS0_19identity_decomposerEEEEE10hipError_tT0_T1_T2_jT3_P12ihipStream_tbPNSt15iterator_traitsISI_E10value_typeEPNSO_ISJ_E10value_typeEPSK_NS1_7vsmem_tEENKUlT_SI_SJ_SK_E_clISD_PiSD_S10_EESH_SX_SI_SJ_SK_EUlSX_E_NS1_11comp_targetILNS1_3genE3ELNS1_11target_archE908ELNS1_3gpuE7ELNS1_3repE0EEENS1_48merge_mergepath_partition_config_static_selectorELNS0_4arch9wavefront6targetE0EEEvSJ_.uses_vcc, 0
	.set _ZN7rocprim17ROCPRIM_400000_NS6detail17trampoline_kernelINS0_14default_configENS1_38merge_sort_block_merge_config_selectorIiiEEZZNS1_27merge_sort_block_merge_implIS3_N6thrust23THRUST_200600_302600_NS6detail15normal_iteratorINS8_10device_ptrIiEEEESD_jNS1_19radix_merge_compareILb1ELb1EiNS0_19identity_decomposerEEEEE10hipError_tT0_T1_T2_jT3_P12ihipStream_tbPNSt15iterator_traitsISI_E10value_typeEPNSO_ISJ_E10value_typeEPSK_NS1_7vsmem_tEENKUlT_SI_SJ_SK_E_clISD_PiSD_S10_EESH_SX_SI_SJ_SK_EUlSX_E_NS1_11comp_targetILNS1_3genE3ELNS1_11target_archE908ELNS1_3gpuE7ELNS1_3repE0EEENS1_48merge_mergepath_partition_config_static_selectorELNS0_4arch9wavefront6targetE0EEEvSJ_.uses_flat_scratch, 0
	.set _ZN7rocprim17ROCPRIM_400000_NS6detail17trampoline_kernelINS0_14default_configENS1_38merge_sort_block_merge_config_selectorIiiEEZZNS1_27merge_sort_block_merge_implIS3_N6thrust23THRUST_200600_302600_NS6detail15normal_iteratorINS8_10device_ptrIiEEEESD_jNS1_19radix_merge_compareILb1ELb1EiNS0_19identity_decomposerEEEEE10hipError_tT0_T1_T2_jT3_P12ihipStream_tbPNSt15iterator_traitsISI_E10value_typeEPNSO_ISJ_E10value_typeEPSK_NS1_7vsmem_tEENKUlT_SI_SJ_SK_E_clISD_PiSD_S10_EESH_SX_SI_SJ_SK_EUlSX_E_NS1_11comp_targetILNS1_3genE3ELNS1_11target_archE908ELNS1_3gpuE7ELNS1_3repE0EEENS1_48merge_mergepath_partition_config_static_selectorELNS0_4arch9wavefront6targetE0EEEvSJ_.has_dyn_sized_stack, 0
	.set _ZN7rocprim17ROCPRIM_400000_NS6detail17trampoline_kernelINS0_14default_configENS1_38merge_sort_block_merge_config_selectorIiiEEZZNS1_27merge_sort_block_merge_implIS3_N6thrust23THRUST_200600_302600_NS6detail15normal_iteratorINS8_10device_ptrIiEEEESD_jNS1_19radix_merge_compareILb1ELb1EiNS0_19identity_decomposerEEEEE10hipError_tT0_T1_T2_jT3_P12ihipStream_tbPNSt15iterator_traitsISI_E10value_typeEPNSO_ISJ_E10value_typeEPSK_NS1_7vsmem_tEENKUlT_SI_SJ_SK_E_clISD_PiSD_S10_EESH_SX_SI_SJ_SK_EUlSX_E_NS1_11comp_targetILNS1_3genE3ELNS1_11target_archE908ELNS1_3gpuE7ELNS1_3repE0EEENS1_48merge_mergepath_partition_config_static_selectorELNS0_4arch9wavefront6targetE0EEEvSJ_.has_recursion, 0
	.set _ZN7rocprim17ROCPRIM_400000_NS6detail17trampoline_kernelINS0_14default_configENS1_38merge_sort_block_merge_config_selectorIiiEEZZNS1_27merge_sort_block_merge_implIS3_N6thrust23THRUST_200600_302600_NS6detail15normal_iteratorINS8_10device_ptrIiEEEESD_jNS1_19radix_merge_compareILb1ELb1EiNS0_19identity_decomposerEEEEE10hipError_tT0_T1_T2_jT3_P12ihipStream_tbPNSt15iterator_traitsISI_E10value_typeEPNSO_ISJ_E10value_typeEPSK_NS1_7vsmem_tEENKUlT_SI_SJ_SK_E_clISD_PiSD_S10_EESH_SX_SI_SJ_SK_EUlSX_E_NS1_11comp_targetILNS1_3genE3ELNS1_11target_archE908ELNS1_3gpuE7ELNS1_3repE0EEENS1_48merge_mergepath_partition_config_static_selectorELNS0_4arch9wavefront6targetE0EEEvSJ_.has_indirect_call, 0
	.section	.AMDGPU.csdata,"",@progbits
; Kernel info:
; codeLenInByte = 0
; TotalNumSgprs: 0
; NumVgprs: 0
; ScratchSize: 0
; MemoryBound: 0
; FloatMode: 240
; IeeeMode: 1
; LDSByteSize: 0 bytes/workgroup (compile time only)
; SGPRBlocks: 0
; VGPRBlocks: 0
; NumSGPRsForWavesPerEU: 1
; NumVGPRsForWavesPerEU: 1
; Occupancy: 16
; WaveLimiterHint : 0
; COMPUTE_PGM_RSRC2:SCRATCH_EN: 0
; COMPUTE_PGM_RSRC2:USER_SGPR: 6
; COMPUTE_PGM_RSRC2:TRAP_HANDLER: 0
; COMPUTE_PGM_RSRC2:TGID_X_EN: 1
; COMPUTE_PGM_RSRC2:TGID_Y_EN: 0
; COMPUTE_PGM_RSRC2:TGID_Z_EN: 0
; COMPUTE_PGM_RSRC2:TIDIG_COMP_CNT: 0
	.section	.text._ZN7rocprim17ROCPRIM_400000_NS6detail17trampoline_kernelINS0_14default_configENS1_38merge_sort_block_merge_config_selectorIiiEEZZNS1_27merge_sort_block_merge_implIS3_N6thrust23THRUST_200600_302600_NS6detail15normal_iteratorINS8_10device_ptrIiEEEESD_jNS1_19radix_merge_compareILb1ELb1EiNS0_19identity_decomposerEEEEE10hipError_tT0_T1_T2_jT3_P12ihipStream_tbPNSt15iterator_traitsISI_E10value_typeEPNSO_ISJ_E10value_typeEPSK_NS1_7vsmem_tEENKUlT_SI_SJ_SK_E_clISD_PiSD_S10_EESH_SX_SI_SJ_SK_EUlSX_E_NS1_11comp_targetILNS1_3genE2ELNS1_11target_archE906ELNS1_3gpuE6ELNS1_3repE0EEENS1_48merge_mergepath_partition_config_static_selectorELNS0_4arch9wavefront6targetE0EEEvSJ_,"axG",@progbits,_ZN7rocprim17ROCPRIM_400000_NS6detail17trampoline_kernelINS0_14default_configENS1_38merge_sort_block_merge_config_selectorIiiEEZZNS1_27merge_sort_block_merge_implIS3_N6thrust23THRUST_200600_302600_NS6detail15normal_iteratorINS8_10device_ptrIiEEEESD_jNS1_19radix_merge_compareILb1ELb1EiNS0_19identity_decomposerEEEEE10hipError_tT0_T1_T2_jT3_P12ihipStream_tbPNSt15iterator_traitsISI_E10value_typeEPNSO_ISJ_E10value_typeEPSK_NS1_7vsmem_tEENKUlT_SI_SJ_SK_E_clISD_PiSD_S10_EESH_SX_SI_SJ_SK_EUlSX_E_NS1_11comp_targetILNS1_3genE2ELNS1_11target_archE906ELNS1_3gpuE6ELNS1_3repE0EEENS1_48merge_mergepath_partition_config_static_selectorELNS0_4arch9wavefront6targetE0EEEvSJ_,comdat
	.protected	_ZN7rocprim17ROCPRIM_400000_NS6detail17trampoline_kernelINS0_14default_configENS1_38merge_sort_block_merge_config_selectorIiiEEZZNS1_27merge_sort_block_merge_implIS3_N6thrust23THRUST_200600_302600_NS6detail15normal_iteratorINS8_10device_ptrIiEEEESD_jNS1_19radix_merge_compareILb1ELb1EiNS0_19identity_decomposerEEEEE10hipError_tT0_T1_T2_jT3_P12ihipStream_tbPNSt15iterator_traitsISI_E10value_typeEPNSO_ISJ_E10value_typeEPSK_NS1_7vsmem_tEENKUlT_SI_SJ_SK_E_clISD_PiSD_S10_EESH_SX_SI_SJ_SK_EUlSX_E_NS1_11comp_targetILNS1_3genE2ELNS1_11target_archE906ELNS1_3gpuE6ELNS1_3repE0EEENS1_48merge_mergepath_partition_config_static_selectorELNS0_4arch9wavefront6targetE0EEEvSJ_ ; -- Begin function _ZN7rocprim17ROCPRIM_400000_NS6detail17trampoline_kernelINS0_14default_configENS1_38merge_sort_block_merge_config_selectorIiiEEZZNS1_27merge_sort_block_merge_implIS3_N6thrust23THRUST_200600_302600_NS6detail15normal_iteratorINS8_10device_ptrIiEEEESD_jNS1_19radix_merge_compareILb1ELb1EiNS0_19identity_decomposerEEEEE10hipError_tT0_T1_T2_jT3_P12ihipStream_tbPNSt15iterator_traitsISI_E10value_typeEPNSO_ISJ_E10value_typeEPSK_NS1_7vsmem_tEENKUlT_SI_SJ_SK_E_clISD_PiSD_S10_EESH_SX_SI_SJ_SK_EUlSX_E_NS1_11comp_targetILNS1_3genE2ELNS1_11target_archE906ELNS1_3gpuE6ELNS1_3repE0EEENS1_48merge_mergepath_partition_config_static_selectorELNS0_4arch9wavefront6targetE0EEEvSJ_
	.globl	_ZN7rocprim17ROCPRIM_400000_NS6detail17trampoline_kernelINS0_14default_configENS1_38merge_sort_block_merge_config_selectorIiiEEZZNS1_27merge_sort_block_merge_implIS3_N6thrust23THRUST_200600_302600_NS6detail15normal_iteratorINS8_10device_ptrIiEEEESD_jNS1_19radix_merge_compareILb1ELb1EiNS0_19identity_decomposerEEEEE10hipError_tT0_T1_T2_jT3_P12ihipStream_tbPNSt15iterator_traitsISI_E10value_typeEPNSO_ISJ_E10value_typeEPSK_NS1_7vsmem_tEENKUlT_SI_SJ_SK_E_clISD_PiSD_S10_EESH_SX_SI_SJ_SK_EUlSX_E_NS1_11comp_targetILNS1_3genE2ELNS1_11target_archE906ELNS1_3gpuE6ELNS1_3repE0EEENS1_48merge_mergepath_partition_config_static_selectorELNS0_4arch9wavefront6targetE0EEEvSJ_
	.p2align	8
	.type	_ZN7rocprim17ROCPRIM_400000_NS6detail17trampoline_kernelINS0_14default_configENS1_38merge_sort_block_merge_config_selectorIiiEEZZNS1_27merge_sort_block_merge_implIS3_N6thrust23THRUST_200600_302600_NS6detail15normal_iteratorINS8_10device_ptrIiEEEESD_jNS1_19radix_merge_compareILb1ELb1EiNS0_19identity_decomposerEEEEE10hipError_tT0_T1_T2_jT3_P12ihipStream_tbPNSt15iterator_traitsISI_E10value_typeEPNSO_ISJ_E10value_typeEPSK_NS1_7vsmem_tEENKUlT_SI_SJ_SK_E_clISD_PiSD_S10_EESH_SX_SI_SJ_SK_EUlSX_E_NS1_11comp_targetILNS1_3genE2ELNS1_11target_archE906ELNS1_3gpuE6ELNS1_3repE0EEENS1_48merge_mergepath_partition_config_static_selectorELNS0_4arch9wavefront6targetE0EEEvSJ_,@function
_ZN7rocprim17ROCPRIM_400000_NS6detail17trampoline_kernelINS0_14default_configENS1_38merge_sort_block_merge_config_selectorIiiEEZZNS1_27merge_sort_block_merge_implIS3_N6thrust23THRUST_200600_302600_NS6detail15normal_iteratorINS8_10device_ptrIiEEEESD_jNS1_19radix_merge_compareILb1ELb1EiNS0_19identity_decomposerEEEEE10hipError_tT0_T1_T2_jT3_P12ihipStream_tbPNSt15iterator_traitsISI_E10value_typeEPNSO_ISJ_E10value_typeEPSK_NS1_7vsmem_tEENKUlT_SI_SJ_SK_E_clISD_PiSD_S10_EESH_SX_SI_SJ_SK_EUlSX_E_NS1_11comp_targetILNS1_3genE2ELNS1_11target_archE906ELNS1_3gpuE6ELNS1_3repE0EEENS1_48merge_mergepath_partition_config_static_selectorELNS0_4arch9wavefront6targetE0EEEvSJ_: ; @_ZN7rocprim17ROCPRIM_400000_NS6detail17trampoline_kernelINS0_14default_configENS1_38merge_sort_block_merge_config_selectorIiiEEZZNS1_27merge_sort_block_merge_implIS3_N6thrust23THRUST_200600_302600_NS6detail15normal_iteratorINS8_10device_ptrIiEEEESD_jNS1_19radix_merge_compareILb1ELb1EiNS0_19identity_decomposerEEEEE10hipError_tT0_T1_T2_jT3_P12ihipStream_tbPNSt15iterator_traitsISI_E10value_typeEPNSO_ISJ_E10value_typeEPSK_NS1_7vsmem_tEENKUlT_SI_SJ_SK_E_clISD_PiSD_S10_EESH_SX_SI_SJ_SK_EUlSX_E_NS1_11comp_targetILNS1_3genE2ELNS1_11target_archE906ELNS1_3gpuE6ELNS1_3repE0EEENS1_48merge_mergepath_partition_config_static_selectorELNS0_4arch9wavefront6targetE0EEEvSJ_
; %bb.0:
	.section	.rodata,"a",@progbits
	.p2align	6, 0x0
	.amdhsa_kernel _ZN7rocprim17ROCPRIM_400000_NS6detail17trampoline_kernelINS0_14default_configENS1_38merge_sort_block_merge_config_selectorIiiEEZZNS1_27merge_sort_block_merge_implIS3_N6thrust23THRUST_200600_302600_NS6detail15normal_iteratorINS8_10device_ptrIiEEEESD_jNS1_19radix_merge_compareILb1ELb1EiNS0_19identity_decomposerEEEEE10hipError_tT0_T1_T2_jT3_P12ihipStream_tbPNSt15iterator_traitsISI_E10value_typeEPNSO_ISJ_E10value_typeEPSK_NS1_7vsmem_tEENKUlT_SI_SJ_SK_E_clISD_PiSD_S10_EESH_SX_SI_SJ_SK_EUlSX_E_NS1_11comp_targetILNS1_3genE2ELNS1_11target_archE906ELNS1_3gpuE6ELNS1_3repE0EEENS1_48merge_mergepath_partition_config_static_selectorELNS0_4arch9wavefront6targetE0EEEvSJ_
		.amdhsa_group_segment_fixed_size 0
		.amdhsa_private_segment_fixed_size 0
		.amdhsa_kernarg_size 40
		.amdhsa_user_sgpr_count 6
		.amdhsa_user_sgpr_private_segment_buffer 1
		.amdhsa_user_sgpr_dispatch_ptr 0
		.amdhsa_user_sgpr_queue_ptr 0
		.amdhsa_user_sgpr_kernarg_segment_ptr 1
		.amdhsa_user_sgpr_dispatch_id 0
		.amdhsa_user_sgpr_flat_scratch_init 0
		.amdhsa_user_sgpr_private_segment_size 0
		.amdhsa_wavefront_size32 1
		.amdhsa_uses_dynamic_stack 0
		.amdhsa_system_sgpr_private_segment_wavefront_offset 0
		.amdhsa_system_sgpr_workgroup_id_x 1
		.amdhsa_system_sgpr_workgroup_id_y 0
		.amdhsa_system_sgpr_workgroup_id_z 0
		.amdhsa_system_sgpr_workgroup_info 0
		.amdhsa_system_vgpr_workitem_id 0
		.amdhsa_next_free_vgpr 1
		.amdhsa_next_free_sgpr 1
		.amdhsa_reserve_vcc 0
		.amdhsa_reserve_flat_scratch 0
		.amdhsa_float_round_mode_32 0
		.amdhsa_float_round_mode_16_64 0
		.amdhsa_float_denorm_mode_32 3
		.amdhsa_float_denorm_mode_16_64 3
		.amdhsa_dx10_clamp 1
		.amdhsa_ieee_mode 1
		.amdhsa_fp16_overflow 0
		.amdhsa_workgroup_processor_mode 1
		.amdhsa_memory_ordered 1
		.amdhsa_forward_progress 1
		.amdhsa_shared_vgpr_count 0
		.amdhsa_exception_fp_ieee_invalid_op 0
		.amdhsa_exception_fp_denorm_src 0
		.amdhsa_exception_fp_ieee_div_zero 0
		.amdhsa_exception_fp_ieee_overflow 0
		.amdhsa_exception_fp_ieee_underflow 0
		.amdhsa_exception_fp_ieee_inexact 0
		.amdhsa_exception_int_div_zero 0
	.end_amdhsa_kernel
	.section	.text._ZN7rocprim17ROCPRIM_400000_NS6detail17trampoline_kernelINS0_14default_configENS1_38merge_sort_block_merge_config_selectorIiiEEZZNS1_27merge_sort_block_merge_implIS3_N6thrust23THRUST_200600_302600_NS6detail15normal_iteratorINS8_10device_ptrIiEEEESD_jNS1_19radix_merge_compareILb1ELb1EiNS0_19identity_decomposerEEEEE10hipError_tT0_T1_T2_jT3_P12ihipStream_tbPNSt15iterator_traitsISI_E10value_typeEPNSO_ISJ_E10value_typeEPSK_NS1_7vsmem_tEENKUlT_SI_SJ_SK_E_clISD_PiSD_S10_EESH_SX_SI_SJ_SK_EUlSX_E_NS1_11comp_targetILNS1_3genE2ELNS1_11target_archE906ELNS1_3gpuE6ELNS1_3repE0EEENS1_48merge_mergepath_partition_config_static_selectorELNS0_4arch9wavefront6targetE0EEEvSJ_,"axG",@progbits,_ZN7rocprim17ROCPRIM_400000_NS6detail17trampoline_kernelINS0_14default_configENS1_38merge_sort_block_merge_config_selectorIiiEEZZNS1_27merge_sort_block_merge_implIS3_N6thrust23THRUST_200600_302600_NS6detail15normal_iteratorINS8_10device_ptrIiEEEESD_jNS1_19radix_merge_compareILb1ELb1EiNS0_19identity_decomposerEEEEE10hipError_tT0_T1_T2_jT3_P12ihipStream_tbPNSt15iterator_traitsISI_E10value_typeEPNSO_ISJ_E10value_typeEPSK_NS1_7vsmem_tEENKUlT_SI_SJ_SK_E_clISD_PiSD_S10_EESH_SX_SI_SJ_SK_EUlSX_E_NS1_11comp_targetILNS1_3genE2ELNS1_11target_archE906ELNS1_3gpuE6ELNS1_3repE0EEENS1_48merge_mergepath_partition_config_static_selectorELNS0_4arch9wavefront6targetE0EEEvSJ_,comdat
.Lfunc_end962:
	.size	_ZN7rocprim17ROCPRIM_400000_NS6detail17trampoline_kernelINS0_14default_configENS1_38merge_sort_block_merge_config_selectorIiiEEZZNS1_27merge_sort_block_merge_implIS3_N6thrust23THRUST_200600_302600_NS6detail15normal_iteratorINS8_10device_ptrIiEEEESD_jNS1_19radix_merge_compareILb1ELb1EiNS0_19identity_decomposerEEEEE10hipError_tT0_T1_T2_jT3_P12ihipStream_tbPNSt15iterator_traitsISI_E10value_typeEPNSO_ISJ_E10value_typeEPSK_NS1_7vsmem_tEENKUlT_SI_SJ_SK_E_clISD_PiSD_S10_EESH_SX_SI_SJ_SK_EUlSX_E_NS1_11comp_targetILNS1_3genE2ELNS1_11target_archE906ELNS1_3gpuE6ELNS1_3repE0EEENS1_48merge_mergepath_partition_config_static_selectorELNS0_4arch9wavefront6targetE0EEEvSJ_, .Lfunc_end962-_ZN7rocprim17ROCPRIM_400000_NS6detail17trampoline_kernelINS0_14default_configENS1_38merge_sort_block_merge_config_selectorIiiEEZZNS1_27merge_sort_block_merge_implIS3_N6thrust23THRUST_200600_302600_NS6detail15normal_iteratorINS8_10device_ptrIiEEEESD_jNS1_19radix_merge_compareILb1ELb1EiNS0_19identity_decomposerEEEEE10hipError_tT0_T1_T2_jT3_P12ihipStream_tbPNSt15iterator_traitsISI_E10value_typeEPNSO_ISJ_E10value_typeEPSK_NS1_7vsmem_tEENKUlT_SI_SJ_SK_E_clISD_PiSD_S10_EESH_SX_SI_SJ_SK_EUlSX_E_NS1_11comp_targetILNS1_3genE2ELNS1_11target_archE906ELNS1_3gpuE6ELNS1_3repE0EEENS1_48merge_mergepath_partition_config_static_selectorELNS0_4arch9wavefront6targetE0EEEvSJ_
                                        ; -- End function
	.set _ZN7rocprim17ROCPRIM_400000_NS6detail17trampoline_kernelINS0_14default_configENS1_38merge_sort_block_merge_config_selectorIiiEEZZNS1_27merge_sort_block_merge_implIS3_N6thrust23THRUST_200600_302600_NS6detail15normal_iteratorINS8_10device_ptrIiEEEESD_jNS1_19radix_merge_compareILb1ELb1EiNS0_19identity_decomposerEEEEE10hipError_tT0_T1_T2_jT3_P12ihipStream_tbPNSt15iterator_traitsISI_E10value_typeEPNSO_ISJ_E10value_typeEPSK_NS1_7vsmem_tEENKUlT_SI_SJ_SK_E_clISD_PiSD_S10_EESH_SX_SI_SJ_SK_EUlSX_E_NS1_11comp_targetILNS1_3genE2ELNS1_11target_archE906ELNS1_3gpuE6ELNS1_3repE0EEENS1_48merge_mergepath_partition_config_static_selectorELNS0_4arch9wavefront6targetE0EEEvSJ_.num_vgpr, 0
	.set _ZN7rocprim17ROCPRIM_400000_NS6detail17trampoline_kernelINS0_14default_configENS1_38merge_sort_block_merge_config_selectorIiiEEZZNS1_27merge_sort_block_merge_implIS3_N6thrust23THRUST_200600_302600_NS6detail15normal_iteratorINS8_10device_ptrIiEEEESD_jNS1_19radix_merge_compareILb1ELb1EiNS0_19identity_decomposerEEEEE10hipError_tT0_T1_T2_jT3_P12ihipStream_tbPNSt15iterator_traitsISI_E10value_typeEPNSO_ISJ_E10value_typeEPSK_NS1_7vsmem_tEENKUlT_SI_SJ_SK_E_clISD_PiSD_S10_EESH_SX_SI_SJ_SK_EUlSX_E_NS1_11comp_targetILNS1_3genE2ELNS1_11target_archE906ELNS1_3gpuE6ELNS1_3repE0EEENS1_48merge_mergepath_partition_config_static_selectorELNS0_4arch9wavefront6targetE0EEEvSJ_.num_agpr, 0
	.set _ZN7rocprim17ROCPRIM_400000_NS6detail17trampoline_kernelINS0_14default_configENS1_38merge_sort_block_merge_config_selectorIiiEEZZNS1_27merge_sort_block_merge_implIS3_N6thrust23THRUST_200600_302600_NS6detail15normal_iteratorINS8_10device_ptrIiEEEESD_jNS1_19radix_merge_compareILb1ELb1EiNS0_19identity_decomposerEEEEE10hipError_tT0_T1_T2_jT3_P12ihipStream_tbPNSt15iterator_traitsISI_E10value_typeEPNSO_ISJ_E10value_typeEPSK_NS1_7vsmem_tEENKUlT_SI_SJ_SK_E_clISD_PiSD_S10_EESH_SX_SI_SJ_SK_EUlSX_E_NS1_11comp_targetILNS1_3genE2ELNS1_11target_archE906ELNS1_3gpuE6ELNS1_3repE0EEENS1_48merge_mergepath_partition_config_static_selectorELNS0_4arch9wavefront6targetE0EEEvSJ_.numbered_sgpr, 0
	.set _ZN7rocprim17ROCPRIM_400000_NS6detail17trampoline_kernelINS0_14default_configENS1_38merge_sort_block_merge_config_selectorIiiEEZZNS1_27merge_sort_block_merge_implIS3_N6thrust23THRUST_200600_302600_NS6detail15normal_iteratorINS8_10device_ptrIiEEEESD_jNS1_19radix_merge_compareILb1ELb1EiNS0_19identity_decomposerEEEEE10hipError_tT0_T1_T2_jT3_P12ihipStream_tbPNSt15iterator_traitsISI_E10value_typeEPNSO_ISJ_E10value_typeEPSK_NS1_7vsmem_tEENKUlT_SI_SJ_SK_E_clISD_PiSD_S10_EESH_SX_SI_SJ_SK_EUlSX_E_NS1_11comp_targetILNS1_3genE2ELNS1_11target_archE906ELNS1_3gpuE6ELNS1_3repE0EEENS1_48merge_mergepath_partition_config_static_selectorELNS0_4arch9wavefront6targetE0EEEvSJ_.num_named_barrier, 0
	.set _ZN7rocprim17ROCPRIM_400000_NS6detail17trampoline_kernelINS0_14default_configENS1_38merge_sort_block_merge_config_selectorIiiEEZZNS1_27merge_sort_block_merge_implIS3_N6thrust23THRUST_200600_302600_NS6detail15normal_iteratorINS8_10device_ptrIiEEEESD_jNS1_19radix_merge_compareILb1ELb1EiNS0_19identity_decomposerEEEEE10hipError_tT0_T1_T2_jT3_P12ihipStream_tbPNSt15iterator_traitsISI_E10value_typeEPNSO_ISJ_E10value_typeEPSK_NS1_7vsmem_tEENKUlT_SI_SJ_SK_E_clISD_PiSD_S10_EESH_SX_SI_SJ_SK_EUlSX_E_NS1_11comp_targetILNS1_3genE2ELNS1_11target_archE906ELNS1_3gpuE6ELNS1_3repE0EEENS1_48merge_mergepath_partition_config_static_selectorELNS0_4arch9wavefront6targetE0EEEvSJ_.private_seg_size, 0
	.set _ZN7rocprim17ROCPRIM_400000_NS6detail17trampoline_kernelINS0_14default_configENS1_38merge_sort_block_merge_config_selectorIiiEEZZNS1_27merge_sort_block_merge_implIS3_N6thrust23THRUST_200600_302600_NS6detail15normal_iteratorINS8_10device_ptrIiEEEESD_jNS1_19radix_merge_compareILb1ELb1EiNS0_19identity_decomposerEEEEE10hipError_tT0_T1_T2_jT3_P12ihipStream_tbPNSt15iterator_traitsISI_E10value_typeEPNSO_ISJ_E10value_typeEPSK_NS1_7vsmem_tEENKUlT_SI_SJ_SK_E_clISD_PiSD_S10_EESH_SX_SI_SJ_SK_EUlSX_E_NS1_11comp_targetILNS1_3genE2ELNS1_11target_archE906ELNS1_3gpuE6ELNS1_3repE0EEENS1_48merge_mergepath_partition_config_static_selectorELNS0_4arch9wavefront6targetE0EEEvSJ_.uses_vcc, 0
	.set _ZN7rocprim17ROCPRIM_400000_NS6detail17trampoline_kernelINS0_14default_configENS1_38merge_sort_block_merge_config_selectorIiiEEZZNS1_27merge_sort_block_merge_implIS3_N6thrust23THRUST_200600_302600_NS6detail15normal_iteratorINS8_10device_ptrIiEEEESD_jNS1_19radix_merge_compareILb1ELb1EiNS0_19identity_decomposerEEEEE10hipError_tT0_T1_T2_jT3_P12ihipStream_tbPNSt15iterator_traitsISI_E10value_typeEPNSO_ISJ_E10value_typeEPSK_NS1_7vsmem_tEENKUlT_SI_SJ_SK_E_clISD_PiSD_S10_EESH_SX_SI_SJ_SK_EUlSX_E_NS1_11comp_targetILNS1_3genE2ELNS1_11target_archE906ELNS1_3gpuE6ELNS1_3repE0EEENS1_48merge_mergepath_partition_config_static_selectorELNS0_4arch9wavefront6targetE0EEEvSJ_.uses_flat_scratch, 0
	.set _ZN7rocprim17ROCPRIM_400000_NS6detail17trampoline_kernelINS0_14default_configENS1_38merge_sort_block_merge_config_selectorIiiEEZZNS1_27merge_sort_block_merge_implIS3_N6thrust23THRUST_200600_302600_NS6detail15normal_iteratorINS8_10device_ptrIiEEEESD_jNS1_19radix_merge_compareILb1ELb1EiNS0_19identity_decomposerEEEEE10hipError_tT0_T1_T2_jT3_P12ihipStream_tbPNSt15iterator_traitsISI_E10value_typeEPNSO_ISJ_E10value_typeEPSK_NS1_7vsmem_tEENKUlT_SI_SJ_SK_E_clISD_PiSD_S10_EESH_SX_SI_SJ_SK_EUlSX_E_NS1_11comp_targetILNS1_3genE2ELNS1_11target_archE906ELNS1_3gpuE6ELNS1_3repE0EEENS1_48merge_mergepath_partition_config_static_selectorELNS0_4arch9wavefront6targetE0EEEvSJ_.has_dyn_sized_stack, 0
	.set _ZN7rocprim17ROCPRIM_400000_NS6detail17trampoline_kernelINS0_14default_configENS1_38merge_sort_block_merge_config_selectorIiiEEZZNS1_27merge_sort_block_merge_implIS3_N6thrust23THRUST_200600_302600_NS6detail15normal_iteratorINS8_10device_ptrIiEEEESD_jNS1_19radix_merge_compareILb1ELb1EiNS0_19identity_decomposerEEEEE10hipError_tT0_T1_T2_jT3_P12ihipStream_tbPNSt15iterator_traitsISI_E10value_typeEPNSO_ISJ_E10value_typeEPSK_NS1_7vsmem_tEENKUlT_SI_SJ_SK_E_clISD_PiSD_S10_EESH_SX_SI_SJ_SK_EUlSX_E_NS1_11comp_targetILNS1_3genE2ELNS1_11target_archE906ELNS1_3gpuE6ELNS1_3repE0EEENS1_48merge_mergepath_partition_config_static_selectorELNS0_4arch9wavefront6targetE0EEEvSJ_.has_recursion, 0
	.set _ZN7rocprim17ROCPRIM_400000_NS6detail17trampoline_kernelINS0_14default_configENS1_38merge_sort_block_merge_config_selectorIiiEEZZNS1_27merge_sort_block_merge_implIS3_N6thrust23THRUST_200600_302600_NS6detail15normal_iteratorINS8_10device_ptrIiEEEESD_jNS1_19radix_merge_compareILb1ELb1EiNS0_19identity_decomposerEEEEE10hipError_tT0_T1_T2_jT3_P12ihipStream_tbPNSt15iterator_traitsISI_E10value_typeEPNSO_ISJ_E10value_typeEPSK_NS1_7vsmem_tEENKUlT_SI_SJ_SK_E_clISD_PiSD_S10_EESH_SX_SI_SJ_SK_EUlSX_E_NS1_11comp_targetILNS1_3genE2ELNS1_11target_archE906ELNS1_3gpuE6ELNS1_3repE0EEENS1_48merge_mergepath_partition_config_static_selectorELNS0_4arch9wavefront6targetE0EEEvSJ_.has_indirect_call, 0
	.section	.AMDGPU.csdata,"",@progbits
; Kernel info:
; codeLenInByte = 0
; TotalNumSgprs: 0
; NumVgprs: 0
; ScratchSize: 0
; MemoryBound: 0
; FloatMode: 240
; IeeeMode: 1
; LDSByteSize: 0 bytes/workgroup (compile time only)
; SGPRBlocks: 0
; VGPRBlocks: 0
; NumSGPRsForWavesPerEU: 1
; NumVGPRsForWavesPerEU: 1
; Occupancy: 16
; WaveLimiterHint : 0
; COMPUTE_PGM_RSRC2:SCRATCH_EN: 0
; COMPUTE_PGM_RSRC2:USER_SGPR: 6
; COMPUTE_PGM_RSRC2:TRAP_HANDLER: 0
; COMPUTE_PGM_RSRC2:TGID_X_EN: 1
; COMPUTE_PGM_RSRC2:TGID_Y_EN: 0
; COMPUTE_PGM_RSRC2:TGID_Z_EN: 0
; COMPUTE_PGM_RSRC2:TIDIG_COMP_CNT: 0
	.section	.text._ZN7rocprim17ROCPRIM_400000_NS6detail17trampoline_kernelINS0_14default_configENS1_38merge_sort_block_merge_config_selectorIiiEEZZNS1_27merge_sort_block_merge_implIS3_N6thrust23THRUST_200600_302600_NS6detail15normal_iteratorINS8_10device_ptrIiEEEESD_jNS1_19radix_merge_compareILb1ELb1EiNS0_19identity_decomposerEEEEE10hipError_tT0_T1_T2_jT3_P12ihipStream_tbPNSt15iterator_traitsISI_E10value_typeEPNSO_ISJ_E10value_typeEPSK_NS1_7vsmem_tEENKUlT_SI_SJ_SK_E_clISD_PiSD_S10_EESH_SX_SI_SJ_SK_EUlSX_E_NS1_11comp_targetILNS1_3genE9ELNS1_11target_archE1100ELNS1_3gpuE3ELNS1_3repE0EEENS1_48merge_mergepath_partition_config_static_selectorELNS0_4arch9wavefront6targetE0EEEvSJ_,"axG",@progbits,_ZN7rocprim17ROCPRIM_400000_NS6detail17trampoline_kernelINS0_14default_configENS1_38merge_sort_block_merge_config_selectorIiiEEZZNS1_27merge_sort_block_merge_implIS3_N6thrust23THRUST_200600_302600_NS6detail15normal_iteratorINS8_10device_ptrIiEEEESD_jNS1_19radix_merge_compareILb1ELb1EiNS0_19identity_decomposerEEEEE10hipError_tT0_T1_T2_jT3_P12ihipStream_tbPNSt15iterator_traitsISI_E10value_typeEPNSO_ISJ_E10value_typeEPSK_NS1_7vsmem_tEENKUlT_SI_SJ_SK_E_clISD_PiSD_S10_EESH_SX_SI_SJ_SK_EUlSX_E_NS1_11comp_targetILNS1_3genE9ELNS1_11target_archE1100ELNS1_3gpuE3ELNS1_3repE0EEENS1_48merge_mergepath_partition_config_static_selectorELNS0_4arch9wavefront6targetE0EEEvSJ_,comdat
	.protected	_ZN7rocprim17ROCPRIM_400000_NS6detail17trampoline_kernelINS0_14default_configENS1_38merge_sort_block_merge_config_selectorIiiEEZZNS1_27merge_sort_block_merge_implIS3_N6thrust23THRUST_200600_302600_NS6detail15normal_iteratorINS8_10device_ptrIiEEEESD_jNS1_19radix_merge_compareILb1ELb1EiNS0_19identity_decomposerEEEEE10hipError_tT0_T1_T2_jT3_P12ihipStream_tbPNSt15iterator_traitsISI_E10value_typeEPNSO_ISJ_E10value_typeEPSK_NS1_7vsmem_tEENKUlT_SI_SJ_SK_E_clISD_PiSD_S10_EESH_SX_SI_SJ_SK_EUlSX_E_NS1_11comp_targetILNS1_3genE9ELNS1_11target_archE1100ELNS1_3gpuE3ELNS1_3repE0EEENS1_48merge_mergepath_partition_config_static_selectorELNS0_4arch9wavefront6targetE0EEEvSJ_ ; -- Begin function _ZN7rocprim17ROCPRIM_400000_NS6detail17trampoline_kernelINS0_14default_configENS1_38merge_sort_block_merge_config_selectorIiiEEZZNS1_27merge_sort_block_merge_implIS3_N6thrust23THRUST_200600_302600_NS6detail15normal_iteratorINS8_10device_ptrIiEEEESD_jNS1_19radix_merge_compareILb1ELb1EiNS0_19identity_decomposerEEEEE10hipError_tT0_T1_T2_jT3_P12ihipStream_tbPNSt15iterator_traitsISI_E10value_typeEPNSO_ISJ_E10value_typeEPSK_NS1_7vsmem_tEENKUlT_SI_SJ_SK_E_clISD_PiSD_S10_EESH_SX_SI_SJ_SK_EUlSX_E_NS1_11comp_targetILNS1_3genE9ELNS1_11target_archE1100ELNS1_3gpuE3ELNS1_3repE0EEENS1_48merge_mergepath_partition_config_static_selectorELNS0_4arch9wavefront6targetE0EEEvSJ_
	.globl	_ZN7rocprim17ROCPRIM_400000_NS6detail17trampoline_kernelINS0_14default_configENS1_38merge_sort_block_merge_config_selectorIiiEEZZNS1_27merge_sort_block_merge_implIS3_N6thrust23THRUST_200600_302600_NS6detail15normal_iteratorINS8_10device_ptrIiEEEESD_jNS1_19radix_merge_compareILb1ELb1EiNS0_19identity_decomposerEEEEE10hipError_tT0_T1_T2_jT3_P12ihipStream_tbPNSt15iterator_traitsISI_E10value_typeEPNSO_ISJ_E10value_typeEPSK_NS1_7vsmem_tEENKUlT_SI_SJ_SK_E_clISD_PiSD_S10_EESH_SX_SI_SJ_SK_EUlSX_E_NS1_11comp_targetILNS1_3genE9ELNS1_11target_archE1100ELNS1_3gpuE3ELNS1_3repE0EEENS1_48merge_mergepath_partition_config_static_selectorELNS0_4arch9wavefront6targetE0EEEvSJ_
	.p2align	8
	.type	_ZN7rocprim17ROCPRIM_400000_NS6detail17trampoline_kernelINS0_14default_configENS1_38merge_sort_block_merge_config_selectorIiiEEZZNS1_27merge_sort_block_merge_implIS3_N6thrust23THRUST_200600_302600_NS6detail15normal_iteratorINS8_10device_ptrIiEEEESD_jNS1_19radix_merge_compareILb1ELb1EiNS0_19identity_decomposerEEEEE10hipError_tT0_T1_T2_jT3_P12ihipStream_tbPNSt15iterator_traitsISI_E10value_typeEPNSO_ISJ_E10value_typeEPSK_NS1_7vsmem_tEENKUlT_SI_SJ_SK_E_clISD_PiSD_S10_EESH_SX_SI_SJ_SK_EUlSX_E_NS1_11comp_targetILNS1_3genE9ELNS1_11target_archE1100ELNS1_3gpuE3ELNS1_3repE0EEENS1_48merge_mergepath_partition_config_static_selectorELNS0_4arch9wavefront6targetE0EEEvSJ_,@function
_ZN7rocprim17ROCPRIM_400000_NS6detail17trampoline_kernelINS0_14default_configENS1_38merge_sort_block_merge_config_selectorIiiEEZZNS1_27merge_sort_block_merge_implIS3_N6thrust23THRUST_200600_302600_NS6detail15normal_iteratorINS8_10device_ptrIiEEEESD_jNS1_19radix_merge_compareILb1ELb1EiNS0_19identity_decomposerEEEEE10hipError_tT0_T1_T2_jT3_P12ihipStream_tbPNSt15iterator_traitsISI_E10value_typeEPNSO_ISJ_E10value_typeEPSK_NS1_7vsmem_tEENKUlT_SI_SJ_SK_E_clISD_PiSD_S10_EESH_SX_SI_SJ_SK_EUlSX_E_NS1_11comp_targetILNS1_3genE9ELNS1_11target_archE1100ELNS1_3gpuE3ELNS1_3repE0EEENS1_48merge_mergepath_partition_config_static_selectorELNS0_4arch9wavefront6targetE0EEEvSJ_: ; @_ZN7rocprim17ROCPRIM_400000_NS6detail17trampoline_kernelINS0_14default_configENS1_38merge_sort_block_merge_config_selectorIiiEEZZNS1_27merge_sort_block_merge_implIS3_N6thrust23THRUST_200600_302600_NS6detail15normal_iteratorINS8_10device_ptrIiEEEESD_jNS1_19radix_merge_compareILb1ELb1EiNS0_19identity_decomposerEEEEE10hipError_tT0_T1_T2_jT3_P12ihipStream_tbPNSt15iterator_traitsISI_E10value_typeEPNSO_ISJ_E10value_typeEPSK_NS1_7vsmem_tEENKUlT_SI_SJ_SK_E_clISD_PiSD_S10_EESH_SX_SI_SJ_SK_EUlSX_E_NS1_11comp_targetILNS1_3genE9ELNS1_11target_archE1100ELNS1_3gpuE3ELNS1_3repE0EEENS1_48merge_mergepath_partition_config_static_selectorELNS0_4arch9wavefront6targetE0EEEvSJ_
; %bb.0:
	.section	.rodata,"a",@progbits
	.p2align	6, 0x0
	.amdhsa_kernel _ZN7rocprim17ROCPRIM_400000_NS6detail17trampoline_kernelINS0_14default_configENS1_38merge_sort_block_merge_config_selectorIiiEEZZNS1_27merge_sort_block_merge_implIS3_N6thrust23THRUST_200600_302600_NS6detail15normal_iteratorINS8_10device_ptrIiEEEESD_jNS1_19radix_merge_compareILb1ELb1EiNS0_19identity_decomposerEEEEE10hipError_tT0_T1_T2_jT3_P12ihipStream_tbPNSt15iterator_traitsISI_E10value_typeEPNSO_ISJ_E10value_typeEPSK_NS1_7vsmem_tEENKUlT_SI_SJ_SK_E_clISD_PiSD_S10_EESH_SX_SI_SJ_SK_EUlSX_E_NS1_11comp_targetILNS1_3genE9ELNS1_11target_archE1100ELNS1_3gpuE3ELNS1_3repE0EEENS1_48merge_mergepath_partition_config_static_selectorELNS0_4arch9wavefront6targetE0EEEvSJ_
		.amdhsa_group_segment_fixed_size 0
		.amdhsa_private_segment_fixed_size 0
		.amdhsa_kernarg_size 40
		.amdhsa_user_sgpr_count 6
		.amdhsa_user_sgpr_private_segment_buffer 1
		.amdhsa_user_sgpr_dispatch_ptr 0
		.amdhsa_user_sgpr_queue_ptr 0
		.amdhsa_user_sgpr_kernarg_segment_ptr 1
		.amdhsa_user_sgpr_dispatch_id 0
		.amdhsa_user_sgpr_flat_scratch_init 0
		.amdhsa_user_sgpr_private_segment_size 0
		.amdhsa_wavefront_size32 1
		.amdhsa_uses_dynamic_stack 0
		.amdhsa_system_sgpr_private_segment_wavefront_offset 0
		.amdhsa_system_sgpr_workgroup_id_x 1
		.amdhsa_system_sgpr_workgroup_id_y 0
		.amdhsa_system_sgpr_workgroup_id_z 0
		.amdhsa_system_sgpr_workgroup_info 0
		.amdhsa_system_vgpr_workitem_id 0
		.amdhsa_next_free_vgpr 1
		.amdhsa_next_free_sgpr 1
		.amdhsa_reserve_vcc 0
		.amdhsa_reserve_flat_scratch 0
		.amdhsa_float_round_mode_32 0
		.amdhsa_float_round_mode_16_64 0
		.amdhsa_float_denorm_mode_32 3
		.amdhsa_float_denorm_mode_16_64 3
		.amdhsa_dx10_clamp 1
		.amdhsa_ieee_mode 1
		.amdhsa_fp16_overflow 0
		.amdhsa_workgroup_processor_mode 1
		.amdhsa_memory_ordered 1
		.amdhsa_forward_progress 1
		.amdhsa_shared_vgpr_count 0
		.amdhsa_exception_fp_ieee_invalid_op 0
		.amdhsa_exception_fp_denorm_src 0
		.amdhsa_exception_fp_ieee_div_zero 0
		.amdhsa_exception_fp_ieee_overflow 0
		.amdhsa_exception_fp_ieee_underflow 0
		.amdhsa_exception_fp_ieee_inexact 0
		.amdhsa_exception_int_div_zero 0
	.end_amdhsa_kernel
	.section	.text._ZN7rocprim17ROCPRIM_400000_NS6detail17trampoline_kernelINS0_14default_configENS1_38merge_sort_block_merge_config_selectorIiiEEZZNS1_27merge_sort_block_merge_implIS3_N6thrust23THRUST_200600_302600_NS6detail15normal_iteratorINS8_10device_ptrIiEEEESD_jNS1_19radix_merge_compareILb1ELb1EiNS0_19identity_decomposerEEEEE10hipError_tT0_T1_T2_jT3_P12ihipStream_tbPNSt15iterator_traitsISI_E10value_typeEPNSO_ISJ_E10value_typeEPSK_NS1_7vsmem_tEENKUlT_SI_SJ_SK_E_clISD_PiSD_S10_EESH_SX_SI_SJ_SK_EUlSX_E_NS1_11comp_targetILNS1_3genE9ELNS1_11target_archE1100ELNS1_3gpuE3ELNS1_3repE0EEENS1_48merge_mergepath_partition_config_static_selectorELNS0_4arch9wavefront6targetE0EEEvSJ_,"axG",@progbits,_ZN7rocprim17ROCPRIM_400000_NS6detail17trampoline_kernelINS0_14default_configENS1_38merge_sort_block_merge_config_selectorIiiEEZZNS1_27merge_sort_block_merge_implIS3_N6thrust23THRUST_200600_302600_NS6detail15normal_iteratorINS8_10device_ptrIiEEEESD_jNS1_19radix_merge_compareILb1ELb1EiNS0_19identity_decomposerEEEEE10hipError_tT0_T1_T2_jT3_P12ihipStream_tbPNSt15iterator_traitsISI_E10value_typeEPNSO_ISJ_E10value_typeEPSK_NS1_7vsmem_tEENKUlT_SI_SJ_SK_E_clISD_PiSD_S10_EESH_SX_SI_SJ_SK_EUlSX_E_NS1_11comp_targetILNS1_3genE9ELNS1_11target_archE1100ELNS1_3gpuE3ELNS1_3repE0EEENS1_48merge_mergepath_partition_config_static_selectorELNS0_4arch9wavefront6targetE0EEEvSJ_,comdat
.Lfunc_end963:
	.size	_ZN7rocprim17ROCPRIM_400000_NS6detail17trampoline_kernelINS0_14default_configENS1_38merge_sort_block_merge_config_selectorIiiEEZZNS1_27merge_sort_block_merge_implIS3_N6thrust23THRUST_200600_302600_NS6detail15normal_iteratorINS8_10device_ptrIiEEEESD_jNS1_19radix_merge_compareILb1ELb1EiNS0_19identity_decomposerEEEEE10hipError_tT0_T1_T2_jT3_P12ihipStream_tbPNSt15iterator_traitsISI_E10value_typeEPNSO_ISJ_E10value_typeEPSK_NS1_7vsmem_tEENKUlT_SI_SJ_SK_E_clISD_PiSD_S10_EESH_SX_SI_SJ_SK_EUlSX_E_NS1_11comp_targetILNS1_3genE9ELNS1_11target_archE1100ELNS1_3gpuE3ELNS1_3repE0EEENS1_48merge_mergepath_partition_config_static_selectorELNS0_4arch9wavefront6targetE0EEEvSJ_, .Lfunc_end963-_ZN7rocprim17ROCPRIM_400000_NS6detail17trampoline_kernelINS0_14default_configENS1_38merge_sort_block_merge_config_selectorIiiEEZZNS1_27merge_sort_block_merge_implIS3_N6thrust23THRUST_200600_302600_NS6detail15normal_iteratorINS8_10device_ptrIiEEEESD_jNS1_19radix_merge_compareILb1ELb1EiNS0_19identity_decomposerEEEEE10hipError_tT0_T1_T2_jT3_P12ihipStream_tbPNSt15iterator_traitsISI_E10value_typeEPNSO_ISJ_E10value_typeEPSK_NS1_7vsmem_tEENKUlT_SI_SJ_SK_E_clISD_PiSD_S10_EESH_SX_SI_SJ_SK_EUlSX_E_NS1_11comp_targetILNS1_3genE9ELNS1_11target_archE1100ELNS1_3gpuE3ELNS1_3repE0EEENS1_48merge_mergepath_partition_config_static_selectorELNS0_4arch9wavefront6targetE0EEEvSJ_
                                        ; -- End function
	.set _ZN7rocprim17ROCPRIM_400000_NS6detail17trampoline_kernelINS0_14default_configENS1_38merge_sort_block_merge_config_selectorIiiEEZZNS1_27merge_sort_block_merge_implIS3_N6thrust23THRUST_200600_302600_NS6detail15normal_iteratorINS8_10device_ptrIiEEEESD_jNS1_19radix_merge_compareILb1ELb1EiNS0_19identity_decomposerEEEEE10hipError_tT0_T1_T2_jT3_P12ihipStream_tbPNSt15iterator_traitsISI_E10value_typeEPNSO_ISJ_E10value_typeEPSK_NS1_7vsmem_tEENKUlT_SI_SJ_SK_E_clISD_PiSD_S10_EESH_SX_SI_SJ_SK_EUlSX_E_NS1_11comp_targetILNS1_3genE9ELNS1_11target_archE1100ELNS1_3gpuE3ELNS1_3repE0EEENS1_48merge_mergepath_partition_config_static_selectorELNS0_4arch9wavefront6targetE0EEEvSJ_.num_vgpr, 0
	.set _ZN7rocprim17ROCPRIM_400000_NS6detail17trampoline_kernelINS0_14default_configENS1_38merge_sort_block_merge_config_selectorIiiEEZZNS1_27merge_sort_block_merge_implIS3_N6thrust23THRUST_200600_302600_NS6detail15normal_iteratorINS8_10device_ptrIiEEEESD_jNS1_19radix_merge_compareILb1ELb1EiNS0_19identity_decomposerEEEEE10hipError_tT0_T1_T2_jT3_P12ihipStream_tbPNSt15iterator_traitsISI_E10value_typeEPNSO_ISJ_E10value_typeEPSK_NS1_7vsmem_tEENKUlT_SI_SJ_SK_E_clISD_PiSD_S10_EESH_SX_SI_SJ_SK_EUlSX_E_NS1_11comp_targetILNS1_3genE9ELNS1_11target_archE1100ELNS1_3gpuE3ELNS1_3repE0EEENS1_48merge_mergepath_partition_config_static_selectorELNS0_4arch9wavefront6targetE0EEEvSJ_.num_agpr, 0
	.set _ZN7rocprim17ROCPRIM_400000_NS6detail17trampoline_kernelINS0_14default_configENS1_38merge_sort_block_merge_config_selectorIiiEEZZNS1_27merge_sort_block_merge_implIS3_N6thrust23THRUST_200600_302600_NS6detail15normal_iteratorINS8_10device_ptrIiEEEESD_jNS1_19radix_merge_compareILb1ELb1EiNS0_19identity_decomposerEEEEE10hipError_tT0_T1_T2_jT3_P12ihipStream_tbPNSt15iterator_traitsISI_E10value_typeEPNSO_ISJ_E10value_typeEPSK_NS1_7vsmem_tEENKUlT_SI_SJ_SK_E_clISD_PiSD_S10_EESH_SX_SI_SJ_SK_EUlSX_E_NS1_11comp_targetILNS1_3genE9ELNS1_11target_archE1100ELNS1_3gpuE3ELNS1_3repE0EEENS1_48merge_mergepath_partition_config_static_selectorELNS0_4arch9wavefront6targetE0EEEvSJ_.numbered_sgpr, 0
	.set _ZN7rocprim17ROCPRIM_400000_NS6detail17trampoline_kernelINS0_14default_configENS1_38merge_sort_block_merge_config_selectorIiiEEZZNS1_27merge_sort_block_merge_implIS3_N6thrust23THRUST_200600_302600_NS6detail15normal_iteratorINS8_10device_ptrIiEEEESD_jNS1_19radix_merge_compareILb1ELb1EiNS0_19identity_decomposerEEEEE10hipError_tT0_T1_T2_jT3_P12ihipStream_tbPNSt15iterator_traitsISI_E10value_typeEPNSO_ISJ_E10value_typeEPSK_NS1_7vsmem_tEENKUlT_SI_SJ_SK_E_clISD_PiSD_S10_EESH_SX_SI_SJ_SK_EUlSX_E_NS1_11comp_targetILNS1_3genE9ELNS1_11target_archE1100ELNS1_3gpuE3ELNS1_3repE0EEENS1_48merge_mergepath_partition_config_static_selectorELNS0_4arch9wavefront6targetE0EEEvSJ_.num_named_barrier, 0
	.set _ZN7rocprim17ROCPRIM_400000_NS6detail17trampoline_kernelINS0_14default_configENS1_38merge_sort_block_merge_config_selectorIiiEEZZNS1_27merge_sort_block_merge_implIS3_N6thrust23THRUST_200600_302600_NS6detail15normal_iteratorINS8_10device_ptrIiEEEESD_jNS1_19radix_merge_compareILb1ELb1EiNS0_19identity_decomposerEEEEE10hipError_tT0_T1_T2_jT3_P12ihipStream_tbPNSt15iterator_traitsISI_E10value_typeEPNSO_ISJ_E10value_typeEPSK_NS1_7vsmem_tEENKUlT_SI_SJ_SK_E_clISD_PiSD_S10_EESH_SX_SI_SJ_SK_EUlSX_E_NS1_11comp_targetILNS1_3genE9ELNS1_11target_archE1100ELNS1_3gpuE3ELNS1_3repE0EEENS1_48merge_mergepath_partition_config_static_selectorELNS0_4arch9wavefront6targetE0EEEvSJ_.private_seg_size, 0
	.set _ZN7rocprim17ROCPRIM_400000_NS6detail17trampoline_kernelINS0_14default_configENS1_38merge_sort_block_merge_config_selectorIiiEEZZNS1_27merge_sort_block_merge_implIS3_N6thrust23THRUST_200600_302600_NS6detail15normal_iteratorINS8_10device_ptrIiEEEESD_jNS1_19radix_merge_compareILb1ELb1EiNS0_19identity_decomposerEEEEE10hipError_tT0_T1_T2_jT3_P12ihipStream_tbPNSt15iterator_traitsISI_E10value_typeEPNSO_ISJ_E10value_typeEPSK_NS1_7vsmem_tEENKUlT_SI_SJ_SK_E_clISD_PiSD_S10_EESH_SX_SI_SJ_SK_EUlSX_E_NS1_11comp_targetILNS1_3genE9ELNS1_11target_archE1100ELNS1_3gpuE3ELNS1_3repE0EEENS1_48merge_mergepath_partition_config_static_selectorELNS0_4arch9wavefront6targetE0EEEvSJ_.uses_vcc, 0
	.set _ZN7rocprim17ROCPRIM_400000_NS6detail17trampoline_kernelINS0_14default_configENS1_38merge_sort_block_merge_config_selectorIiiEEZZNS1_27merge_sort_block_merge_implIS3_N6thrust23THRUST_200600_302600_NS6detail15normal_iteratorINS8_10device_ptrIiEEEESD_jNS1_19radix_merge_compareILb1ELb1EiNS0_19identity_decomposerEEEEE10hipError_tT0_T1_T2_jT3_P12ihipStream_tbPNSt15iterator_traitsISI_E10value_typeEPNSO_ISJ_E10value_typeEPSK_NS1_7vsmem_tEENKUlT_SI_SJ_SK_E_clISD_PiSD_S10_EESH_SX_SI_SJ_SK_EUlSX_E_NS1_11comp_targetILNS1_3genE9ELNS1_11target_archE1100ELNS1_3gpuE3ELNS1_3repE0EEENS1_48merge_mergepath_partition_config_static_selectorELNS0_4arch9wavefront6targetE0EEEvSJ_.uses_flat_scratch, 0
	.set _ZN7rocprim17ROCPRIM_400000_NS6detail17trampoline_kernelINS0_14default_configENS1_38merge_sort_block_merge_config_selectorIiiEEZZNS1_27merge_sort_block_merge_implIS3_N6thrust23THRUST_200600_302600_NS6detail15normal_iteratorINS8_10device_ptrIiEEEESD_jNS1_19radix_merge_compareILb1ELb1EiNS0_19identity_decomposerEEEEE10hipError_tT0_T1_T2_jT3_P12ihipStream_tbPNSt15iterator_traitsISI_E10value_typeEPNSO_ISJ_E10value_typeEPSK_NS1_7vsmem_tEENKUlT_SI_SJ_SK_E_clISD_PiSD_S10_EESH_SX_SI_SJ_SK_EUlSX_E_NS1_11comp_targetILNS1_3genE9ELNS1_11target_archE1100ELNS1_3gpuE3ELNS1_3repE0EEENS1_48merge_mergepath_partition_config_static_selectorELNS0_4arch9wavefront6targetE0EEEvSJ_.has_dyn_sized_stack, 0
	.set _ZN7rocprim17ROCPRIM_400000_NS6detail17trampoline_kernelINS0_14default_configENS1_38merge_sort_block_merge_config_selectorIiiEEZZNS1_27merge_sort_block_merge_implIS3_N6thrust23THRUST_200600_302600_NS6detail15normal_iteratorINS8_10device_ptrIiEEEESD_jNS1_19radix_merge_compareILb1ELb1EiNS0_19identity_decomposerEEEEE10hipError_tT0_T1_T2_jT3_P12ihipStream_tbPNSt15iterator_traitsISI_E10value_typeEPNSO_ISJ_E10value_typeEPSK_NS1_7vsmem_tEENKUlT_SI_SJ_SK_E_clISD_PiSD_S10_EESH_SX_SI_SJ_SK_EUlSX_E_NS1_11comp_targetILNS1_3genE9ELNS1_11target_archE1100ELNS1_3gpuE3ELNS1_3repE0EEENS1_48merge_mergepath_partition_config_static_selectorELNS0_4arch9wavefront6targetE0EEEvSJ_.has_recursion, 0
	.set _ZN7rocprim17ROCPRIM_400000_NS6detail17trampoline_kernelINS0_14default_configENS1_38merge_sort_block_merge_config_selectorIiiEEZZNS1_27merge_sort_block_merge_implIS3_N6thrust23THRUST_200600_302600_NS6detail15normal_iteratorINS8_10device_ptrIiEEEESD_jNS1_19radix_merge_compareILb1ELb1EiNS0_19identity_decomposerEEEEE10hipError_tT0_T1_T2_jT3_P12ihipStream_tbPNSt15iterator_traitsISI_E10value_typeEPNSO_ISJ_E10value_typeEPSK_NS1_7vsmem_tEENKUlT_SI_SJ_SK_E_clISD_PiSD_S10_EESH_SX_SI_SJ_SK_EUlSX_E_NS1_11comp_targetILNS1_3genE9ELNS1_11target_archE1100ELNS1_3gpuE3ELNS1_3repE0EEENS1_48merge_mergepath_partition_config_static_selectorELNS0_4arch9wavefront6targetE0EEEvSJ_.has_indirect_call, 0
	.section	.AMDGPU.csdata,"",@progbits
; Kernel info:
; codeLenInByte = 0
; TotalNumSgprs: 0
; NumVgprs: 0
; ScratchSize: 0
; MemoryBound: 0
; FloatMode: 240
; IeeeMode: 1
; LDSByteSize: 0 bytes/workgroup (compile time only)
; SGPRBlocks: 0
; VGPRBlocks: 0
; NumSGPRsForWavesPerEU: 1
; NumVGPRsForWavesPerEU: 1
; Occupancy: 16
; WaveLimiterHint : 0
; COMPUTE_PGM_RSRC2:SCRATCH_EN: 0
; COMPUTE_PGM_RSRC2:USER_SGPR: 6
; COMPUTE_PGM_RSRC2:TRAP_HANDLER: 0
; COMPUTE_PGM_RSRC2:TGID_X_EN: 1
; COMPUTE_PGM_RSRC2:TGID_Y_EN: 0
; COMPUTE_PGM_RSRC2:TGID_Z_EN: 0
; COMPUTE_PGM_RSRC2:TIDIG_COMP_CNT: 0
	.section	.text._ZN7rocprim17ROCPRIM_400000_NS6detail17trampoline_kernelINS0_14default_configENS1_38merge_sort_block_merge_config_selectorIiiEEZZNS1_27merge_sort_block_merge_implIS3_N6thrust23THRUST_200600_302600_NS6detail15normal_iteratorINS8_10device_ptrIiEEEESD_jNS1_19radix_merge_compareILb1ELb1EiNS0_19identity_decomposerEEEEE10hipError_tT0_T1_T2_jT3_P12ihipStream_tbPNSt15iterator_traitsISI_E10value_typeEPNSO_ISJ_E10value_typeEPSK_NS1_7vsmem_tEENKUlT_SI_SJ_SK_E_clISD_PiSD_S10_EESH_SX_SI_SJ_SK_EUlSX_E_NS1_11comp_targetILNS1_3genE8ELNS1_11target_archE1030ELNS1_3gpuE2ELNS1_3repE0EEENS1_48merge_mergepath_partition_config_static_selectorELNS0_4arch9wavefront6targetE0EEEvSJ_,"axG",@progbits,_ZN7rocprim17ROCPRIM_400000_NS6detail17trampoline_kernelINS0_14default_configENS1_38merge_sort_block_merge_config_selectorIiiEEZZNS1_27merge_sort_block_merge_implIS3_N6thrust23THRUST_200600_302600_NS6detail15normal_iteratorINS8_10device_ptrIiEEEESD_jNS1_19radix_merge_compareILb1ELb1EiNS0_19identity_decomposerEEEEE10hipError_tT0_T1_T2_jT3_P12ihipStream_tbPNSt15iterator_traitsISI_E10value_typeEPNSO_ISJ_E10value_typeEPSK_NS1_7vsmem_tEENKUlT_SI_SJ_SK_E_clISD_PiSD_S10_EESH_SX_SI_SJ_SK_EUlSX_E_NS1_11comp_targetILNS1_3genE8ELNS1_11target_archE1030ELNS1_3gpuE2ELNS1_3repE0EEENS1_48merge_mergepath_partition_config_static_selectorELNS0_4arch9wavefront6targetE0EEEvSJ_,comdat
	.protected	_ZN7rocprim17ROCPRIM_400000_NS6detail17trampoline_kernelINS0_14default_configENS1_38merge_sort_block_merge_config_selectorIiiEEZZNS1_27merge_sort_block_merge_implIS3_N6thrust23THRUST_200600_302600_NS6detail15normal_iteratorINS8_10device_ptrIiEEEESD_jNS1_19radix_merge_compareILb1ELb1EiNS0_19identity_decomposerEEEEE10hipError_tT0_T1_T2_jT3_P12ihipStream_tbPNSt15iterator_traitsISI_E10value_typeEPNSO_ISJ_E10value_typeEPSK_NS1_7vsmem_tEENKUlT_SI_SJ_SK_E_clISD_PiSD_S10_EESH_SX_SI_SJ_SK_EUlSX_E_NS1_11comp_targetILNS1_3genE8ELNS1_11target_archE1030ELNS1_3gpuE2ELNS1_3repE0EEENS1_48merge_mergepath_partition_config_static_selectorELNS0_4arch9wavefront6targetE0EEEvSJ_ ; -- Begin function _ZN7rocprim17ROCPRIM_400000_NS6detail17trampoline_kernelINS0_14default_configENS1_38merge_sort_block_merge_config_selectorIiiEEZZNS1_27merge_sort_block_merge_implIS3_N6thrust23THRUST_200600_302600_NS6detail15normal_iteratorINS8_10device_ptrIiEEEESD_jNS1_19radix_merge_compareILb1ELb1EiNS0_19identity_decomposerEEEEE10hipError_tT0_T1_T2_jT3_P12ihipStream_tbPNSt15iterator_traitsISI_E10value_typeEPNSO_ISJ_E10value_typeEPSK_NS1_7vsmem_tEENKUlT_SI_SJ_SK_E_clISD_PiSD_S10_EESH_SX_SI_SJ_SK_EUlSX_E_NS1_11comp_targetILNS1_3genE8ELNS1_11target_archE1030ELNS1_3gpuE2ELNS1_3repE0EEENS1_48merge_mergepath_partition_config_static_selectorELNS0_4arch9wavefront6targetE0EEEvSJ_
	.globl	_ZN7rocprim17ROCPRIM_400000_NS6detail17trampoline_kernelINS0_14default_configENS1_38merge_sort_block_merge_config_selectorIiiEEZZNS1_27merge_sort_block_merge_implIS3_N6thrust23THRUST_200600_302600_NS6detail15normal_iteratorINS8_10device_ptrIiEEEESD_jNS1_19radix_merge_compareILb1ELb1EiNS0_19identity_decomposerEEEEE10hipError_tT0_T1_T2_jT3_P12ihipStream_tbPNSt15iterator_traitsISI_E10value_typeEPNSO_ISJ_E10value_typeEPSK_NS1_7vsmem_tEENKUlT_SI_SJ_SK_E_clISD_PiSD_S10_EESH_SX_SI_SJ_SK_EUlSX_E_NS1_11comp_targetILNS1_3genE8ELNS1_11target_archE1030ELNS1_3gpuE2ELNS1_3repE0EEENS1_48merge_mergepath_partition_config_static_selectorELNS0_4arch9wavefront6targetE0EEEvSJ_
	.p2align	8
	.type	_ZN7rocprim17ROCPRIM_400000_NS6detail17trampoline_kernelINS0_14default_configENS1_38merge_sort_block_merge_config_selectorIiiEEZZNS1_27merge_sort_block_merge_implIS3_N6thrust23THRUST_200600_302600_NS6detail15normal_iteratorINS8_10device_ptrIiEEEESD_jNS1_19radix_merge_compareILb1ELb1EiNS0_19identity_decomposerEEEEE10hipError_tT0_T1_T2_jT3_P12ihipStream_tbPNSt15iterator_traitsISI_E10value_typeEPNSO_ISJ_E10value_typeEPSK_NS1_7vsmem_tEENKUlT_SI_SJ_SK_E_clISD_PiSD_S10_EESH_SX_SI_SJ_SK_EUlSX_E_NS1_11comp_targetILNS1_3genE8ELNS1_11target_archE1030ELNS1_3gpuE2ELNS1_3repE0EEENS1_48merge_mergepath_partition_config_static_selectorELNS0_4arch9wavefront6targetE0EEEvSJ_,@function
_ZN7rocprim17ROCPRIM_400000_NS6detail17trampoline_kernelINS0_14default_configENS1_38merge_sort_block_merge_config_selectorIiiEEZZNS1_27merge_sort_block_merge_implIS3_N6thrust23THRUST_200600_302600_NS6detail15normal_iteratorINS8_10device_ptrIiEEEESD_jNS1_19radix_merge_compareILb1ELb1EiNS0_19identity_decomposerEEEEE10hipError_tT0_T1_T2_jT3_P12ihipStream_tbPNSt15iterator_traitsISI_E10value_typeEPNSO_ISJ_E10value_typeEPSK_NS1_7vsmem_tEENKUlT_SI_SJ_SK_E_clISD_PiSD_S10_EESH_SX_SI_SJ_SK_EUlSX_E_NS1_11comp_targetILNS1_3genE8ELNS1_11target_archE1030ELNS1_3gpuE2ELNS1_3repE0EEENS1_48merge_mergepath_partition_config_static_selectorELNS0_4arch9wavefront6targetE0EEEvSJ_: ; @_ZN7rocprim17ROCPRIM_400000_NS6detail17trampoline_kernelINS0_14default_configENS1_38merge_sort_block_merge_config_selectorIiiEEZZNS1_27merge_sort_block_merge_implIS3_N6thrust23THRUST_200600_302600_NS6detail15normal_iteratorINS8_10device_ptrIiEEEESD_jNS1_19radix_merge_compareILb1ELb1EiNS0_19identity_decomposerEEEEE10hipError_tT0_T1_T2_jT3_P12ihipStream_tbPNSt15iterator_traitsISI_E10value_typeEPNSO_ISJ_E10value_typeEPSK_NS1_7vsmem_tEENKUlT_SI_SJ_SK_E_clISD_PiSD_S10_EESH_SX_SI_SJ_SK_EUlSX_E_NS1_11comp_targetILNS1_3genE8ELNS1_11target_archE1030ELNS1_3gpuE2ELNS1_3repE0EEENS1_48merge_mergepath_partition_config_static_selectorELNS0_4arch9wavefront6targetE0EEEvSJ_
; %bb.0:
	s_load_dword s0, s[4:5], 0x0
	v_lshl_or_b32 v0, s6, 7, v0
	s_waitcnt lgkmcnt(0)
	v_cmp_gt_u32_e32 vcc_lo, s0, v0
	s_and_saveexec_b32 s0, vcc_lo
	s_cbranch_execz .LBB964_6
; %bb.1:
	s_load_dwordx2 s[0:1], s[4:5], 0x4
	s_waitcnt lgkmcnt(0)
	s_lshr_b32 s2, s0, 9
	s_and_b32 s2, s2, 0x7ffffe
	s_sub_i32 s3, 0, s2
	s_add_i32 s2, s2, -1
	v_and_b32_e32 v1, s3, v0
	v_and_b32_e32 v5, s2, v0
	s_mov_b32 s3, 0
	s_mov_b32 s2, exec_lo
	v_lshlrev_b32_e32 v1, 10, v1
	v_add_nc_u32_e32 v2, s0, v1
	v_min_u32_e32 v4, s1, v2
	v_min_u32_e32 v2, s1, v1
	v_add_nc_u32_e32 v3, s0, v4
	v_min_u32_e32 v1, s1, v3
	s_load_dwordx2 s[0:1], s[4:5], 0x20
	v_lshlrev_b32_e32 v3, 10, v5
	v_sub_nc_u32_e32 v5, v1, v2
	v_sub_nc_u32_e32 v6, v1, v4
	v_min_u32_e32 v1, v5, v3
	v_sub_nc_u32_e32 v3, v4, v2
	v_sub_nc_u32_e64 v6, v1, v6 clamp
	v_min_u32_e32 v7, v1, v3
	v_cmpx_lt_u32_e64 v6, v7
	s_cbranch_execz .LBB964_5
; %bb.2:
	s_load_dwordx2 s[6:7], s[4:5], 0x10
	v_mov_b32_e32 v5, 0
	s_load_dword s4, s[4:5], 0x18
	v_mov_b32_e32 v3, v5
	v_lshlrev_b64 v[10:11], 2, v[4:5]
	v_lshlrev_b64 v[8:9], 2, v[2:3]
	s_waitcnt lgkmcnt(0)
	v_add_co_u32 v3, vcc_lo, s6, v8
	v_add_co_ci_u32_e64 v8, null, s7, v9, vcc_lo
	v_add_co_u32 v9, vcc_lo, s6, v10
	v_add_co_ci_u32_e64 v10, null, s7, v11, vcc_lo
	.p2align	6
.LBB964_3:                              ; =>This Inner Loop Header: Depth=1
	v_add_nc_u32_e32 v4, v7, v6
	v_mov_b32_e32 v12, v5
	v_lshrrev_b32_e32 v4, 1, v4
	v_xad_u32 v11, v4, -1, v1
	v_lshlrev_b64 v[13:14], 2, v[4:5]
	v_lshlrev_b64 v[11:12], 2, v[11:12]
	v_add_co_u32 v13, vcc_lo, v3, v13
	v_add_co_ci_u32_e64 v14, null, v8, v14, vcc_lo
	v_add_co_u32 v11, vcc_lo, v9, v11
	v_add_co_ci_u32_e64 v12, null, v10, v12, vcc_lo
	s_clause 0x1
	flat_load_dword v13, v[13:14]
	flat_load_dword v11, v[11:12]
	s_waitcnt vmcnt(1) lgkmcnt(1)
	v_and_b32_e32 v12, s4, v13
	s_waitcnt vmcnt(0) lgkmcnt(0)
	v_and_b32_e32 v11, s4, v11
	v_add_nc_u32_e32 v13, 1, v4
	v_cmp_gt_i32_e32 vcc_lo, v11, v12
	v_cndmask_b32_e32 v7, v7, v4, vcc_lo
	v_cndmask_b32_e32 v6, v13, v6, vcc_lo
	v_cmp_ge_u32_e32 vcc_lo, v6, v7
	s_or_b32 s3, vcc_lo, s3
	s_andn2_b32 exec_lo, exec_lo, s3
	s_cbranch_execnz .LBB964_3
; %bb.4:
	s_or_b32 exec_lo, exec_lo, s3
.LBB964_5:
	s_or_b32 exec_lo, exec_lo, s2
	v_mov_b32_e32 v1, 0
	v_add_nc_u32_e32 v2, v6, v2
	v_lshlrev_b64 v[0:1], 2, v[0:1]
	s_waitcnt lgkmcnt(0)
	v_add_co_u32 v0, vcc_lo, s0, v0
	v_add_co_ci_u32_e64 v1, null, s1, v1, vcc_lo
	global_store_dword v[0:1], v2, off
.LBB964_6:
	s_endpgm
	.section	.rodata,"a",@progbits
	.p2align	6, 0x0
	.amdhsa_kernel _ZN7rocprim17ROCPRIM_400000_NS6detail17trampoline_kernelINS0_14default_configENS1_38merge_sort_block_merge_config_selectorIiiEEZZNS1_27merge_sort_block_merge_implIS3_N6thrust23THRUST_200600_302600_NS6detail15normal_iteratorINS8_10device_ptrIiEEEESD_jNS1_19radix_merge_compareILb1ELb1EiNS0_19identity_decomposerEEEEE10hipError_tT0_T1_T2_jT3_P12ihipStream_tbPNSt15iterator_traitsISI_E10value_typeEPNSO_ISJ_E10value_typeEPSK_NS1_7vsmem_tEENKUlT_SI_SJ_SK_E_clISD_PiSD_S10_EESH_SX_SI_SJ_SK_EUlSX_E_NS1_11comp_targetILNS1_3genE8ELNS1_11target_archE1030ELNS1_3gpuE2ELNS1_3repE0EEENS1_48merge_mergepath_partition_config_static_selectorELNS0_4arch9wavefront6targetE0EEEvSJ_
		.amdhsa_group_segment_fixed_size 0
		.amdhsa_private_segment_fixed_size 0
		.amdhsa_kernarg_size 40
		.amdhsa_user_sgpr_count 6
		.amdhsa_user_sgpr_private_segment_buffer 1
		.amdhsa_user_sgpr_dispatch_ptr 0
		.amdhsa_user_sgpr_queue_ptr 0
		.amdhsa_user_sgpr_kernarg_segment_ptr 1
		.amdhsa_user_sgpr_dispatch_id 0
		.amdhsa_user_sgpr_flat_scratch_init 0
		.amdhsa_user_sgpr_private_segment_size 0
		.amdhsa_wavefront_size32 1
		.amdhsa_uses_dynamic_stack 0
		.amdhsa_system_sgpr_private_segment_wavefront_offset 0
		.amdhsa_system_sgpr_workgroup_id_x 1
		.amdhsa_system_sgpr_workgroup_id_y 0
		.amdhsa_system_sgpr_workgroup_id_z 0
		.amdhsa_system_sgpr_workgroup_info 0
		.amdhsa_system_vgpr_workitem_id 0
		.amdhsa_next_free_vgpr 15
		.amdhsa_next_free_sgpr 8
		.amdhsa_reserve_vcc 1
		.amdhsa_reserve_flat_scratch 1
		.amdhsa_float_round_mode_32 0
		.amdhsa_float_round_mode_16_64 0
		.amdhsa_float_denorm_mode_32 3
		.amdhsa_float_denorm_mode_16_64 3
		.amdhsa_dx10_clamp 1
		.amdhsa_ieee_mode 1
		.amdhsa_fp16_overflow 0
		.amdhsa_workgroup_processor_mode 1
		.amdhsa_memory_ordered 1
		.amdhsa_forward_progress 1
		.amdhsa_shared_vgpr_count 0
		.amdhsa_exception_fp_ieee_invalid_op 0
		.amdhsa_exception_fp_denorm_src 0
		.amdhsa_exception_fp_ieee_div_zero 0
		.amdhsa_exception_fp_ieee_overflow 0
		.amdhsa_exception_fp_ieee_underflow 0
		.amdhsa_exception_fp_ieee_inexact 0
		.amdhsa_exception_int_div_zero 0
	.end_amdhsa_kernel
	.section	.text._ZN7rocprim17ROCPRIM_400000_NS6detail17trampoline_kernelINS0_14default_configENS1_38merge_sort_block_merge_config_selectorIiiEEZZNS1_27merge_sort_block_merge_implIS3_N6thrust23THRUST_200600_302600_NS6detail15normal_iteratorINS8_10device_ptrIiEEEESD_jNS1_19radix_merge_compareILb1ELb1EiNS0_19identity_decomposerEEEEE10hipError_tT0_T1_T2_jT3_P12ihipStream_tbPNSt15iterator_traitsISI_E10value_typeEPNSO_ISJ_E10value_typeEPSK_NS1_7vsmem_tEENKUlT_SI_SJ_SK_E_clISD_PiSD_S10_EESH_SX_SI_SJ_SK_EUlSX_E_NS1_11comp_targetILNS1_3genE8ELNS1_11target_archE1030ELNS1_3gpuE2ELNS1_3repE0EEENS1_48merge_mergepath_partition_config_static_selectorELNS0_4arch9wavefront6targetE0EEEvSJ_,"axG",@progbits,_ZN7rocprim17ROCPRIM_400000_NS6detail17trampoline_kernelINS0_14default_configENS1_38merge_sort_block_merge_config_selectorIiiEEZZNS1_27merge_sort_block_merge_implIS3_N6thrust23THRUST_200600_302600_NS6detail15normal_iteratorINS8_10device_ptrIiEEEESD_jNS1_19radix_merge_compareILb1ELb1EiNS0_19identity_decomposerEEEEE10hipError_tT0_T1_T2_jT3_P12ihipStream_tbPNSt15iterator_traitsISI_E10value_typeEPNSO_ISJ_E10value_typeEPSK_NS1_7vsmem_tEENKUlT_SI_SJ_SK_E_clISD_PiSD_S10_EESH_SX_SI_SJ_SK_EUlSX_E_NS1_11comp_targetILNS1_3genE8ELNS1_11target_archE1030ELNS1_3gpuE2ELNS1_3repE0EEENS1_48merge_mergepath_partition_config_static_selectorELNS0_4arch9wavefront6targetE0EEEvSJ_,comdat
.Lfunc_end964:
	.size	_ZN7rocprim17ROCPRIM_400000_NS6detail17trampoline_kernelINS0_14default_configENS1_38merge_sort_block_merge_config_selectorIiiEEZZNS1_27merge_sort_block_merge_implIS3_N6thrust23THRUST_200600_302600_NS6detail15normal_iteratorINS8_10device_ptrIiEEEESD_jNS1_19radix_merge_compareILb1ELb1EiNS0_19identity_decomposerEEEEE10hipError_tT0_T1_T2_jT3_P12ihipStream_tbPNSt15iterator_traitsISI_E10value_typeEPNSO_ISJ_E10value_typeEPSK_NS1_7vsmem_tEENKUlT_SI_SJ_SK_E_clISD_PiSD_S10_EESH_SX_SI_SJ_SK_EUlSX_E_NS1_11comp_targetILNS1_3genE8ELNS1_11target_archE1030ELNS1_3gpuE2ELNS1_3repE0EEENS1_48merge_mergepath_partition_config_static_selectorELNS0_4arch9wavefront6targetE0EEEvSJ_, .Lfunc_end964-_ZN7rocprim17ROCPRIM_400000_NS6detail17trampoline_kernelINS0_14default_configENS1_38merge_sort_block_merge_config_selectorIiiEEZZNS1_27merge_sort_block_merge_implIS3_N6thrust23THRUST_200600_302600_NS6detail15normal_iteratorINS8_10device_ptrIiEEEESD_jNS1_19radix_merge_compareILb1ELb1EiNS0_19identity_decomposerEEEEE10hipError_tT0_T1_T2_jT3_P12ihipStream_tbPNSt15iterator_traitsISI_E10value_typeEPNSO_ISJ_E10value_typeEPSK_NS1_7vsmem_tEENKUlT_SI_SJ_SK_E_clISD_PiSD_S10_EESH_SX_SI_SJ_SK_EUlSX_E_NS1_11comp_targetILNS1_3genE8ELNS1_11target_archE1030ELNS1_3gpuE2ELNS1_3repE0EEENS1_48merge_mergepath_partition_config_static_selectorELNS0_4arch9wavefront6targetE0EEEvSJ_
                                        ; -- End function
	.set _ZN7rocprim17ROCPRIM_400000_NS6detail17trampoline_kernelINS0_14default_configENS1_38merge_sort_block_merge_config_selectorIiiEEZZNS1_27merge_sort_block_merge_implIS3_N6thrust23THRUST_200600_302600_NS6detail15normal_iteratorINS8_10device_ptrIiEEEESD_jNS1_19radix_merge_compareILb1ELb1EiNS0_19identity_decomposerEEEEE10hipError_tT0_T1_T2_jT3_P12ihipStream_tbPNSt15iterator_traitsISI_E10value_typeEPNSO_ISJ_E10value_typeEPSK_NS1_7vsmem_tEENKUlT_SI_SJ_SK_E_clISD_PiSD_S10_EESH_SX_SI_SJ_SK_EUlSX_E_NS1_11comp_targetILNS1_3genE8ELNS1_11target_archE1030ELNS1_3gpuE2ELNS1_3repE0EEENS1_48merge_mergepath_partition_config_static_selectorELNS0_4arch9wavefront6targetE0EEEvSJ_.num_vgpr, 15
	.set _ZN7rocprim17ROCPRIM_400000_NS6detail17trampoline_kernelINS0_14default_configENS1_38merge_sort_block_merge_config_selectorIiiEEZZNS1_27merge_sort_block_merge_implIS3_N6thrust23THRUST_200600_302600_NS6detail15normal_iteratorINS8_10device_ptrIiEEEESD_jNS1_19radix_merge_compareILb1ELb1EiNS0_19identity_decomposerEEEEE10hipError_tT0_T1_T2_jT3_P12ihipStream_tbPNSt15iterator_traitsISI_E10value_typeEPNSO_ISJ_E10value_typeEPSK_NS1_7vsmem_tEENKUlT_SI_SJ_SK_E_clISD_PiSD_S10_EESH_SX_SI_SJ_SK_EUlSX_E_NS1_11comp_targetILNS1_3genE8ELNS1_11target_archE1030ELNS1_3gpuE2ELNS1_3repE0EEENS1_48merge_mergepath_partition_config_static_selectorELNS0_4arch9wavefront6targetE0EEEvSJ_.num_agpr, 0
	.set _ZN7rocprim17ROCPRIM_400000_NS6detail17trampoline_kernelINS0_14default_configENS1_38merge_sort_block_merge_config_selectorIiiEEZZNS1_27merge_sort_block_merge_implIS3_N6thrust23THRUST_200600_302600_NS6detail15normal_iteratorINS8_10device_ptrIiEEEESD_jNS1_19radix_merge_compareILb1ELb1EiNS0_19identity_decomposerEEEEE10hipError_tT0_T1_T2_jT3_P12ihipStream_tbPNSt15iterator_traitsISI_E10value_typeEPNSO_ISJ_E10value_typeEPSK_NS1_7vsmem_tEENKUlT_SI_SJ_SK_E_clISD_PiSD_S10_EESH_SX_SI_SJ_SK_EUlSX_E_NS1_11comp_targetILNS1_3genE8ELNS1_11target_archE1030ELNS1_3gpuE2ELNS1_3repE0EEENS1_48merge_mergepath_partition_config_static_selectorELNS0_4arch9wavefront6targetE0EEEvSJ_.numbered_sgpr, 8
	.set _ZN7rocprim17ROCPRIM_400000_NS6detail17trampoline_kernelINS0_14default_configENS1_38merge_sort_block_merge_config_selectorIiiEEZZNS1_27merge_sort_block_merge_implIS3_N6thrust23THRUST_200600_302600_NS6detail15normal_iteratorINS8_10device_ptrIiEEEESD_jNS1_19radix_merge_compareILb1ELb1EiNS0_19identity_decomposerEEEEE10hipError_tT0_T1_T2_jT3_P12ihipStream_tbPNSt15iterator_traitsISI_E10value_typeEPNSO_ISJ_E10value_typeEPSK_NS1_7vsmem_tEENKUlT_SI_SJ_SK_E_clISD_PiSD_S10_EESH_SX_SI_SJ_SK_EUlSX_E_NS1_11comp_targetILNS1_3genE8ELNS1_11target_archE1030ELNS1_3gpuE2ELNS1_3repE0EEENS1_48merge_mergepath_partition_config_static_selectorELNS0_4arch9wavefront6targetE0EEEvSJ_.num_named_barrier, 0
	.set _ZN7rocprim17ROCPRIM_400000_NS6detail17trampoline_kernelINS0_14default_configENS1_38merge_sort_block_merge_config_selectorIiiEEZZNS1_27merge_sort_block_merge_implIS3_N6thrust23THRUST_200600_302600_NS6detail15normal_iteratorINS8_10device_ptrIiEEEESD_jNS1_19radix_merge_compareILb1ELb1EiNS0_19identity_decomposerEEEEE10hipError_tT0_T1_T2_jT3_P12ihipStream_tbPNSt15iterator_traitsISI_E10value_typeEPNSO_ISJ_E10value_typeEPSK_NS1_7vsmem_tEENKUlT_SI_SJ_SK_E_clISD_PiSD_S10_EESH_SX_SI_SJ_SK_EUlSX_E_NS1_11comp_targetILNS1_3genE8ELNS1_11target_archE1030ELNS1_3gpuE2ELNS1_3repE0EEENS1_48merge_mergepath_partition_config_static_selectorELNS0_4arch9wavefront6targetE0EEEvSJ_.private_seg_size, 0
	.set _ZN7rocprim17ROCPRIM_400000_NS6detail17trampoline_kernelINS0_14default_configENS1_38merge_sort_block_merge_config_selectorIiiEEZZNS1_27merge_sort_block_merge_implIS3_N6thrust23THRUST_200600_302600_NS6detail15normal_iteratorINS8_10device_ptrIiEEEESD_jNS1_19radix_merge_compareILb1ELb1EiNS0_19identity_decomposerEEEEE10hipError_tT0_T1_T2_jT3_P12ihipStream_tbPNSt15iterator_traitsISI_E10value_typeEPNSO_ISJ_E10value_typeEPSK_NS1_7vsmem_tEENKUlT_SI_SJ_SK_E_clISD_PiSD_S10_EESH_SX_SI_SJ_SK_EUlSX_E_NS1_11comp_targetILNS1_3genE8ELNS1_11target_archE1030ELNS1_3gpuE2ELNS1_3repE0EEENS1_48merge_mergepath_partition_config_static_selectorELNS0_4arch9wavefront6targetE0EEEvSJ_.uses_vcc, 1
	.set _ZN7rocprim17ROCPRIM_400000_NS6detail17trampoline_kernelINS0_14default_configENS1_38merge_sort_block_merge_config_selectorIiiEEZZNS1_27merge_sort_block_merge_implIS3_N6thrust23THRUST_200600_302600_NS6detail15normal_iteratorINS8_10device_ptrIiEEEESD_jNS1_19radix_merge_compareILb1ELb1EiNS0_19identity_decomposerEEEEE10hipError_tT0_T1_T2_jT3_P12ihipStream_tbPNSt15iterator_traitsISI_E10value_typeEPNSO_ISJ_E10value_typeEPSK_NS1_7vsmem_tEENKUlT_SI_SJ_SK_E_clISD_PiSD_S10_EESH_SX_SI_SJ_SK_EUlSX_E_NS1_11comp_targetILNS1_3genE8ELNS1_11target_archE1030ELNS1_3gpuE2ELNS1_3repE0EEENS1_48merge_mergepath_partition_config_static_selectorELNS0_4arch9wavefront6targetE0EEEvSJ_.uses_flat_scratch, 1
	.set _ZN7rocprim17ROCPRIM_400000_NS6detail17trampoline_kernelINS0_14default_configENS1_38merge_sort_block_merge_config_selectorIiiEEZZNS1_27merge_sort_block_merge_implIS3_N6thrust23THRUST_200600_302600_NS6detail15normal_iteratorINS8_10device_ptrIiEEEESD_jNS1_19radix_merge_compareILb1ELb1EiNS0_19identity_decomposerEEEEE10hipError_tT0_T1_T2_jT3_P12ihipStream_tbPNSt15iterator_traitsISI_E10value_typeEPNSO_ISJ_E10value_typeEPSK_NS1_7vsmem_tEENKUlT_SI_SJ_SK_E_clISD_PiSD_S10_EESH_SX_SI_SJ_SK_EUlSX_E_NS1_11comp_targetILNS1_3genE8ELNS1_11target_archE1030ELNS1_3gpuE2ELNS1_3repE0EEENS1_48merge_mergepath_partition_config_static_selectorELNS0_4arch9wavefront6targetE0EEEvSJ_.has_dyn_sized_stack, 0
	.set _ZN7rocprim17ROCPRIM_400000_NS6detail17trampoline_kernelINS0_14default_configENS1_38merge_sort_block_merge_config_selectorIiiEEZZNS1_27merge_sort_block_merge_implIS3_N6thrust23THRUST_200600_302600_NS6detail15normal_iteratorINS8_10device_ptrIiEEEESD_jNS1_19radix_merge_compareILb1ELb1EiNS0_19identity_decomposerEEEEE10hipError_tT0_T1_T2_jT3_P12ihipStream_tbPNSt15iterator_traitsISI_E10value_typeEPNSO_ISJ_E10value_typeEPSK_NS1_7vsmem_tEENKUlT_SI_SJ_SK_E_clISD_PiSD_S10_EESH_SX_SI_SJ_SK_EUlSX_E_NS1_11comp_targetILNS1_3genE8ELNS1_11target_archE1030ELNS1_3gpuE2ELNS1_3repE0EEENS1_48merge_mergepath_partition_config_static_selectorELNS0_4arch9wavefront6targetE0EEEvSJ_.has_recursion, 0
	.set _ZN7rocprim17ROCPRIM_400000_NS6detail17trampoline_kernelINS0_14default_configENS1_38merge_sort_block_merge_config_selectorIiiEEZZNS1_27merge_sort_block_merge_implIS3_N6thrust23THRUST_200600_302600_NS6detail15normal_iteratorINS8_10device_ptrIiEEEESD_jNS1_19radix_merge_compareILb1ELb1EiNS0_19identity_decomposerEEEEE10hipError_tT0_T1_T2_jT3_P12ihipStream_tbPNSt15iterator_traitsISI_E10value_typeEPNSO_ISJ_E10value_typeEPSK_NS1_7vsmem_tEENKUlT_SI_SJ_SK_E_clISD_PiSD_S10_EESH_SX_SI_SJ_SK_EUlSX_E_NS1_11comp_targetILNS1_3genE8ELNS1_11target_archE1030ELNS1_3gpuE2ELNS1_3repE0EEENS1_48merge_mergepath_partition_config_static_selectorELNS0_4arch9wavefront6targetE0EEEvSJ_.has_indirect_call, 0
	.section	.AMDGPU.csdata,"",@progbits
; Kernel info:
; codeLenInByte = 448
; TotalNumSgprs: 10
; NumVgprs: 15
; ScratchSize: 0
; MemoryBound: 0
; FloatMode: 240
; IeeeMode: 1
; LDSByteSize: 0 bytes/workgroup (compile time only)
; SGPRBlocks: 0
; VGPRBlocks: 1
; NumSGPRsForWavesPerEU: 10
; NumVGPRsForWavesPerEU: 15
; Occupancy: 16
; WaveLimiterHint : 0
; COMPUTE_PGM_RSRC2:SCRATCH_EN: 0
; COMPUTE_PGM_RSRC2:USER_SGPR: 6
; COMPUTE_PGM_RSRC2:TRAP_HANDLER: 0
; COMPUTE_PGM_RSRC2:TGID_X_EN: 1
; COMPUTE_PGM_RSRC2:TGID_Y_EN: 0
; COMPUTE_PGM_RSRC2:TGID_Z_EN: 0
; COMPUTE_PGM_RSRC2:TIDIG_COMP_CNT: 0
	.section	.text._ZN7rocprim17ROCPRIM_400000_NS6detail17trampoline_kernelINS0_14default_configENS1_38merge_sort_block_merge_config_selectorIiiEEZZNS1_27merge_sort_block_merge_implIS3_N6thrust23THRUST_200600_302600_NS6detail15normal_iteratorINS8_10device_ptrIiEEEESD_jNS1_19radix_merge_compareILb1ELb1EiNS0_19identity_decomposerEEEEE10hipError_tT0_T1_T2_jT3_P12ihipStream_tbPNSt15iterator_traitsISI_E10value_typeEPNSO_ISJ_E10value_typeEPSK_NS1_7vsmem_tEENKUlT_SI_SJ_SK_E_clISD_PiSD_S10_EESH_SX_SI_SJ_SK_EUlSX_E0_NS1_11comp_targetILNS1_3genE0ELNS1_11target_archE4294967295ELNS1_3gpuE0ELNS1_3repE0EEENS1_38merge_mergepath_config_static_selectorELNS0_4arch9wavefront6targetE0EEEvSJ_,"axG",@progbits,_ZN7rocprim17ROCPRIM_400000_NS6detail17trampoline_kernelINS0_14default_configENS1_38merge_sort_block_merge_config_selectorIiiEEZZNS1_27merge_sort_block_merge_implIS3_N6thrust23THRUST_200600_302600_NS6detail15normal_iteratorINS8_10device_ptrIiEEEESD_jNS1_19radix_merge_compareILb1ELb1EiNS0_19identity_decomposerEEEEE10hipError_tT0_T1_T2_jT3_P12ihipStream_tbPNSt15iterator_traitsISI_E10value_typeEPNSO_ISJ_E10value_typeEPSK_NS1_7vsmem_tEENKUlT_SI_SJ_SK_E_clISD_PiSD_S10_EESH_SX_SI_SJ_SK_EUlSX_E0_NS1_11comp_targetILNS1_3genE0ELNS1_11target_archE4294967295ELNS1_3gpuE0ELNS1_3repE0EEENS1_38merge_mergepath_config_static_selectorELNS0_4arch9wavefront6targetE0EEEvSJ_,comdat
	.protected	_ZN7rocprim17ROCPRIM_400000_NS6detail17trampoline_kernelINS0_14default_configENS1_38merge_sort_block_merge_config_selectorIiiEEZZNS1_27merge_sort_block_merge_implIS3_N6thrust23THRUST_200600_302600_NS6detail15normal_iteratorINS8_10device_ptrIiEEEESD_jNS1_19radix_merge_compareILb1ELb1EiNS0_19identity_decomposerEEEEE10hipError_tT0_T1_T2_jT3_P12ihipStream_tbPNSt15iterator_traitsISI_E10value_typeEPNSO_ISJ_E10value_typeEPSK_NS1_7vsmem_tEENKUlT_SI_SJ_SK_E_clISD_PiSD_S10_EESH_SX_SI_SJ_SK_EUlSX_E0_NS1_11comp_targetILNS1_3genE0ELNS1_11target_archE4294967295ELNS1_3gpuE0ELNS1_3repE0EEENS1_38merge_mergepath_config_static_selectorELNS0_4arch9wavefront6targetE0EEEvSJ_ ; -- Begin function _ZN7rocprim17ROCPRIM_400000_NS6detail17trampoline_kernelINS0_14default_configENS1_38merge_sort_block_merge_config_selectorIiiEEZZNS1_27merge_sort_block_merge_implIS3_N6thrust23THRUST_200600_302600_NS6detail15normal_iteratorINS8_10device_ptrIiEEEESD_jNS1_19radix_merge_compareILb1ELb1EiNS0_19identity_decomposerEEEEE10hipError_tT0_T1_T2_jT3_P12ihipStream_tbPNSt15iterator_traitsISI_E10value_typeEPNSO_ISJ_E10value_typeEPSK_NS1_7vsmem_tEENKUlT_SI_SJ_SK_E_clISD_PiSD_S10_EESH_SX_SI_SJ_SK_EUlSX_E0_NS1_11comp_targetILNS1_3genE0ELNS1_11target_archE4294967295ELNS1_3gpuE0ELNS1_3repE0EEENS1_38merge_mergepath_config_static_selectorELNS0_4arch9wavefront6targetE0EEEvSJ_
	.globl	_ZN7rocprim17ROCPRIM_400000_NS6detail17trampoline_kernelINS0_14default_configENS1_38merge_sort_block_merge_config_selectorIiiEEZZNS1_27merge_sort_block_merge_implIS3_N6thrust23THRUST_200600_302600_NS6detail15normal_iteratorINS8_10device_ptrIiEEEESD_jNS1_19radix_merge_compareILb1ELb1EiNS0_19identity_decomposerEEEEE10hipError_tT0_T1_T2_jT3_P12ihipStream_tbPNSt15iterator_traitsISI_E10value_typeEPNSO_ISJ_E10value_typeEPSK_NS1_7vsmem_tEENKUlT_SI_SJ_SK_E_clISD_PiSD_S10_EESH_SX_SI_SJ_SK_EUlSX_E0_NS1_11comp_targetILNS1_3genE0ELNS1_11target_archE4294967295ELNS1_3gpuE0ELNS1_3repE0EEENS1_38merge_mergepath_config_static_selectorELNS0_4arch9wavefront6targetE0EEEvSJ_
	.p2align	8
	.type	_ZN7rocprim17ROCPRIM_400000_NS6detail17trampoline_kernelINS0_14default_configENS1_38merge_sort_block_merge_config_selectorIiiEEZZNS1_27merge_sort_block_merge_implIS3_N6thrust23THRUST_200600_302600_NS6detail15normal_iteratorINS8_10device_ptrIiEEEESD_jNS1_19radix_merge_compareILb1ELb1EiNS0_19identity_decomposerEEEEE10hipError_tT0_T1_T2_jT3_P12ihipStream_tbPNSt15iterator_traitsISI_E10value_typeEPNSO_ISJ_E10value_typeEPSK_NS1_7vsmem_tEENKUlT_SI_SJ_SK_E_clISD_PiSD_S10_EESH_SX_SI_SJ_SK_EUlSX_E0_NS1_11comp_targetILNS1_3genE0ELNS1_11target_archE4294967295ELNS1_3gpuE0ELNS1_3repE0EEENS1_38merge_mergepath_config_static_selectorELNS0_4arch9wavefront6targetE0EEEvSJ_,@function
_ZN7rocprim17ROCPRIM_400000_NS6detail17trampoline_kernelINS0_14default_configENS1_38merge_sort_block_merge_config_selectorIiiEEZZNS1_27merge_sort_block_merge_implIS3_N6thrust23THRUST_200600_302600_NS6detail15normal_iteratorINS8_10device_ptrIiEEEESD_jNS1_19radix_merge_compareILb1ELb1EiNS0_19identity_decomposerEEEEE10hipError_tT0_T1_T2_jT3_P12ihipStream_tbPNSt15iterator_traitsISI_E10value_typeEPNSO_ISJ_E10value_typeEPSK_NS1_7vsmem_tEENKUlT_SI_SJ_SK_E_clISD_PiSD_S10_EESH_SX_SI_SJ_SK_EUlSX_E0_NS1_11comp_targetILNS1_3genE0ELNS1_11target_archE4294967295ELNS1_3gpuE0ELNS1_3repE0EEENS1_38merge_mergepath_config_static_selectorELNS0_4arch9wavefront6targetE0EEEvSJ_: ; @_ZN7rocprim17ROCPRIM_400000_NS6detail17trampoline_kernelINS0_14default_configENS1_38merge_sort_block_merge_config_selectorIiiEEZZNS1_27merge_sort_block_merge_implIS3_N6thrust23THRUST_200600_302600_NS6detail15normal_iteratorINS8_10device_ptrIiEEEESD_jNS1_19radix_merge_compareILb1ELb1EiNS0_19identity_decomposerEEEEE10hipError_tT0_T1_T2_jT3_P12ihipStream_tbPNSt15iterator_traitsISI_E10value_typeEPNSO_ISJ_E10value_typeEPSK_NS1_7vsmem_tEENKUlT_SI_SJ_SK_E_clISD_PiSD_S10_EESH_SX_SI_SJ_SK_EUlSX_E0_NS1_11comp_targetILNS1_3genE0ELNS1_11target_archE4294967295ELNS1_3gpuE0ELNS1_3repE0EEENS1_38merge_mergepath_config_static_selectorELNS0_4arch9wavefront6targetE0EEEvSJ_
; %bb.0:
	.section	.rodata,"a",@progbits
	.p2align	6, 0x0
	.amdhsa_kernel _ZN7rocprim17ROCPRIM_400000_NS6detail17trampoline_kernelINS0_14default_configENS1_38merge_sort_block_merge_config_selectorIiiEEZZNS1_27merge_sort_block_merge_implIS3_N6thrust23THRUST_200600_302600_NS6detail15normal_iteratorINS8_10device_ptrIiEEEESD_jNS1_19radix_merge_compareILb1ELb1EiNS0_19identity_decomposerEEEEE10hipError_tT0_T1_T2_jT3_P12ihipStream_tbPNSt15iterator_traitsISI_E10value_typeEPNSO_ISJ_E10value_typeEPSK_NS1_7vsmem_tEENKUlT_SI_SJ_SK_E_clISD_PiSD_S10_EESH_SX_SI_SJ_SK_EUlSX_E0_NS1_11comp_targetILNS1_3genE0ELNS1_11target_archE4294967295ELNS1_3gpuE0ELNS1_3repE0EEENS1_38merge_mergepath_config_static_selectorELNS0_4arch9wavefront6targetE0EEEvSJ_
		.amdhsa_group_segment_fixed_size 0
		.amdhsa_private_segment_fixed_size 0
		.amdhsa_kernarg_size 64
		.amdhsa_user_sgpr_count 6
		.amdhsa_user_sgpr_private_segment_buffer 1
		.amdhsa_user_sgpr_dispatch_ptr 0
		.amdhsa_user_sgpr_queue_ptr 0
		.amdhsa_user_sgpr_kernarg_segment_ptr 1
		.amdhsa_user_sgpr_dispatch_id 0
		.amdhsa_user_sgpr_flat_scratch_init 0
		.amdhsa_user_sgpr_private_segment_size 0
		.amdhsa_wavefront_size32 1
		.amdhsa_uses_dynamic_stack 0
		.amdhsa_system_sgpr_private_segment_wavefront_offset 0
		.amdhsa_system_sgpr_workgroup_id_x 1
		.amdhsa_system_sgpr_workgroup_id_y 0
		.amdhsa_system_sgpr_workgroup_id_z 0
		.amdhsa_system_sgpr_workgroup_info 0
		.amdhsa_system_vgpr_workitem_id 0
		.amdhsa_next_free_vgpr 1
		.amdhsa_next_free_sgpr 1
		.amdhsa_reserve_vcc 0
		.amdhsa_reserve_flat_scratch 0
		.amdhsa_float_round_mode_32 0
		.amdhsa_float_round_mode_16_64 0
		.amdhsa_float_denorm_mode_32 3
		.amdhsa_float_denorm_mode_16_64 3
		.amdhsa_dx10_clamp 1
		.amdhsa_ieee_mode 1
		.amdhsa_fp16_overflow 0
		.amdhsa_workgroup_processor_mode 1
		.amdhsa_memory_ordered 1
		.amdhsa_forward_progress 1
		.amdhsa_shared_vgpr_count 0
		.amdhsa_exception_fp_ieee_invalid_op 0
		.amdhsa_exception_fp_denorm_src 0
		.amdhsa_exception_fp_ieee_div_zero 0
		.amdhsa_exception_fp_ieee_overflow 0
		.amdhsa_exception_fp_ieee_underflow 0
		.amdhsa_exception_fp_ieee_inexact 0
		.amdhsa_exception_int_div_zero 0
	.end_amdhsa_kernel
	.section	.text._ZN7rocprim17ROCPRIM_400000_NS6detail17trampoline_kernelINS0_14default_configENS1_38merge_sort_block_merge_config_selectorIiiEEZZNS1_27merge_sort_block_merge_implIS3_N6thrust23THRUST_200600_302600_NS6detail15normal_iteratorINS8_10device_ptrIiEEEESD_jNS1_19radix_merge_compareILb1ELb1EiNS0_19identity_decomposerEEEEE10hipError_tT0_T1_T2_jT3_P12ihipStream_tbPNSt15iterator_traitsISI_E10value_typeEPNSO_ISJ_E10value_typeEPSK_NS1_7vsmem_tEENKUlT_SI_SJ_SK_E_clISD_PiSD_S10_EESH_SX_SI_SJ_SK_EUlSX_E0_NS1_11comp_targetILNS1_3genE0ELNS1_11target_archE4294967295ELNS1_3gpuE0ELNS1_3repE0EEENS1_38merge_mergepath_config_static_selectorELNS0_4arch9wavefront6targetE0EEEvSJ_,"axG",@progbits,_ZN7rocprim17ROCPRIM_400000_NS6detail17trampoline_kernelINS0_14default_configENS1_38merge_sort_block_merge_config_selectorIiiEEZZNS1_27merge_sort_block_merge_implIS3_N6thrust23THRUST_200600_302600_NS6detail15normal_iteratorINS8_10device_ptrIiEEEESD_jNS1_19radix_merge_compareILb1ELb1EiNS0_19identity_decomposerEEEEE10hipError_tT0_T1_T2_jT3_P12ihipStream_tbPNSt15iterator_traitsISI_E10value_typeEPNSO_ISJ_E10value_typeEPSK_NS1_7vsmem_tEENKUlT_SI_SJ_SK_E_clISD_PiSD_S10_EESH_SX_SI_SJ_SK_EUlSX_E0_NS1_11comp_targetILNS1_3genE0ELNS1_11target_archE4294967295ELNS1_3gpuE0ELNS1_3repE0EEENS1_38merge_mergepath_config_static_selectorELNS0_4arch9wavefront6targetE0EEEvSJ_,comdat
.Lfunc_end965:
	.size	_ZN7rocprim17ROCPRIM_400000_NS6detail17trampoline_kernelINS0_14default_configENS1_38merge_sort_block_merge_config_selectorIiiEEZZNS1_27merge_sort_block_merge_implIS3_N6thrust23THRUST_200600_302600_NS6detail15normal_iteratorINS8_10device_ptrIiEEEESD_jNS1_19radix_merge_compareILb1ELb1EiNS0_19identity_decomposerEEEEE10hipError_tT0_T1_T2_jT3_P12ihipStream_tbPNSt15iterator_traitsISI_E10value_typeEPNSO_ISJ_E10value_typeEPSK_NS1_7vsmem_tEENKUlT_SI_SJ_SK_E_clISD_PiSD_S10_EESH_SX_SI_SJ_SK_EUlSX_E0_NS1_11comp_targetILNS1_3genE0ELNS1_11target_archE4294967295ELNS1_3gpuE0ELNS1_3repE0EEENS1_38merge_mergepath_config_static_selectorELNS0_4arch9wavefront6targetE0EEEvSJ_, .Lfunc_end965-_ZN7rocprim17ROCPRIM_400000_NS6detail17trampoline_kernelINS0_14default_configENS1_38merge_sort_block_merge_config_selectorIiiEEZZNS1_27merge_sort_block_merge_implIS3_N6thrust23THRUST_200600_302600_NS6detail15normal_iteratorINS8_10device_ptrIiEEEESD_jNS1_19radix_merge_compareILb1ELb1EiNS0_19identity_decomposerEEEEE10hipError_tT0_T1_T2_jT3_P12ihipStream_tbPNSt15iterator_traitsISI_E10value_typeEPNSO_ISJ_E10value_typeEPSK_NS1_7vsmem_tEENKUlT_SI_SJ_SK_E_clISD_PiSD_S10_EESH_SX_SI_SJ_SK_EUlSX_E0_NS1_11comp_targetILNS1_3genE0ELNS1_11target_archE4294967295ELNS1_3gpuE0ELNS1_3repE0EEENS1_38merge_mergepath_config_static_selectorELNS0_4arch9wavefront6targetE0EEEvSJ_
                                        ; -- End function
	.set _ZN7rocprim17ROCPRIM_400000_NS6detail17trampoline_kernelINS0_14default_configENS1_38merge_sort_block_merge_config_selectorIiiEEZZNS1_27merge_sort_block_merge_implIS3_N6thrust23THRUST_200600_302600_NS6detail15normal_iteratorINS8_10device_ptrIiEEEESD_jNS1_19radix_merge_compareILb1ELb1EiNS0_19identity_decomposerEEEEE10hipError_tT0_T1_T2_jT3_P12ihipStream_tbPNSt15iterator_traitsISI_E10value_typeEPNSO_ISJ_E10value_typeEPSK_NS1_7vsmem_tEENKUlT_SI_SJ_SK_E_clISD_PiSD_S10_EESH_SX_SI_SJ_SK_EUlSX_E0_NS1_11comp_targetILNS1_3genE0ELNS1_11target_archE4294967295ELNS1_3gpuE0ELNS1_3repE0EEENS1_38merge_mergepath_config_static_selectorELNS0_4arch9wavefront6targetE0EEEvSJ_.num_vgpr, 0
	.set _ZN7rocprim17ROCPRIM_400000_NS6detail17trampoline_kernelINS0_14default_configENS1_38merge_sort_block_merge_config_selectorIiiEEZZNS1_27merge_sort_block_merge_implIS3_N6thrust23THRUST_200600_302600_NS6detail15normal_iteratorINS8_10device_ptrIiEEEESD_jNS1_19radix_merge_compareILb1ELb1EiNS0_19identity_decomposerEEEEE10hipError_tT0_T1_T2_jT3_P12ihipStream_tbPNSt15iterator_traitsISI_E10value_typeEPNSO_ISJ_E10value_typeEPSK_NS1_7vsmem_tEENKUlT_SI_SJ_SK_E_clISD_PiSD_S10_EESH_SX_SI_SJ_SK_EUlSX_E0_NS1_11comp_targetILNS1_3genE0ELNS1_11target_archE4294967295ELNS1_3gpuE0ELNS1_3repE0EEENS1_38merge_mergepath_config_static_selectorELNS0_4arch9wavefront6targetE0EEEvSJ_.num_agpr, 0
	.set _ZN7rocprim17ROCPRIM_400000_NS6detail17trampoline_kernelINS0_14default_configENS1_38merge_sort_block_merge_config_selectorIiiEEZZNS1_27merge_sort_block_merge_implIS3_N6thrust23THRUST_200600_302600_NS6detail15normal_iteratorINS8_10device_ptrIiEEEESD_jNS1_19radix_merge_compareILb1ELb1EiNS0_19identity_decomposerEEEEE10hipError_tT0_T1_T2_jT3_P12ihipStream_tbPNSt15iterator_traitsISI_E10value_typeEPNSO_ISJ_E10value_typeEPSK_NS1_7vsmem_tEENKUlT_SI_SJ_SK_E_clISD_PiSD_S10_EESH_SX_SI_SJ_SK_EUlSX_E0_NS1_11comp_targetILNS1_3genE0ELNS1_11target_archE4294967295ELNS1_3gpuE0ELNS1_3repE0EEENS1_38merge_mergepath_config_static_selectorELNS0_4arch9wavefront6targetE0EEEvSJ_.numbered_sgpr, 0
	.set _ZN7rocprim17ROCPRIM_400000_NS6detail17trampoline_kernelINS0_14default_configENS1_38merge_sort_block_merge_config_selectorIiiEEZZNS1_27merge_sort_block_merge_implIS3_N6thrust23THRUST_200600_302600_NS6detail15normal_iteratorINS8_10device_ptrIiEEEESD_jNS1_19radix_merge_compareILb1ELb1EiNS0_19identity_decomposerEEEEE10hipError_tT0_T1_T2_jT3_P12ihipStream_tbPNSt15iterator_traitsISI_E10value_typeEPNSO_ISJ_E10value_typeEPSK_NS1_7vsmem_tEENKUlT_SI_SJ_SK_E_clISD_PiSD_S10_EESH_SX_SI_SJ_SK_EUlSX_E0_NS1_11comp_targetILNS1_3genE0ELNS1_11target_archE4294967295ELNS1_3gpuE0ELNS1_3repE0EEENS1_38merge_mergepath_config_static_selectorELNS0_4arch9wavefront6targetE0EEEvSJ_.num_named_barrier, 0
	.set _ZN7rocprim17ROCPRIM_400000_NS6detail17trampoline_kernelINS0_14default_configENS1_38merge_sort_block_merge_config_selectorIiiEEZZNS1_27merge_sort_block_merge_implIS3_N6thrust23THRUST_200600_302600_NS6detail15normal_iteratorINS8_10device_ptrIiEEEESD_jNS1_19radix_merge_compareILb1ELb1EiNS0_19identity_decomposerEEEEE10hipError_tT0_T1_T2_jT3_P12ihipStream_tbPNSt15iterator_traitsISI_E10value_typeEPNSO_ISJ_E10value_typeEPSK_NS1_7vsmem_tEENKUlT_SI_SJ_SK_E_clISD_PiSD_S10_EESH_SX_SI_SJ_SK_EUlSX_E0_NS1_11comp_targetILNS1_3genE0ELNS1_11target_archE4294967295ELNS1_3gpuE0ELNS1_3repE0EEENS1_38merge_mergepath_config_static_selectorELNS0_4arch9wavefront6targetE0EEEvSJ_.private_seg_size, 0
	.set _ZN7rocprim17ROCPRIM_400000_NS6detail17trampoline_kernelINS0_14default_configENS1_38merge_sort_block_merge_config_selectorIiiEEZZNS1_27merge_sort_block_merge_implIS3_N6thrust23THRUST_200600_302600_NS6detail15normal_iteratorINS8_10device_ptrIiEEEESD_jNS1_19radix_merge_compareILb1ELb1EiNS0_19identity_decomposerEEEEE10hipError_tT0_T1_T2_jT3_P12ihipStream_tbPNSt15iterator_traitsISI_E10value_typeEPNSO_ISJ_E10value_typeEPSK_NS1_7vsmem_tEENKUlT_SI_SJ_SK_E_clISD_PiSD_S10_EESH_SX_SI_SJ_SK_EUlSX_E0_NS1_11comp_targetILNS1_3genE0ELNS1_11target_archE4294967295ELNS1_3gpuE0ELNS1_3repE0EEENS1_38merge_mergepath_config_static_selectorELNS0_4arch9wavefront6targetE0EEEvSJ_.uses_vcc, 0
	.set _ZN7rocprim17ROCPRIM_400000_NS6detail17trampoline_kernelINS0_14default_configENS1_38merge_sort_block_merge_config_selectorIiiEEZZNS1_27merge_sort_block_merge_implIS3_N6thrust23THRUST_200600_302600_NS6detail15normal_iteratorINS8_10device_ptrIiEEEESD_jNS1_19radix_merge_compareILb1ELb1EiNS0_19identity_decomposerEEEEE10hipError_tT0_T1_T2_jT3_P12ihipStream_tbPNSt15iterator_traitsISI_E10value_typeEPNSO_ISJ_E10value_typeEPSK_NS1_7vsmem_tEENKUlT_SI_SJ_SK_E_clISD_PiSD_S10_EESH_SX_SI_SJ_SK_EUlSX_E0_NS1_11comp_targetILNS1_3genE0ELNS1_11target_archE4294967295ELNS1_3gpuE0ELNS1_3repE0EEENS1_38merge_mergepath_config_static_selectorELNS0_4arch9wavefront6targetE0EEEvSJ_.uses_flat_scratch, 0
	.set _ZN7rocprim17ROCPRIM_400000_NS6detail17trampoline_kernelINS0_14default_configENS1_38merge_sort_block_merge_config_selectorIiiEEZZNS1_27merge_sort_block_merge_implIS3_N6thrust23THRUST_200600_302600_NS6detail15normal_iteratorINS8_10device_ptrIiEEEESD_jNS1_19radix_merge_compareILb1ELb1EiNS0_19identity_decomposerEEEEE10hipError_tT0_T1_T2_jT3_P12ihipStream_tbPNSt15iterator_traitsISI_E10value_typeEPNSO_ISJ_E10value_typeEPSK_NS1_7vsmem_tEENKUlT_SI_SJ_SK_E_clISD_PiSD_S10_EESH_SX_SI_SJ_SK_EUlSX_E0_NS1_11comp_targetILNS1_3genE0ELNS1_11target_archE4294967295ELNS1_3gpuE0ELNS1_3repE0EEENS1_38merge_mergepath_config_static_selectorELNS0_4arch9wavefront6targetE0EEEvSJ_.has_dyn_sized_stack, 0
	.set _ZN7rocprim17ROCPRIM_400000_NS6detail17trampoline_kernelINS0_14default_configENS1_38merge_sort_block_merge_config_selectorIiiEEZZNS1_27merge_sort_block_merge_implIS3_N6thrust23THRUST_200600_302600_NS6detail15normal_iteratorINS8_10device_ptrIiEEEESD_jNS1_19radix_merge_compareILb1ELb1EiNS0_19identity_decomposerEEEEE10hipError_tT0_T1_T2_jT3_P12ihipStream_tbPNSt15iterator_traitsISI_E10value_typeEPNSO_ISJ_E10value_typeEPSK_NS1_7vsmem_tEENKUlT_SI_SJ_SK_E_clISD_PiSD_S10_EESH_SX_SI_SJ_SK_EUlSX_E0_NS1_11comp_targetILNS1_3genE0ELNS1_11target_archE4294967295ELNS1_3gpuE0ELNS1_3repE0EEENS1_38merge_mergepath_config_static_selectorELNS0_4arch9wavefront6targetE0EEEvSJ_.has_recursion, 0
	.set _ZN7rocprim17ROCPRIM_400000_NS6detail17trampoline_kernelINS0_14default_configENS1_38merge_sort_block_merge_config_selectorIiiEEZZNS1_27merge_sort_block_merge_implIS3_N6thrust23THRUST_200600_302600_NS6detail15normal_iteratorINS8_10device_ptrIiEEEESD_jNS1_19radix_merge_compareILb1ELb1EiNS0_19identity_decomposerEEEEE10hipError_tT0_T1_T2_jT3_P12ihipStream_tbPNSt15iterator_traitsISI_E10value_typeEPNSO_ISJ_E10value_typeEPSK_NS1_7vsmem_tEENKUlT_SI_SJ_SK_E_clISD_PiSD_S10_EESH_SX_SI_SJ_SK_EUlSX_E0_NS1_11comp_targetILNS1_3genE0ELNS1_11target_archE4294967295ELNS1_3gpuE0ELNS1_3repE0EEENS1_38merge_mergepath_config_static_selectorELNS0_4arch9wavefront6targetE0EEEvSJ_.has_indirect_call, 0
	.section	.AMDGPU.csdata,"",@progbits
; Kernel info:
; codeLenInByte = 0
; TotalNumSgprs: 0
; NumVgprs: 0
; ScratchSize: 0
; MemoryBound: 0
; FloatMode: 240
; IeeeMode: 1
; LDSByteSize: 0 bytes/workgroup (compile time only)
; SGPRBlocks: 0
; VGPRBlocks: 0
; NumSGPRsForWavesPerEU: 1
; NumVGPRsForWavesPerEU: 1
; Occupancy: 16
; WaveLimiterHint : 0
; COMPUTE_PGM_RSRC2:SCRATCH_EN: 0
; COMPUTE_PGM_RSRC2:USER_SGPR: 6
; COMPUTE_PGM_RSRC2:TRAP_HANDLER: 0
; COMPUTE_PGM_RSRC2:TGID_X_EN: 1
; COMPUTE_PGM_RSRC2:TGID_Y_EN: 0
; COMPUTE_PGM_RSRC2:TGID_Z_EN: 0
; COMPUTE_PGM_RSRC2:TIDIG_COMP_CNT: 0
	.section	.text._ZN7rocprim17ROCPRIM_400000_NS6detail17trampoline_kernelINS0_14default_configENS1_38merge_sort_block_merge_config_selectorIiiEEZZNS1_27merge_sort_block_merge_implIS3_N6thrust23THRUST_200600_302600_NS6detail15normal_iteratorINS8_10device_ptrIiEEEESD_jNS1_19radix_merge_compareILb1ELb1EiNS0_19identity_decomposerEEEEE10hipError_tT0_T1_T2_jT3_P12ihipStream_tbPNSt15iterator_traitsISI_E10value_typeEPNSO_ISJ_E10value_typeEPSK_NS1_7vsmem_tEENKUlT_SI_SJ_SK_E_clISD_PiSD_S10_EESH_SX_SI_SJ_SK_EUlSX_E0_NS1_11comp_targetILNS1_3genE10ELNS1_11target_archE1201ELNS1_3gpuE5ELNS1_3repE0EEENS1_38merge_mergepath_config_static_selectorELNS0_4arch9wavefront6targetE0EEEvSJ_,"axG",@progbits,_ZN7rocprim17ROCPRIM_400000_NS6detail17trampoline_kernelINS0_14default_configENS1_38merge_sort_block_merge_config_selectorIiiEEZZNS1_27merge_sort_block_merge_implIS3_N6thrust23THRUST_200600_302600_NS6detail15normal_iteratorINS8_10device_ptrIiEEEESD_jNS1_19radix_merge_compareILb1ELb1EiNS0_19identity_decomposerEEEEE10hipError_tT0_T1_T2_jT3_P12ihipStream_tbPNSt15iterator_traitsISI_E10value_typeEPNSO_ISJ_E10value_typeEPSK_NS1_7vsmem_tEENKUlT_SI_SJ_SK_E_clISD_PiSD_S10_EESH_SX_SI_SJ_SK_EUlSX_E0_NS1_11comp_targetILNS1_3genE10ELNS1_11target_archE1201ELNS1_3gpuE5ELNS1_3repE0EEENS1_38merge_mergepath_config_static_selectorELNS0_4arch9wavefront6targetE0EEEvSJ_,comdat
	.protected	_ZN7rocprim17ROCPRIM_400000_NS6detail17trampoline_kernelINS0_14default_configENS1_38merge_sort_block_merge_config_selectorIiiEEZZNS1_27merge_sort_block_merge_implIS3_N6thrust23THRUST_200600_302600_NS6detail15normal_iteratorINS8_10device_ptrIiEEEESD_jNS1_19radix_merge_compareILb1ELb1EiNS0_19identity_decomposerEEEEE10hipError_tT0_T1_T2_jT3_P12ihipStream_tbPNSt15iterator_traitsISI_E10value_typeEPNSO_ISJ_E10value_typeEPSK_NS1_7vsmem_tEENKUlT_SI_SJ_SK_E_clISD_PiSD_S10_EESH_SX_SI_SJ_SK_EUlSX_E0_NS1_11comp_targetILNS1_3genE10ELNS1_11target_archE1201ELNS1_3gpuE5ELNS1_3repE0EEENS1_38merge_mergepath_config_static_selectorELNS0_4arch9wavefront6targetE0EEEvSJ_ ; -- Begin function _ZN7rocprim17ROCPRIM_400000_NS6detail17trampoline_kernelINS0_14default_configENS1_38merge_sort_block_merge_config_selectorIiiEEZZNS1_27merge_sort_block_merge_implIS3_N6thrust23THRUST_200600_302600_NS6detail15normal_iteratorINS8_10device_ptrIiEEEESD_jNS1_19radix_merge_compareILb1ELb1EiNS0_19identity_decomposerEEEEE10hipError_tT0_T1_T2_jT3_P12ihipStream_tbPNSt15iterator_traitsISI_E10value_typeEPNSO_ISJ_E10value_typeEPSK_NS1_7vsmem_tEENKUlT_SI_SJ_SK_E_clISD_PiSD_S10_EESH_SX_SI_SJ_SK_EUlSX_E0_NS1_11comp_targetILNS1_3genE10ELNS1_11target_archE1201ELNS1_3gpuE5ELNS1_3repE0EEENS1_38merge_mergepath_config_static_selectorELNS0_4arch9wavefront6targetE0EEEvSJ_
	.globl	_ZN7rocprim17ROCPRIM_400000_NS6detail17trampoline_kernelINS0_14default_configENS1_38merge_sort_block_merge_config_selectorIiiEEZZNS1_27merge_sort_block_merge_implIS3_N6thrust23THRUST_200600_302600_NS6detail15normal_iteratorINS8_10device_ptrIiEEEESD_jNS1_19radix_merge_compareILb1ELb1EiNS0_19identity_decomposerEEEEE10hipError_tT0_T1_T2_jT3_P12ihipStream_tbPNSt15iterator_traitsISI_E10value_typeEPNSO_ISJ_E10value_typeEPSK_NS1_7vsmem_tEENKUlT_SI_SJ_SK_E_clISD_PiSD_S10_EESH_SX_SI_SJ_SK_EUlSX_E0_NS1_11comp_targetILNS1_3genE10ELNS1_11target_archE1201ELNS1_3gpuE5ELNS1_3repE0EEENS1_38merge_mergepath_config_static_selectorELNS0_4arch9wavefront6targetE0EEEvSJ_
	.p2align	8
	.type	_ZN7rocprim17ROCPRIM_400000_NS6detail17trampoline_kernelINS0_14default_configENS1_38merge_sort_block_merge_config_selectorIiiEEZZNS1_27merge_sort_block_merge_implIS3_N6thrust23THRUST_200600_302600_NS6detail15normal_iteratorINS8_10device_ptrIiEEEESD_jNS1_19radix_merge_compareILb1ELb1EiNS0_19identity_decomposerEEEEE10hipError_tT0_T1_T2_jT3_P12ihipStream_tbPNSt15iterator_traitsISI_E10value_typeEPNSO_ISJ_E10value_typeEPSK_NS1_7vsmem_tEENKUlT_SI_SJ_SK_E_clISD_PiSD_S10_EESH_SX_SI_SJ_SK_EUlSX_E0_NS1_11comp_targetILNS1_3genE10ELNS1_11target_archE1201ELNS1_3gpuE5ELNS1_3repE0EEENS1_38merge_mergepath_config_static_selectorELNS0_4arch9wavefront6targetE0EEEvSJ_,@function
_ZN7rocprim17ROCPRIM_400000_NS6detail17trampoline_kernelINS0_14default_configENS1_38merge_sort_block_merge_config_selectorIiiEEZZNS1_27merge_sort_block_merge_implIS3_N6thrust23THRUST_200600_302600_NS6detail15normal_iteratorINS8_10device_ptrIiEEEESD_jNS1_19radix_merge_compareILb1ELb1EiNS0_19identity_decomposerEEEEE10hipError_tT0_T1_T2_jT3_P12ihipStream_tbPNSt15iterator_traitsISI_E10value_typeEPNSO_ISJ_E10value_typeEPSK_NS1_7vsmem_tEENKUlT_SI_SJ_SK_E_clISD_PiSD_S10_EESH_SX_SI_SJ_SK_EUlSX_E0_NS1_11comp_targetILNS1_3genE10ELNS1_11target_archE1201ELNS1_3gpuE5ELNS1_3repE0EEENS1_38merge_mergepath_config_static_selectorELNS0_4arch9wavefront6targetE0EEEvSJ_: ; @_ZN7rocprim17ROCPRIM_400000_NS6detail17trampoline_kernelINS0_14default_configENS1_38merge_sort_block_merge_config_selectorIiiEEZZNS1_27merge_sort_block_merge_implIS3_N6thrust23THRUST_200600_302600_NS6detail15normal_iteratorINS8_10device_ptrIiEEEESD_jNS1_19radix_merge_compareILb1ELb1EiNS0_19identity_decomposerEEEEE10hipError_tT0_T1_T2_jT3_P12ihipStream_tbPNSt15iterator_traitsISI_E10value_typeEPNSO_ISJ_E10value_typeEPSK_NS1_7vsmem_tEENKUlT_SI_SJ_SK_E_clISD_PiSD_S10_EESH_SX_SI_SJ_SK_EUlSX_E0_NS1_11comp_targetILNS1_3genE10ELNS1_11target_archE1201ELNS1_3gpuE5ELNS1_3repE0EEENS1_38merge_mergepath_config_static_selectorELNS0_4arch9wavefront6targetE0EEEvSJ_
; %bb.0:
	.section	.rodata,"a",@progbits
	.p2align	6, 0x0
	.amdhsa_kernel _ZN7rocprim17ROCPRIM_400000_NS6detail17trampoline_kernelINS0_14default_configENS1_38merge_sort_block_merge_config_selectorIiiEEZZNS1_27merge_sort_block_merge_implIS3_N6thrust23THRUST_200600_302600_NS6detail15normal_iteratorINS8_10device_ptrIiEEEESD_jNS1_19radix_merge_compareILb1ELb1EiNS0_19identity_decomposerEEEEE10hipError_tT0_T1_T2_jT3_P12ihipStream_tbPNSt15iterator_traitsISI_E10value_typeEPNSO_ISJ_E10value_typeEPSK_NS1_7vsmem_tEENKUlT_SI_SJ_SK_E_clISD_PiSD_S10_EESH_SX_SI_SJ_SK_EUlSX_E0_NS1_11comp_targetILNS1_3genE10ELNS1_11target_archE1201ELNS1_3gpuE5ELNS1_3repE0EEENS1_38merge_mergepath_config_static_selectorELNS0_4arch9wavefront6targetE0EEEvSJ_
		.amdhsa_group_segment_fixed_size 0
		.amdhsa_private_segment_fixed_size 0
		.amdhsa_kernarg_size 64
		.amdhsa_user_sgpr_count 6
		.amdhsa_user_sgpr_private_segment_buffer 1
		.amdhsa_user_sgpr_dispatch_ptr 0
		.amdhsa_user_sgpr_queue_ptr 0
		.amdhsa_user_sgpr_kernarg_segment_ptr 1
		.amdhsa_user_sgpr_dispatch_id 0
		.amdhsa_user_sgpr_flat_scratch_init 0
		.amdhsa_user_sgpr_private_segment_size 0
		.amdhsa_wavefront_size32 1
		.amdhsa_uses_dynamic_stack 0
		.amdhsa_system_sgpr_private_segment_wavefront_offset 0
		.amdhsa_system_sgpr_workgroup_id_x 1
		.amdhsa_system_sgpr_workgroup_id_y 0
		.amdhsa_system_sgpr_workgroup_id_z 0
		.amdhsa_system_sgpr_workgroup_info 0
		.amdhsa_system_vgpr_workitem_id 0
		.amdhsa_next_free_vgpr 1
		.amdhsa_next_free_sgpr 1
		.amdhsa_reserve_vcc 0
		.amdhsa_reserve_flat_scratch 0
		.amdhsa_float_round_mode_32 0
		.amdhsa_float_round_mode_16_64 0
		.amdhsa_float_denorm_mode_32 3
		.amdhsa_float_denorm_mode_16_64 3
		.amdhsa_dx10_clamp 1
		.amdhsa_ieee_mode 1
		.amdhsa_fp16_overflow 0
		.amdhsa_workgroup_processor_mode 1
		.amdhsa_memory_ordered 1
		.amdhsa_forward_progress 1
		.amdhsa_shared_vgpr_count 0
		.amdhsa_exception_fp_ieee_invalid_op 0
		.amdhsa_exception_fp_denorm_src 0
		.amdhsa_exception_fp_ieee_div_zero 0
		.amdhsa_exception_fp_ieee_overflow 0
		.amdhsa_exception_fp_ieee_underflow 0
		.amdhsa_exception_fp_ieee_inexact 0
		.amdhsa_exception_int_div_zero 0
	.end_amdhsa_kernel
	.section	.text._ZN7rocprim17ROCPRIM_400000_NS6detail17trampoline_kernelINS0_14default_configENS1_38merge_sort_block_merge_config_selectorIiiEEZZNS1_27merge_sort_block_merge_implIS3_N6thrust23THRUST_200600_302600_NS6detail15normal_iteratorINS8_10device_ptrIiEEEESD_jNS1_19radix_merge_compareILb1ELb1EiNS0_19identity_decomposerEEEEE10hipError_tT0_T1_T2_jT3_P12ihipStream_tbPNSt15iterator_traitsISI_E10value_typeEPNSO_ISJ_E10value_typeEPSK_NS1_7vsmem_tEENKUlT_SI_SJ_SK_E_clISD_PiSD_S10_EESH_SX_SI_SJ_SK_EUlSX_E0_NS1_11comp_targetILNS1_3genE10ELNS1_11target_archE1201ELNS1_3gpuE5ELNS1_3repE0EEENS1_38merge_mergepath_config_static_selectorELNS0_4arch9wavefront6targetE0EEEvSJ_,"axG",@progbits,_ZN7rocprim17ROCPRIM_400000_NS6detail17trampoline_kernelINS0_14default_configENS1_38merge_sort_block_merge_config_selectorIiiEEZZNS1_27merge_sort_block_merge_implIS3_N6thrust23THRUST_200600_302600_NS6detail15normal_iteratorINS8_10device_ptrIiEEEESD_jNS1_19radix_merge_compareILb1ELb1EiNS0_19identity_decomposerEEEEE10hipError_tT0_T1_T2_jT3_P12ihipStream_tbPNSt15iterator_traitsISI_E10value_typeEPNSO_ISJ_E10value_typeEPSK_NS1_7vsmem_tEENKUlT_SI_SJ_SK_E_clISD_PiSD_S10_EESH_SX_SI_SJ_SK_EUlSX_E0_NS1_11comp_targetILNS1_3genE10ELNS1_11target_archE1201ELNS1_3gpuE5ELNS1_3repE0EEENS1_38merge_mergepath_config_static_selectorELNS0_4arch9wavefront6targetE0EEEvSJ_,comdat
.Lfunc_end966:
	.size	_ZN7rocprim17ROCPRIM_400000_NS6detail17trampoline_kernelINS0_14default_configENS1_38merge_sort_block_merge_config_selectorIiiEEZZNS1_27merge_sort_block_merge_implIS3_N6thrust23THRUST_200600_302600_NS6detail15normal_iteratorINS8_10device_ptrIiEEEESD_jNS1_19radix_merge_compareILb1ELb1EiNS0_19identity_decomposerEEEEE10hipError_tT0_T1_T2_jT3_P12ihipStream_tbPNSt15iterator_traitsISI_E10value_typeEPNSO_ISJ_E10value_typeEPSK_NS1_7vsmem_tEENKUlT_SI_SJ_SK_E_clISD_PiSD_S10_EESH_SX_SI_SJ_SK_EUlSX_E0_NS1_11comp_targetILNS1_3genE10ELNS1_11target_archE1201ELNS1_3gpuE5ELNS1_3repE0EEENS1_38merge_mergepath_config_static_selectorELNS0_4arch9wavefront6targetE0EEEvSJ_, .Lfunc_end966-_ZN7rocprim17ROCPRIM_400000_NS6detail17trampoline_kernelINS0_14default_configENS1_38merge_sort_block_merge_config_selectorIiiEEZZNS1_27merge_sort_block_merge_implIS3_N6thrust23THRUST_200600_302600_NS6detail15normal_iteratorINS8_10device_ptrIiEEEESD_jNS1_19radix_merge_compareILb1ELb1EiNS0_19identity_decomposerEEEEE10hipError_tT0_T1_T2_jT3_P12ihipStream_tbPNSt15iterator_traitsISI_E10value_typeEPNSO_ISJ_E10value_typeEPSK_NS1_7vsmem_tEENKUlT_SI_SJ_SK_E_clISD_PiSD_S10_EESH_SX_SI_SJ_SK_EUlSX_E0_NS1_11comp_targetILNS1_3genE10ELNS1_11target_archE1201ELNS1_3gpuE5ELNS1_3repE0EEENS1_38merge_mergepath_config_static_selectorELNS0_4arch9wavefront6targetE0EEEvSJ_
                                        ; -- End function
	.set _ZN7rocprim17ROCPRIM_400000_NS6detail17trampoline_kernelINS0_14default_configENS1_38merge_sort_block_merge_config_selectorIiiEEZZNS1_27merge_sort_block_merge_implIS3_N6thrust23THRUST_200600_302600_NS6detail15normal_iteratorINS8_10device_ptrIiEEEESD_jNS1_19radix_merge_compareILb1ELb1EiNS0_19identity_decomposerEEEEE10hipError_tT0_T1_T2_jT3_P12ihipStream_tbPNSt15iterator_traitsISI_E10value_typeEPNSO_ISJ_E10value_typeEPSK_NS1_7vsmem_tEENKUlT_SI_SJ_SK_E_clISD_PiSD_S10_EESH_SX_SI_SJ_SK_EUlSX_E0_NS1_11comp_targetILNS1_3genE10ELNS1_11target_archE1201ELNS1_3gpuE5ELNS1_3repE0EEENS1_38merge_mergepath_config_static_selectorELNS0_4arch9wavefront6targetE0EEEvSJ_.num_vgpr, 0
	.set _ZN7rocprim17ROCPRIM_400000_NS6detail17trampoline_kernelINS0_14default_configENS1_38merge_sort_block_merge_config_selectorIiiEEZZNS1_27merge_sort_block_merge_implIS3_N6thrust23THRUST_200600_302600_NS6detail15normal_iteratorINS8_10device_ptrIiEEEESD_jNS1_19radix_merge_compareILb1ELb1EiNS0_19identity_decomposerEEEEE10hipError_tT0_T1_T2_jT3_P12ihipStream_tbPNSt15iterator_traitsISI_E10value_typeEPNSO_ISJ_E10value_typeEPSK_NS1_7vsmem_tEENKUlT_SI_SJ_SK_E_clISD_PiSD_S10_EESH_SX_SI_SJ_SK_EUlSX_E0_NS1_11comp_targetILNS1_3genE10ELNS1_11target_archE1201ELNS1_3gpuE5ELNS1_3repE0EEENS1_38merge_mergepath_config_static_selectorELNS0_4arch9wavefront6targetE0EEEvSJ_.num_agpr, 0
	.set _ZN7rocprim17ROCPRIM_400000_NS6detail17trampoline_kernelINS0_14default_configENS1_38merge_sort_block_merge_config_selectorIiiEEZZNS1_27merge_sort_block_merge_implIS3_N6thrust23THRUST_200600_302600_NS6detail15normal_iteratorINS8_10device_ptrIiEEEESD_jNS1_19radix_merge_compareILb1ELb1EiNS0_19identity_decomposerEEEEE10hipError_tT0_T1_T2_jT3_P12ihipStream_tbPNSt15iterator_traitsISI_E10value_typeEPNSO_ISJ_E10value_typeEPSK_NS1_7vsmem_tEENKUlT_SI_SJ_SK_E_clISD_PiSD_S10_EESH_SX_SI_SJ_SK_EUlSX_E0_NS1_11comp_targetILNS1_3genE10ELNS1_11target_archE1201ELNS1_3gpuE5ELNS1_3repE0EEENS1_38merge_mergepath_config_static_selectorELNS0_4arch9wavefront6targetE0EEEvSJ_.numbered_sgpr, 0
	.set _ZN7rocprim17ROCPRIM_400000_NS6detail17trampoline_kernelINS0_14default_configENS1_38merge_sort_block_merge_config_selectorIiiEEZZNS1_27merge_sort_block_merge_implIS3_N6thrust23THRUST_200600_302600_NS6detail15normal_iteratorINS8_10device_ptrIiEEEESD_jNS1_19radix_merge_compareILb1ELb1EiNS0_19identity_decomposerEEEEE10hipError_tT0_T1_T2_jT3_P12ihipStream_tbPNSt15iterator_traitsISI_E10value_typeEPNSO_ISJ_E10value_typeEPSK_NS1_7vsmem_tEENKUlT_SI_SJ_SK_E_clISD_PiSD_S10_EESH_SX_SI_SJ_SK_EUlSX_E0_NS1_11comp_targetILNS1_3genE10ELNS1_11target_archE1201ELNS1_3gpuE5ELNS1_3repE0EEENS1_38merge_mergepath_config_static_selectorELNS0_4arch9wavefront6targetE0EEEvSJ_.num_named_barrier, 0
	.set _ZN7rocprim17ROCPRIM_400000_NS6detail17trampoline_kernelINS0_14default_configENS1_38merge_sort_block_merge_config_selectorIiiEEZZNS1_27merge_sort_block_merge_implIS3_N6thrust23THRUST_200600_302600_NS6detail15normal_iteratorINS8_10device_ptrIiEEEESD_jNS1_19radix_merge_compareILb1ELb1EiNS0_19identity_decomposerEEEEE10hipError_tT0_T1_T2_jT3_P12ihipStream_tbPNSt15iterator_traitsISI_E10value_typeEPNSO_ISJ_E10value_typeEPSK_NS1_7vsmem_tEENKUlT_SI_SJ_SK_E_clISD_PiSD_S10_EESH_SX_SI_SJ_SK_EUlSX_E0_NS1_11comp_targetILNS1_3genE10ELNS1_11target_archE1201ELNS1_3gpuE5ELNS1_3repE0EEENS1_38merge_mergepath_config_static_selectorELNS0_4arch9wavefront6targetE0EEEvSJ_.private_seg_size, 0
	.set _ZN7rocprim17ROCPRIM_400000_NS6detail17trampoline_kernelINS0_14default_configENS1_38merge_sort_block_merge_config_selectorIiiEEZZNS1_27merge_sort_block_merge_implIS3_N6thrust23THRUST_200600_302600_NS6detail15normal_iteratorINS8_10device_ptrIiEEEESD_jNS1_19radix_merge_compareILb1ELb1EiNS0_19identity_decomposerEEEEE10hipError_tT0_T1_T2_jT3_P12ihipStream_tbPNSt15iterator_traitsISI_E10value_typeEPNSO_ISJ_E10value_typeEPSK_NS1_7vsmem_tEENKUlT_SI_SJ_SK_E_clISD_PiSD_S10_EESH_SX_SI_SJ_SK_EUlSX_E0_NS1_11comp_targetILNS1_3genE10ELNS1_11target_archE1201ELNS1_3gpuE5ELNS1_3repE0EEENS1_38merge_mergepath_config_static_selectorELNS0_4arch9wavefront6targetE0EEEvSJ_.uses_vcc, 0
	.set _ZN7rocprim17ROCPRIM_400000_NS6detail17trampoline_kernelINS0_14default_configENS1_38merge_sort_block_merge_config_selectorIiiEEZZNS1_27merge_sort_block_merge_implIS3_N6thrust23THRUST_200600_302600_NS6detail15normal_iteratorINS8_10device_ptrIiEEEESD_jNS1_19radix_merge_compareILb1ELb1EiNS0_19identity_decomposerEEEEE10hipError_tT0_T1_T2_jT3_P12ihipStream_tbPNSt15iterator_traitsISI_E10value_typeEPNSO_ISJ_E10value_typeEPSK_NS1_7vsmem_tEENKUlT_SI_SJ_SK_E_clISD_PiSD_S10_EESH_SX_SI_SJ_SK_EUlSX_E0_NS1_11comp_targetILNS1_3genE10ELNS1_11target_archE1201ELNS1_3gpuE5ELNS1_3repE0EEENS1_38merge_mergepath_config_static_selectorELNS0_4arch9wavefront6targetE0EEEvSJ_.uses_flat_scratch, 0
	.set _ZN7rocprim17ROCPRIM_400000_NS6detail17trampoline_kernelINS0_14default_configENS1_38merge_sort_block_merge_config_selectorIiiEEZZNS1_27merge_sort_block_merge_implIS3_N6thrust23THRUST_200600_302600_NS6detail15normal_iteratorINS8_10device_ptrIiEEEESD_jNS1_19radix_merge_compareILb1ELb1EiNS0_19identity_decomposerEEEEE10hipError_tT0_T1_T2_jT3_P12ihipStream_tbPNSt15iterator_traitsISI_E10value_typeEPNSO_ISJ_E10value_typeEPSK_NS1_7vsmem_tEENKUlT_SI_SJ_SK_E_clISD_PiSD_S10_EESH_SX_SI_SJ_SK_EUlSX_E0_NS1_11comp_targetILNS1_3genE10ELNS1_11target_archE1201ELNS1_3gpuE5ELNS1_3repE0EEENS1_38merge_mergepath_config_static_selectorELNS0_4arch9wavefront6targetE0EEEvSJ_.has_dyn_sized_stack, 0
	.set _ZN7rocprim17ROCPRIM_400000_NS6detail17trampoline_kernelINS0_14default_configENS1_38merge_sort_block_merge_config_selectorIiiEEZZNS1_27merge_sort_block_merge_implIS3_N6thrust23THRUST_200600_302600_NS6detail15normal_iteratorINS8_10device_ptrIiEEEESD_jNS1_19radix_merge_compareILb1ELb1EiNS0_19identity_decomposerEEEEE10hipError_tT0_T1_T2_jT3_P12ihipStream_tbPNSt15iterator_traitsISI_E10value_typeEPNSO_ISJ_E10value_typeEPSK_NS1_7vsmem_tEENKUlT_SI_SJ_SK_E_clISD_PiSD_S10_EESH_SX_SI_SJ_SK_EUlSX_E0_NS1_11comp_targetILNS1_3genE10ELNS1_11target_archE1201ELNS1_3gpuE5ELNS1_3repE0EEENS1_38merge_mergepath_config_static_selectorELNS0_4arch9wavefront6targetE0EEEvSJ_.has_recursion, 0
	.set _ZN7rocprim17ROCPRIM_400000_NS6detail17trampoline_kernelINS0_14default_configENS1_38merge_sort_block_merge_config_selectorIiiEEZZNS1_27merge_sort_block_merge_implIS3_N6thrust23THRUST_200600_302600_NS6detail15normal_iteratorINS8_10device_ptrIiEEEESD_jNS1_19radix_merge_compareILb1ELb1EiNS0_19identity_decomposerEEEEE10hipError_tT0_T1_T2_jT3_P12ihipStream_tbPNSt15iterator_traitsISI_E10value_typeEPNSO_ISJ_E10value_typeEPSK_NS1_7vsmem_tEENKUlT_SI_SJ_SK_E_clISD_PiSD_S10_EESH_SX_SI_SJ_SK_EUlSX_E0_NS1_11comp_targetILNS1_3genE10ELNS1_11target_archE1201ELNS1_3gpuE5ELNS1_3repE0EEENS1_38merge_mergepath_config_static_selectorELNS0_4arch9wavefront6targetE0EEEvSJ_.has_indirect_call, 0
	.section	.AMDGPU.csdata,"",@progbits
; Kernel info:
; codeLenInByte = 0
; TotalNumSgprs: 0
; NumVgprs: 0
; ScratchSize: 0
; MemoryBound: 0
; FloatMode: 240
; IeeeMode: 1
; LDSByteSize: 0 bytes/workgroup (compile time only)
; SGPRBlocks: 0
; VGPRBlocks: 0
; NumSGPRsForWavesPerEU: 1
; NumVGPRsForWavesPerEU: 1
; Occupancy: 16
; WaveLimiterHint : 0
; COMPUTE_PGM_RSRC2:SCRATCH_EN: 0
; COMPUTE_PGM_RSRC2:USER_SGPR: 6
; COMPUTE_PGM_RSRC2:TRAP_HANDLER: 0
; COMPUTE_PGM_RSRC2:TGID_X_EN: 1
; COMPUTE_PGM_RSRC2:TGID_Y_EN: 0
; COMPUTE_PGM_RSRC2:TGID_Z_EN: 0
; COMPUTE_PGM_RSRC2:TIDIG_COMP_CNT: 0
	.section	.text._ZN7rocprim17ROCPRIM_400000_NS6detail17trampoline_kernelINS0_14default_configENS1_38merge_sort_block_merge_config_selectorIiiEEZZNS1_27merge_sort_block_merge_implIS3_N6thrust23THRUST_200600_302600_NS6detail15normal_iteratorINS8_10device_ptrIiEEEESD_jNS1_19radix_merge_compareILb1ELb1EiNS0_19identity_decomposerEEEEE10hipError_tT0_T1_T2_jT3_P12ihipStream_tbPNSt15iterator_traitsISI_E10value_typeEPNSO_ISJ_E10value_typeEPSK_NS1_7vsmem_tEENKUlT_SI_SJ_SK_E_clISD_PiSD_S10_EESH_SX_SI_SJ_SK_EUlSX_E0_NS1_11comp_targetILNS1_3genE5ELNS1_11target_archE942ELNS1_3gpuE9ELNS1_3repE0EEENS1_38merge_mergepath_config_static_selectorELNS0_4arch9wavefront6targetE0EEEvSJ_,"axG",@progbits,_ZN7rocprim17ROCPRIM_400000_NS6detail17trampoline_kernelINS0_14default_configENS1_38merge_sort_block_merge_config_selectorIiiEEZZNS1_27merge_sort_block_merge_implIS3_N6thrust23THRUST_200600_302600_NS6detail15normal_iteratorINS8_10device_ptrIiEEEESD_jNS1_19radix_merge_compareILb1ELb1EiNS0_19identity_decomposerEEEEE10hipError_tT0_T1_T2_jT3_P12ihipStream_tbPNSt15iterator_traitsISI_E10value_typeEPNSO_ISJ_E10value_typeEPSK_NS1_7vsmem_tEENKUlT_SI_SJ_SK_E_clISD_PiSD_S10_EESH_SX_SI_SJ_SK_EUlSX_E0_NS1_11comp_targetILNS1_3genE5ELNS1_11target_archE942ELNS1_3gpuE9ELNS1_3repE0EEENS1_38merge_mergepath_config_static_selectorELNS0_4arch9wavefront6targetE0EEEvSJ_,comdat
	.protected	_ZN7rocprim17ROCPRIM_400000_NS6detail17trampoline_kernelINS0_14default_configENS1_38merge_sort_block_merge_config_selectorIiiEEZZNS1_27merge_sort_block_merge_implIS3_N6thrust23THRUST_200600_302600_NS6detail15normal_iteratorINS8_10device_ptrIiEEEESD_jNS1_19radix_merge_compareILb1ELb1EiNS0_19identity_decomposerEEEEE10hipError_tT0_T1_T2_jT3_P12ihipStream_tbPNSt15iterator_traitsISI_E10value_typeEPNSO_ISJ_E10value_typeEPSK_NS1_7vsmem_tEENKUlT_SI_SJ_SK_E_clISD_PiSD_S10_EESH_SX_SI_SJ_SK_EUlSX_E0_NS1_11comp_targetILNS1_3genE5ELNS1_11target_archE942ELNS1_3gpuE9ELNS1_3repE0EEENS1_38merge_mergepath_config_static_selectorELNS0_4arch9wavefront6targetE0EEEvSJ_ ; -- Begin function _ZN7rocprim17ROCPRIM_400000_NS6detail17trampoline_kernelINS0_14default_configENS1_38merge_sort_block_merge_config_selectorIiiEEZZNS1_27merge_sort_block_merge_implIS3_N6thrust23THRUST_200600_302600_NS6detail15normal_iteratorINS8_10device_ptrIiEEEESD_jNS1_19radix_merge_compareILb1ELb1EiNS0_19identity_decomposerEEEEE10hipError_tT0_T1_T2_jT3_P12ihipStream_tbPNSt15iterator_traitsISI_E10value_typeEPNSO_ISJ_E10value_typeEPSK_NS1_7vsmem_tEENKUlT_SI_SJ_SK_E_clISD_PiSD_S10_EESH_SX_SI_SJ_SK_EUlSX_E0_NS1_11comp_targetILNS1_3genE5ELNS1_11target_archE942ELNS1_3gpuE9ELNS1_3repE0EEENS1_38merge_mergepath_config_static_selectorELNS0_4arch9wavefront6targetE0EEEvSJ_
	.globl	_ZN7rocprim17ROCPRIM_400000_NS6detail17trampoline_kernelINS0_14default_configENS1_38merge_sort_block_merge_config_selectorIiiEEZZNS1_27merge_sort_block_merge_implIS3_N6thrust23THRUST_200600_302600_NS6detail15normal_iteratorINS8_10device_ptrIiEEEESD_jNS1_19radix_merge_compareILb1ELb1EiNS0_19identity_decomposerEEEEE10hipError_tT0_T1_T2_jT3_P12ihipStream_tbPNSt15iterator_traitsISI_E10value_typeEPNSO_ISJ_E10value_typeEPSK_NS1_7vsmem_tEENKUlT_SI_SJ_SK_E_clISD_PiSD_S10_EESH_SX_SI_SJ_SK_EUlSX_E0_NS1_11comp_targetILNS1_3genE5ELNS1_11target_archE942ELNS1_3gpuE9ELNS1_3repE0EEENS1_38merge_mergepath_config_static_selectorELNS0_4arch9wavefront6targetE0EEEvSJ_
	.p2align	8
	.type	_ZN7rocprim17ROCPRIM_400000_NS6detail17trampoline_kernelINS0_14default_configENS1_38merge_sort_block_merge_config_selectorIiiEEZZNS1_27merge_sort_block_merge_implIS3_N6thrust23THRUST_200600_302600_NS6detail15normal_iteratorINS8_10device_ptrIiEEEESD_jNS1_19radix_merge_compareILb1ELb1EiNS0_19identity_decomposerEEEEE10hipError_tT0_T1_T2_jT3_P12ihipStream_tbPNSt15iterator_traitsISI_E10value_typeEPNSO_ISJ_E10value_typeEPSK_NS1_7vsmem_tEENKUlT_SI_SJ_SK_E_clISD_PiSD_S10_EESH_SX_SI_SJ_SK_EUlSX_E0_NS1_11comp_targetILNS1_3genE5ELNS1_11target_archE942ELNS1_3gpuE9ELNS1_3repE0EEENS1_38merge_mergepath_config_static_selectorELNS0_4arch9wavefront6targetE0EEEvSJ_,@function
_ZN7rocprim17ROCPRIM_400000_NS6detail17trampoline_kernelINS0_14default_configENS1_38merge_sort_block_merge_config_selectorIiiEEZZNS1_27merge_sort_block_merge_implIS3_N6thrust23THRUST_200600_302600_NS6detail15normal_iteratorINS8_10device_ptrIiEEEESD_jNS1_19radix_merge_compareILb1ELb1EiNS0_19identity_decomposerEEEEE10hipError_tT0_T1_T2_jT3_P12ihipStream_tbPNSt15iterator_traitsISI_E10value_typeEPNSO_ISJ_E10value_typeEPSK_NS1_7vsmem_tEENKUlT_SI_SJ_SK_E_clISD_PiSD_S10_EESH_SX_SI_SJ_SK_EUlSX_E0_NS1_11comp_targetILNS1_3genE5ELNS1_11target_archE942ELNS1_3gpuE9ELNS1_3repE0EEENS1_38merge_mergepath_config_static_selectorELNS0_4arch9wavefront6targetE0EEEvSJ_: ; @_ZN7rocprim17ROCPRIM_400000_NS6detail17trampoline_kernelINS0_14default_configENS1_38merge_sort_block_merge_config_selectorIiiEEZZNS1_27merge_sort_block_merge_implIS3_N6thrust23THRUST_200600_302600_NS6detail15normal_iteratorINS8_10device_ptrIiEEEESD_jNS1_19radix_merge_compareILb1ELb1EiNS0_19identity_decomposerEEEEE10hipError_tT0_T1_T2_jT3_P12ihipStream_tbPNSt15iterator_traitsISI_E10value_typeEPNSO_ISJ_E10value_typeEPSK_NS1_7vsmem_tEENKUlT_SI_SJ_SK_E_clISD_PiSD_S10_EESH_SX_SI_SJ_SK_EUlSX_E0_NS1_11comp_targetILNS1_3genE5ELNS1_11target_archE942ELNS1_3gpuE9ELNS1_3repE0EEENS1_38merge_mergepath_config_static_selectorELNS0_4arch9wavefront6targetE0EEEvSJ_
; %bb.0:
	.section	.rodata,"a",@progbits
	.p2align	6, 0x0
	.amdhsa_kernel _ZN7rocprim17ROCPRIM_400000_NS6detail17trampoline_kernelINS0_14default_configENS1_38merge_sort_block_merge_config_selectorIiiEEZZNS1_27merge_sort_block_merge_implIS3_N6thrust23THRUST_200600_302600_NS6detail15normal_iteratorINS8_10device_ptrIiEEEESD_jNS1_19radix_merge_compareILb1ELb1EiNS0_19identity_decomposerEEEEE10hipError_tT0_T1_T2_jT3_P12ihipStream_tbPNSt15iterator_traitsISI_E10value_typeEPNSO_ISJ_E10value_typeEPSK_NS1_7vsmem_tEENKUlT_SI_SJ_SK_E_clISD_PiSD_S10_EESH_SX_SI_SJ_SK_EUlSX_E0_NS1_11comp_targetILNS1_3genE5ELNS1_11target_archE942ELNS1_3gpuE9ELNS1_3repE0EEENS1_38merge_mergepath_config_static_selectorELNS0_4arch9wavefront6targetE0EEEvSJ_
		.amdhsa_group_segment_fixed_size 0
		.amdhsa_private_segment_fixed_size 0
		.amdhsa_kernarg_size 64
		.amdhsa_user_sgpr_count 6
		.amdhsa_user_sgpr_private_segment_buffer 1
		.amdhsa_user_sgpr_dispatch_ptr 0
		.amdhsa_user_sgpr_queue_ptr 0
		.amdhsa_user_sgpr_kernarg_segment_ptr 1
		.amdhsa_user_sgpr_dispatch_id 0
		.amdhsa_user_sgpr_flat_scratch_init 0
		.amdhsa_user_sgpr_private_segment_size 0
		.amdhsa_wavefront_size32 1
		.amdhsa_uses_dynamic_stack 0
		.amdhsa_system_sgpr_private_segment_wavefront_offset 0
		.amdhsa_system_sgpr_workgroup_id_x 1
		.amdhsa_system_sgpr_workgroup_id_y 0
		.amdhsa_system_sgpr_workgroup_id_z 0
		.amdhsa_system_sgpr_workgroup_info 0
		.amdhsa_system_vgpr_workitem_id 0
		.amdhsa_next_free_vgpr 1
		.amdhsa_next_free_sgpr 1
		.amdhsa_reserve_vcc 0
		.amdhsa_reserve_flat_scratch 0
		.amdhsa_float_round_mode_32 0
		.amdhsa_float_round_mode_16_64 0
		.amdhsa_float_denorm_mode_32 3
		.amdhsa_float_denorm_mode_16_64 3
		.amdhsa_dx10_clamp 1
		.amdhsa_ieee_mode 1
		.amdhsa_fp16_overflow 0
		.amdhsa_workgroup_processor_mode 1
		.amdhsa_memory_ordered 1
		.amdhsa_forward_progress 1
		.amdhsa_shared_vgpr_count 0
		.amdhsa_exception_fp_ieee_invalid_op 0
		.amdhsa_exception_fp_denorm_src 0
		.amdhsa_exception_fp_ieee_div_zero 0
		.amdhsa_exception_fp_ieee_overflow 0
		.amdhsa_exception_fp_ieee_underflow 0
		.amdhsa_exception_fp_ieee_inexact 0
		.amdhsa_exception_int_div_zero 0
	.end_amdhsa_kernel
	.section	.text._ZN7rocprim17ROCPRIM_400000_NS6detail17trampoline_kernelINS0_14default_configENS1_38merge_sort_block_merge_config_selectorIiiEEZZNS1_27merge_sort_block_merge_implIS3_N6thrust23THRUST_200600_302600_NS6detail15normal_iteratorINS8_10device_ptrIiEEEESD_jNS1_19radix_merge_compareILb1ELb1EiNS0_19identity_decomposerEEEEE10hipError_tT0_T1_T2_jT3_P12ihipStream_tbPNSt15iterator_traitsISI_E10value_typeEPNSO_ISJ_E10value_typeEPSK_NS1_7vsmem_tEENKUlT_SI_SJ_SK_E_clISD_PiSD_S10_EESH_SX_SI_SJ_SK_EUlSX_E0_NS1_11comp_targetILNS1_3genE5ELNS1_11target_archE942ELNS1_3gpuE9ELNS1_3repE0EEENS1_38merge_mergepath_config_static_selectorELNS0_4arch9wavefront6targetE0EEEvSJ_,"axG",@progbits,_ZN7rocprim17ROCPRIM_400000_NS6detail17trampoline_kernelINS0_14default_configENS1_38merge_sort_block_merge_config_selectorIiiEEZZNS1_27merge_sort_block_merge_implIS3_N6thrust23THRUST_200600_302600_NS6detail15normal_iteratorINS8_10device_ptrIiEEEESD_jNS1_19radix_merge_compareILb1ELb1EiNS0_19identity_decomposerEEEEE10hipError_tT0_T1_T2_jT3_P12ihipStream_tbPNSt15iterator_traitsISI_E10value_typeEPNSO_ISJ_E10value_typeEPSK_NS1_7vsmem_tEENKUlT_SI_SJ_SK_E_clISD_PiSD_S10_EESH_SX_SI_SJ_SK_EUlSX_E0_NS1_11comp_targetILNS1_3genE5ELNS1_11target_archE942ELNS1_3gpuE9ELNS1_3repE0EEENS1_38merge_mergepath_config_static_selectorELNS0_4arch9wavefront6targetE0EEEvSJ_,comdat
.Lfunc_end967:
	.size	_ZN7rocprim17ROCPRIM_400000_NS6detail17trampoline_kernelINS0_14default_configENS1_38merge_sort_block_merge_config_selectorIiiEEZZNS1_27merge_sort_block_merge_implIS3_N6thrust23THRUST_200600_302600_NS6detail15normal_iteratorINS8_10device_ptrIiEEEESD_jNS1_19radix_merge_compareILb1ELb1EiNS0_19identity_decomposerEEEEE10hipError_tT0_T1_T2_jT3_P12ihipStream_tbPNSt15iterator_traitsISI_E10value_typeEPNSO_ISJ_E10value_typeEPSK_NS1_7vsmem_tEENKUlT_SI_SJ_SK_E_clISD_PiSD_S10_EESH_SX_SI_SJ_SK_EUlSX_E0_NS1_11comp_targetILNS1_3genE5ELNS1_11target_archE942ELNS1_3gpuE9ELNS1_3repE0EEENS1_38merge_mergepath_config_static_selectorELNS0_4arch9wavefront6targetE0EEEvSJ_, .Lfunc_end967-_ZN7rocprim17ROCPRIM_400000_NS6detail17trampoline_kernelINS0_14default_configENS1_38merge_sort_block_merge_config_selectorIiiEEZZNS1_27merge_sort_block_merge_implIS3_N6thrust23THRUST_200600_302600_NS6detail15normal_iteratorINS8_10device_ptrIiEEEESD_jNS1_19radix_merge_compareILb1ELb1EiNS0_19identity_decomposerEEEEE10hipError_tT0_T1_T2_jT3_P12ihipStream_tbPNSt15iterator_traitsISI_E10value_typeEPNSO_ISJ_E10value_typeEPSK_NS1_7vsmem_tEENKUlT_SI_SJ_SK_E_clISD_PiSD_S10_EESH_SX_SI_SJ_SK_EUlSX_E0_NS1_11comp_targetILNS1_3genE5ELNS1_11target_archE942ELNS1_3gpuE9ELNS1_3repE0EEENS1_38merge_mergepath_config_static_selectorELNS0_4arch9wavefront6targetE0EEEvSJ_
                                        ; -- End function
	.set _ZN7rocprim17ROCPRIM_400000_NS6detail17trampoline_kernelINS0_14default_configENS1_38merge_sort_block_merge_config_selectorIiiEEZZNS1_27merge_sort_block_merge_implIS3_N6thrust23THRUST_200600_302600_NS6detail15normal_iteratorINS8_10device_ptrIiEEEESD_jNS1_19radix_merge_compareILb1ELb1EiNS0_19identity_decomposerEEEEE10hipError_tT0_T1_T2_jT3_P12ihipStream_tbPNSt15iterator_traitsISI_E10value_typeEPNSO_ISJ_E10value_typeEPSK_NS1_7vsmem_tEENKUlT_SI_SJ_SK_E_clISD_PiSD_S10_EESH_SX_SI_SJ_SK_EUlSX_E0_NS1_11comp_targetILNS1_3genE5ELNS1_11target_archE942ELNS1_3gpuE9ELNS1_3repE0EEENS1_38merge_mergepath_config_static_selectorELNS0_4arch9wavefront6targetE0EEEvSJ_.num_vgpr, 0
	.set _ZN7rocprim17ROCPRIM_400000_NS6detail17trampoline_kernelINS0_14default_configENS1_38merge_sort_block_merge_config_selectorIiiEEZZNS1_27merge_sort_block_merge_implIS3_N6thrust23THRUST_200600_302600_NS6detail15normal_iteratorINS8_10device_ptrIiEEEESD_jNS1_19radix_merge_compareILb1ELb1EiNS0_19identity_decomposerEEEEE10hipError_tT0_T1_T2_jT3_P12ihipStream_tbPNSt15iterator_traitsISI_E10value_typeEPNSO_ISJ_E10value_typeEPSK_NS1_7vsmem_tEENKUlT_SI_SJ_SK_E_clISD_PiSD_S10_EESH_SX_SI_SJ_SK_EUlSX_E0_NS1_11comp_targetILNS1_3genE5ELNS1_11target_archE942ELNS1_3gpuE9ELNS1_3repE0EEENS1_38merge_mergepath_config_static_selectorELNS0_4arch9wavefront6targetE0EEEvSJ_.num_agpr, 0
	.set _ZN7rocprim17ROCPRIM_400000_NS6detail17trampoline_kernelINS0_14default_configENS1_38merge_sort_block_merge_config_selectorIiiEEZZNS1_27merge_sort_block_merge_implIS3_N6thrust23THRUST_200600_302600_NS6detail15normal_iteratorINS8_10device_ptrIiEEEESD_jNS1_19radix_merge_compareILb1ELb1EiNS0_19identity_decomposerEEEEE10hipError_tT0_T1_T2_jT3_P12ihipStream_tbPNSt15iterator_traitsISI_E10value_typeEPNSO_ISJ_E10value_typeEPSK_NS1_7vsmem_tEENKUlT_SI_SJ_SK_E_clISD_PiSD_S10_EESH_SX_SI_SJ_SK_EUlSX_E0_NS1_11comp_targetILNS1_3genE5ELNS1_11target_archE942ELNS1_3gpuE9ELNS1_3repE0EEENS1_38merge_mergepath_config_static_selectorELNS0_4arch9wavefront6targetE0EEEvSJ_.numbered_sgpr, 0
	.set _ZN7rocprim17ROCPRIM_400000_NS6detail17trampoline_kernelINS0_14default_configENS1_38merge_sort_block_merge_config_selectorIiiEEZZNS1_27merge_sort_block_merge_implIS3_N6thrust23THRUST_200600_302600_NS6detail15normal_iteratorINS8_10device_ptrIiEEEESD_jNS1_19radix_merge_compareILb1ELb1EiNS0_19identity_decomposerEEEEE10hipError_tT0_T1_T2_jT3_P12ihipStream_tbPNSt15iterator_traitsISI_E10value_typeEPNSO_ISJ_E10value_typeEPSK_NS1_7vsmem_tEENKUlT_SI_SJ_SK_E_clISD_PiSD_S10_EESH_SX_SI_SJ_SK_EUlSX_E0_NS1_11comp_targetILNS1_3genE5ELNS1_11target_archE942ELNS1_3gpuE9ELNS1_3repE0EEENS1_38merge_mergepath_config_static_selectorELNS0_4arch9wavefront6targetE0EEEvSJ_.num_named_barrier, 0
	.set _ZN7rocprim17ROCPRIM_400000_NS6detail17trampoline_kernelINS0_14default_configENS1_38merge_sort_block_merge_config_selectorIiiEEZZNS1_27merge_sort_block_merge_implIS3_N6thrust23THRUST_200600_302600_NS6detail15normal_iteratorINS8_10device_ptrIiEEEESD_jNS1_19radix_merge_compareILb1ELb1EiNS0_19identity_decomposerEEEEE10hipError_tT0_T1_T2_jT3_P12ihipStream_tbPNSt15iterator_traitsISI_E10value_typeEPNSO_ISJ_E10value_typeEPSK_NS1_7vsmem_tEENKUlT_SI_SJ_SK_E_clISD_PiSD_S10_EESH_SX_SI_SJ_SK_EUlSX_E0_NS1_11comp_targetILNS1_3genE5ELNS1_11target_archE942ELNS1_3gpuE9ELNS1_3repE0EEENS1_38merge_mergepath_config_static_selectorELNS0_4arch9wavefront6targetE0EEEvSJ_.private_seg_size, 0
	.set _ZN7rocprim17ROCPRIM_400000_NS6detail17trampoline_kernelINS0_14default_configENS1_38merge_sort_block_merge_config_selectorIiiEEZZNS1_27merge_sort_block_merge_implIS3_N6thrust23THRUST_200600_302600_NS6detail15normal_iteratorINS8_10device_ptrIiEEEESD_jNS1_19radix_merge_compareILb1ELb1EiNS0_19identity_decomposerEEEEE10hipError_tT0_T1_T2_jT3_P12ihipStream_tbPNSt15iterator_traitsISI_E10value_typeEPNSO_ISJ_E10value_typeEPSK_NS1_7vsmem_tEENKUlT_SI_SJ_SK_E_clISD_PiSD_S10_EESH_SX_SI_SJ_SK_EUlSX_E0_NS1_11comp_targetILNS1_3genE5ELNS1_11target_archE942ELNS1_3gpuE9ELNS1_3repE0EEENS1_38merge_mergepath_config_static_selectorELNS0_4arch9wavefront6targetE0EEEvSJ_.uses_vcc, 0
	.set _ZN7rocprim17ROCPRIM_400000_NS6detail17trampoline_kernelINS0_14default_configENS1_38merge_sort_block_merge_config_selectorIiiEEZZNS1_27merge_sort_block_merge_implIS3_N6thrust23THRUST_200600_302600_NS6detail15normal_iteratorINS8_10device_ptrIiEEEESD_jNS1_19radix_merge_compareILb1ELb1EiNS0_19identity_decomposerEEEEE10hipError_tT0_T1_T2_jT3_P12ihipStream_tbPNSt15iterator_traitsISI_E10value_typeEPNSO_ISJ_E10value_typeEPSK_NS1_7vsmem_tEENKUlT_SI_SJ_SK_E_clISD_PiSD_S10_EESH_SX_SI_SJ_SK_EUlSX_E0_NS1_11comp_targetILNS1_3genE5ELNS1_11target_archE942ELNS1_3gpuE9ELNS1_3repE0EEENS1_38merge_mergepath_config_static_selectorELNS0_4arch9wavefront6targetE0EEEvSJ_.uses_flat_scratch, 0
	.set _ZN7rocprim17ROCPRIM_400000_NS6detail17trampoline_kernelINS0_14default_configENS1_38merge_sort_block_merge_config_selectorIiiEEZZNS1_27merge_sort_block_merge_implIS3_N6thrust23THRUST_200600_302600_NS6detail15normal_iteratorINS8_10device_ptrIiEEEESD_jNS1_19radix_merge_compareILb1ELb1EiNS0_19identity_decomposerEEEEE10hipError_tT0_T1_T2_jT3_P12ihipStream_tbPNSt15iterator_traitsISI_E10value_typeEPNSO_ISJ_E10value_typeEPSK_NS1_7vsmem_tEENKUlT_SI_SJ_SK_E_clISD_PiSD_S10_EESH_SX_SI_SJ_SK_EUlSX_E0_NS1_11comp_targetILNS1_3genE5ELNS1_11target_archE942ELNS1_3gpuE9ELNS1_3repE0EEENS1_38merge_mergepath_config_static_selectorELNS0_4arch9wavefront6targetE0EEEvSJ_.has_dyn_sized_stack, 0
	.set _ZN7rocprim17ROCPRIM_400000_NS6detail17trampoline_kernelINS0_14default_configENS1_38merge_sort_block_merge_config_selectorIiiEEZZNS1_27merge_sort_block_merge_implIS3_N6thrust23THRUST_200600_302600_NS6detail15normal_iteratorINS8_10device_ptrIiEEEESD_jNS1_19radix_merge_compareILb1ELb1EiNS0_19identity_decomposerEEEEE10hipError_tT0_T1_T2_jT3_P12ihipStream_tbPNSt15iterator_traitsISI_E10value_typeEPNSO_ISJ_E10value_typeEPSK_NS1_7vsmem_tEENKUlT_SI_SJ_SK_E_clISD_PiSD_S10_EESH_SX_SI_SJ_SK_EUlSX_E0_NS1_11comp_targetILNS1_3genE5ELNS1_11target_archE942ELNS1_3gpuE9ELNS1_3repE0EEENS1_38merge_mergepath_config_static_selectorELNS0_4arch9wavefront6targetE0EEEvSJ_.has_recursion, 0
	.set _ZN7rocprim17ROCPRIM_400000_NS6detail17trampoline_kernelINS0_14default_configENS1_38merge_sort_block_merge_config_selectorIiiEEZZNS1_27merge_sort_block_merge_implIS3_N6thrust23THRUST_200600_302600_NS6detail15normal_iteratorINS8_10device_ptrIiEEEESD_jNS1_19radix_merge_compareILb1ELb1EiNS0_19identity_decomposerEEEEE10hipError_tT0_T1_T2_jT3_P12ihipStream_tbPNSt15iterator_traitsISI_E10value_typeEPNSO_ISJ_E10value_typeEPSK_NS1_7vsmem_tEENKUlT_SI_SJ_SK_E_clISD_PiSD_S10_EESH_SX_SI_SJ_SK_EUlSX_E0_NS1_11comp_targetILNS1_3genE5ELNS1_11target_archE942ELNS1_3gpuE9ELNS1_3repE0EEENS1_38merge_mergepath_config_static_selectorELNS0_4arch9wavefront6targetE0EEEvSJ_.has_indirect_call, 0
	.section	.AMDGPU.csdata,"",@progbits
; Kernel info:
; codeLenInByte = 0
; TotalNumSgprs: 0
; NumVgprs: 0
; ScratchSize: 0
; MemoryBound: 0
; FloatMode: 240
; IeeeMode: 1
; LDSByteSize: 0 bytes/workgroup (compile time only)
; SGPRBlocks: 0
; VGPRBlocks: 0
; NumSGPRsForWavesPerEU: 1
; NumVGPRsForWavesPerEU: 1
; Occupancy: 16
; WaveLimiterHint : 0
; COMPUTE_PGM_RSRC2:SCRATCH_EN: 0
; COMPUTE_PGM_RSRC2:USER_SGPR: 6
; COMPUTE_PGM_RSRC2:TRAP_HANDLER: 0
; COMPUTE_PGM_RSRC2:TGID_X_EN: 1
; COMPUTE_PGM_RSRC2:TGID_Y_EN: 0
; COMPUTE_PGM_RSRC2:TGID_Z_EN: 0
; COMPUTE_PGM_RSRC2:TIDIG_COMP_CNT: 0
	.section	.text._ZN7rocprim17ROCPRIM_400000_NS6detail17trampoline_kernelINS0_14default_configENS1_38merge_sort_block_merge_config_selectorIiiEEZZNS1_27merge_sort_block_merge_implIS3_N6thrust23THRUST_200600_302600_NS6detail15normal_iteratorINS8_10device_ptrIiEEEESD_jNS1_19radix_merge_compareILb1ELb1EiNS0_19identity_decomposerEEEEE10hipError_tT0_T1_T2_jT3_P12ihipStream_tbPNSt15iterator_traitsISI_E10value_typeEPNSO_ISJ_E10value_typeEPSK_NS1_7vsmem_tEENKUlT_SI_SJ_SK_E_clISD_PiSD_S10_EESH_SX_SI_SJ_SK_EUlSX_E0_NS1_11comp_targetILNS1_3genE4ELNS1_11target_archE910ELNS1_3gpuE8ELNS1_3repE0EEENS1_38merge_mergepath_config_static_selectorELNS0_4arch9wavefront6targetE0EEEvSJ_,"axG",@progbits,_ZN7rocprim17ROCPRIM_400000_NS6detail17trampoline_kernelINS0_14default_configENS1_38merge_sort_block_merge_config_selectorIiiEEZZNS1_27merge_sort_block_merge_implIS3_N6thrust23THRUST_200600_302600_NS6detail15normal_iteratorINS8_10device_ptrIiEEEESD_jNS1_19radix_merge_compareILb1ELb1EiNS0_19identity_decomposerEEEEE10hipError_tT0_T1_T2_jT3_P12ihipStream_tbPNSt15iterator_traitsISI_E10value_typeEPNSO_ISJ_E10value_typeEPSK_NS1_7vsmem_tEENKUlT_SI_SJ_SK_E_clISD_PiSD_S10_EESH_SX_SI_SJ_SK_EUlSX_E0_NS1_11comp_targetILNS1_3genE4ELNS1_11target_archE910ELNS1_3gpuE8ELNS1_3repE0EEENS1_38merge_mergepath_config_static_selectorELNS0_4arch9wavefront6targetE0EEEvSJ_,comdat
	.protected	_ZN7rocprim17ROCPRIM_400000_NS6detail17trampoline_kernelINS0_14default_configENS1_38merge_sort_block_merge_config_selectorIiiEEZZNS1_27merge_sort_block_merge_implIS3_N6thrust23THRUST_200600_302600_NS6detail15normal_iteratorINS8_10device_ptrIiEEEESD_jNS1_19radix_merge_compareILb1ELb1EiNS0_19identity_decomposerEEEEE10hipError_tT0_T1_T2_jT3_P12ihipStream_tbPNSt15iterator_traitsISI_E10value_typeEPNSO_ISJ_E10value_typeEPSK_NS1_7vsmem_tEENKUlT_SI_SJ_SK_E_clISD_PiSD_S10_EESH_SX_SI_SJ_SK_EUlSX_E0_NS1_11comp_targetILNS1_3genE4ELNS1_11target_archE910ELNS1_3gpuE8ELNS1_3repE0EEENS1_38merge_mergepath_config_static_selectorELNS0_4arch9wavefront6targetE0EEEvSJ_ ; -- Begin function _ZN7rocprim17ROCPRIM_400000_NS6detail17trampoline_kernelINS0_14default_configENS1_38merge_sort_block_merge_config_selectorIiiEEZZNS1_27merge_sort_block_merge_implIS3_N6thrust23THRUST_200600_302600_NS6detail15normal_iteratorINS8_10device_ptrIiEEEESD_jNS1_19radix_merge_compareILb1ELb1EiNS0_19identity_decomposerEEEEE10hipError_tT0_T1_T2_jT3_P12ihipStream_tbPNSt15iterator_traitsISI_E10value_typeEPNSO_ISJ_E10value_typeEPSK_NS1_7vsmem_tEENKUlT_SI_SJ_SK_E_clISD_PiSD_S10_EESH_SX_SI_SJ_SK_EUlSX_E0_NS1_11comp_targetILNS1_3genE4ELNS1_11target_archE910ELNS1_3gpuE8ELNS1_3repE0EEENS1_38merge_mergepath_config_static_selectorELNS0_4arch9wavefront6targetE0EEEvSJ_
	.globl	_ZN7rocprim17ROCPRIM_400000_NS6detail17trampoline_kernelINS0_14default_configENS1_38merge_sort_block_merge_config_selectorIiiEEZZNS1_27merge_sort_block_merge_implIS3_N6thrust23THRUST_200600_302600_NS6detail15normal_iteratorINS8_10device_ptrIiEEEESD_jNS1_19radix_merge_compareILb1ELb1EiNS0_19identity_decomposerEEEEE10hipError_tT0_T1_T2_jT3_P12ihipStream_tbPNSt15iterator_traitsISI_E10value_typeEPNSO_ISJ_E10value_typeEPSK_NS1_7vsmem_tEENKUlT_SI_SJ_SK_E_clISD_PiSD_S10_EESH_SX_SI_SJ_SK_EUlSX_E0_NS1_11comp_targetILNS1_3genE4ELNS1_11target_archE910ELNS1_3gpuE8ELNS1_3repE0EEENS1_38merge_mergepath_config_static_selectorELNS0_4arch9wavefront6targetE0EEEvSJ_
	.p2align	8
	.type	_ZN7rocprim17ROCPRIM_400000_NS6detail17trampoline_kernelINS0_14default_configENS1_38merge_sort_block_merge_config_selectorIiiEEZZNS1_27merge_sort_block_merge_implIS3_N6thrust23THRUST_200600_302600_NS6detail15normal_iteratorINS8_10device_ptrIiEEEESD_jNS1_19radix_merge_compareILb1ELb1EiNS0_19identity_decomposerEEEEE10hipError_tT0_T1_T2_jT3_P12ihipStream_tbPNSt15iterator_traitsISI_E10value_typeEPNSO_ISJ_E10value_typeEPSK_NS1_7vsmem_tEENKUlT_SI_SJ_SK_E_clISD_PiSD_S10_EESH_SX_SI_SJ_SK_EUlSX_E0_NS1_11comp_targetILNS1_3genE4ELNS1_11target_archE910ELNS1_3gpuE8ELNS1_3repE0EEENS1_38merge_mergepath_config_static_selectorELNS0_4arch9wavefront6targetE0EEEvSJ_,@function
_ZN7rocprim17ROCPRIM_400000_NS6detail17trampoline_kernelINS0_14default_configENS1_38merge_sort_block_merge_config_selectorIiiEEZZNS1_27merge_sort_block_merge_implIS3_N6thrust23THRUST_200600_302600_NS6detail15normal_iteratorINS8_10device_ptrIiEEEESD_jNS1_19radix_merge_compareILb1ELb1EiNS0_19identity_decomposerEEEEE10hipError_tT0_T1_T2_jT3_P12ihipStream_tbPNSt15iterator_traitsISI_E10value_typeEPNSO_ISJ_E10value_typeEPSK_NS1_7vsmem_tEENKUlT_SI_SJ_SK_E_clISD_PiSD_S10_EESH_SX_SI_SJ_SK_EUlSX_E0_NS1_11comp_targetILNS1_3genE4ELNS1_11target_archE910ELNS1_3gpuE8ELNS1_3repE0EEENS1_38merge_mergepath_config_static_selectorELNS0_4arch9wavefront6targetE0EEEvSJ_: ; @_ZN7rocprim17ROCPRIM_400000_NS6detail17trampoline_kernelINS0_14default_configENS1_38merge_sort_block_merge_config_selectorIiiEEZZNS1_27merge_sort_block_merge_implIS3_N6thrust23THRUST_200600_302600_NS6detail15normal_iteratorINS8_10device_ptrIiEEEESD_jNS1_19radix_merge_compareILb1ELb1EiNS0_19identity_decomposerEEEEE10hipError_tT0_T1_T2_jT3_P12ihipStream_tbPNSt15iterator_traitsISI_E10value_typeEPNSO_ISJ_E10value_typeEPSK_NS1_7vsmem_tEENKUlT_SI_SJ_SK_E_clISD_PiSD_S10_EESH_SX_SI_SJ_SK_EUlSX_E0_NS1_11comp_targetILNS1_3genE4ELNS1_11target_archE910ELNS1_3gpuE8ELNS1_3repE0EEENS1_38merge_mergepath_config_static_selectorELNS0_4arch9wavefront6targetE0EEEvSJ_
; %bb.0:
	.section	.rodata,"a",@progbits
	.p2align	6, 0x0
	.amdhsa_kernel _ZN7rocprim17ROCPRIM_400000_NS6detail17trampoline_kernelINS0_14default_configENS1_38merge_sort_block_merge_config_selectorIiiEEZZNS1_27merge_sort_block_merge_implIS3_N6thrust23THRUST_200600_302600_NS6detail15normal_iteratorINS8_10device_ptrIiEEEESD_jNS1_19radix_merge_compareILb1ELb1EiNS0_19identity_decomposerEEEEE10hipError_tT0_T1_T2_jT3_P12ihipStream_tbPNSt15iterator_traitsISI_E10value_typeEPNSO_ISJ_E10value_typeEPSK_NS1_7vsmem_tEENKUlT_SI_SJ_SK_E_clISD_PiSD_S10_EESH_SX_SI_SJ_SK_EUlSX_E0_NS1_11comp_targetILNS1_3genE4ELNS1_11target_archE910ELNS1_3gpuE8ELNS1_3repE0EEENS1_38merge_mergepath_config_static_selectorELNS0_4arch9wavefront6targetE0EEEvSJ_
		.amdhsa_group_segment_fixed_size 0
		.amdhsa_private_segment_fixed_size 0
		.amdhsa_kernarg_size 64
		.amdhsa_user_sgpr_count 6
		.amdhsa_user_sgpr_private_segment_buffer 1
		.amdhsa_user_sgpr_dispatch_ptr 0
		.amdhsa_user_sgpr_queue_ptr 0
		.amdhsa_user_sgpr_kernarg_segment_ptr 1
		.amdhsa_user_sgpr_dispatch_id 0
		.amdhsa_user_sgpr_flat_scratch_init 0
		.amdhsa_user_sgpr_private_segment_size 0
		.amdhsa_wavefront_size32 1
		.amdhsa_uses_dynamic_stack 0
		.amdhsa_system_sgpr_private_segment_wavefront_offset 0
		.amdhsa_system_sgpr_workgroup_id_x 1
		.amdhsa_system_sgpr_workgroup_id_y 0
		.amdhsa_system_sgpr_workgroup_id_z 0
		.amdhsa_system_sgpr_workgroup_info 0
		.amdhsa_system_vgpr_workitem_id 0
		.amdhsa_next_free_vgpr 1
		.amdhsa_next_free_sgpr 1
		.amdhsa_reserve_vcc 0
		.amdhsa_reserve_flat_scratch 0
		.amdhsa_float_round_mode_32 0
		.amdhsa_float_round_mode_16_64 0
		.amdhsa_float_denorm_mode_32 3
		.amdhsa_float_denorm_mode_16_64 3
		.amdhsa_dx10_clamp 1
		.amdhsa_ieee_mode 1
		.amdhsa_fp16_overflow 0
		.amdhsa_workgroup_processor_mode 1
		.amdhsa_memory_ordered 1
		.amdhsa_forward_progress 1
		.amdhsa_shared_vgpr_count 0
		.amdhsa_exception_fp_ieee_invalid_op 0
		.amdhsa_exception_fp_denorm_src 0
		.amdhsa_exception_fp_ieee_div_zero 0
		.amdhsa_exception_fp_ieee_overflow 0
		.amdhsa_exception_fp_ieee_underflow 0
		.amdhsa_exception_fp_ieee_inexact 0
		.amdhsa_exception_int_div_zero 0
	.end_amdhsa_kernel
	.section	.text._ZN7rocprim17ROCPRIM_400000_NS6detail17trampoline_kernelINS0_14default_configENS1_38merge_sort_block_merge_config_selectorIiiEEZZNS1_27merge_sort_block_merge_implIS3_N6thrust23THRUST_200600_302600_NS6detail15normal_iteratorINS8_10device_ptrIiEEEESD_jNS1_19radix_merge_compareILb1ELb1EiNS0_19identity_decomposerEEEEE10hipError_tT0_T1_T2_jT3_P12ihipStream_tbPNSt15iterator_traitsISI_E10value_typeEPNSO_ISJ_E10value_typeEPSK_NS1_7vsmem_tEENKUlT_SI_SJ_SK_E_clISD_PiSD_S10_EESH_SX_SI_SJ_SK_EUlSX_E0_NS1_11comp_targetILNS1_3genE4ELNS1_11target_archE910ELNS1_3gpuE8ELNS1_3repE0EEENS1_38merge_mergepath_config_static_selectorELNS0_4arch9wavefront6targetE0EEEvSJ_,"axG",@progbits,_ZN7rocprim17ROCPRIM_400000_NS6detail17trampoline_kernelINS0_14default_configENS1_38merge_sort_block_merge_config_selectorIiiEEZZNS1_27merge_sort_block_merge_implIS3_N6thrust23THRUST_200600_302600_NS6detail15normal_iteratorINS8_10device_ptrIiEEEESD_jNS1_19radix_merge_compareILb1ELb1EiNS0_19identity_decomposerEEEEE10hipError_tT0_T1_T2_jT3_P12ihipStream_tbPNSt15iterator_traitsISI_E10value_typeEPNSO_ISJ_E10value_typeEPSK_NS1_7vsmem_tEENKUlT_SI_SJ_SK_E_clISD_PiSD_S10_EESH_SX_SI_SJ_SK_EUlSX_E0_NS1_11comp_targetILNS1_3genE4ELNS1_11target_archE910ELNS1_3gpuE8ELNS1_3repE0EEENS1_38merge_mergepath_config_static_selectorELNS0_4arch9wavefront6targetE0EEEvSJ_,comdat
.Lfunc_end968:
	.size	_ZN7rocprim17ROCPRIM_400000_NS6detail17trampoline_kernelINS0_14default_configENS1_38merge_sort_block_merge_config_selectorIiiEEZZNS1_27merge_sort_block_merge_implIS3_N6thrust23THRUST_200600_302600_NS6detail15normal_iteratorINS8_10device_ptrIiEEEESD_jNS1_19radix_merge_compareILb1ELb1EiNS0_19identity_decomposerEEEEE10hipError_tT0_T1_T2_jT3_P12ihipStream_tbPNSt15iterator_traitsISI_E10value_typeEPNSO_ISJ_E10value_typeEPSK_NS1_7vsmem_tEENKUlT_SI_SJ_SK_E_clISD_PiSD_S10_EESH_SX_SI_SJ_SK_EUlSX_E0_NS1_11comp_targetILNS1_3genE4ELNS1_11target_archE910ELNS1_3gpuE8ELNS1_3repE0EEENS1_38merge_mergepath_config_static_selectorELNS0_4arch9wavefront6targetE0EEEvSJ_, .Lfunc_end968-_ZN7rocprim17ROCPRIM_400000_NS6detail17trampoline_kernelINS0_14default_configENS1_38merge_sort_block_merge_config_selectorIiiEEZZNS1_27merge_sort_block_merge_implIS3_N6thrust23THRUST_200600_302600_NS6detail15normal_iteratorINS8_10device_ptrIiEEEESD_jNS1_19radix_merge_compareILb1ELb1EiNS0_19identity_decomposerEEEEE10hipError_tT0_T1_T2_jT3_P12ihipStream_tbPNSt15iterator_traitsISI_E10value_typeEPNSO_ISJ_E10value_typeEPSK_NS1_7vsmem_tEENKUlT_SI_SJ_SK_E_clISD_PiSD_S10_EESH_SX_SI_SJ_SK_EUlSX_E0_NS1_11comp_targetILNS1_3genE4ELNS1_11target_archE910ELNS1_3gpuE8ELNS1_3repE0EEENS1_38merge_mergepath_config_static_selectorELNS0_4arch9wavefront6targetE0EEEvSJ_
                                        ; -- End function
	.set _ZN7rocprim17ROCPRIM_400000_NS6detail17trampoline_kernelINS0_14default_configENS1_38merge_sort_block_merge_config_selectorIiiEEZZNS1_27merge_sort_block_merge_implIS3_N6thrust23THRUST_200600_302600_NS6detail15normal_iteratorINS8_10device_ptrIiEEEESD_jNS1_19radix_merge_compareILb1ELb1EiNS0_19identity_decomposerEEEEE10hipError_tT0_T1_T2_jT3_P12ihipStream_tbPNSt15iterator_traitsISI_E10value_typeEPNSO_ISJ_E10value_typeEPSK_NS1_7vsmem_tEENKUlT_SI_SJ_SK_E_clISD_PiSD_S10_EESH_SX_SI_SJ_SK_EUlSX_E0_NS1_11comp_targetILNS1_3genE4ELNS1_11target_archE910ELNS1_3gpuE8ELNS1_3repE0EEENS1_38merge_mergepath_config_static_selectorELNS0_4arch9wavefront6targetE0EEEvSJ_.num_vgpr, 0
	.set _ZN7rocprim17ROCPRIM_400000_NS6detail17trampoline_kernelINS0_14default_configENS1_38merge_sort_block_merge_config_selectorIiiEEZZNS1_27merge_sort_block_merge_implIS3_N6thrust23THRUST_200600_302600_NS6detail15normal_iteratorINS8_10device_ptrIiEEEESD_jNS1_19radix_merge_compareILb1ELb1EiNS0_19identity_decomposerEEEEE10hipError_tT0_T1_T2_jT3_P12ihipStream_tbPNSt15iterator_traitsISI_E10value_typeEPNSO_ISJ_E10value_typeEPSK_NS1_7vsmem_tEENKUlT_SI_SJ_SK_E_clISD_PiSD_S10_EESH_SX_SI_SJ_SK_EUlSX_E0_NS1_11comp_targetILNS1_3genE4ELNS1_11target_archE910ELNS1_3gpuE8ELNS1_3repE0EEENS1_38merge_mergepath_config_static_selectorELNS0_4arch9wavefront6targetE0EEEvSJ_.num_agpr, 0
	.set _ZN7rocprim17ROCPRIM_400000_NS6detail17trampoline_kernelINS0_14default_configENS1_38merge_sort_block_merge_config_selectorIiiEEZZNS1_27merge_sort_block_merge_implIS3_N6thrust23THRUST_200600_302600_NS6detail15normal_iteratorINS8_10device_ptrIiEEEESD_jNS1_19radix_merge_compareILb1ELb1EiNS0_19identity_decomposerEEEEE10hipError_tT0_T1_T2_jT3_P12ihipStream_tbPNSt15iterator_traitsISI_E10value_typeEPNSO_ISJ_E10value_typeEPSK_NS1_7vsmem_tEENKUlT_SI_SJ_SK_E_clISD_PiSD_S10_EESH_SX_SI_SJ_SK_EUlSX_E0_NS1_11comp_targetILNS1_3genE4ELNS1_11target_archE910ELNS1_3gpuE8ELNS1_3repE0EEENS1_38merge_mergepath_config_static_selectorELNS0_4arch9wavefront6targetE0EEEvSJ_.numbered_sgpr, 0
	.set _ZN7rocprim17ROCPRIM_400000_NS6detail17trampoline_kernelINS0_14default_configENS1_38merge_sort_block_merge_config_selectorIiiEEZZNS1_27merge_sort_block_merge_implIS3_N6thrust23THRUST_200600_302600_NS6detail15normal_iteratorINS8_10device_ptrIiEEEESD_jNS1_19radix_merge_compareILb1ELb1EiNS0_19identity_decomposerEEEEE10hipError_tT0_T1_T2_jT3_P12ihipStream_tbPNSt15iterator_traitsISI_E10value_typeEPNSO_ISJ_E10value_typeEPSK_NS1_7vsmem_tEENKUlT_SI_SJ_SK_E_clISD_PiSD_S10_EESH_SX_SI_SJ_SK_EUlSX_E0_NS1_11comp_targetILNS1_3genE4ELNS1_11target_archE910ELNS1_3gpuE8ELNS1_3repE0EEENS1_38merge_mergepath_config_static_selectorELNS0_4arch9wavefront6targetE0EEEvSJ_.num_named_barrier, 0
	.set _ZN7rocprim17ROCPRIM_400000_NS6detail17trampoline_kernelINS0_14default_configENS1_38merge_sort_block_merge_config_selectorIiiEEZZNS1_27merge_sort_block_merge_implIS3_N6thrust23THRUST_200600_302600_NS6detail15normal_iteratorINS8_10device_ptrIiEEEESD_jNS1_19radix_merge_compareILb1ELb1EiNS0_19identity_decomposerEEEEE10hipError_tT0_T1_T2_jT3_P12ihipStream_tbPNSt15iterator_traitsISI_E10value_typeEPNSO_ISJ_E10value_typeEPSK_NS1_7vsmem_tEENKUlT_SI_SJ_SK_E_clISD_PiSD_S10_EESH_SX_SI_SJ_SK_EUlSX_E0_NS1_11comp_targetILNS1_3genE4ELNS1_11target_archE910ELNS1_3gpuE8ELNS1_3repE0EEENS1_38merge_mergepath_config_static_selectorELNS0_4arch9wavefront6targetE0EEEvSJ_.private_seg_size, 0
	.set _ZN7rocprim17ROCPRIM_400000_NS6detail17trampoline_kernelINS0_14default_configENS1_38merge_sort_block_merge_config_selectorIiiEEZZNS1_27merge_sort_block_merge_implIS3_N6thrust23THRUST_200600_302600_NS6detail15normal_iteratorINS8_10device_ptrIiEEEESD_jNS1_19radix_merge_compareILb1ELb1EiNS0_19identity_decomposerEEEEE10hipError_tT0_T1_T2_jT3_P12ihipStream_tbPNSt15iterator_traitsISI_E10value_typeEPNSO_ISJ_E10value_typeEPSK_NS1_7vsmem_tEENKUlT_SI_SJ_SK_E_clISD_PiSD_S10_EESH_SX_SI_SJ_SK_EUlSX_E0_NS1_11comp_targetILNS1_3genE4ELNS1_11target_archE910ELNS1_3gpuE8ELNS1_3repE0EEENS1_38merge_mergepath_config_static_selectorELNS0_4arch9wavefront6targetE0EEEvSJ_.uses_vcc, 0
	.set _ZN7rocprim17ROCPRIM_400000_NS6detail17trampoline_kernelINS0_14default_configENS1_38merge_sort_block_merge_config_selectorIiiEEZZNS1_27merge_sort_block_merge_implIS3_N6thrust23THRUST_200600_302600_NS6detail15normal_iteratorINS8_10device_ptrIiEEEESD_jNS1_19radix_merge_compareILb1ELb1EiNS0_19identity_decomposerEEEEE10hipError_tT0_T1_T2_jT3_P12ihipStream_tbPNSt15iterator_traitsISI_E10value_typeEPNSO_ISJ_E10value_typeEPSK_NS1_7vsmem_tEENKUlT_SI_SJ_SK_E_clISD_PiSD_S10_EESH_SX_SI_SJ_SK_EUlSX_E0_NS1_11comp_targetILNS1_3genE4ELNS1_11target_archE910ELNS1_3gpuE8ELNS1_3repE0EEENS1_38merge_mergepath_config_static_selectorELNS0_4arch9wavefront6targetE0EEEvSJ_.uses_flat_scratch, 0
	.set _ZN7rocprim17ROCPRIM_400000_NS6detail17trampoline_kernelINS0_14default_configENS1_38merge_sort_block_merge_config_selectorIiiEEZZNS1_27merge_sort_block_merge_implIS3_N6thrust23THRUST_200600_302600_NS6detail15normal_iteratorINS8_10device_ptrIiEEEESD_jNS1_19radix_merge_compareILb1ELb1EiNS0_19identity_decomposerEEEEE10hipError_tT0_T1_T2_jT3_P12ihipStream_tbPNSt15iterator_traitsISI_E10value_typeEPNSO_ISJ_E10value_typeEPSK_NS1_7vsmem_tEENKUlT_SI_SJ_SK_E_clISD_PiSD_S10_EESH_SX_SI_SJ_SK_EUlSX_E0_NS1_11comp_targetILNS1_3genE4ELNS1_11target_archE910ELNS1_3gpuE8ELNS1_3repE0EEENS1_38merge_mergepath_config_static_selectorELNS0_4arch9wavefront6targetE0EEEvSJ_.has_dyn_sized_stack, 0
	.set _ZN7rocprim17ROCPRIM_400000_NS6detail17trampoline_kernelINS0_14default_configENS1_38merge_sort_block_merge_config_selectorIiiEEZZNS1_27merge_sort_block_merge_implIS3_N6thrust23THRUST_200600_302600_NS6detail15normal_iteratorINS8_10device_ptrIiEEEESD_jNS1_19radix_merge_compareILb1ELb1EiNS0_19identity_decomposerEEEEE10hipError_tT0_T1_T2_jT3_P12ihipStream_tbPNSt15iterator_traitsISI_E10value_typeEPNSO_ISJ_E10value_typeEPSK_NS1_7vsmem_tEENKUlT_SI_SJ_SK_E_clISD_PiSD_S10_EESH_SX_SI_SJ_SK_EUlSX_E0_NS1_11comp_targetILNS1_3genE4ELNS1_11target_archE910ELNS1_3gpuE8ELNS1_3repE0EEENS1_38merge_mergepath_config_static_selectorELNS0_4arch9wavefront6targetE0EEEvSJ_.has_recursion, 0
	.set _ZN7rocprim17ROCPRIM_400000_NS6detail17trampoline_kernelINS0_14default_configENS1_38merge_sort_block_merge_config_selectorIiiEEZZNS1_27merge_sort_block_merge_implIS3_N6thrust23THRUST_200600_302600_NS6detail15normal_iteratorINS8_10device_ptrIiEEEESD_jNS1_19radix_merge_compareILb1ELb1EiNS0_19identity_decomposerEEEEE10hipError_tT0_T1_T2_jT3_P12ihipStream_tbPNSt15iterator_traitsISI_E10value_typeEPNSO_ISJ_E10value_typeEPSK_NS1_7vsmem_tEENKUlT_SI_SJ_SK_E_clISD_PiSD_S10_EESH_SX_SI_SJ_SK_EUlSX_E0_NS1_11comp_targetILNS1_3genE4ELNS1_11target_archE910ELNS1_3gpuE8ELNS1_3repE0EEENS1_38merge_mergepath_config_static_selectorELNS0_4arch9wavefront6targetE0EEEvSJ_.has_indirect_call, 0
	.section	.AMDGPU.csdata,"",@progbits
; Kernel info:
; codeLenInByte = 0
; TotalNumSgprs: 0
; NumVgprs: 0
; ScratchSize: 0
; MemoryBound: 0
; FloatMode: 240
; IeeeMode: 1
; LDSByteSize: 0 bytes/workgroup (compile time only)
; SGPRBlocks: 0
; VGPRBlocks: 0
; NumSGPRsForWavesPerEU: 1
; NumVGPRsForWavesPerEU: 1
; Occupancy: 16
; WaveLimiterHint : 0
; COMPUTE_PGM_RSRC2:SCRATCH_EN: 0
; COMPUTE_PGM_RSRC2:USER_SGPR: 6
; COMPUTE_PGM_RSRC2:TRAP_HANDLER: 0
; COMPUTE_PGM_RSRC2:TGID_X_EN: 1
; COMPUTE_PGM_RSRC2:TGID_Y_EN: 0
; COMPUTE_PGM_RSRC2:TGID_Z_EN: 0
; COMPUTE_PGM_RSRC2:TIDIG_COMP_CNT: 0
	.section	.text._ZN7rocprim17ROCPRIM_400000_NS6detail17trampoline_kernelINS0_14default_configENS1_38merge_sort_block_merge_config_selectorIiiEEZZNS1_27merge_sort_block_merge_implIS3_N6thrust23THRUST_200600_302600_NS6detail15normal_iteratorINS8_10device_ptrIiEEEESD_jNS1_19radix_merge_compareILb1ELb1EiNS0_19identity_decomposerEEEEE10hipError_tT0_T1_T2_jT3_P12ihipStream_tbPNSt15iterator_traitsISI_E10value_typeEPNSO_ISJ_E10value_typeEPSK_NS1_7vsmem_tEENKUlT_SI_SJ_SK_E_clISD_PiSD_S10_EESH_SX_SI_SJ_SK_EUlSX_E0_NS1_11comp_targetILNS1_3genE3ELNS1_11target_archE908ELNS1_3gpuE7ELNS1_3repE0EEENS1_38merge_mergepath_config_static_selectorELNS0_4arch9wavefront6targetE0EEEvSJ_,"axG",@progbits,_ZN7rocprim17ROCPRIM_400000_NS6detail17trampoline_kernelINS0_14default_configENS1_38merge_sort_block_merge_config_selectorIiiEEZZNS1_27merge_sort_block_merge_implIS3_N6thrust23THRUST_200600_302600_NS6detail15normal_iteratorINS8_10device_ptrIiEEEESD_jNS1_19radix_merge_compareILb1ELb1EiNS0_19identity_decomposerEEEEE10hipError_tT0_T1_T2_jT3_P12ihipStream_tbPNSt15iterator_traitsISI_E10value_typeEPNSO_ISJ_E10value_typeEPSK_NS1_7vsmem_tEENKUlT_SI_SJ_SK_E_clISD_PiSD_S10_EESH_SX_SI_SJ_SK_EUlSX_E0_NS1_11comp_targetILNS1_3genE3ELNS1_11target_archE908ELNS1_3gpuE7ELNS1_3repE0EEENS1_38merge_mergepath_config_static_selectorELNS0_4arch9wavefront6targetE0EEEvSJ_,comdat
	.protected	_ZN7rocprim17ROCPRIM_400000_NS6detail17trampoline_kernelINS0_14default_configENS1_38merge_sort_block_merge_config_selectorIiiEEZZNS1_27merge_sort_block_merge_implIS3_N6thrust23THRUST_200600_302600_NS6detail15normal_iteratorINS8_10device_ptrIiEEEESD_jNS1_19radix_merge_compareILb1ELb1EiNS0_19identity_decomposerEEEEE10hipError_tT0_T1_T2_jT3_P12ihipStream_tbPNSt15iterator_traitsISI_E10value_typeEPNSO_ISJ_E10value_typeEPSK_NS1_7vsmem_tEENKUlT_SI_SJ_SK_E_clISD_PiSD_S10_EESH_SX_SI_SJ_SK_EUlSX_E0_NS1_11comp_targetILNS1_3genE3ELNS1_11target_archE908ELNS1_3gpuE7ELNS1_3repE0EEENS1_38merge_mergepath_config_static_selectorELNS0_4arch9wavefront6targetE0EEEvSJ_ ; -- Begin function _ZN7rocprim17ROCPRIM_400000_NS6detail17trampoline_kernelINS0_14default_configENS1_38merge_sort_block_merge_config_selectorIiiEEZZNS1_27merge_sort_block_merge_implIS3_N6thrust23THRUST_200600_302600_NS6detail15normal_iteratorINS8_10device_ptrIiEEEESD_jNS1_19radix_merge_compareILb1ELb1EiNS0_19identity_decomposerEEEEE10hipError_tT0_T1_T2_jT3_P12ihipStream_tbPNSt15iterator_traitsISI_E10value_typeEPNSO_ISJ_E10value_typeEPSK_NS1_7vsmem_tEENKUlT_SI_SJ_SK_E_clISD_PiSD_S10_EESH_SX_SI_SJ_SK_EUlSX_E0_NS1_11comp_targetILNS1_3genE3ELNS1_11target_archE908ELNS1_3gpuE7ELNS1_3repE0EEENS1_38merge_mergepath_config_static_selectorELNS0_4arch9wavefront6targetE0EEEvSJ_
	.globl	_ZN7rocprim17ROCPRIM_400000_NS6detail17trampoline_kernelINS0_14default_configENS1_38merge_sort_block_merge_config_selectorIiiEEZZNS1_27merge_sort_block_merge_implIS3_N6thrust23THRUST_200600_302600_NS6detail15normal_iteratorINS8_10device_ptrIiEEEESD_jNS1_19radix_merge_compareILb1ELb1EiNS0_19identity_decomposerEEEEE10hipError_tT0_T1_T2_jT3_P12ihipStream_tbPNSt15iterator_traitsISI_E10value_typeEPNSO_ISJ_E10value_typeEPSK_NS1_7vsmem_tEENKUlT_SI_SJ_SK_E_clISD_PiSD_S10_EESH_SX_SI_SJ_SK_EUlSX_E0_NS1_11comp_targetILNS1_3genE3ELNS1_11target_archE908ELNS1_3gpuE7ELNS1_3repE0EEENS1_38merge_mergepath_config_static_selectorELNS0_4arch9wavefront6targetE0EEEvSJ_
	.p2align	8
	.type	_ZN7rocprim17ROCPRIM_400000_NS6detail17trampoline_kernelINS0_14default_configENS1_38merge_sort_block_merge_config_selectorIiiEEZZNS1_27merge_sort_block_merge_implIS3_N6thrust23THRUST_200600_302600_NS6detail15normal_iteratorINS8_10device_ptrIiEEEESD_jNS1_19radix_merge_compareILb1ELb1EiNS0_19identity_decomposerEEEEE10hipError_tT0_T1_T2_jT3_P12ihipStream_tbPNSt15iterator_traitsISI_E10value_typeEPNSO_ISJ_E10value_typeEPSK_NS1_7vsmem_tEENKUlT_SI_SJ_SK_E_clISD_PiSD_S10_EESH_SX_SI_SJ_SK_EUlSX_E0_NS1_11comp_targetILNS1_3genE3ELNS1_11target_archE908ELNS1_3gpuE7ELNS1_3repE0EEENS1_38merge_mergepath_config_static_selectorELNS0_4arch9wavefront6targetE0EEEvSJ_,@function
_ZN7rocprim17ROCPRIM_400000_NS6detail17trampoline_kernelINS0_14default_configENS1_38merge_sort_block_merge_config_selectorIiiEEZZNS1_27merge_sort_block_merge_implIS3_N6thrust23THRUST_200600_302600_NS6detail15normal_iteratorINS8_10device_ptrIiEEEESD_jNS1_19radix_merge_compareILb1ELb1EiNS0_19identity_decomposerEEEEE10hipError_tT0_T1_T2_jT3_P12ihipStream_tbPNSt15iterator_traitsISI_E10value_typeEPNSO_ISJ_E10value_typeEPSK_NS1_7vsmem_tEENKUlT_SI_SJ_SK_E_clISD_PiSD_S10_EESH_SX_SI_SJ_SK_EUlSX_E0_NS1_11comp_targetILNS1_3genE3ELNS1_11target_archE908ELNS1_3gpuE7ELNS1_3repE0EEENS1_38merge_mergepath_config_static_selectorELNS0_4arch9wavefront6targetE0EEEvSJ_: ; @_ZN7rocprim17ROCPRIM_400000_NS6detail17trampoline_kernelINS0_14default_configENS1_38merge_sort_block_merge_config_selectorIiiEEZZNS1_27merge_sort_block_merge_implIS3_N6thrust23THRUST_200600_302600_NS6detail15normal_iteratorINS8_10device_ptrIiEEEESD_jNS1_19radix_merge_compareILb1ELb1EiNS0_19identity_decomposerEEEEE10hipError_tT0_T1_T2_jT3_P12ihipStream_tbPNSt15iterator_traitsISI_E10value_typeEPNSO_ISJ_E10value_typeEPSK_NS1_7vsmem_tEENKUlT_SI_SJ_SK_E_clISD_PiSD_S10_EESH_SX_SI_SJ_SK_EUlSX_E0_NS1_11comp_targetILNS1_3genE3ELNS1_11target_archE908ELNS1_3gpuE7ELNS1_3repE0EEENS1_38merge_mergepath_config_static_selectorELNS0_4arch9wavefront6targetE0EEEvSJ_
; %bb.0:
	.section	.rodata,"a",@progbits
	.p2align	6, 0x0
	.amdhsa_kernel _ZN7rocprim17ROCPRIM_400000_NS6detail17trampoline_kernelINS0_14default_configENS1_38merge_sort_block_merge_config_selectorIiiEEZZNS1_27merge_sort_block_merge_implIS3_N6thrust23THRUST_200600_302600_NS6detail15normal_iteratorINS8_10device_ptrIiEEEESD_jNS1_19radix_merge_compareILb1ELb1EiNS0_19identity_decomposerEEEEE10hipError_tT0_T1_T2_jT3_P12ihipStream_tbPNSt15iterator_traitsISI_E10value_typeEPNSO_ISJ_E10value_typeEPSK_NS1_7vsmem_tEENKUlT_SI_SJ_SK_E_clISD_PiSD_S10_EESH_SX_SI_SJ_SK_EUlSX_E0_NS1_11comp_targetILNS1_3genE3ELNS1_11target_archE908ELNS1_3gpuE7ELNS1_3repE0EEENS1_38merge_mergepath_config_static_selectorELNS0_4arch9wavefront6targetE0EEEvSJ_
		.amdhsa_group_segment_fixed_size 0
		.amdhsa_private_segment_fixed_size 0
		.amdhsa_kernarg_size 64
		.amdhsa_user_sgpr_count 6
		.amdhsa_user_sgpr_private_segment_buffer 1
		.amdhsa_user_sgpr_dispatch_ptr 0
		.amdhsa_user_sgpr_queue_ptr 0
		.amdhsa_user_sgpr_kernarg_segment_ptr 1
		.amdhsa_user_sgpr_dispatch_id 0
		.amdhsa_user_sgpr_flat_scratch_init 0
		.amdhsa_user_sgpr_private_segment_size 0
		.amdhsa_wavefront_size32 1
		.amdhsa_uses_dynamic_stack 0
		.amdhsa_system_sgpr_private_segment_wavefront_offset 0
		.amdhsa_system_sgpr_workgroup_id_x 1
		.amdhsa_system_sgpr_workgroup_id_y 0
		.amdhsa_system_sgpr_workgroup_id_z 0
		.amdhsa_system_sgpr_workgroup_info 0
		.amdhsa_system_vgpr_workitem_id 0
		.amdhsa_next_free_vgpr 1
		.amdhsa_next_free_sgpr 1
		.amdhsa_reserve_vcc 0
		.amdhsa_reserve_flat_scratch 0
		.amdhsa_float_round_mode_32 0
		.amdhsa_float_round_mode_16_64 0
		.amdhsa_float_denorm_mode_32 3
		.amdhsa_float_denorm_mode_16_64 3
		.amdhsa_dx10_clamp 1
		.amdhsa_ieee_mode 1
		.amdhsa_fp16_overflow 0
		.amdhsa_workgroup_processor_mode 1
		.amdhsa_memory_ordered 1
		.amdhsa_forward_progress 1
		.amdhsa_shared_vgpr_count 0
		.amdhsa_exception_fp_ieee_invalid_op 0
		.amdhsa_exception_fp_denorm_src 0
		.amdhsa_exception_fp_ieee_div_zero 0
		.amdhsa_exception_fp_ieee_overflow 0
		.amdhsa_exception_fp_ieee_underflow 0
		.amdhsa_exception_fp_ieee_inexact 0
		.amdhsa_exception_int_div_zero 0
	.end_amdhsa_kernel
	.section	.text._ZN7rocprim17ROCPRIM_400000_NS6detail17trampoline_kernelINS0_14default_configENS1_38merge_sort_block_merge_config_selectorIiiEEZZNS1_27merge_sort_block_merge_implIS3_N6thrust23THRUST_200600_302600_NS6detail15normal_iteratorINS8_10device_ptrIiEEEESD_jNS1_19radix_merge_compareILb1ELb1EiNS0_19identity_decomposerEEEEE10hipError_tT0_T1_T2_jT3_P12ihipStream_tbPNSt15iterator_traitsISI_E10value_typeEPNSO_ISJ_E10value_typeEPSK_NS1_7vsmem_tEENKUlT_SI_SJ_SK_E_clISD_PiSD_S10_EESH_SX_SI_SJ_SK_EUlSX_E0_NS1_11comp_targetILNS1_3genE3ELNS1_11target_archE908ELNS1_3gpuE7ELNS1_3repE0EEENS1_38merge_mergepath_config_static_selectorELNS0_4arch9wavefront6targetE0EEEvSJ_,"axG",@progbits,_ZN7rocprim17ROCPRIM_400000_NS6detail17trampoline_kernelINS0_14default_configENS1_38merge_sort_block_merge_config_selectorIiiEEZZNS1_27merge_sort_block_merge_implIS3_N6thrust23THRUST_200600_302600_NS6detail15normal_iteratorINS8_10device_ptrIiEEEESD_jNS1_19radix_merge_compareILb1ELb1EiNS0_19identity_decomposerEEEEE10hipError_tT0_T1_T2_jT3_P12ihipStream_tbPNSt15iterator_traitsISI_E10value_typeEPNSO_ISJ_E10value_typeEPSK_NS1_7vsmem_tEENKUlT_SI_SJ_SK_E_clISD_PiSD_S10_EESH_SX_SI_SJ_SK_EUlSX_E0_NS1_11comp_targetILNS1_3genE3ELNS1_11target_archE908ELNS1_3gpuE7ELNS1_3repE0EEENS1_38merge_mergepath_config_static_selectorELNS0_4arch9wavefront6targetE0EEEvSJ_,comdat
.Lfunc_end969:
	.size	_ZN7rocprim17ROCPRIM_400000_NS6detail17trampoline_kernelINS0_14default_configENS1_38merge_sort_block_merge_config_selectorIiiEEZZNS1_27merge_sort_block_merge_implIS3_N6thrust23THRUST_200600_302600_NS6detail15normal_iteratorINS8_10device_ptrIiEEEESD_jNS1_19radix_merge_compareILb1ELb1EiNS0_19identity_decomposerEEEEE10hipError_tT0_T1_T2_jT3_P12ihipStream_tbPNSt15iterator_traitsISI_E10value_typeEPNSO_ISJ_E10value_typeEPSK_NS1_7vsmem_tEENKUlT_SI_SJ_SK_E_clISD_PiSD_S10_EESH_SX_SI_SJ_SK_EUlSX_E0_NS1_11comp_targetILNS1_3genE3ELNS1_11target_archE908ELNS1_3gpuE7ELNS1_3repE0EEENS1_38merge_mergepath_config_static_selectorELNS0_4arch9wavefront6targetE0EEEvSJ_, .Lfunc_end969-_ZN7rocprim17ROCPRIM_400000_NS6detail17trampoline_kernelINS0_14default_configENS1_38merge_sort_block_merge_config_selectorIiiEEZZNS1_27merge_sort_block_merge_implIS3_N6thrust23THRUST_200600_302600_NS6detail15normal_iteratorINS8_10device_ptrIiEEEESD_jNS1_19radix_merge_compareILb1ELb1EiNS0_19identity_decomposerEEEEE10hipError_tT0_T1_T2_jT3_P12ihipStream_tbPNSt15iterator_traitsISI_E10value_typeEPNSO_ISJ_E10value_typeEPSK_NS1_7vsmem_tEENKUlT_SI_SJ_SK_E_clISD_PiSD_S10_EESH_SX_SI_SJ_SK_EUlSX_E0_NS1_11comp_targetILNS1_3genE3ELNS1_11target_archE908ELNS1_3gpuE7ELNS1_3repE0EEENS1_38merge_mergepath_config_static_selectorELNS0_4arch9wavefront6targetE0EEEvSJ_
                                        ; -- End function
	.set _ZN7rocprim17ROCPRIM_400000_NS6detail17trampoline_kernelINS0_14default_configENS1_38merge_sort_block_merge_config_selectorIiiEEZZNS1_27merge_sort_block_merge_implIS3_N6thrust23THRUST_200600_302600_NS6detail15normal_iteratorINS8_10device_ptrIiEEEESD_jNS1_19radix_merge_compareILb1ELb1EiNS0_19identity_decomposerEEEEE10hipError_tT0_T1_T2_jT3_P12ihipStream_tbPNSt15iterator_traitsISI_E10value_typeEPNSO_ISJ_E10value_typeEPSK_NS1_7vsmem_tEENKUlT_SI_SJ_SK_E_clISD_PiSD_S10_EESH_SX_SI_SJ_SK_EUlSX_E0_NS1_11comp_targetILNS1_3genE3ELNS1_11target_archE908ELNS1_3gpuE7ELNS1_3repE0EEENS1_38merge_mergepath_config_static_selectorELNS0_4arch9wavefront6targetE0EEEvSJ_.num_vgpr, 0
	.set _ZN7rocprim17ROCPRIM_400000_NS6detail17trampoline_kernelINS0_14default_configENS1_38merge_sort_block_merge_config_selectorIiiEEZZNS1_27merge_sort_block_merge_implIS3_N6thrust23THRUST_200600_302600_NS6detail15normal_iteratorINS8_10device_ptrIiEEEESD_jNS1_19radix_merge_compareILb1ELb1EiNS0_19identity_decomposerEEEEE10hipError_tT0_T1_T2_jT3_P12ihipStream_tbPNSt15iterator_traitsISI_E10value_typeEPNSO_ISJ_E10value_typeEPSK_NS1_7vsmem_tEENKUlT_SI_SJ_SK_E_clISD_PiSD_S10_EESH_SX_SI_SJ_SK_EUlSX_E0_NS1_11comp_targetILNS1_3genE3ELNS1_11target_archE908ELNS1_3gpuE7ELNS1_3repE0EEENS1_38merge_mergepath_config_static_selectorELNS0_4arch9wavefront6targetE0EEEvSJ_.num_agpr, 0
	.set _ZN7rocprim17ROCPRIM_400000_NS6detail17trampoline_kernelINS0_14default_configENS1_38merge_sort_block_merge_config_selectorIiiEEZZNS1_27merge_sort_block_merge_implIS3_N6thrust23THRUST_200600_302600_NS6detail15normal_iteratorINS8_10device_ptrIiEEEESD_jNS1_19radix_merge_compareILb1ELb1EiNS0_19identity_decomposerEEEEE10hipError_tT0_T1_T2_jT3_P12ihipStream_tbPNSt15iterator_traitsISI_E10value_typeEPNSO_ISJ_E10value_typeEPSK_NS1_7vsmem_tEENKUlT_SI_SJ_SK_E_clISD_PiSD_S10_EESH_SX_SI_SJ_SK_EUlSX_E0_NS1_11comp_targetILNS1_3genE3ELNS1_11target_archE908ELNS1_3gpuE7ELNS1_3repE0EEENS1_38merge_mergepath_config_static_selectorELNS0_4arch9wavefront6targetE0EEEvSJ_.numbered_sgpr, 0
	.set _ZN7rocprim17ROCPRIM_400000_NS6detail17trampoline_kernelINS0_14default_configENS1_38merge_sort_block_merge_config_selectorIiiEEZZNS1_27merge_sort_block_merge_implIS3_N6thrust23THRUST_200600_302600_NS6detail15normal_iteratorINS8_10device_ptrIiEEEESD_jNS1_19radix_merge_compareILb1ELb1EiNS0_19identity_decomposerEEEEE10hipError_tT0_T1_T2_jT3_P12ihipStream_tbPNSt15iterator_traitsISI_E10value_typeEPNSO_ISJ_E10value_typeEPSK_NS1_7vsmem_tEENKUlT_SI_SJ_SK_E_clISD_PiSD_S10_EESH_SX_SI_SJ_SK_EUlSX_E0_NS1_11comp_targetILNS1_3genE3ELNS1_11target_archE908ELNS1_3gpuE7ELNS1_3repE0EEENS1_38merge_mergepath_config_static_selectorELNS0_4arch9wavefront6targetE0EEEvSJ_.num_named_barrier, 0
	.set _ZN7rocprim17ROCPRIM_400000_NS6detail17trampoline_kernelINS0_14default_configENS1_38merge_sort_block_merge_config_selectorIiiEEZZNS1_27merge_sort_block_merge_implIS3_N6thrust23THRUST_200600_302600_NS6detail15normal_iteratorINS8_10device_ptrIiEEEESD_jNS1_19radix_merge_compareILb1ELb1EiNS0_19identity_decomposerEEEEE10hipError_tT0_T1_T2_jT3_P12ihipStream_tbPNSt15iterator_traitsISI_E10value_typeEPNSO_ISJ_E10value_typeEPSK_NS1_7vsmem_tEENKUlT_SI_SJ_SK_E_clISD_PiSD_S10_EESH_SX_SI_SJ_SK_EUlSX_E0_NS1_11comp_targetILNS1_3genE3ELNS1_11target_archE908ELNS1_3gpuE7ELNS1_3repE0EEENS1_38merge_mergepath_config_static_selectorELNS0_4arch9wavefront6targetE0EEEvSJ_.private_seg_size, 0
	.set _ZN7rocprim17ROCPRIM_400000_NS6detail17trampoline_kernelINS0_14default_configENS1_38merge_sort_block_merge_config_selectorIiiEEZZNS1_27merge_sort_block_merge_implIS3_N6thrust23THRUST_200600_302600_NS6detail15normal_iteratorINS8_10device_ptrIiEEEESD_jNS1_19radix_merge_compareILb1ELb1EiNS0_19identity_decomposerEEEEE10hipError_tT0_T1_T2_jT3_P12ihipStream_tbPNSt15iterator_traitsISI_E10value_typeEPNSO_ISJ_E10value_typeEPSK_NS1_7vsmem_tEENKUlT_SI_SJ_SK_E_clISD_PiSD_S10_EESH_SX_SI_SJ_SK_EUlSX_E0_NS1_11comp_targetILNS1_3genE3ELNS1_11target_archE908ELNS1_3gpuE7ELNS1_3repE0EEENS1_38merge_mergepath_config_static_selectorELNS0_4arch9wavefront6targetE0EEEvSJ_.uses_vcc, 0
	.set _ZN7rocprim17ROCPRIM_400000_NS6detail17trampoline_kernelINS0_14default_configENS1_38merge_sort_block_merge_config_selectorIiiEEZZNS1_27merge_sort_block_merge_implIS3_N6thrust23THRUST_200600_302600_NS6detail15normal_iteratorINS8_10device_ptrIiEEEESD_jNS1_19radix_merge_compareILb1ELb1EiNS0_19identity_decomposerEEEEE10hipError_tT0_T1_T2_jT3_P12ihipStream_tbPNSt15iterator_traitsISI_E10value_typeEPNSO_ISJ_E10value_typeEPSK_NS1_7vsmem_tEENKUlT_SI_SJ_SK_E_clISD_PiSD_S10_EESH_SX_SI_SJ_SK_EUlSX_E0_NS1_11comp_targetILNS1_3genE3ELNS1_11target_archE908ELNS1_3gpuE7ELNS1_3repE0EEENS1_38merge_mergepath_config_static_selectorELNS0_4arch9wavefront6targetE0EEEvSJ_.uses_flat_scratch, 0
	.set _ZN7rocprim17ROCPRIM_400000_NS6detail17trampoline_kernelINS0_14default_configENS1_38merge_sort_block_merge_config_selectorIiiEEZZNS1_27merge_sort_block_merge_implIS3_N6thrust23THRUST_200600_302600_NS6detail15normal_iteratorINS8_10device_ptrIiEEEESD_jNS1_19radix_merge_compareILb1ELb1EiNS0_19identity_decomposerEEEEE10hipError_tT0_T1_T2_jT3_P12ihipStream_tbPNSt15iterator_traitsISI_E10value_typeEPNSO_ISJ_E10value_typeEPSK_NS1_7vsmem_tEENKUlT_SI_SJ_SK_E_clISD_PiSD_S10_EESH_SX_SI_SJ_SK_EUlSX_E0_NS1_11comp_targetILNS1_3genE3ELNS1_11target_archE908ELNS1_3gpuE7ELNS1_3repE0EEENS1_38merge_mergepath_config_static_selectorELNS0_4arch9wavefront6targetE0EEEvSJ_.has_dyn_sized_stack, 0
	.set _ZN7rocprim17ROCPRIM_400000_NS6detail17trampoline_kernelINS0_14default_configENS1_38merge_sort_block_merge_config_selectorIiiEEZZNS1_27merge_sort_block_merge_implIS3_N6thrust23THRUST_200600_302600_NS6detail15normal_iteratorINS8_10device_ptrIiEEEESD_jNS1_19radix_merge_compareILb1ELb1EiNS0_19identity_decomposerEEEEE10hipError_tT0_T1_T2_jT3_P12ihipStream_tbPNSt15iterator_traitsISI_E10value_typeEPNSO_ISJ_E10value_typeEPSK_NS1_7vsmem_tEENKUlT_SI_SJ_SK_E_clISD_PiSD_S10_EESH_SX_SI_SJ_SK_EUlSX_E0_NS1_11comp_targetILNS1_3genE3ELNS1_11target_archE908ELNS1_3gpuE7ELNS1_3repE0EEENS1_38merge_mergepath_config_static_selectorELNS0_4arch9wavefront6targetE0EEEvSJ_.has_recursion, 0
	.set _ZN7rocprim17ROCPRIM_400000_NS6detail17trampoline_kernelINS0_14default_configENS1_38merge_sort_block_merge_config_selectorIiiEEZZNS1_27merge_sort_block_merge_implIS3_N6thrust23THRUST_200600_302600_NS6detail15normal_iteratorINS8_10device_ptrIiEEEESD_jNS1_19radix_merge_compareILb1ELb1EiNS0_19identity_decomposerEEEEE10hipError_tT0_T1_T2_jT3_P12ihipStream_tbPNSt15iterator_traitsISI_E10value_typeEPNSO_ISJ_E10value_typeEPSK_NS1_7vsmem_tEENKUlT_SI_SJ_SK_E_clISD_PiSD_S10_EESH_SX_SI_SJ_SK_EUlSX_E0_NS1_11comp_targetILNS1_3genE3ELNS1_11target_archE908ELNS1_3gpuE7ELNS1_3repE0EEENS1_38merge_mergepath_config_static_selectorELNS0_4arch9wavefront6targetE0EEEvSJ_.has_indirect_call, 0
	.section	.AMDGPU.csdata,"",@progbits
; Kernel info:
; codeLenInByte = 0
; TotalNumSgprs: 0
; NumVgprs: 0
; ScratchSize: 0
; MemoryBound: 0
; FloatMode: 240
; IeeeMode: 1
; LDSByteSize: 0 bytes/workgroup (compile time only)
; SGPRBlocks: 0
; VGPRBlocks: 0
; NumSGPRsForWavesPerEU: 1
; NumVGPRsForWavesPerEU: 1
; Occupancy: 16
; WaveLimiterHint : 0
; COMPUTE_PGM_RSRC2:SCRATCH_EN: 0
; COMPUTE_PGM_RSRC2:USER_SGPR: 6
; COMPUTE_PGM_RSRC2:TRAP_HANDLER: 0
; COMPUTE_PGM_RSRC2:TGID_X_EN: 1
; COMPUTE_PGM_RSRC2:TGID_Y_EN: 0
; COMPUTE_PGM_RSRC2:TGID_Z_EN: 0
; COMPUTE_PGM_RSRC2:TIDIG_COMP_CNT: 0
	.section	.text._ZN7rocprim17ROCPRIM_400000_NS6detail17trampoline_kernelINS0_14default_configENS1_38merge_sort_block_merge_config_selectorIiiEEZZNS1_27merge_sort_block_merge_implIS3_N6thrust23THRUST_200600_302600_NS6detail15normal_iteratorINS8_10device_ptrIiEEEESD_jNS1_19radix_merge_compareILb1ELb1EiNS0_19identity_decomposerEEEEE10hipError_tT0_T1_T2_jT3_P12ihipStream_tbPNSt15iterator_traitsISI_E10value_typeEPNSO_ISJ_E10value_typeEPSK_NS1_7vsmem_tEENKUlT_SI_SJ_SK_E_clISD_PiSD_S10_EESH_SX_SI_SJ_SK_EUlSX_E0_NS1_11comp_targetILNS1_3genE2ELNS1_11target_archE906ELNS1_3gpuE6ELNS1_3repE0EEENS1_38merge_mergepath_config_static_selectorELNS0_4arch9wavefront6targetE0EEEvSJ_,"axG",@progbits,_ZN7rocprim17ROCPRIM_400000_NS6detail17trampoline_kernelINS0_14default_configENS1_38merge_sort_block_merge_config_selectorIiiEEZZNS1_27merge_sort_block_merge_implIS3_N6thrust23THRUST_200600_302600_NS6detail15normal_iteratorINS8_10device_ptrIiEEEESD_jNS1_19radix_merge_compareILb1ELb1EiNS0_19identity_decomposerEEEEE10hipError_tT0_T1_T2_jT3_P12ihipStream_tbPNSt15iterator_traitsISI_E10value_typeEPNSO_ISJ_E10value_typeEPSK_NS1_7vsmem_tEENKUlT_SI_SJ_SK_E_clISD_PiSD_S10_EESH_SX_SI_SJ_SK_EUlSX_E0_NS1_11comp_targetILNS1_3genE2ELNS1_11target_archE906ELNS1_3gpuE6ELNS1_3repE0EEENS1_38merge_mergepath_config_static_selectorELNS0_4arch9wavefront6targetE0EEEvSJ_,comdat
	.protected	_ZN7rocprim17ROCPRIM_400000_NS6detail17trampoline_kernelINS0_14default_configENS1_38merge_sort_block_merge_config_selectorIiiEEZZNS1_27merge_sort_block_merge_implIS3_N6thrust23THRUST_200600_302600_NS6detail15normal_iteratorINS8_10device_ptrIiEEEESD_jNS1_19radix_merge_compareILb1ELb1EiNS0_19identity_decomposerEEEEE10hipError_tT0_T1_T2_jT3_P12ihipStream_tbPNSt15iterator_traitsISI_E10value_typeEPNSO_ISJ_E10value_typeEPSK_NS1_7vsmem_tEENKUlT_SI_SJ_SK_E_clISD_PiSD_S10_EESH_SX_SI_SJ_SK_EUlSX_E0_NS1_11comp_targetILNS1_3genE2ELNS1_11target_archE906ELNS1_3gpuE6ELNS1_3repE0EEENS1_38merge_mergepath_config_static_selectorELNS0_4arch9wavefront6targetE0EEEvSJ_ ; -- Begin function _ZN7rocprim17ROCPRIM_400000_NS6detail17trampoline_kernelINS0_14default_configENS1_38merge_sort_block_merge_config_selectorIiiEEZZNS1_27merge_sort_block_merge_implIS3_N6thrust23THRUST_200600_302600_NS6detail15normal_iteratorINS8_10device_ptrIiEEEESD_jNS1_19radix_merge_compareILb1ELb1EiNS0_19identity_decomposerEEEEE10hipError_tT0_T1_T2_jT3_P12ihipStream_tbPNSt15iterator_traitsISI_E10value_typeEPNSO_ISJ_E10value_typeEPSK_NS1_7vsmem_tEENKUlT_SI_SJ_SK_E_clISD_PiSD_S10_EESH_SX_SI_SJ_SK_EUlSX_E0_NS1_11comp_targetILNS1_3genE2ELNS1_11target_archE906ELNS1_3gpuE6ELNS1_3repE0EEENS1_38merge_mergepath_config_static_selectorELNS0_4arch9wavefront6targetE0EEEvSJ_
	.globl	_ZN7rocprim17ROCPRIM_400000_NS6detail17trampoline_kernelINS0_14default_configENS1_38merge_sort_block_merge_config_selectorIiiEEZZNS1_27merge_sort_block_merge_implIS3_N6thrust23THRUST_200600_302600_NS6detail15normal_iteratorINS8_10device_ptrIiEEEESD_jNS1_19radix_merge_compareILb1ELb1EiNS0_19identity_decomposerEEEEE10hipError_tT0_T1_T2_jT3_P12ihipStream_tbPNSt15iterator_traitsISI_E10value_typeEPNSO_ISJ_E10value_typeEPSK_NS1_7vsmem_tEENKUlT_SI_SJ_SK_E_clISD_PiSD_S10_EESH_SX_SI_SJ_SK_EUlSX_E0_NS1_11comp_targetILNS1_3genE2ELNS1_11target_archE906ELNS1_3gpuE6ELNS1_3repE0EEENS1_38merge_mergepath_config_static_selectorELNS0_4arch9wavefront6targetE0EEEvSJ_
	.p2align	8
	.type	_ZN7rocprim17ROCPRIM_400000_NS6detail17trampoline_kernelINS0_14default_configENS1_38merge_sort_block_merge_config_selectorIiiEEZZNS1_27merge_sort_block_merge_implIS3_N6thrust23THRUST_200600_302600_NS6detail15normal_iteratorINS8_10device_ptrIiEEEESD_jNS1_19radix_merge_compareILb1ELb1EiNS0_19identity_decomposerEEEEE10hipError_tT0_T1_T2_jT3_P12ihipStream_tbPNSt15iterator_traitsISI_E10value_typeEPNSO_ISJ_E10value_typeEPSK_NS1_7vsmem_tEENKUlT_SI_SJ_SK_E_clISD_PiSD_S10_EESH_SX_SI_SJ_SK_EUlSX_E0_NS1_11comp_targetILNS1_3genE2ELNS1_11target_archE906ELNS1_3gpuE6ELNS1_3repE0EEENS1_38merge_mergepath_config_static_selectorELNS0_4arch9wavefront6targetE0EEEvSJ_,@function
_ZN7rocprim17ROCPRIM_400000_NS6detail17trampoline_kernelINS0_14default_configENS1_38merge_sort_block_merge_config_selectorIiiEEZZNS1_27merge_sort_block_merge_implIS3_N6thrust23THRUST_200600_302600_NS6detail15normal_iteratorINS8_10device_ptrIiEEEESD_jNS1_19radix_merge_compareILb1ELb1EiNS0_19identity_decomposerEEEEE10hipError_tT0_T1_T2_jT3_P12ihipStream_tbPNSt15iterator_traitsISI_E10value_typeEPNSO_ISJ_E10value_typeEPSK_NS1_7vsmem_tEENKUlT_SI_SJ_SK_E_clISD_PiSD_S10_EESH_SX_SI_SJ_SK_EUlSX_E0_NS1_11comp_targetILNS1_3genE2ELNS1_11target_archE906ELNS1_3gpuE6ELNS1_3repE0EEENS1_38merge_mergepath_config_static_selectorELNS0_4arch9wavefront6targetE0EEEvSJ_: ; @_ZN7rocprim17ROCPRIM_400000_NS6detail17trampoline_kernelINS0_14default_configENS1_38merge_sort_block_merge_config_selectorIiiEEZZNS1_27merge_sort_block_merge_implIS3_N6thrust23THRUST_200600_302600_NS6detail15normal_iteratorINS8_10device_ptrIiEEEESD_jNS1_19radix_merge_compareILb1ELb1EiNS0_19identity_decomposerEEEEE10hipError_tT0_T1_T2_jT3_P12ihipStream_tbPNSt15iterator_traitsISI_E10value_typeEPNSO_ISJ_E10value_typeEPSK_NS1_7vsmem_tEENKUlT_SI_SJ_SK_E_clISD_PiSD_S10_EESH_SX_SI_SJ_SK_EUlSX_E0_NS1_11comp_targetILNS1_3genE2ELNS1_11target_archE906ELNS1_3gpuE6ELNS1_3repE0EEENS1_38merge_mergepath_config_static_selectorELNS0_4arch9wavefront6targetE0EEEvSJ_
; %bb.0:
	.section	.rodata,"a",@progbits
	.p2align	6, 0x0
	.amdhsa_kernel _ZN7rocprim17ROCPRIM_400000_NS6detail17trampoline_kernelINS0_14default_configENS1_38merge_sort_block_merge_config_selectorIiiEEZZNS1_27merge_sort_block_merge_implIS3_N6thrust23THRUST_200600_302600_NS6detail15normal_iteratorINS8_10device_ptrIiEEEESD_jNS1_19radix_merge_compareILb1ELb1EiNS0_19identity_decomposerEEEEE10hipError_tT0_T1_T2_jT3_P12ihipStream_tbPNSt15iterator_traitsISI_E10value_typeEPNSO_ISJ_E10value_typeEPSK_NS1_7vsmem_tEENKUlT_SI_SJ_SK_E_clISD_PiSD_S10_EESH_SX_SI_SJ_SK_EUlSX_E0_NS1_11comp_targetILNS1_3genE2ELNS1_11target_archE906ELNS1_3gpuE6ELNS1_3repE0EEENS1_38merge_mergepath_config_static_selectorELNS0_4arch9wavefront6targetE0EEEvSJ_
		.amdhsa_group_segment_fixed_size 0
		.amdhsa_private_segment_fixed_size 0
		.amdhsa_kernarg_size 64
		.amdhsa_user_sgpr_count 6
		.amdhsa_user_sgpr_private_segment_buffer 1
		.amdhsa_user_sgpr_dispatch_ptr 0
		.amdhsa_user_sgpr_queue_ptr 0
		.amdhsa_user_sgpr_kernarg_segment_ptr 1
		.amdhsa_user_sgpr_dispatch_id 0
		.amdhsa_user_sgpr_flat_scratch_init 0
		.amdhsa_user_sgpr_private_segment_size 0
		.amdhsa_wavefront_size32 1
		.amdhsa_uses_dynamic_stack 0
		.amdhsa_system_sgpr_private_segment_wavefront_offset 0
		.amdhsa_system_sgpr_workgroup_id_x 1
		.amdhsa_system_sgpr_workgroup_id_y 0
		.amdhsa_system_sgpr_workgroup_id_z 0
		.amdhsa_system_sgpr_workgroup_info 0
		.amdhsa_system_vgpr_workitem_id 0
		.amdhsa_next_free_vgpr 1
		.amdhsa_next_free_sgpr 1
		.amdhsa_reserve_vcc 0
		.amdhsa_reserve_flat_scratch 0
		.amdhsa_float_round_mode_32 0
		.amdhsa_float_round_mode_16_64 0
		.amdhsa_float_denorm_mode_32 3
		.amdhsa_float_denorm_mode_16_64 3
		.amdhsa_dx10_clamp 1
		.amdhsa_ieee_mode 1
		.amdhsa_fp16_overflow 0
		.amdhsa_workgroup_processor_mode 1
		.amdhsa_memory_ordered 1
		.amdhsa_forward_progress 1
		.amdhsa_shared_vgpr_count 0
		.amdhsa_exception_fp_ieee_invalid_op 0
		.amdhsa_exception_fp_denorm_src 0
		.amdhsa_exception_fp_ieee_div_zero 0
		.amdhsa_exception_fp_ieee_overflow 0
		.amdhsa_exception_fp_ieee_underflow 0
		.amdhsa_exception_fp_ieee_inexact 0
		.amdhsa_exception_int_div_zero 0
	.end_amdhsa_kernel
	.section	.text._ZN7rocprim17ROCPRIM_400000_NS6detail17trampoline_kernelINS0_14default_configENS1_38merge_sort_block_merge_config_selectorIiiEEZZNS1_27merge_sort_block_merge_implIS3_N6thrust23THRUST_200600_302600_NS6detail15normal_iteratorINS8_10device_ptrIiEEEESD_jNS1_19radix_merge_compareILb1ELb1EiNS0_19identity_decomposerEEEEE10hipError_tT0_T1_T2_jT3_P12ihipStream_tbPNSt15iterator_traitsISI_E10value_typeEPNSO_ISJ_E10value_typeEPSK_NS1_7vsmem_tEENKUlT_SI_SJ_SK_E_clISD_PiSD_S10_EESH_SX_SI_SJ_SK_EUlSX_E0_NS1_11comp_targetILNS1_3genE2ELNS1_11target_archE906ELNS1_3gpuE6ELNS1_3repE0EEENS1_38merge_mergepath_config_static_selectorELNS0_4arch9wavefront6targetE0EEEvSJ_,"axG",@progbits,_ZN7rocprim17ROCPRIM_400000_NS6detail17trampoline_kernelINS0_14default_configENS1_38merge_sort_block_merge_config_selectorIiiEEZZNS1_27merge_sort_block_merge_implIS3_N6thrust23THRUST_200600_302600_NS6detail15normal_iteratorINS8_10device_ptrIiEEEESD_jNS1_19radix_merge_compareILb1ELb1EiNS0_19identity_decomposerEEEEE10hipError_tT0_T1_T2_jT3_P12ihipStream_tbPNSt15iterator_traitsISI_E10value_typeEPNSO_ISJ_E10value_typeEPSK_NS1_7vsmem_tEENKUlT_SI_SJ_SK_E_clISD_PiSD_S10_EESH_SX_SI_SJ_SK_EUlSX_E0_NS1_11comp_targetILNS1_3genE2ELNS1_11target_archE906ELNS1_3gpuE6ELNS1_3repE0EEENS1_38merge_mergepath_config_static_selectorELNS0_4arch9wavefront6targetE0EEEvSJ_,comdat
.Lfunc_end970:
	.size	_ZN7rocprim17ROCPRIM_400000_NS6detail17trampoline_kernelINS0_14default_configENS1_38merge_sort_block_merge_config_selectorIiiEEZZNS1_27merge_sort_block_merge_implIS3_N6thrust23THRUST_200600_302600_NS6detail15normal_iteratorINS8_10device_ptrIiEEEESD_jNS1_19radix_merge_compareILb1ELb1EiNS0_19identity_decomposerEEEEE10hipError_tT0_T1_T2_jT3_P12ihipStream_tbPNSt15iterator_traitsISI_E10value_typeEPNSO_ISJ_E10value_typeEPSK_NS1_7vsmem_tEENKUlT_SI_SJ_SK_E_clISD_PiSD_S10_EESH_SX_SI_SJ_SK_EUlSX_E0_NS1_11comp_targetILNS1_3genE2ELNS1_11target_archE906ELNS1_3gpuE6ELNS1_3repE0EEENS1_38merge_mergepath_config_static_selectorELNS0_4arch9wavefront6targetE0EEEvSJ_, .Lfunc_end970-_ZN7rocprim17ROCPRIM_400000_NS6detail17trampoline_kernelINS0_14default_configENS1_38merge_sort_block_merge_config_selectorIiiEEZZNS1_27merge_sort_block_merge_implIS3_N6thrust23THRUST_200600_302600_NS6detail15normal_iteratorINS8_10device_ptrIiEEEESD_jNS1_19radix_merge_compareILb1ELb1EiNS0_19identity_decomposerEEEEE10hipError_tT0_T1_T2_jT3_P12ihipStream_tbPNSt15iterator_traitsISI_E10value_typeEPNSO_ISJ_E10value_typeEPSK_NS1_7vsmem_tEENKUlT_SI_SJ_SK_E_clISD_PiSD_S10_EESH_SX_SI_SJ_SK_EUlSX_E0_NS1_11comp_targetILNS1_3genE2ELNS1_11target_archE906ELNS1_3gpuE6ELNS1_3repE0EEENS1_38merge_mergepath_config_static_selectorELNS0_4arch9wavefront6targetE0EEEvSJ_
                                        ; -- End function
	.set _ZN7rocprim17ROCPRIM_400000_NS6detail17trampoline_kernelINS0_14default_configENS1_38merge_sort_block_merge_config_selectorIiiEEZZNS1_27merge_sort_block_merge_implIS3_N6thrust23THRUST_200600_302600_NS6detail15normal_iteratorINS8_10device_ptrIiEEEESD_jNS1_19radix_merge_compareILb1ELb1EiNS0_19identity_decomposerEEEEE10hipError_tT0_T1_T2_jT3_P12ihipStream_tbPNSt15iterator_traitsISI_E10value_typeEPNSO_ISJ_E10value_typeEPSK_NS1_7vsmem_tEENKUlT_SI_SJ_SK_E_clISD_PiSD_S10_EESH_SX_SI_SJ_SK_EUlSX_E0_NS1_11comp_targetILNS1_3genE2ELNS1_11target_archE906ELNS1_3gpuE6ELNS1_3repE0EEENS1_38merge_mergepath_config_static_selectorELNS0_4arch9wavefront6targetE0EEEvSJ_.num_vgpr, 0
	.set _ZN7rocprim17ROCPRIM_400000_NS6detail17trampoline_kernelINS0_14default_configENS1_38merge_sort_block_merge_config_selectorIiiEEZZNS1_27merge_sort_block_merge_implIS3_N6thrust23THRUST_200600_302600_NS6detail15normal_iteratorINS8_10device_ptrIiEEEESD_jNS1_19radix_merge_compareILb1ELb1EiNS0_19identity_decomposerEEEEE10hipError_tT0_T1_T2_jT3_P12ihipStream_tbPNSt15iterator_traitsISI_E10value_typeEPNSO_ISJ_E10value_typeEPSK_NS1_7vsmem_tEENKUlT_SI_SJ_SK_E_clISD_PiSD_S10_EESH_SX_SI_SJ_SK_EUlSX_E0_NS1_11comp_targetILNS1_3genE2ELNS1_11target_archE906ELNS1_3gpuE6ELNS1_3repE0EEENS1_38merge_mergepath_config_static_selectorELNS0_4arch9wavefront6targetE0EEEvSJ_.num_agpr, 0
	.set _ZN7rocprim17ROCPRIM_400000_NS6detail17trampoline_kernelINS0_14default_configENS1_38merge_sort_block_merge_config_selectorIiiEEZZNS1_27merge_sort_block_merge_implIS3_N6thrust23THRUST_200600_302600_NS6detail15normal_iteratorINS8_10device_ptrIiEEEESD_jNS1_19radix_merge_compareILb1ELb1EiNS0_19identity_decomposerEEEEE10hipError_tT0_T1_T2_jT3_P12ihipStream_tbPNSt15iterator_traitsISI_E10value_typeEPNSO_ISJ_E10value_typeEPSK_NS1_7vsmem_tEENKUlT_SI_SJ_SK_E_clISD_PiSD_S10_EESH_SX_SI_SJ_SK_EUlSX_E0_NS1_11comp_targetILNS1_3genE2ELNS1_11target_archE906ELNS1_3gpuE6ELNS1_3repE0EEENS1_38merge_mergepath_config_static_selectorELNS0_4arch9wavefront6targetE0EEEvSJ_.numbered_sgpr, 0
	.set _ZN7rocprim17ROCPRIM_400000_NS6detail17trampoline_kernelINS0_14default_configENS1_38merge_sort_block_merge_config_selectorIiiEEZZNS1_27merge_sort_block_merge_implIS3_N6thrust23THRUST_200600_302600_NS6detail15normal_iteratorINS8_10device_ptrIiEEEESD_jNS1_19radix_merge_compareILb1ELb1EiNS0_19identity_decomposerEEEEE10hipError_tT0_T1_T2_jT3_P12ihipStream_tbPNSt15iterator_traitsISI_E10value_typeEPNSO_ISJ_E10value_typeEPSK_NS1_7vsmem_tEENKUlT_SI_SJ_SK_E_clISD_PiSD_S10_EESH_SX_SI_SJ_SK_EUlSX_E0_NS1_11comp_targetILNS1_3genE2ELNS1_11target_archE906ELNS1_3gpuE6ELNS1_3repE0EEENS1_38merge_mergepath_config_static_selectorELNS0_4arch9wavefront6targetE0EEEvSJ_.num_named_barrier, 0
	.set _ZN7rocprim17ROCPRIM_400000_NS6detail17trampoline_kernelINS0_14default_configENS1_38merge_sort_block_merge_config_selectorIiiEEZZNS1_27merge_sort_block_merge_implIS3_N6thrust23THRUST_200600_302600_NS6detail15normal_iteratorINS8_10device_ptrIiEEEESD_jNS1_19radix_merge_compareILb1ELb1EiNS0_19identity_decomposerEEEEE10hipError_tT0_T1_T2_jT3_P12ihipStream_tbPNSt15iterator_traitsISI_E10value_typeEPNSO_ISJ_E10value_typeEPSK_NS1_7vsmem_tEENKUlT_SI_SJ_SK_E_clISD_PiSD_S10_EESH_SX_SI_SJ_SK_EUlSX_E0_NS1_11comp_targetILNS1_3genE2ELNS1_11target_archE906ELNS1_3gpuE6ELNS1_3repE0EEENS1_38merge_mergepath_config_static_selectorELNS0_4arch9wavefront6targetE0EEEvSJ_.private_seg_size, 0
	.set _ZN7rocprim17ROCPRIM_400000_NS6detail17trampoline_kernelINS0_14default_configENS1_38merge_sort_block_merge_config_selectorIiiEEZZNS1_27merge_sort_block_merge_implIS3_N6thrust23THRUST_200600_302600_NS6detail15normal_iteratorINS8_10device_ptrIiEEEESD_jNS1_19radix_merge_compareILb1ELb1EiNS0_19identity_decomposerEEEEE10hipError_tT0_T1_T2_jT3_P12ihipStream_tbPNSt15iterator_traitsISI_E10value_typeEPNSO_ISJ_E10value_typeEPSK_NS1_7vsmem_tEENKUlT_SI_SJ_SK_E_clISD_PiSD_S10_EESH_SX_SI_SJ_SK_EUlSX_E0_NS1_11comp_targetILNS1_3genE2ELNS1_11target_archE906ELNS1_3gpuE6ELNS1_3repE0EEENS1_38merge_mergepath_config_static_selectorELNS0_4arch9wavefront6targetE0EEEvSJ_.uses_vcc, 0
	.set _ZN7rocprim17ROCPRIM_400000_NS6detail17trampoline_kernelINS0_14default_configENS1_38merge_sort_block_merge_config_selectorIiiEEZZNS1_27merge_sort_block_merge_implIS3_N6thrust23THRUST_200600_302600_NS6detail15normal_iteratorINS8_10device_ptrIiEEEESD_jNS1_19radix_merge_compareILb1ELb1EiNS0_19identity_decomposerEEEEE10hipError_tT0_T1_T2_jT3_P12ihipStream_tbPNSt15iterator_traitsISI_E10value_typeEPNSO_ISJ_E10value_typeEPSK_NS1_7vsmem_tEENKUlT_SI_SJ_SK_E_clISD_PiSD_S10_EESH_SX_SI_SJ_SK_EUlSX_E0_NS1_11comp_targetILNS1_3genE2ELNS1_11target_archE906ELNS1_3gpuE6ELNS1_3repE0EEENS1_38merge_mergepath_config_static_selectorELNS0_4arch9wavefront6targetE0EEEvSJ_.uses_flat_scratch, 0
	.set _ZN7rocprim17ROCPRIM_400000_NS6detail17trampoline_kernelINS0_14default_configENS1_38merge_sort_block_merge_config_selectorIiiEEZZNS1_27merge_sort_block_merge_implIS3_N6thrust23THRUST_200600_302600_NS6detail15normal_iteratorINS8_10device_ptrIiEEEESD_jNS1_19radix_merge_compareILb1ELb1EiNS0_19identity_decomposerEEEEE10hipError_tT0_T1_T2_jT3_P12ihipStream_tbPNSt15iterator_traitsISI_E10value_typeEPNSO_ISJ_E10value_typeEPSK_NS1_7vsmem_tEENKUlT_SI_SJ_SK_E_clISD_PiSD_S10_EESH_SX_SI_SJ_SK_EUlSX_E0_NS1_11comp_targetILNS1_3genE2ELNS1_11target_archE906ELNS1_3gpuE6ELNS1_3repE0EEENS1_38merge_mergepath_config_static_selectorELNS0_4arch9wavefront6targetE0EEEvSJ_.has_dyn_sized_stack, 0
	.set _ZN7rocprim17ROCPRIM_400000_NS6detail17trampoline_kernelINS0_14default_configENS1_38merge_sort_block_merge_config_selectorIiiEEZZNS1_27merge_sort_block_merge_implIS3_N6thrust23THRUST_200600_302600_NS6detail15normal_iteratorINS8_10device_ptrIiEEEESD_jNS1_19radix_merge_compareILb1ELb1EiNS0_19identity_decomposerEEEEE10hipError_tT0_T1_T2_jT3_P12ihipStream_tbPNSt15iterator_traitsISI_E10value_typeEPNSO_ISJ_E10value_typeEPSK_NS1_7vsmem_tEENKUlT_SI_SJ_SK_E_clISD_PiSD_S10_EESH_SX_SI_SJ_SK_EUlSX_E0_NS1_11comp_targetILNS1_3genE2ELNS1_11target_archE906ELNS1_3gpuE6ELNS1_3repE0EEENS1_38merge_mergepath_config_static_selectorELNS0_4arch9wavefront6targetE0EEEvSJ_.has_recursion, 0
	.set _ZN7rocprim17ROCPRIM_400000_NS6detail17trampoline_kernelINS0_14default_configENS1_38merge_sort_block_merge_config_selectorIiiEEZZNS1_27merge_sort_block_merge_implIS3_N6thrust23THRUST_200600_302600_NS6detail15normal_iteratorINS8_10device_ptrIiEEEESD_jNS1_19radix_merge_compareILb1ELb1EiNS0_19identity_decomposerEEEEE10hipError_tT0_T1_T2_jT3_P12ihipStream_tbPNSt15iterator_traitsISI_E10value_typeEPNSO_ISJ_E10value_typeEPSK_NS1_7vsmem_tEENKUlT_SI_SJ_SK_E_clISD_PiSD_S10_EESH_SX_SI_SJ_SK_EUlSX_E0_NS1_11comp_targetILNS1_3genE2ELNS1_11target_archE906ELNS1_3gpuE6ELNS1_3repE0EEENS1_38merge_mergepath_config_static_selectorELNS0_4arch9wavefront6targetE0EEEvSJ_.has_indirect_call, 0
	.section	.AMDGPU.csdata,"",@progbits
; Kernel info:
; codeLenInByte = 0
; TotalNumSgprs: 0
; NumVgprs: 0
; ScratchSize: 0
; MemoryBound: 0
; FloatMode: 240
; IeeeMode: 1
; LDSByteSize: 0 bytes/workgroup (compile time only)
; SGPRBlocks: 0
; VGPRBlocks: 0
; NumSGPRsForWavesPerEU: 1
; NumVGPRsForWavesPerEU: 1
; Occupancy: 16
; WaveLimiterHint : 0
; COMPUTE_PGM_RSRC2:SCRATCH_EN: 0
; COMPUTE_PGM_RSRC2:USER_SGPR: 6
; COMPUTE_PGM_RSRC2:TRAP_HANDLER: 0
; COMPUTE_PGM_RSRC2:TGID_X_EN: 1
; COMPUTE_PGM_RSRC2:TGID_Y_EN: 0
; COMPUTE_PGM_RSRC2:TGID_Z_EN: 0
; COMPUTE_PGM_RSRC2:TIDIG_COMP_CNT: 0
	.section	.text._ZN7rocprim17ROCPRIM_400000_NS6detail17trampoline_kernelINS0_14default_configENS1_38merge_sort_block_merge_config_selectorIiiEEZZNS1_27merge_sort_block_merge_implIS3_N6thrust23THRUST_200600_302600_NS6detail15normal_iteratorINS8_10device_ptrIiEEEESD_jNS1_19radix_merge_compareILb1ELb1EiNS0_19identity_decomposerEEEEE10hipError_tT0_T1_T2_jT3_P12ihipStream_tbPNSt15iterator_traitsISI_E10value_typeEPNSO_ISJ_E10value_typeEPSK_NS1_7vsmem_tEENKUlT_SI_SJ_SK_E_clISD_PiSD_S10_EESH_SX_SI_SJ_SK_EUlSX_E0_NS1_11comp_targetILNS1_3genE9ELNS1_11target_archE1100ELNS1_3gpuE3ELNS1_3repE0EEENS1_38merge_mergepath_config_static_selectorELNS0_4arch9wavefront6targetE0EEEvSJ_,"axG",@progbits,_ZN7rocprim17ROCPRIM_400000_NS6detail17trampoline_kernelINS0_14default_configENS1_38merge_sort_block_merge_config_selectorIiiEEZZNS1_27merge_sort_block_merge_implIS3_N6thrust23THRUST_200600_302600_NS6detail15normal_iteratorINS8_10device_ptrIiEEEESD_jNS1_19radix_merge_compareILb1ELb1EiNS0_19identity_decomposerEEEEE10hipError_tT0_T1_T2_jT3_P12ihipStream_tbPNSt15iterator_traitsISI_E10value_typeEPNSO_ISJ_E10value_typeEPSK_NS1_7vsmem_tEENKUlT_SI_SJ_SK_E_clISD_PiSD_S10_EESH_SX_SI_SJ_SK_EUlSX_E0_NS1_11comp_targetILNS1_3genE9ELNS1_11target_archE1100ELNS1_3gpuE3ELNS1_3repE0EEENS1_38merge_mergepath_config_static_selectorELNS0_4arch9wavefront6targetE0EEEvSJ_,comdat
	.protected	_ZN7rocprim17ROCPRIM_400000_NS6detail17trampoline_kernelINS0_14default_configENS1_38merge_sort_block_merge_config_selectorIiiEEZZNS1_27merge_sort_block_merge_implIS3_N6thrust23THRUST_200600_302600_NS6detail15normal_iteratorINS8_10device_ptrIiEEEESD_jNS1_19radix_merge_compareILb1ELb1EiNS0_19identity_decomposerEEEEE10hipError_tT0_T1_T2_jT3_P12ihipStream_tbPNSt15iterator_traitsISI_E10value_typeEPNSO_ISJ_E10value_typeEPSK_NS1_7vsmem_tEENKUlT_SI_SJ_SK_E_clISD_PiSD_S10_EESH_SX_SI_SJ_SK_EUlSX_E0_NS1_11comp_targetILNS1_3genE9ELNS1_11target_archE1100ELNS1_3gpuE3ELNS1_3repE0EEENS1_38merge_mergepath_config_static_selectorELNS0_4arch9wavefront6targetE0EEEvSJ_ ; -- Begin function _ZN7rocprim17ROCPRIM_400000_NS6detail17trampoline_kernelINS0_14default_configENS1_38merge_sort_block_merge_config_selectorIiiEEZZNS1_27merge_sort_block_merge_implIS3_N6thrust23THRUST_200600_302600_NS6detail15normal_iteratorINS8_10device_ptrIiEEEESD_jNS1_19radix_merge_compareILb1ELb1EiNS0_19identity_decomposerEEEEE10hipError_tT0_T1_T2_jT3_P12ihipStream_tbPNSt15iterator_traitsISI_E10value_typeEPNSO_ISJ_E10value_typeEPSK_NS1_7vsmem_tEENKUlT_SI_SJ_SK_E_clISD_PiSD_S10_EESH_SX_SI_SJ_SK_EUlSX_E0_NS1_11comp_targetILNS1_3genE9ELNS1_11target_archE1100ELNS1_3gpuE3ELNS1_3repE0EEENS1_38merge_mergepath_config_static_selectorELNS0_4arch9wavefront6targetE0EEEvSJ_
	.globl	_ZN7rocprim17ROCPRIM_400000_NS6detail17trampoline_kernelINS0_14default_configENS1_38merge_sort_block_merge_config_selectorIiiEEZZNS1_27merge_sort_block_merge_implIS3_N6thrust23THRUST_200600_302600_NS6detail15normal_iteratorINS8_10device_ptrIiEEEESD_jNS1_19radix_merge_compareILb1ELb1EiNS0_19identity_decomposerEEEEE10hipError_tT0_T1_T2_jT3_P12ihipStream_tbPNSt15iterator_traitsISI_E10value_typeEPNSO_ISJ_E10value_typeEPSK_NS1_7vsmem_tEENKUlT_SI_SJ_SK_E_clISD_PiSD_S10_EESH_SX_SI_SJ_SK_EUlSX_E0_NS1_11comp_targetILNS1_3genE9ELNS1_11target_archE1100ELNS1_3gpuE3ELNS1_3repE0EEENS1_38merge_mergepath_config_static_selectorELNS0_4arch9wavefront6targetE0EEEvSJ_
	.p2align	8
	.type	_ZN7rocprim17ROCPRIM_400000_NS6detail17trampoline_kernelINS0_14default_configENS1_38merge_sort_block_merge_config_selectorIiiEEZZNS1_27merge_sort_block_merge_implIS3_N6thrust23THRUST_200600_302600_NS6detail15normal_iteratorINS8_10device_ptrIiEEEESD_jNS1_19radix_merge_compareILb1ELb1EiNS0_19identity_decomposerEEEEE10hipError_tT0_T1_T2_jT3_P12ihipStream_tbPNSt15iterator_traitsISI_E10value_typeEPNSO_ISJ_E10value_typeEPSK_NS1_7vsmem_tEENKUlT_SI_SJ_SK_E_clISD_PiSD_S10_EESH_SX_SI_SJ_SK_EUlSX_E0_NS1_11comp_targetILNS1_3genE9ELNS1_11target_archE1100ELNS1_3gpuE3ELNS1_3repE0EEENS1_38merge_mergepath_config_static_selectorELNS0_4arch9wavefront6targetE0EEEvSJ_,@function
_ZN7rocprim17ROCPRIM_400000_NS6detail17trampoline_kernelINS0_14default_configENS1_38merge_sort_block_merge_config_selectorIiiEEZZNS1_27merge_sort_block_merge_implIS3_N6thrust23THRUST_200600_302600_NS6detail15normal_iteratorINS8_10device_ptrIiEEEESD_jNS1_19radix_merge_compareILb1ELb1EiNS0_19identity_decomposerEEEEE10hipError_tT0_T1_T2_jT3_P12ihipStream_tbPNSt15iterator_traitsISI_E10value_typeEPNSO_ISJ_E10value_typeEPSK_NS1_7vsmem_tEENKUlT_SI_SJ_SK_E_clISD_PiSD_S10_EESH_SX_SI_SJ_SK_EUlSX_E0_NS1_11comp_targetILNS1_3genE9ELNS1_11target_archE1100ELNS1_3gpuE3ELNS1_3repE0EEENS1_38merge_mergepath_config_static_selectorELNS0_4arch9wavefront6targetE0EEEvSJ_: ; @_ZN7rocprim17ROCPRIM_400000_NS6detail17trampoline_kernelINS0_14default_configENS1_38merge_sort_block_merge_config_selectorIiiEEZZNS1_27merge_sort_block_merge_implIS3_N6thrust23THRUST_200600_302600_NS6detail15normal_iteratorINS8_10device_ptrIiEEEESD_jNS1_19radix_merge_compareILb1ELb1EiNS0_19identity_decomposerEEEEE10hipError_tT0_T1_T2_jT3_P12ihipStream_tbPNSt15iterator_traitsISI_E10value_typeEPNSO_ISJ_E10value_typeEPSK_NS1_7vsmem_tEENKUlT_SI_SJ_SK_E_clISD_PiSD_S10_EESH_SX_SI_SJ_SK_EUlSX_E0_NS1_11comp_targetILNS1_3genE9ELNS1_11target_archE1100ELNS1_3gpuE3ELNS1_3repE0EEENS1_38merge_mergepath_config_static_selectorELNS0_4arch9wavefront6targetE0EEEvSJ_
; %bb.0:
	.section	.rodata,"a",@progbits
	.p2align	6, 0x0
	.amdhsa_kernel _ZN7rocprim17ROCPRIM_400000_NS6detail17trampoline_kernelINS0_14default_configENS1_38merge_sort_block_merge_config_selectorIiiEEZZNS1_27merge_sort_block_merge_implIS3_N6thrust23THRUST_200600_302600_NS6detail15normal_iteratorINS8_10device_ptrIiEEEESD_jNS1_19radix_merge_compareILb1ELb1EiNS0_19identity_decomposerEEEEE10hipError_tT0_T1_T2_jT3_P12ihipStream_tbPNSt15iterator_traitsISI_E10value_typeEPNSO_ISJ_E10value_typeEPSK_NS1_7vsmem_tEENKUlT_SI_SJ_SK_E_clISD_PiSD_S10_EESH_SX_SI_SJ_SK_EUlSX_E0_NS1_11comp_targetILNS1_3genE9ELNS1_11target_archE1100ELNS1_3gpuE3ELNS1_3repE0EEENS1_38merge_mergepath_config_static_selectorELNS0_4arch9wavefront6targetE0EEEvSJ_
		.amdhsa_group_segment_fixed_size 0
		.amdhsa_private_segment_fixed_size 0
		.amdhsa_kernarg_size 64
		.amdhsa_user_sgpr_count 6
		.amdhsa_user_sgpr_private_segment_buffer 1
		.amdhsa_user_sgpr_dispatch_ptr 0
		.amdhsa_user_sgpr_queue_ptr 0
		.amdhsa_user_sgpr_kernarg_segment_ptr 1
		.amdhsa_user_sgpr_dispatch_id 0
		.amdhsa_user_sgpr_flat_scratch_init 0
		.amdhsa_user_sgpr_private_segment_size 0
		.amdhsa_wavefront_size32 1
		.amdhsa_uses_dynamic_stack 0
		.amdhsa_system_sgpr_private_segment_wavefront_offset 0
		.amdhsa_system_sgpr_workgroup_id_x 1
		.amdhsa_system_sgpr_workgroup_id_y 0
		.amdhsa_system_sgpr_workgroup_id_z 0
		.amdhsa_system_sgpr_workgroup_info 0
		.amdhsa_system_vgpr_workitem_id 0
		.amdhsa_next_free_vgpr 1
		.amdhsa_next_free_sgpr 1
		.amdhsa_reserve_vcc 0
		.amdhsa_reserve_flat_scratch 0
		.amdhsa_float_round_mode_32 0
		.amdhsa_float_round_mode_16_64 0
		.amdhsa_float_denorm_mode_32 3
		.amdhsa_float_denorm_mode_16_64 3
		.amdhsa_dx10_clamp 1
		.amdhsa_ieee_mode 1
		.amdhsa_fp16_overflow 0
		.amdhsa_workgroup_processor_mode 1
		.amdhsa_memory_ordered 1
		.amdhsa_forward_progress 1
		.amdhsa_shared_vgpr_count 0
		.amdhsa_exception_fp_ieee_invalid_op 0
		.amdhsa_exception_fp_denorm_src 0
		.amdhsa_exception_fp_ieee_div_zero 0
		.amdhsa_exception_fp_ieee_overflow 0
		.amdhsa_exception_fp_ieee_underflow 0
		.amdhsa_exception_fp_ieee_inexact 0
		.amdhsa_exception_int_div_zero 0
	.end_amdhsa_kernel
	.section	.text._ZN7rocprim17ROCPRIM_400000_NS6detail17trampoline_kernelINS0_14default_configENS1_38merge_sort_block_merge_config_selectorIiiEEZZNS1_27merge_sort_block_merge_implIS3_N6thrust23THRUST_200600_302600_NS6detail15normal_iteratorINS8_10device_ptrIiEEEESD_jNS1_19radix_merge_compareILb1ELb1EiNS0_19identity_decomposerEEEEE10hipError_tT0_T1_T2_jT3_P12ihipStream_tbPNSt15iterator_traitsISI_E10value_typeEPNSO_ISJ_E10value_typeEPSK_NS1_7vsmem_tEENKUlT_SI_SJ_SK_E_clISD_PiSD_S10_EESH_SX_SI_SJ_SK_EUlSX_E0_NS1_11comp_targetILNS1_3genE9ELNS1_11target_archE1100ELNS1_3gpuE3ELNS1_3repE0EEENS1_38merge_mergepath_config_static_selectorELNS0_4arch9wavefront6targetE0EEEvSJ_,"axG",@progbits,_ZN7rocprim17ROCPRIM_400000_NS6detail17trampoline_kernelINS0_14default_configENS1_38merge_sort_block_merge_config_selectorIiiEEZZNS1_27merge_sort_block_merge_implIS3_N6thrust23THRUST_200600_302600_NS6detail15normal_iteratorINS8_10device_ptrIiEEEESD_jNS1_19radix_merge_compareILb1ELb1EiNS0_19identity_decomposerEEEEE10hipError_tT0_T1_T2_jT3_P12ihipStream_tbPNSt15iterator_traitsISI_E10value_typeEPNSO_ISJ_E10value_typeEPSK_NS1_7vsmem_tEENKUlT_SI_SJ_SK_E_clISD_PiSD_S10_EESH_SX_SI_SJ_SK_EUlSX_E0_NS1_11comp_targetILNS1_3genE9ELNS1_11target_archE1100ELNS1_3gpuE3ELNS1_3repE0EEENS1_38merge_mergepath_config_static_selectorELNS0_4arch9wavefront6targetE0EEEvSJ_,comdat
.Lfunc_end971:
	.size	_ZN7rocprim17ROCPRIM_400000_NS6detail17trampoline_kernelINS0_14default_configENS1_38merge_sort_block_merge_config_selectorIiiEEZZNS1_27merge_sort_block_merge_implIS3_N6thrust23THRUST_200600_302600_NS6detail15normal_iteratorINS8_10device_ptrIiEEEESD_jNS1_19radix_merge_compareILb1ELb1EiNS0_19identity_decomposerEEEEE10hipError_tT0_T1_T2_jT3_P12ihipStream_tbPNSt15iterator_traitsISI_E10value_typeEPNSO_ISJ_E10value_typeEPSK_NS1_7vsmem_tEENKUlT_SI_SJ_SK_E_clISD_PiSD_S10_EESH_SX_SI_SJ_SK_EUlSX_E0_NS1_11comp_targetILNS1_3genE9ELNS1_11target_archE1100ELNS1_3gpuE3ELNS1_3repE0EEENS1_38merge_mergepath_config_static_selectorELNS0_4arch9wavefront6targetE0EEEvSJ_, .Lfunc_end971-_ZN7rocprim17ROCPRIM_400000_NS6detail17trampoline_kernelINS0_14default_configENS1_38merge_sort_block_merge_config_selectorIiiEEZZNS1_27merge_sort_block_merge_implIS3_N6thrust23THRUST_200600_302600_NS6detail15normal_iteratorINS8_10device_ptrIiEEEESD_jNS1_19radix_merge_compareILb1ELb1EiNS0_19identity_decomposerEEEEE10hipError_tT0_T1_T2_jT3_P12ihipStream_tbPNSt15iterator_traitsISI_E10value_typeEPNSO_ISJ_E10value_typeEPSK_NS1_7vsmem_tEENKUlT_SI_SJ_SK_E_clISD_PiSD_S10_EESH_SX_SI_SJ_SK_EUlSX_E0_NS1_11comp_targetILNS1_3genE9ELNS1_11target_archE1100ELNS1_3gpuE3ELNS1_3repE0EEENS1_38merge_mergepath_config_static_selectorELNS0_4arch9wavefront6targetE0EEEvSJ_
                                        ; -- End function
	.set _ZN7rocprim17ROCPRIM_400000_NS6detail17trampoline_kernelINS0_14default_configENS1_38merge_sort_block_merge_config_selectorIiiEEZZNS1_27merge_sort_block_merge_implIS3_N6thrust23THRUST_200600_302600_NS6detail15normal_iteratorINS8_10device_ptrIiEEEESD_jNS1_19radix_merge_compareILb1ELb1EiNS0_19identity_decomposerEEEEE10hipError_tT0_T1_T2_jT3_P12ihipStream_tbPNSt15iterator_traitsISI_E10value_typeEPNSO_ISJ_E10value_typeEPSK_NS1_7vsmem_tEENKUlT_SI_SJ_SK_E_clISD_PiSD_S10_EESH_SX_SI_SJ_SK_EUlSX_E0_NS1_11comp_targetILNS1_3genE9ELNS1_11target_archE1100ELNS1_3gpuE3ELNS1_3repE0EEENS1_38merge_mergepath_config_static_selectorELNS0_4arch9wavefront6targetE0EEEvSJ_.num_vgpr, 0
	.set _ZN7rocprim17ROCPRIM_400000_NS6detail17trampoline_kernelINS0_14default_configENS1_38merge_sort_block_merge_config_selectorIiiEEZZNS1_27merge_sort_block_merge_implIS3_N6thrust23THRUST_200600_302600_NS6detail15normal_iteratorINS8_10device_ptrIiEEEESD_jNS1_19radix_merge_compareILb1ELb1EiNS0_19identity_decomposerEEEEE10hipError_tT0_T1_T2_jT3_P12ihipStream_tbPNSt15iterator_traitsISI_E10value_typeEPNSO_ISJ_E10value_typeEPSK_NS1_7vsmem_tEENKUlT_SI_SJ_SK_E_clISD_PiSD_S10_EESH_SX_SI_SJ_SK_EUlSX_E0_NS1_11comp_targetILNS1_3genE9ELNS1_11target_archE1100ELNS1_3gpuE3ELNS1_3repE0EEENS1_38merge_mergepath_config_static_selectorELNS0_4arch9wavefront6targetE0EEEvSJ_.num_agpr, 0
	.set _ZN7rocprim17ROCPRIM_400000_NS6detail17trampoline_kernelINS0_14default_configENS1_38merge_sort_block_merge_config_selectorIiiEEZZNS1_27merge_sort_block_merge_implIS3_N6thrust23THRUST_200600_302600_NS6detail15normal_iteratorINS8_10device_ptrIiEEEESD_jNS1_19radix_merge_compareILb1ELb1EiNS0_19identity_decomposerEEEEE10hipError_tT0_T1_T2_jT3_P12ihipStream_tbPNSt15iterator_traitsISI_E10value_typeEPNSO_ISJ_E10value_typeEPSK_NS1_7vsmem_tEENKUlT_SI_SJ_SK_E_clISD_PiSD_S10_EESH_SX_SI_SJ_SK_EUlSX_E0_NS1_11comp_targetILNS1_3genE9ELNS1_11target_archE1100ELNS1_3gpuE3ELNS1_3repE0EEENS1_38merge_mergepath_config_static_selectorELNS0_4arch9wavefront6targetE0EEEvSJ_.numbered_sgpr, 0
	.set _ZN7rocprim17ROCPRIM_400000_NS6detail17trampoline_kernelINS0_14default_configENS1_38merge_sort_block_merge_config_selectorIiiEEZZNS1_27merge_sort_block_merge_implIS3_N6thrust23THRUST_200600_302600_NS6detail15normal_iteratorINS8_10device_ptrIiEEEESD_jNS1_19radix_merge_compareILb1ELb1EiNS0_19identity_decomposerEEEEE10hipError_tT0_T1_T2_jT3_P12ihipStream_tbPNSt15iterator_traitsISI_E10value_typeEPNSO_ISJ_E10value_typeEPSK_NS1_7vsmem_tEENKUlT_SI_SJ_SK_E_clISD_PiSD_S10_EESH_SX_SI_SJ_SK_EUlSX_E0_NS1_11comp_targetILNS1_3genE9ELNS1_11target_archE1100ELNS1_3gpuE3ELNS1_3repE0EEENS1_38merge_mergepath_config_static_selectorELNS0_4arch9wavefront6targetE0EEEvSJ_.num_named_barrier, 0
	.set _ZN7rocprim17ROCPRIM_400000_NS6detail17trampoline_kernelINS0_14default_configENS1_38merge_sort_block_merge_config_selectorIiiEEZZNS1_27merge_sort_block_merge_implIS3_N6thrust23THRUST_200600_302600_NS6detail15normal_iteratorINS8_10device_ptrIiEEEESD_jNS1_19radix_merge_compareILb1ELb1EiNS0_19identity_decomposerEEEEE10hipError_tT0_T1_T2_jT3_P12ihipStream_tbPNSt15iterator_traitsISI_E10value_typeEPNSO_ISJ_E10value_typeEPSK_NS1_7vsmem_tEENKUlT_SI_SJ_SK_E_clISD_PiSD_S10_EESH_SX_SI_SJ_SK_EUlSX_E0_NS1_11comp_targetILNS1_3genE9ELNS1_11target_archE1100ELNS1_3gpuE3ELNS1_3repE0EEENS1_38merge_mergepath_config_static_selectorELNS0_4arch9wavefront6targetE0EEEvSJ_.private_seg_size, 0
	.set _ZN7rocprim17ROCPRIM_400000_NS6detail17trampoline_kernelINS0_14default_configENS1_38merge_sort_block_merge_config_selectorIiiEEZZNS1_27merge_sort_block_merge_implIS3_N6thrust23THRUST_200600_302600_NS6detail15normal_iteratorINS8_10device_ptrIiEEEESD_jNS1_19radix_merge_compareILb1ELb1EiNS0_19identity_decomposerEEEEE10hipError_tT0_T1_T2_jT3_P12ihipStream_tbPNSt15iterator_traitsISI_E10value_typeEPNSO_ISJ_E10value_typeEPSK_NS1_7vsmem_tEENKUlT_SI_SJ_SK_E_clISD_PiSD_S10_EESH_SX_SI_SJ_SK_EUlSX_E0_NS1_11comp_targetILNS1_3genE9ELNS1_11target_archE1100ELNS1_3gpuE3ELNS1_3repE0EEENS1_38merge_mergepath_config_static_selectorELNS0_4arch9wavefront6targetE0EEEvSJ_.uses_vcc, 0
	.set _ZN7rocprim17ROCPRIM_400000_NS6detail17trampoline_kernelINS0_14default_configENS1_38merge_sort_block_merge_config_selectorIiiEEZZNS1_27merge_sort_block_merge_implIS3_N6thrust23THRUST_200600_302600_NS6detail15normal_iteratorINS8_10device_ptrIiEEEESD_jNS1_19radix_merge_compareILb1ELb1EiNS0_19identity_decomposerEEEEE10hipError_tT0_T1_T2_jT3_P12ihipStream_tbPNSt15iterator_traitsISI_E10value_typeEPNSO_ISJ_E10value_typeEPSK_NS1_7vsmem_tEENKUlT_SI_SJ_SK_E_clISD_PiSD_S10_EESH_SX_SI_SJ_SK_EUlSX_E0_NS1_11comp_targetILNS1_3genE9ELNS1_11target_archE1100ELNS1_3gpuE3ELNS1_3repE0EEENS1_38merge_mergepath_config_static_selectorELNS0_4arch9wavefront6targetE0EEEvSJ_.uses_flat_scratch, 0
	.set _ZN7rocprim17ROCPRIM_400000_NS6detail17trampoline_kernelINS0_14default_configENS1_38merge_sort_block_merge_config_selectorIiiEEZZNS1_27merge_sort_block_merge_implIS3_N6thrust23THRUST_200600_302600_NS6detail15normal_iteratorINS8_10device_ptrIiEEEESD_jNS1_19radix_merge_compareILb1ELb1EiNS0_19identity_decomposerEEEEE10hipError_tT0_T1_T2_jT3_P12ihipStream_tbPNSt15iterator_traitsISI_E10value_typeEPNSO_ISJ_E10value_typeEPSK_NS1_7vsmem_tEENKUlT_SI_SJ_SK_E_clISD_PiSD_S10_EESH_SX_SI_SJ_SK_EUlSX_E0_NS1_11comp_targetILNS1_3genE9ELNS1_11target_archE1100ELNS1_3gpuE3ELNS1_3repE0EEENS1_38merge_mergepath_config_static_selectorELNS0_4arch9wavefront6targetE0EEEvSJ_.has_dyn_sized_stack, 0
	.set _ZN7rocprim17ROCPRIM_400000_NS6detail17trampoline_kernelINS0_14default_configENS1_38merge_sort_block_merge_config_selectorIiiEEZZNS1_27merge_sort_block_merge_implIS3_N6thrust23THRUST_200600_302600_NS6detail15normal_iteratorINS8_10device_ptrIiEEEESD_jNS1_19radix_merge_compareILb1ELb1EiNS0_19identity_decomposerEEEEE10hipError_tT0_T1_T2_jT3_P12ihipStream_tbPNSt15iterator_traitsISI_E10value_typeEPNSO_ISJ_E10value_typeEPSK_NS1_7vsmem_tEENKUlT_SI_SJ_SK_E_clISD_PiSD_S10_EESH_SX_SI_SJ_SK_EUlSX_E0_NS1_11comp_targetILNS1_3genE9ELNS1_11target_archE1100ELNS1_3gpuE3ELNS1_3repE0EEENS1_38merge_mergepath_config_static_selectorELNS0_4arch9wavefront6targetE0EEEvSJ_.has_recursion, 0
	.set _ZN7rocprim17ROCPRIM_400000_NS6detail17trampoline_kernelINS0_14default_configENS1_38merge_sort_block_merge_config_selectorIiiEEZZNS1_27merge_sort_block_merge_implIS3_N6thrust23THRUST_200600_302600_NS6detail15normal_iteratorINS8_10device_ptrIiEEEESD_jNS1_19radix_merge_compareILb1ELb1EiNS0_19identity_decomposerEEEEE10hipError_tT0_T1_T2_jT3_P12ihipStream_tbPNSt15iterator_traitsISI_E10value_typeEPNSO_ISJ_E10value_typeEPSK_NS1_7vsmem_tEENKUlT_SI_SJ_SK_E_clISD_PiSD_S10_EESH_SX_SI_SJ_SK_EUlSX_E0_NS1_11comp_targetILNS1_3genE9ELNS1_11target_archE1100ELNS1_3gpuE3ELNS1_3repE0EEENS1_38merge_mergepath_config_static_selectorELNS0_4arch9wavefront6targetE0EEEvSJ_.has_indirect_call, 0
	.section	.AMDGPU.csdata,"",@progbits
; Kernel info:
; codeLenInByte = 0
; TotalNumSgprs: 0
; NumVgprs: 0
; ScratchSize: 0
; MemoryBound: 0
; FloatMode: 240
; IeeeMode: 1
; LDSByteSize: 0 bytes/workgroup (compile time only)
; SGPRBlocks: 0
; VGPRBlocks: 0
; NumSGPRsForWavesPerEU: 1
; NumVGPRsForWavesPerEU: 1
; Occupancy: 16
; WaveLimiterHint : 0
; COMPUTE_PGM_RSRC2:SCRATCH_EN: 0
; COMPUTE_PGM_RSRC2:USER_SGPR: 6
; COMPUTE_PGM_RSRC2:TRAP_HANDLER: 0
; COMPUTE_PGM_RSRC2:TGID_X_EN: 1
; COMPUTE_PGM_RSRC2:TGID_Y_EN: 0
; COMPUTE_PGM_RSRC2:TGID_Z_EN: 0
; COMPUTE_PGM_RSRC2:TIDIG_COMP_CNT: 0
	.section	.text._ZN7rocprim17ROCPRIM_400000_NS6detail17trampoline_kernelINS0_14default_configENS1_38merge_sort_block_merge_config_selectorIiiEEZZNS1_27merge_sort_block_merge_implIS3_N6thrust23THRUST_200600_302600_NS6detail15normal_iteratorINS8_10device_ptrIiEEEESD_jNS1_19radix_merge_compareILb1ELb1EiNS0_19identity_decomposerEEEEE10hipError_tT0_T1_T2_jT3_P12ihipStream_tbPNSt15iterator_traitsISI_E10value_typeEPNSO_ISJ_E10value_typeEPSK_NS1_7vsmem_tEENKUlT_SI_SJ_SK_E_clISD_PiSD_S10_EESH_SX_SI_SJ_SK_EUlSX_E0_NS1_11comp_targetILNS1_3genE8ELNS1_11target_archE1030ELNS1_3gpuE2ELNS1_3repE0EEENS1_38merge_mergepath_config_static_selectorELNS0_4arch9wavefront6targetE0EEEvSJ_,"axG",@progbits,_ZN7rocprim17ROCPRIM_400000_NS6detail17trampoline_kernelINS0_14default_configENS1_38merge_sort_block_merge_config_selectorIiiEEZZNS1_27merge_sort_block_merge_implIS3_N6thrust23THRUST_200600_302600_NS6detail15normal_iteratorINS8_10device_ptrIiEEEESD_jNS1_19radix_merge_compareILb1ELb1EiNS0_19identity_decomposerEEEEE10hipError_tT0_T1_T2_jT3_P12ihipStream_tbPNSt15iterator_traitsISI_E10value_typeEPNSO_ISJ_E10value_typeEPSK_NS1_7vsmem_tEENKUlT_SI_SJ_SK_E_clISD_PiSD_S10_EESH_SX_SI_SJ_SK_EUlSX_E0_NS1_11comp_targetILNS1_3genE8ELNS1_11target_archE1030ELNS1_3gpuE2ELNS1_3repE0EEENS1_38merge_mergepath_config_static_selectorELNS0_4arch9wavefront6targetE0EEEvSJ_,comdat
	.protected	_ZN7rocprim17ROCPRIM_400000_NS6detail17trampoline_kernelINS0_14default_configENS1_38merge_sort_block_merge_config_selectorIiiEEZZNS1_27merge_sort_block_merge_implIS3_N6thrust23THRUST_200600_302600_NS6detail15normal_iteratorINS8_10device_ptrIiEEEESD_jNS1_19radix_merge_compareILb1ELb1EiNS0_19identity_decomposerEEEEE10hipError_tT0_T1_T2_jT3_P12ihipStream_tbPNSt15iterator_traitsISI_E10value_typeEPNSO_ISJ_E10value_typeEPSK_NS1_7vsmem_tEENKUlT_SI_SJ_SK_E_clISD_PiSD_S10_EESH_SX_SI_SJ_SK_EUlSX_E0_NS1_11comp_targetILNS1_3genE8ELNS1_11target_archE1030ELNS1_3gpuE2ELNS1_3repE0EEENS1_38merge_mergepath_config_static_selectorELNS0_4arch9wavefront6targetE0EEEvSJ_ ; -- Begin function _ZN7rocprim17ROCPRIM_400000_NS6detail17trampoline_kernelINS0_14default_configENS1_38merge_sort_block_merge_config_selectorIiiEEZZNS1_27merge_sort_block_merge_implIS3_N6thrust23THRUST_200600_302600_NS6detail15normal_iteratorINS8_10device_ptrIiEEEESD_jNS1_19radix_merge_compareILb1ELb1EiNS0_19identity_decomposerEEEEE10hipError_tT0_T1_T2_jT3_P12ihipStream_tbPNSt15iterator_traitsISI_E10value_typeEPNSO_ISJ_E10value_typeEPSK_NS1_7vsmem_tEENKUlT_SI_SJ_SK_E_clISD_PiSD_S10_EESH_SX_SI_SJ_SK_EUlSX_E0_NS1_11comp_targetILNS1_3genE8ELNS1_11target_archE1030ELNS1_3gpuE2ELNS1_3repE0EEENS1_38merge_mergepath_config_static_selectorELNS0_4arch9wavefront6targetE0EEEvSJ_
	.globl	_ZN7rocprim17ROCPRIM_400000_NS6detail17trampoline_kernelINS0_14default_configENS1_38merge_sort_block_merge_config_selectorIiiEEZZNS1_27merge_sort_block_merge_implIS3_N6thrust23THRUST_200600_302600_NS6detail15normal_iteratorINS8_10device_ptrIiEEEESD_jNS1_19radix_merge_compareILb1ELb1EiNS0_19identity_decomposerEEEEE10hipError_tT0_T1_T2_jT3_P12ihipStream_tbPNSt15iterator_traitsISI_E10value_typeEPNSO_ISJ_E10value_typeEPSK_NS1_7vsmem_tEENKUlT_SI_SJ_SK_E_clISD_PiSD_S10_EESH_SX_SI_SJ_SK_EUlSX_E0_NS1_11comp_targetILNS1_3genE8ELNS1_11target_archE1030ELNS1_3gpuE2ELNS1_3repE0EEENS1_38merge_mergepath_config_static_selectorELNS0_4arch9wavefront6targetE0EEEvSJ_
	.p2align	8
	.type	_ZN7rocprim17ROCPRIM_400000_NS6detail17trampoline_kernelINS0_14default_configENS1_38merge_sort_block_merge_config_selectorIiiEEZZNS1_27merge_sort_block_merge_implIS3_N6thrust23THRUST_200600_302600_NS6detail15normal_iteratorINS8_10device_ptrIiEEEESD_jNS1_19radix_merge_compareILb1ELb1EiNS0_19identity_decomposerEEEEE10hipError_tT0_T1_T2_jT3_P12ihipStream_tbPNSt15iterator_traitsISI_E10value_typeEPNSO_ISJ_E10value_typeEPSK_NS1_7vsmem_tEENKUlT_SI_SJ_SK_E_clISD_PiSD_S10_EESH_SX_SI_SJ_SK_EUlSX_E0_NS1_11comp_targetILNS1_3genE8ELNS1_11target_archE1030ELNS1_3gpuE2ELNS1_3repE0EEENS1_38merge_mergepath_config_static_selectorELNS0_4arch9wavefront6targetE0EEEvSJ_,@function
_ZN7rocprim17ROCPRIM_400000_NS6detail17trampoline_kernelINS0_14default_configENS1_38merge_sort_block_merge_config_selectorIiiEEZZNS1_27merge_sort_block_merge_implIS3_N6thrust23THRUST_200600_302600_NS6detail15normal_iteratorINS8_10device_ptrIiEEEESD_jNS1_19radix_merge_compareILb1ELb1EiNS0_19identity_decomposerEEEEE10hipError_tT0_T1_T2_jT3_P12ihipStream_tbPNSt15iterator_traitsISI_E10value_typeEPNSO_ISJ_E10value_typeEPSK_NS1_7vsmem_tEENKUlT_SI_SJ_SK_E_clISD_PiSD_S10_EESH_SX_SI_SJ_SK_EUlSX_E0_NS1_11comp_targetILNS1_3genE8ELNS1_11target_archE1030ELNS1_3gpuE2ELNS1_3repE0EEENS1_38merge_mergepath_config_static_selectorELNS0_4arch9wavefront6targetE0EEEvSJ_: ; @_ZN7rocprim17ROCPRIM_400000_NS6detail17trampoline_kernelINS0_14default_configENS1_38merge_sort_block_merge_config_selectorIiiEEZZNS1_27merge_sort_block_merge_implIS3_N6thrust23THRUST_200600_302600_NS6detail15normal_iteratorINS8_10device_ptrIiEEEESD_jNS1_19radix_merge_compareILb1ELb1EiNS0_19identity_decomposerEEEEE10hipError_tT0_T1_T2_jT3_P12ihipStream_tbPNSt15iterator_traitsISI_E10value_typeEPNSO_ISJ_E10value_typeEPSK_NS1_7vsmem_tEENKUlT_SI_SJ_SK_E_clISD_PiSD_S10_EESH_SX_SI_SJ_SK_EUlSX_E0_NS1_11comp_targetILNS1_3genE8ELNS1_11target_archE1030ELNS1_3gpuE2ELNS1_3repE0EEENS1_38merge_mergepath_config_static_selectorELNS0_4arch9wavefront6targetE0EEEvSJ_
; %bb.0:
	s_clause 0x1
	s_load_dwordx2 s[0:1], s[4:5], 0x40
	s_load_dwordx2 s[2:3], s[4:5], 0x30
	s_waitcnt lgkmcnt(0)
	s_mul_i32 s1, s1, s8
	s_add_i32 s1, s1, s7
	s_mul_i32 s0, s1, s0
	s_add_i32 s0, s0, s6
	s_cmp_ge_u32 s0, s2
	s_cbranch_scc1 .LBB972_34
; %bb.1:
	s_clause 0x1
	s_load_dwordx8 s[8:15], s[4:5], 0x10
	s_load_dwordx2 s[6:7], s[4:5], 0x38
	s_mov_b32 s1, 0
	s_load_dwordx2 s[24:25], s[4:5], 0x8
	v_lshlrev_b32_e32 v3, 2, v0
                                        ; implicit-def: $vgpr1_vgpr2
	s_waitcnt lgkmcnt(0)
	s_lshr_b32 s23, s14, 10
	s_cmp_lg_u32 s0, s23
	s_cselect_b32 s18, -1, 0
	s_lshl_b64 s[16:17], s[0:1], 2
	s_add_u32 s6, s6, s16
	s_addc_u32 s7, s7, s17
	s_lshr_b32 s2, s15, 9
	s_load_dwordx2 s[6:7], s[6:7], 0x0
	s_and_b32 s2, s2, 0x7ffffe
	s_sub_i32 s4, 0, s2
	s_lshl_b32 s2, s0, 10
	s_and_b32 s5, s0, s4
	s_or_b32 s4, s0, s4
	s_lshl_b32 s16, s5, 11
	s_lshl_b32 s5, s5, 10
	s_add_i32 s16, s16, s15
	s_sub_i32 s17, s2, s5
	s_sub_i32 s5, s16, s5
	s_add_i32 s16, s16, s17
	s_min_u32 s19, s14, s5
	s_add_i32 s5, s5, s15
	s_waitcnt lgkmcnt(0)
	s_sub_i32 s15, s16, s6
	s_sub_i32 s17, s16, s7
	s_min_u32 s16, s14, s15
	s_add_i32 s15, s17, 0x400
	s_cmp_eq_u32 s4, -1
	s_mov_b32 s17, s1
	s_cselect_b32 s4, s5, s15
	s_cselect_b32 s15, s19, s7
	s_mov_b32 s7, s1
	s_min_u32 s22, s4, s14
	s_lshl_b64 s[4:5], s[6:7], 2
	s_sub_i32 s15, s15, s6
	s_add_u32 s20, s24, s4
	s_addc_u32 s21, s25, s5
	s_lshl_b64 s[6:7], s[16:17], 2
	s_add_u32 s17, s24, s6
	s_addc_u32 s19, s25, s7
	s_cmp_eq_u32 s0, s23
	s_mov_b32 s0, -1
	s_cbranch_scc0 .LBB972_7
; %bb.2:
	s_andn2_b32 vcc_lo, exec_lo, s0
	s_sub_i32 s16, s22, s16
	s_cbranch_vccz .LBB972_8
.LBB972_3:
                                        ; implicit-def: $vgpr4
	s_and_saveexec_b32 s0, s1
	s_cbranch_execz .LBB972_5
.LBB972_4:
	global_load_dword v4, v[1:2], off
.LBB972_5:
	s_or_b32 exec_lo, exec_lo, s0
	v_mov_b32_e32 v2, 0
	s_add_u32 s17, s10, s4
	s_addc_u32 s19, s11, s5
	s_add_u32 s5, s10, s6
	s_addc_u32 s6, s11, s7
	s_andn2_b32 vcc_lo, exec_lo, s18
	s_waitcnt vmcnt(0)
	ds_write_b32 v3, v4
	s_cbranch_vccnz .LBB972_11
; %bb.6:
	v_sub_co_u32 v1, vcc_lo, v0, s15
	v_add_co_u32 v5, s0, s17, v3
	v_add_co_ci_u32_e64 v6, null, s19, 0, s0
	v_lshlrev_b64 v[1:2], 2, v[1:2]
	s_add_i32 s1, s16, s15
	s_mov_b32 s4, -1
	v_add_co_u32 v1, s0, s5, v1
	v_add_co_ci_u32_e64 v2, null, s6, v2, s0
	v_cndmask_b32_e32 v1, v1, v5, vcc_lo
	v_cndmask_b32_e32 v2, v2, v6, vcc_lo
	s_cbranch_execz .LBB972_12
	s_branch .LBB972_15
.LBB972_7:
	v_sub_co_u32 v1, vcc_lo, v0, s15
	v_mov_b32_e32 v2, 0
	v_add_co_u32 v4, s0, s20, v3
	v_add_co_ci_u32_e64 v5, null, s21, 0, s0
	v_lshlrev_b64 v[1:2], 2, v[1:2]
	s_mov_b32 s1, -1
	v_add_co_u32 v1, s0, s17, v1
	v_add_co_ci_u32_e64 v2, null, s19, v2, s0
	v_cndmask_b32_e32 v1, v1, v4, vcc_lo
	v_cndmask_b32_e32 v2, v2, v5, vcc_lo
	s_sub_i32 s16, s22, s16
	s_cbranch_execnz .LBB972_3
.LBB972_8:
	s_add_i32 s0, s16, s15
	s_mov_b32 s22, exec_lo
                                        ; implicit-def: $vgpr1_vgpr2
	v_cmpx_gt_u32_e64 s0, v0
	s_cbranch_execz .LBB972_10
; %bb.9:
	v_sub_co_u32 v1, vcc_lo, v0, s15
	v_mov_b32_e32 v2, 0
	v_add_co_u32 v4, s0, s20, v3
	v_add_co_ci_u32_e64 v5, null, s21, 0, s0
	v_lshlrev_b64 v[1:2], 2, v[1:2]
	s_or_b32 s1, s1, exec_lo
	v_add_co_u32 v1, s0, s17, v1
	v_add_co_ci_u32_e64 v2, null, s19, v2, s0
	v_cndmask_b32_e32 v1, v1, v4, vcc_lo
	v_cndmask_b32_e32 v2, v2, v5, vcc_lo
.LBB972_10:
	s_or_b32 exec_lo, exec_lo, s22
                                        ; implicit-def: $vgpr4
	s_and_saveexec_b32 s0, s1
	s_cbranch_execnz .LBB972_4
	s_branch .LBB972_5
.LBB972_11:
	s_mov_b32 s4, 0
                                        ; implicit-def: $vgpr1_vgpr2
                                        ; implicit-def: $sgpr1
.LBB972_12:
	s_add_i32 s1, s16, s15
	s_mov_b32 s7, exec_lo
                                        ; implicit-def: $vgpr1_vgpr2
	v_cmpx_gt_u32_e64 s1, v0
	s_cbranch_execz .LBB972_14
; %bb.13:
	v_sub_co_u32 v1, vcc_lo, v0, s15
	v_mov_b32_e32 v2, 0
	v_add_co_u32 v5, s0, s17, v3
	v_add_co_ci_u32_e64 v6, null, s19, 0, s0
	v_lshlrev_b64 v[1:2], 2, v[1:2]
	s_or_b32 s4, s4, exec_lo
	v_add_co_u32 v1, s0, s5, v1
	v_add_co_ci_u32_e64 v2, null, s6, v2, s0
	v_cndmask_b32_e32 v1, v1, v5, vcc_lo
	v_cndmask_b32_e32 v2, v2, v6, vcc_lo
.LBB972_14:
	s_or_b32 exec_lo, exec_lo, s7
.LBB972_15:
	v_mov_b32_e32 v6, s1
                                        ; implicit-def: $vgpr5
	s_and_saveexec_b32 s0, s4
	s_cbranch_execz .LBB972_17
; %bb.16:
	global_load_dword v5, v[1:2], off
	v_mov_b32_e32 v6, s1
.LBB972_17:
	s_or_b32 exec_lo, exec_lo, s0
	v_min_u32_e32 v2, v6, v0
	s_mov_b32 s0, exec_lo
	s_waitcnt vmcnt(0) lgkmcnt(0)
	s_barrier
	buffer_gl0_inv
	v_sub_nc_u32_e64 v1, v2, s16 clamp
	v_min_u32_e32 v7, s15, v2
	v_cmpx_lt_u32_e64 v1, v7
	s_cbranch_execz .LBB972_21
; %bb.18:
	v_lshlrev_b32_e32 v8, 2, v2
	s_mov_b32 s1, 0
	v_lshl_add_u32 v8, s15, 2, v8
	.p2align	6
.LBB972_19:                             ; =>This Inner Loop Header: Depth=1
	v_add_nc_u32_e32 v9, v7, v1
	v_lshrrev_b32_e32 v9, 1, v9
	v_not_b32_e32 v10, v9
	v_lshlrev_b32_e32 v11, 2, v9
	v_add_nc_u32_e32 v12, 1, v9
	v_lshl_add_u32 v10, v10, 2, v8
	ds_read_b32 v11, v11
	ds_read_b32 v10, v10
	s_waitcnt lgkmcnt(1)
	v_and_b32_e32 v11, s3, v11
	s_waitcnt lgkmcnt(0)
	v_and_b32_e32 v10, s3, v10
	v_cmp_gt_i32_e32 vcc_lo, v10, v11
	v_cndmask_b32_e32 v7, v7, v9, vcc_lo
	v_cndmask_b32_e32 v1, v12, v1, vcc_lo
	v_cmp_ge_u32_e32 vcc_lo, v1, v7
	s_or_b32 s1, vcc_lo, s1
	s_andn2_b32 exec_lo, exec_lo, s1
	s_cbranch_execnz .LBB972_19
; %bb.20:
	s_or_b32 exec_lo, exec_lo, s1
.LBB972_21:
	s_or_b32 exec_lo, exec_lo, s0
	v_sub_nc_u32_e32 v2, v2, v1
	v_cmp_ge_u32_e32 vcc_lo, s15, v1
	v_mov_b32_e32 v7, 0
	v_add_nc_u32_e32 v2, s15, v2
	v_cmp_le_u32_e64 s0, v2, v6
	s_or_b32 s0, vcc_lo, s0
	s_and_saveexec_b32 s4, s0
	s_cbranch_execz .LBB972_27
; %bb.22:
	v_cmp_gt_u32_e32 vcc_lo, s15, v1
                                        ; implicit-def: $vgpr4
	s_and_saveexec_b32 s0, vcc_lo
; %bb.23:
	v_lshlrev_b32_e32 v4, 2, v1
	ds_read_b32 v4, v4
; %bb.24:
	s_or_b32 exec_lo, exec_lo, s0
	v_cmp_ge_u32_e64 s0, v2, v6
	v_cmp_lt_u32_e64 s1, v2, v6
                                        ; implicit-def: $vgpr6
	s_and_saveexec_b32 s5, s1
; %bb.25:
	v_lshlrev_b32_e32 v6, 2, v2
	ds_read_b32 v6, v6
; %bb.26:
	s_or_b32 exec_lo, exec_lo, s5
	s_waitcnt lgkmcnt(0)
	v_and_b32_e32 v7, s3, v6
	v_and_b32_e32 v8, s3, v4
	v_cmp_le_i32_e64 s1, v7, v8
	s_and_b32 s1, vcc_lo, s1
	s_or_b32 vcc_lo, s0, s1
	v_cndmask_b32_e32 v7, v2, v1, vcc_lo
	v_cndmask_b32_e32 v4, v6, v4, vcc_lo
.LBB972_27:
	s_or_b32 exec_lo, exec_lo, s4
	v_lshlrev_b32_e32 v1, 2, v7
	s_barrier
	buffer_gl0_inv
	ds_write_b32 v3, v5
	s_waitcnt lgkmcnt(0)
	s_barrier
	buffer_gl0_inv
	ds_read_b32 v1, v1
	s_mov_b32 s3, 0
	s_and_b32 vcc_lo, exec_lo, s18
	s_mov_b32 s0, -1
	s_waitcnt lgkmcnt(0)
	s_barrier
	buffer_gl0_inv
	s_barrier
	buffer_gl0_inv
	ds_write_b32 v3, v4
	s_waitcnt lgkmcnt(0)
	s_cbranch_vccz .LBB972_29
; %bb.28:
	s_barrier
	buffer_gl0_inv
	ds_read_b32 v2, v3
	s_lshl_b64 s[0:1], s[2:3], 2
	s_add_u32 s4, s8, s0
	s_addc_u32 s5, s9, s1
	s_waitcnt lgkmcnt(0)
	global_store_dword v3, v2, s[4:5]
	s_waitcnt_vscnt null, 0x0
	s_barrier
	buffer_gl0_inv
	ds_write_b32 v3, v1
	s_waitcnt lgkmcnt(0)
	s_barrier
	buffer_gl0_inv
	ds_read_b32 v2, v3
	s_add_u32 s4, s12, s0
	s_addc_u32 s5, s13, s1
	s_mov_b32 s0, s3
	s_waitcnt lgkmcnt(0)
	global_store_dword v3, v2, s[4:5]
.LBB972_29:
	s_andn2_b32 vcc_lo, exec_lo, s0
	s_cbranch_vccnz .LBB972_34
; %bb.30:
	s_sub_i32 s0, s14, s2
	s_barrier
	v_cmp_gt_u32_e32 vcc_lo, s0, v0
	s_waitcnt_vscnt null, 0x0
	buffer_gl0_inv
	s_and_saveexec_b32 s0, vcc_lo
	s_cbranch_execz .LBB972_32
; %bb.31:
	ds_read_b32 v0, v3
	s_lshl_b64 s[4:5], s[2:3], 2
	s_add_u32 s4, s8, s4
	s_addc_u32 s5, s9, s5
	s_waitcnt lgkmcnt(0)
	global_store_dword v3, v0, s[4:5]
.LBB972_32:
	s_or_b32 exec_lo, exec_lo, s0
	s_waitcnt_vscnt null, 0x0
	s_barrier
	buffer_gl0_inv
	ds_write_b32 v3, v1
	s_waitcnt lgkmcnt(0)
	s_barrier
	buffer_gl0_inv
	s_and_saveexec_b32 s0, vcc_lo
	s_cbranch_execz .LBB972_34
; %bb.33:
	ds_read_b32 v0, v3
	s_lshl_b64 s[0:1], s[2:3], 2
	s_add_u32 s0, s12, s0
	s_addc_u32 s1, s13, s1
	s_waitcnt lgkmcnt(0)
	global_store_dword v3, v0, s[0:1]
.LBB972_34:
	s_endpgm
	.section	.rodata,"a",@progbits
	.p2align	6, 0x0
	.amdhsa_kernel _ZN7rocprim17ROCPRIM_400000_NS6detail17trampoline_kernelINS0_14default_configENS1_38merge_sort_block_merge_config_selectorIiiEEZZNS1_27merge_sort_block_merge_implIS3_N6thrust23THRUST_200600_302600_NS6detail15normal_iteratorINS8_10device_ptrIiEEEESD_jNS1_19radix_merge_compareILb1ELb1EiNS0_19identity_decomposerEEEEE10hipError_tT0_T1_T2_jT3_P12ihipStream_tbPNSt15iterator_traitsISI_E10value_typeEPNSO_ISJ_E10value_typeEPSK_NS1_7vsmem_tEENKUlT_SI_SJ_SK_E_clISD_PiSD_S10_EESH_SX_SI_SJ_SK_EUlSX_E0_NS1_11comp_targetILNS1_3genE8ELNS1_11target_archE1030ELNS1_3gpuE2ELNS1_3repE0EEENS1_38merge_mergepath_config_static_selectorELNS0_4arch9wavefront6targetE0EEEvSJ_
		.amdhsa_group_segment_fixed_size 4112
		.amdhsa_private_segment_fixed_size 0
		.amdhsa_kernarg_size 320
		.amdhsa_user_sgpr_count 6
		.amdhsa_user_sgpr_private_segment_buffer 1
		.amdhsa_user_sgpr_dispatch_ptr 0
		.amdhsa_user_sgpr_queue_ptr 0
		.amdhsa_user_sgpr_kernarg_segment_ptr 1
		.amdhsa_user_sgpr_dispatch_id 0
		.amdhsa_user_sgpr_flat_scratch_init 0
		.amdhsa_user_sgpr_private_segment_size 0
		.amdhsa_wavefront_size32 1
		.amdhsa_uses_dynamic_stack 0
		.amdhsa_system_sgpr_private_segment_wavefront_offset 0
		.amdhsa_system_sgpr_workgroup_id_x 1
		.amdhsa_system_sgpr_workgroup_id_y 1
		.amdhsa_system_sgpr_workgroup_id_z 1
		.amdhsa_system_sgpr_workgroup_info 0
		.amdhsa_system_vgpr_workitem_id 0
		.amdhsa_next_free_vgpr 13
		.amdhsa_next_free_sgpr 26
		.amdhsa_reserve_vcc 1
		.amdhsa_reserve_flat_scratch 0
		.amdhsa_float_round_mode_32 0
		.amdhsa_float_round_mode_16_64 0
		.amdhsa_float_denorm_mode_32 3
		.amdhsa_float_denorm_mode_16_64 3
		.amdhsa_dx10_clamp 1
		.amdhsa_ieee_mode 1
		.amdhsa_fp16_overflow 0
		.amdhsa_workgroup_processor_mode 1
		.amdhsa_memory_ordered 1
		.amdhsa_forward_progress 1
		.amdhsa_shared_vgpr_count 0
		.amdhsa_exception_fp_ieee_invalid_op 0
		.amdhsa_exception_fp_denorm_src 0
		.amdhsa_exception_fp_ieee_div_zero 0
		.amdhsa_exception_fp_ieee_overflow 0
		.amdhsa_exception_fp_ieee_underflow 0
		.amdhsa_exception_fp_ieee_inexact 0
		.amdhsa_exception_int_div_zero 0
	.end_amdhsa_kernel
	.section	.text._ZN7rocprim17ROCPRIM_400000_NS6detail17trampoline_kernelINS0_14default_configENS1_38merge_sort_block_merge_config_selectorIiiEEZZNS1_27merge_sort_block_merge_implIS3_N6thrust23THRUST_200600_302600_NS6detail15normal_iteratorINS8_10device_ptrIiEEEESD_jNS1_19radix_merge_compareILb1ELb1EiNS0_19identity_decomposerEEEEE10hipError_tT0_T1_T2_jT3_P12ihipStream_tbPNSt15iterator_traitsISI_E10value_typeEPNSO_ISJ_E10value_typeEPSK_NS1_7vsmem_tEENKUlT_SI_SJ_SK_E_clISD_PiSD_S10_EESH_SX_SI_SJ_SK_EUlSX_E0_NS1_11comp_targetILNS1_3genE8ELNS1_11target_archE1030ELNS1_3gpuE2ELNS1_3repE0EEENS1_38merge_mergepath_config_static_selectorELNS0_4arch9wavefront6targetE0EEEvSJ_,"axG",@progbits,_ZN7rocprim17ROCPRIM_400000_NS6detail17trampoline_kernelINS0_14default_configENS1_38merge_sort_block_merge_config_selectorIiiEEZZNS1_27merge_sort_block_merge_implIS3_N6thrust23THRUST_200600_302600_NS6detail15normal_iteratorINS8_10device_ptrIiEEEESD_jNS1_19radix_merge_compareILb1ELb1EiNS0_19identity_decomposerEEEEE10hipError_tT0_T1_T2_jT3_P12ihipStream_tbPNSt15iterator_traitsISI_E10value_typeEPNSO_ISJ_E10value_typeEPSK_NS1_7vsmem_tEENKUlT_SI_SJ_SK_E_clISD_PiSD_S10_EESH_SX_SI_SJ_SK_EUlSX_E0_NS1_11comp_targetILNS1_3genE8ELNS1_11target_archE1030ELNS1_3gpuE2ELNS1_3repE0EEENS1_38merge_mergepath_config_static_selectorELNS0_4arch9wavefront6targetE0EEEvSJ_,comdat
.Lfunc_end972:
	.size	_ZN7rocprim17ROCPRIM_400000_NS6detail17trampoline_kernelINS0_14default_configENS1_38merge_sort_block_merge_config_selectorIiiEEZZNS1_27merge_sort_block_merge_implIS3_N6thrust23THRUST_200600_302600_NS6detail15normal_iteratorINS8_10device_ptrIiEEEESD_jNS1_19radix_merge_compareILb1ELb1EiNS0_19identity_decomposerEEEEE10hipError_tT0_T1_T2_jT3_P12ihipStream_tbPNSt15iterator_traitsISI_E10value_typeEPNSO_ISJ_E10value_typeEPSK_NS1_7vsmem_tEENKUlT_SI_SJ_SK_E_clISD_PiSD_S10_EESH_SX_SI_SJ_SK_EUlSX_E0_NS1_11comp_targetILNS1_3genE8ELNS1_11target_archE1030ELNS1_3gpuE2ELNS1_3repE0EEENS1_38merge_mergepath_config_static_selectorELNS0_4arch9wavefront6targetE0EEEvSJ_, .Lfunc_end972-_ZN7rocprim17ROCPRIM_400000_NS6detail17trampoline_kernelINS0_14default_configENS1_38merge_sort_block_merge_config_selectorIiiEEZZNS1_27merge_sort_block_merge_implIS3_N6thrust23THRUST_200600_302600_NS6detail15normal_iteratorINS8_10device_ptrIiEEEESD_jNS1_19radix_merge_compareILb1ELb1EiNS0_19identity_decomposerEEEEE10hipError_tT0_T1_T2_jT3_P12ihipStream_tbPNSt15iterator_traitsISI_E10value_typeEPNSO_ISJ_E10value_typeEPSK_NS1_7vsmem_tEENKUlT_SI_SJ_SK_E_clISD_PiSD_S10_EESH_SX_SI_SJ_SK_EUlSX_E0_NS1_11comp_targetILNS1_3genE8ELNS1_11target_archE1030ELNS1_3gpuE2ELNS1_3repE0EEENS1_38merge_mergepath_config_static_selectorELNS0_4arch9wavefront6targetE0EEEvSJ_
                                        ; -- End function
	.set _ZN7rocprim17ROCPRIM_400000_NS6detail17trampoline_kernelINS0_14default_configENS1_38merge_sort_block_merge_config_selectorIiiEEZZNS1_27merge_sort_block_merge_implIS3_N6thrust23THRUST_200600_302600_NS6detail15normal_iteratorINS8_10device_ptrIiEEEESD_jNS1_19radix_merge_compareILb1ELb1EiNS0_19identity_decomposerEEEEE10hipError_tT0_T1_T2_jT3_P12ihipStream_tbPNSt15iterator_traitsISI_E10value_typeEPNSO_ISJ_E10value_typeEPSK_NS1_7vsmem_tEENKUlT_SI_SJ_SK_E_clISD_PiSD_S10_EESH_SX_SI_SJ_SK_EUlSX_E0_NS1_11comp_targetILNS1_3genE8ELNS1_11target_archE1030ELNS1_3gpuE2ELNS1_3repE0EEENS1_38merge_mergepath_config_static_selectorELNS0_4arch9wavefront6targetE0EEEvSJ_.num_vgpr, 13
	.set _ZN7rocprim17ROCPRIM_400000_NS6detail17trampoline_kernelINS0_14default_configENS1_38merge_sort_block_merge_config_selectorIiiEEZZNS1_27merge_sort_block_merge_implIS3_N6thrust23THRUST_200600_302600_NS6detail15normal_iteratorINS8_10device_ptrIiEEEESD_jNS1_19radix_merge_compareILb1ELb1EiNS0_19identity_decomposerEEEEE10hipError_tT0_T1_T2_jT3_P12ihipStream_tbPNSt15iterator_traitsISI_E10value_typeEPNSO_ISJ_E10value_typeEPSK_NS1_7vsmem_tEENKUlT_SI_SJ_SK_E_clISD_PiSD_S10_EESH_SX_SI_SJ_SK_EUlSX_E0_NS1_11comp_targetILNS1_3genE8ELNS1_11target_archE1030ELNS1_3gpuE2ELNS1_3repE0EEENS1_38merge_mergepath_config_static_selectorELNS0_4arch9wavefront6targetE0EEEvSJ_.num_agpr, 0
	.set _ZN7rocprim17ROCPRIM_400000_NS6detail17trampoline_kernelINS0_14default_configENS1_38merge_sort_block_merge_config_selectorIiiEEZZNS1_27merge_sort_block_merge_implIS3_N6thrust23THRUST_200600_302600_NS6detail15normal_iteratorINS8_10device_ptrIiEEEESD_jNS1_19radix_merge_compareILb1ELb1EiNS0_19identity_decomposerEEEEE10hipError_tT0_T1_T2_jT3_P12ihipStream_tbPNSt15iterator_traitsISI_E10value_typeEPNSO_ISJ_E10value_typeEPSK_NS1_7vsmem_tEENKUlT_SI_SJ_SK_E_clISD_PiSD_S10_EESH_SX_SI_SJ_SK_EUlSX_E0_NS1_11comp_targetILNS1_3genE8ELNS1_11target_archE1030ELNS1_3gpuE2ELNS1_3repE0EEENS1_38merge_mergepath_config_static_selectorELNS0_4arch9wavefront6targetE0EEEvSJ_.numbered_sgpr, 26
	.set _ZN7rocprim17ROCPRIM_400000_NS6detail17trampoline_kernelINS0_14default_configENS1_38merge_sort_block_merge_config_selectorIiiEEZZNS1_27merge_sort_block_merge_implIS3_N6thrust23THRUST_200600_302600_NS6detail15normal_iteratorINS8_10device_ptrIiEEEESD_jNS1_19radix_merge_compareILb1ELb1EiNS0_19identity_decomposerEEEEE10hipError_tT0_T1_T2_jT3_P12ihipStream_tbPNSt15iterator_traitsISI_E10value_typeEPNSO_ISJ_E10value_typeEPSK_NS1_7vsmem_tEENKUlT_SI_SJ_SK_E_clISD_PiSD_S10_EESH_SX_SI_SJ_SK_EUlSX_E0_NS1_11comp_targetILNS1_3genE8ELNS1_11target_archE1030ELNS1_3gpuE2ELNS1_3repE0EEENS1_38merge_mergepath_config_static_selectorELNS0_4arch9wavefront6targetE0EEEvSJ_.num_named_barrier, 0
	.set _ZN7rocprim17ROCPRIM_400000_NS6detail17trampoline_kernelINS0_14default_configENS1_38merge_sort_block_merge_config_selectorIiiEEZZNS1_27merge_sort_block_merge_implIS3_N6thrust23THRUST_200600_302600_NS6detail15normal_iteratorINS8_10device_ptrIiEEEESD_jNS1_19radix_merge_compareILb1ELb1EiNS0_19identity_decomposerEEEEE10hipError_tT0_T1_T2_jT3_P12ihipStream_tbPNSt15iterator_traitsISI_E10value_typeEPNSO_ISJ_E10value_typeEPSK_NS1_7vsmem_tEENKUlT_SI_SJ_SK_E_clISD_PiSD_S10_EESH_SX_SI_SJ_SK_EUlSX_E0_NS1_11comp_targetILNS1_3genE8ELNS1_11target_archE1030ELNS1_3gpuE2ELNS1_3repE0EEENS1_38merge_mergepath_config_static_selectorELNS0_4arch9wavefront6targetE0EEEvSJ_.private_seg_size, 0
	.set _ZN7rocprim17ROCPRIM_400000_NS6detail17trampoline_kernelINS0_14default_configENS1_38merge_sort_block_merge_config_selectorIiiEEZZNS1_27merge_sort_block_merge_implIS3_N6thrust23THRUST_200600_302600_NS6detail15normal_iteratorINS8_10device_ptrIiEEEESD_jNS1_19radix_merge_compareILb1ELb1EiNS0_19identity_decomposerEEEEE10hipError_tT0_T1_T2_jT3_P12ihipStream_tbPNSt15iterator_traitsISI_E10value_typeEPNSO_ISJ_E10value_typeEPSK_NS1_7vsmem_tEENKUlT_SI_SJ_SK_E_clISD_PiSD_S10_EESH_SX_SI_SJ_SK_EUlSX_E0_NS1_11comp_targetILNS1_3genE8ELNS1_11target_archE1030ELNS1_3gpuE2ELNS1_3repE0EEENS1_38merge_mergepath_config_static_selectorELNS0_4arch9wavefront6targetE0EEEvSJ_.uses_vcc, 1
	.set _ZN7rocprim17ROCPRIM_400000_NS6detail17trampoline_kernelINS0_14default_configENS1_38merge_sort_block_merge_config_selectorIiiEEZZNS1_27merge_sort_block_merge_implIS3_N6thrust23THRUST_200600_302600_NS6detail15normal_iteratorINS8_10device_ptrIiEEEESD_jNS1_19radix_merge_compareILb1ELb1EiNS0_19identity_decomposerEEEEE10hipError_tT0_T1_T2_jT3_P12ihipStream_tbPNSt15iterator_traitsISI_E10value_typeEPNSO_ISJ_E10value_typeEPSK_NS1_7vsmem_tEENKUlT_SI_SJ_SK_E_clISD_PiSD_S10_EESH_SX_SI_SJ_SK_EUlSX_E0_NS1_11comp_targetILNS1_3genE8ELNS1_11target_archE1030ELNS1_3gpuE2ELNS1_3repE0EEENS1_38merge_mergepath_config_static_selectorELNS0_4arch9wavefront6targetE0EEEvSJ_.uses_flat_scratch, 0
	.set _ZN7rocprim17ROCPRIM_400000_NS6detail17trampoline_kernelINS0_14default_configENS1_38merge_sort_block_merge_config_selectorIiiEEZZNS1_27merge_sort_block_merge_implIS3_N6thrust23THRUST_200600_302600_NS6detail15normal_iteratorINS8_10device_ptrIiEEEESD_jNS1_19radix_merge_compareILb1ELb1EiNS0_19identity_decomposerEEEEE10hipError_tT0_T1_T2_jT3_P12ihipStream_tbPNSt15iterator_traitsISI_E10value_typeEPNSO_ISJ_E10value_typeEPSK_NS1_7vsmem_tEENKUlT_SI_SJ_SK_E_clISD_PiSD_S10_EESH_SX_SI_SJ_SK_EUlSX_E0_NS1_11comp_targetILNS1_3genE8ELNS1_11target_archE1030ELNS1_3gpuE2ELNS1_3repE0EEENS1_38merge_mergepath_config_static_selectorELNS0_4arch9wavefront6targetE0EEEvSJ_.has_dyn_sized_stack, 0
	.set _ZN7rocprim17ROCPRIM_400000_NS6detail17trampoline_kernelINS0_14default_configENS1_38merge_sort_block_merge_config_selectorIiiEEZZNS1_27merge_sort_block_merge_implIS3_N6thrust23THRUST_200600_302600_NS6detail15normal_iteratorINS8_10device_ptrIiEEEESD_jNS1_19radix_merge_compareILb1ELb1EiNS0_19identity_decomposerEEEEE10hipError_tT0_T1_T2_jT3_P12ihipStream_tbPNSt15iterator_traitsISI_E10value_typeEPNSO_ISJ_E10value_typeEPSK_NS1_7vsmem_tEENKUlT_SI_SJ_SK_E_clISD_PiSD_S10_EESH_SX_SI_SJ_SK_EUlSX_E0_NS1_11comp_targetILNS1_3genE8ELNS1_11target_archE1030ELNS1_3gpuE2ELNS1_3repE0EEENS1_38merge_mergepath_config_static_selectorELNS0_4arch9wavefront6targetE0EEEvSJ_.has_recursion, 0
	.set _ZN7rocprim17ROCPRIM_400000_NS6detail17trampoline_kernelINS0_14default_configENS1_38merge_sort_block_merge_config_selectorIiiEEZZNS1_27merge_sort_block_merge_implIS3_N6thrust23THRUST_200600_302600_NS6detail15normal_iteratorINS8_10device_ptrIiEEEESD_jNS1_19radix_merge_compareILb1ELb1EiNS0_19identity_decomposerEEEEE10hipError_tT0_T1_T2_jT3_P12ihipStream_tbPNSt15iterator_traitsISI_E10value_typeEPNSO_ISJ_E10value_typeEPSK_NS1_7vsmem_tEENKUlT_SI_SJ_SK_E_clISD_PiSD_S10_EESH_SX_SI_SJ_SK_EUlSX_E0_NS1_11comp_targetILNS1_3genE8ELNS1_11target_archE1030ELNS1_3gpuE2ELNS1_3repE0EEENS1_38merge_mergepath_config_static_selectorELNS0_4arch9wavefront6targetE0EEEvSJ_.has_indirect_call, 0
	.section	.AMDGPU.csdata,"",@progbits
; Kernel info:
; codeLenInByte = 1380
; TotalNumSgprs: 28
; NumVgprs: 13
; ScratchSize: 0
; MemoryBound: 0
; FloatMode: 240
; IeeeMode: 1
; LDSByteSize: 4112 bytes/workgroup (compile time only)
; SGPRBlocks: 0
; VGPRBlocks: 1
; NumSGPRsForWavesPerEU: 28
; NumVGPRsForWavesPerEU: 13
; Occupancy: 16
; WaveLimiterHint : 0
; COMPUTE_PGM_RSRC2:SCRATCH_EN: 0
; COMPUTE_PGM_RSRC2:USER_SGPR: 6
; COMPUTE_PGM_RSRC2:TRAP_HANDLER: 0
; COMPUTE_PGM_RSRC2:TGID_X_EN: 1
; COMPUTE_PGM_RSRC2:TGID_Y_EN: 1
; COMPUTE_PGM_RSRC2:TGID_Z_EN: 1
; COMPUTE_PGM_RSRC2:TIDIG_COMP_CNT: 0
	.section	.text._ZN7rocprim17ROCPRIM_400000_NS6detail17trampoline_kernelINS0_14default_configENS1_38merge_sort_block_merge_config_selectorIiiEEZZNS1_27merge_sort_block_merge_implIS3_N6thrust23THRUST_200600_302600_NS6detail15normal_iteratorINS8_10device_ptrIiEEEESD_jNS1_19radix_merge_compareILb1ELb1EiNS0_19identity_decomposerEEEEE10hipError_tT0_T1_T2_jT3_P12ihipStream_tbPNSt15iterator_traitsISI_E10value_typeEPNSO_ISJ_E10value_typeEPSK_NS1_7vsmem_tEENKUlT_SI_SJ_SK_E_clISD_PiSD_S10_EESH_SX_SI_SJ_SK_EUlSX_E1_NS1_11comp_targetILNS1_3genE0ELNS1_11target_archE4294967295ELNS1_3gpuE0ELNS1_3repE0EEENS1_36merge_oddeven_config_static_selectorELNS0_4arch9wavefront6targetE0EEEvSJ_,"axG",@progbits,_ZN7rocprim17ROCPRIM_400000_NS6detail17trampoline_kernelINS0_14default_configENS1_38merge_sort_block_merge_config_selectorIiiEEZZNS1_27merge_sort_block_merge_implIS3_N6thrust23THRUST_200600_302600_NS6detail15normal_iteratorINS8_10device_ptrIiEEEESD_jNS1_19radix_merge_compareILb1ELb1EiNS0_19identity_decomposerEEEEE10hipError_tT0_T1_T2_jT3_P12ihipStream_tbPNSt15iterator_traitsISI_E10value_typeEPNSO_ISJ_E10value_typeEPSK_NS1_7vsmem_tEENKUlT_SI_SJ_SK_E_clISD_PiSD_S10_EESH_SX_SI_SJ_SK_EUlSX_E1_NS1_11comp_targetILNS1_3genE0ELNS1_11target_archE4294967295ELNS1_3gpuE0ELNS1_3repE0EEENS1_36merge_oddeven_config_static_selectorELNS0_4arch9wavefront6targetE0EEEvSJ_,comdat
	.protected	_ZN7rocprim17ROCPRIM_400000_NS6detail17trampoline_kernelINS0_14default_configENS1_38merge_sort_block_merge_config_selectorIiiEEZZNS1_27merge_sort_block_merge_implIS3_N6thrust23THRUST_200600_302600_NS6detail15normal_iteratorINS8_10device_ptrIiEEEESD_jNS1_19radix_merge_compareILb1ELb1EiNS0_19identity_decomposerEEEEE10hipError_tT0_T1_T2_jT3_P12ihipStream_tbPNSt15iterator_traitsISI_E10value_typeEPNSO_ISJ_E10value_typeEPSK_NS1_7vsmem_tEENKUlT_SI_SJ_SK_E_clISD_PiSD_S10_EESH_SX_SI_SJ_SK_EUlSX_E1_NS1_11comp_targetILNS1_3genE0ELNS1_11target_archE4294967295ELNS1_3gpuE0ELNS1_3repE0EEENS1_36merge_oddeven_config_static_selectorELNS0_4arch9wavefront6targetE0EEEvSJ_ ; -- Begin function _ZN7rocprim17ROCPRIM_400000_NS6detail17trampoline_kernelINS0_14default_configENS1_38merge_sort_block_merge_config_selectorIiiEEZZNS1_27merge_sort_block_merge_implIS3_N6thrust23THRUST_200600_302600_NS6detail15normal_iteratorINS8_10device_ptrIiEEEESD_jNS1_19radix_merge_compareILb1ELb1EiNS0_19identity_decomposerEEEEE10hipError_tT0_T1_T2_jT3_P12ihipStream_tbPNSt15iterator_traitsISI_E10value_typeEPNSO_ISJ_E10value_typeEPSK_NS1_7vsmem_tEENKUlT_SI_SJ_SK_E_clISD_PiSD_S10_EESH_SX_SI_SJ_SK_EUlSX_E1_NS1_11comp_targetILNS1_3genE0ELNS1_11target_archE4294967295ELNS1_3gpuE0ELNS1_3repE0EEENS1_36merge_oddeven_config_static_selectorELNS0_4arch9wavefront6targetE0EEEvSJ_
	.globl	_ZN7rocprim17ROCPRIM_400000_NS6detail17trampoline_kernelINS0_14default_configENS1_38merge_sort_block_merge_config_selectorIiiEEZZNS1_27merge_sort_block_merge_implIS3_N6thrust23THRUST_200600_302600_NS6detail15normal_iteratorINS8_10device_ptrIiEEEESD_jNS1_19radix_merge_compareILb1ELb1EiNS0_19identity_decomposerEEEEE10hipError_tT0_T1_T2_jT3_P12ihipStream_tbPNSt15iterator_traitsISI_E10value_typeEPNSO_ISJ_E10value_typeEPSK_NS1_7vsmem_tEENKUlT_SI_SJ_SK_E_clISD_PiSD_S10_EESH_SX_SI_SJ_SK_EUlSX_E1_NS1_11comp_targetILNS1_3genE0ELNS1_11target_archE4294967295ELNS1_3gpuE0ELNS1_3repE0EEENS1_36merge_oddeven_config_static_selectorELNS0_4arch9wavefront6targetE0EEEvSJ_
	.p2align	8
	.type	_ZN7rocprim17ROCPRIM_400000_NS6detail17trampoline_kernelINS0_14default_configENS1_38merge_sort_block_merge_config_selectorIiiEEZZNS1_27merge_sort_block_merge_implIS3_N6thrust23THRUST_200600_302600_NS6detail15normal_iteratorINS8_10device_ptrIiEEEESD_jNS1_19radix_merge_compareILb1ELb1EiNS0_19identity_decomposerEEEEE10hipError_tT0_T1_T2_jT3_P12ihipStream_tbPNSt15iterator_traitsISI_E10value_typeEPNSO_ISJ_E10value_typeEPSK_NS1_7vsmem_tEENKUlT_SI_SJ_SK_E_clISD_PiSD_S10_EESH_SX_SI_SJ_SK_EUlSX_E1_NS1_11comp_targetILNS1_3genE0ELNS1_11target_archE4294967295ELNS1_3gpuE0ELNS1_3repE0EEENS1_36merge_oddeven_config_static_selectorELNS0_4arch9wavefront6targetE0EEEvSJ_,@function
_ZN7rocprim17ROCPRIM_400000_NS6detail17trampoline_kernelINS0_14default_configENS1_38merge_sort_block_merge_config_selectorIiiEEZZNS1_27merge_sort_block_merge_implIS3_N6thrust23THRUST_200600_302600_NS6detail15normal_iteratorINS8_10device_ptrIiEEEESD_jNS1_19radix_merge_compareILb1ELb1EiNS0_19identity_decomposerEEEEE10hipError_tT0_T1_T2_jT3_P12ihipStream_tbPNSt15iterator_traitsISI_E10value_typeEPNSO_ISJ_E10value_typeEPSK_NS1_7vsmem_tEENKUlT_SI_SJ_SK_E_clISD_PiSD_S10_EESH_SX_SI_SJ_SK_EUlSX_E1_NS1_11comp_targetILNS1_3genE0ELNS1_11target_archE4294967295ELNS1_3gpuE0ELNS1_3repE0EEENS1_36merge_oddeven_config_static_selectorELNS0_4arch9wavefront6targetE0EEEvSJ_: ; @_ZN7rocprim17ROCPRIM_400000_NS6detail17trampoline_kernelINS0_14default_configENS1_38merge_sort_block_merge_config_selectorIiiEEZZNS1_27merge_sort_block_merge_implIS3_N6thrust23THRUST_200600_302600_NS6detail15normal_iteratorINS8_10device_ptrIiEEEESD_jNS1_19radix_merge_compareILb1ELb1EiNS0_19identity_decomposerEEEEE10hipError_tT0_T1_T2_jT3_P12ihipStream_tbPNSt15iterator_traitsISI_E10value_typeEPNSO_ISJ_E10value_typeEPSK_NS1_7vsmem_tEENKUlT_SI_SJ_SK_E_clISD_PiSD_S10_EESH_SX_SI_SJ_SK_EUlSX_E1_NS1_11comp_targetILNS1_3genE0ELNS1_11target_archE4294967295ELNS1_3gpuE0ELNS1_3repE0EEENS1_36merge_oddeven_config_static_selectorELNS0_4arch9wavefront6targetE0EEEvSJ_
; %bb.0:
	.section	.rodata,"a",@progbits
	.p2align	6, 0x0
	.amdhsa_kernel _ZN7rocprim17ROCPRIM_400000_NS6detail17trampoline_kernelINS0_14default_configENS1_38merge_sort_block_merge_config_selectorIiiEEZZNS1_27merge_sort_block_merge_implIS3_N6thrust23THRUST_200600_302600_NS6detail15normal_iteratorINS8_10device_ptrIiEEEESD_jNS1_19radix_merge_compareILb1ELb1EiNS0_19identity_decomposerEEEEE10hipError_tT0_T1_T2_jT3_P12ihipStream_tbPNSt15iterator_traitsISI_E10value_typeEPNSO_ISJ_E10value_typeEPSK_NS1_7vsmem_tEENKUlT_SI_SJ_SK_E_clISD_PiSD_S10_EESH_SX_SI_SJ_SK_EUlSX_E1_NS1_11comp_targetILNS1_3genE0ELNS1_11target_archE4294967295ELNS1_3gpuE0ELNS1_3repE0EEENS1_36merge_oddeven_config_static_selectorELNS0_4arch9wavefront6targetE0EEEvSJ_
		.amdhsa_group_segment_fixed_size 0
		.amdhsa_private_segment_fixed_size 0
		.amdhsa_kernarg_size 48
		.amdhsa_user_sgpr_count 6
		.amdhsa_user_sgpr_private_segment_buffer 1
		.amdhsa_user_sgpr_dispatch_ptr 0
		.amdhsa_user_sgpr_queue_ptr 0
		.amdhsa_user_sgpr_kernarg_segment_ptr 1
		.amdhsa_user_sgpr_dispatch_id 0
		.amdhsa_user_sgpr_flat_scratch_init 0
		.amdhsa_user_sgpr_private_segment_size 0
		.amdhsa_wavefront_size32 1
		.amdhsa_uses_dynamic_stack 0
		.amdhsa_system_sgpr_private_segment_wavefront_offset 0
		.amdhsa_system_sgpr_workgroup_id_x 1
		.amdhsa_system_sgpr_workgroup_id_y 0
		.amdhsa_system_sgpr_workgroup_id_z 0
		.amdhsa_system_sgpr_workgroup_info 0
		.amdhsa_system_vgpr_workitem_id 0
		.amdhsa_next_free_vgpr 1
		.amdhsa_next_free_sgpr 1
		.amdhsa_reserve_vcc 0
		.amdhsa_reserve_flat_scratch 0
		.amdhsa_float_round_mode_32 0
		.amdhsa_float_round_mode_16_64 0
		.amdhsa_float_denorm_mode_32 3
		.amdhsa_float_denorm_mode_16_64 3
		.amdhsa_dx10_clamp 1
		.amdhsa_ieee_mode 1
		.amdhsa_fp16_overflow 0
		.amdhsa_workgroup_processor_mode 1
		.amdhsa_memory_ordered 1
		.amdhsa_forward_progress 1
		.amdhsa_shared_vgpr_count 0
		.amdhsa_exception_fp_ieee_invalid_op 0
		.amdhsa_exception_fp_denorm_src 0
		.amdhsa_exception_fp_ieee_div_zero 0
		.amdhsa_exception_fp_ieee_overflow 0
		.amdhsa_exception_fp_ieee_underflow 0
		.amdhsa_exception_fp_ieee_inexact 0
		.amdhsa_exception_int_div_zero 0
	.end_amdhsa_kernel
	.section	.text._ZN7rocprim17ROCPRIM_400000_NS6detail17trampoline_kernelINS0_14default_configENS1_38merge_sort_block_merge_config_selectorIiiEEZZNS1_27merge_sort_block_merge_implIS3_N6thrust23THRUST_200600_302600_NS6detail15normal_iteratorINS8_10device_ptrIiEEEESD_jNS1_19radix_merge_compareILb1ELb1EiNS0_19identity_decomposerEEEEE10hipError_tT0_T1_T2_jT3_P12ihipStream_tbPNSt15iterator_traitsISI_E10value_typeEPNSO_ISJ_E10value_typeEPSK_NS1_7vsmem_tEENKUlT_SI_SJ_SK_E_clISD_PiSD_S10_EESH_SX_SI_SJ_SK_EUlSX_E1_NS1_11comp_targetILNS1_3genE0ELNS1_11target_archE4294967295ELNS1_3gpuE0ELNS1_3repE0EEENS1_36merge_oddeven_config_static_selectorELNS0_4arch9wavefront6targetE0EEEvSJ_,"axG",@progbits,_ZN7rocprim17ROCPRIM_400000_NS6detail17trampoline_kernelINS0_14default_configENS1_38merge_sort_block_merge_config_selectorIiiEEZZNS1_27merge_sort_block_merge_implIS3_N6thrust23THRUST_200600_302600_NS6detail15normal_iteratorINS8_10device_ptrIiEEEESD_jNS1_19radix_merge_compareILb1ELb1EiNS0_19identity_decomposerEEEEE10hipError_tT0_T1_T2_jT3_P12ihipStream_tbPNSt15iterator_traitsISI_E10value_typeEPNSO_ISJ_E10value_typeEPSK_NS1_7vsmem_tEENKUlT_SI_SJ_SK_E_clISD_PiSD_S10_EESH_SX_SI_SJ_SK_EUlSX_E1_NS1_11comp_targetILNS1_3genE0ELNS1_11target_archE4294967295ELNS1_3gpuE0ELNS1_3repE0EEENS1_36merge_oddeven_config_static_selectorELNS0_4arch9wavefront6targetE0EEEvSJ_,comdat
.Lfunc_end973:
	.size	_ZN7rocprim17ROCPRIM_400000_NS6detail17trampoline_kernelINS0_14default_configENS1_38merge_sort_block_merge_config_selectorIiiEEZZNS1_27merge_sort_block_merge_implIS3_N6thrust23THRUST_200600_302600_NS6detail15normal_iteratorINS8_10device_ptrIiEEEESD_jNS1_19radix_merge_compareILb1ELb1EiNS0_19identity_decomposerEEEEE10hipError_tT0_T1_T2_jT3_P12ihipStream_tbPNSt15iterator_traitsISI_E10value_typeEPNSO_ISJ_E10value_typeEPSK_NS1_7vsmem_tEENKUlT_SI_SJ_SK_E_clISD_PiSD_S10_EESH_SX_SI_SJ_SK_EUlSX_E1_NS1_11comp_targetILNS1_3genE0ELNS1_11target_archE4294967295ELNS1_3gpuE0ELNS1_3repE0EEENS1_36merge_oddeven_config_static_selectorELNS0_4arch9wavefront6targetE0EEEvSJ_, .Lfunc_end973-_ZN7rocprim17ROCPRIM_400000_NS6detail17trampoline_kernelINS0_14default_configENS1_38merge_sort_block_merge_config_selectorIiiEEZZNS1_27merge_sort_block_merge_implIS3_N6thrust23THRUST_200600_302600_NS6detail15normal_iteratorINS8_10device_ptrIiEEEESD_jNS1_19radix_merge_compareILb1ELb1EiNS0_19identity_decomposerEEEEE10hipError_tT0_T1_T2_jT3_P12ihipStream_tbPNSt15iterator_traitsISI_E10value_typeEPNSO_ISJ_E10value_typeEPSK_NS1_7vsmem_tEENKUlT_SI_SJ_SK_E_clISD_PiSD_S10_EESH_SX_SI_SJ_SK_EUlSX_E1_NS1_11comp_targetILNS1_3genE0ELNS1_11target_archE4294967295ELNS1_3gpuE0ELNS1_3repE0EEENS1_36merge_oddeven_config_static_selectorELNS0_4arch9wavefront6targetE0EEEvSJ_
                                        ; -- End function
	.set _ZN7rocprim17ROCPRIM_400000_NS6detail17trampoline_kernelINS0_14default_configENS1_38merge_sort_block_merge_config_selectorIiiEEZZNS1_27merge_sort_block_merge_implIS3_N6thrust23THRUST_200600_302600_NS6detail15normal_iteratorINS8_10device_ptrIiEEEESD_jNS1_19radix_merge_compareILb1ELb1EiNS0_19identity_decomposerEEEEE10hipError_tT0_T1_T2_jT3_P12ihipStream_tbPNSt15iterator_traitsISI_E10value_typeEPNSO_ISJ_E10value_typeEPSK_NS1_7vsmem_tEENKUlT_SI_SJ_SK_E_clISD_PiSD_S10_EESH_SX_SI_SJ_SK_EUlSX_E1_NS1_11comp_targetILNS1_3genE0ELNS1_11target_archE4294967295ELNS1_3gpuE0ELNS1_3repE0EEENS1_36merge_oddeven_config_static_selectorELNS0_4arch9wavefront6targetE0EEEvSJ_.num_vgpr, 0
	.set _ZN7rocprim17ROCPRIM_400000_NS6detail17trampoline_kernelINS0_14default_configENS1_38merge_sort_block_merge_config_selectorIiiEEZZNS1_27merge_sort_block_merge_implIS3_N6thrust23THRUST_200600_302600_NS6detail15normal_iteratorINS8_10device_ptrIiEEEESD_jNS1_19radix_merge_compareILb1ELb1EiNS0_19identity_decomposerEEEEE10hipError_tT0_T1_T2_jT3_P12ihipStream_tbPNSt15iterator_traitsISI_E10value_typeEPNSO_ISJ_E10value_typeEPSK_NS1_7vsmem_tEENKUlT_SI_SJ_SK_E_clISD_PiSD_S10_EESH_SX_SI_SJ_SK_EUlSX_E1_NS1_11comp_targetILNS1_3genE0ELNS1_11target_archE4294967295ELNS1_3gpuE0ELNS1_3repE0EEENS1_36merge_oddeven_config_static_selectorELNS0_4arch9wavefront6targetE0EEEvSJ_.num_agpr, 0
	.set _ZN7rocprim17ROCPRIM_400000_NS6detail17trampoline_kernelINS0_14default_configENS1_38merge_sort_block_merge_config_selectorIiiEEZZNS1_27merge_sort_block_merge_implIS3_N6thrust23THRUST_200600_302600_NS6detail15normal_iteratorINS8_10device_ptrIiEEEESD_jNS1_19radix_merge_compareILb1ELb1EiNS0_19identity_decomposerEEEEE10hipError_tT0_T1_T2_jT3_P12ihipStream_tbPNSt15iterator_traitsISI_E10value_typeEPNSO_ISJ_E10value_typeEPSK_NS1_7vsmem_tEENKUlT_SI_SJ_SK_E_clISD_PiSD_S10_EESH_SX_SI_SJ_SK_EUlSX_E1_NS1_11comp_targetILNS1_3genE0ELNS1_11target_archE4294967295ELNS1_3gpuE0ELNS1_3repE0EEENS1_36merge_oddeven_config_static_selectorELNS0_4arch9wavefront6targetE0EEEvSJ_.numbered_sgpr, 0
	.set _ZN7rocprim17ROCPRIM_400000_NS6detail17trampoline_kernelINS0_14default_configENS1_38merge_sort_block_merge_config_selectorIiiEEZZNS1_27merge_sort_block_merge_implIS3_N6thrust23THRUST_200600_302600_NS6detail15normal_iteratorINS8_10device_ptrIiEEEESD_jNS1_19radix_merge_compareILb1ELb1EiNS0_19identity_decomposerEEEEE10hipError_tT0_T1_T2_jT3_P12ihipStream_tbPNSt15iterator_traitsISI_E10value_typeEPNSO_ISJ_E10value_typeEPSK_NS1_7vsmem_tEENKUlT_SI_SJ_SK_E_clISD_PiSD_S10_EESH_SX_SI_SJ_SK_EUlSX_E1_NS1_11comp_targetILNS1_3genE0ELNS1_11target_archE4294967295ELNS1_3gpuE0ELNS1_3repE0EEENS1_36merge_oddeven_config_static_selectorELNS0_4arch9wavefront6targetE0EEEvSJ_.num_named_barrier, 0
	.set _ZN7rocprim17ROCPRIM_400000_NS6detail17trampoline_kernelINS0_14default_configENS1_38merge_sort_block_merge_config_selectorIiiEEZZNS1_27merge_sort_block_merge_implIS3_N6thrust23THRUST_200600_302600_NS6detail15normal_iteratorINS8_10device_ptrIiEEEESD_jNS1_19radix_merge_compareILb1ELb1EiNS0_19identity_decomposerEEEEE10hipError_tT0_T1_T2_jT3_P12ihipStream_tbPNSt15iterator_traitsISI_E10value_typeEPNSO_ISJ_E10value_typeEPSK_NS1_7vsmem_tEENKUlT_SI_SJ_SK_E_clISD_PiSD_S10_EESH_SX_SI_SJ_SK_EUlSX_E1_NS1_11comp_targetILNS1_3genE0ELNS1_11target_archE4294967295ELNS1_3gpuE0ELNS1_3repE0EEENS1_36merge_oddeven_config_static_selectorELNS0_4arch9wavefront6targetE0EEEvSJ_.private_seg_size, 0
	.set _ZN7rocprim17ROCPRIM_400000_NS6detail17trampoline_kernelINS0_14default_configENS1_38merge_sort_block_merge_config_selectorIiiEEZZNS1_27merge_sort_block_merge_implIS3_N6thrust23THRUST_200600_302600_NS6detail15normal_iteratorINS8_10device_ptrIiEEEESD_jNS1_19radix_merge_compareILb1ELb1EiNS0_19identity_decomposerEEEEE10hipError_tT0_T1_T2_jT3_P12ihipStream_tbPNSt15iterator_traitsISI_E10value_typeEPNSO_ISJ_E10value_typeEPSK_NS1_7vsmem_tEENKUlT_SI_SJ_SK_E_clISD_PiSD_S10_EESH_SX_SI_SJ_SK_EUlSX_E1_NS1_11comp_targetILNS1_3genE0ELNS1_11target_archE4294967295ELNS1_3gpuE0ELNS1_3repE0EEENS1_36merge_oddeven_config_static_selectorELNS0_4arch9wavefront6targetE0EEEvSJ_.uses_vcc, 0
	.set _ZN7rocprim17ROCPRIM_400000_NS6detail17trampoline_kernelINS0_14default_configENS1_38merge_sort_block_merge_config_selectorIiiEEZZNS1_27merge_sort_block_merge_implIS3_N6thrust23THRUST_200600_302600_NS6detail15normal_iteratorINS8_10device_ptrIiEEEESD_jNS1_19radix_merge_compareILb1ELb1EiNS0_19identity_decomposerEEEEE10hipError_tT0_T1_T2_jT3_P12ihipStream_tbPNSt15iterator_traitsISI_E10value_typeEPNSO_ISJ_E10value_typeEPSK_NS1_7vsmem_tEENKUlT_SI_SJ_SK_E_clISD_PiSD_S10_EESH_SX_SI_SJ_SK_EUlSX_E1_NS1_11comp_targetILNS1_3genE0ELNS1_11target_archE4294967295ELNS1_3gpuE0ELNS1_3repE0EEENS1_36merge_oddeven_config_static_selectorELNS0_4arch9wavefront6targetE0EEEvSJ_.uses_flat_scratch, 0
	.set _ZN7rocprim17ROCPRIM_400000_NS6detail17trampoline_kernelINS0_14default_configENS1_38merge_sort_block_merge_config_selectorIiiEEZZNS1_27merge_sort_block_merge_implIS3_N6thrust23THRUST_200600_302600_NS6detail15normal_iteratorINS8_10device_ptrIiEEEESD_jNS1_19radix_merge_compareILb1ELb1EiNS0_19identity_decomposerEEEEE10hipError_tT0_T1_T2_jT3_P12ihipStream_tbPNSt15iterator_traitsISI_E10value_typeEPNSO_ISJ_E10value_typeEPSK_NS1_7vsmem_tEENKUlT_SI_SJ_SK_E_clISD_PiSD_S10_EESH_SX_SI_SJ_SK_EUlSX_E1_NS1_11comp_targetILNS1_3genE0ELNS1_11target_archE4294967295ELNS1_3gpuE0ELNS1_3repE0EEENS1_36merge_oddeven_config_static_selectorELNS0_4arch9wavefront6targetE0EEEvSJ_.has_dyn_sized_stack, 0
	.set _ZN7rocprim17ROCPRIM_400000_NS6detail17trampoline_kernelINS0_14default_configENS1_38merge_sort_block_merge_config_selectorIiiEEZZNS1_27merge_sort_block_merge_implIS3_N6thrust23THRUST_200600_302600_NS6detail15normal_iteratorINS8_10device_ptrIiEEEESD_jNS1_19radix_merge_compareILb1ELb1EiNS0_19identity_decomposerEEEEE10hipError_tT0_T1_T2_jT3_P12ihipStream_tbPNSt15iterator_traitsISI_E10value_typeEPNSO_ISJ_E10value_typeEPSK_NS1_7vsmem_tEENKUlT_SI_SJ_SK_E_clISD_PiSD_S10_EESH_SX_SI_SJ_SK_EUlSX_E1_NS1_11comp_targetILNS1_3genE0ELNS1_11target_archE4294967295ELNS1_3gpuE0ELNS1_3repE0EEENS1_36merge_oddeven_config_static_selectorELNS0_4arch9wavefront6targetE0EEEvSJ_.has_recursion, 0
	.set _ZN7rocprim17ROCPRIM_400000_NS6detail17trampoline_kernelINS0_14default_configENS1_38merge_sort_block_merge_config_selectorIiiEEZZNS1_27merge_sort_block_merge_implIS3_N6thrust23THRUST_200600_302600_NS6detail15normal_iteratorINS8_10device_ptrIiEEEESD_jNS1_19radix_merge_compareILb1ELb1EiNS0_19identity_decomposerEEEEE10hipError_tT0_T1_T2_jT3_P12ihipStream_tbPNSt15iterator_traitsISI_E10value_typeEPNSO_ISJ_E10value_typeEPSK_NS1_7vsmem_tEENKUlT_SI_SJ_SK_E_clISD_PiSD_S10_EESH_SX_SI_SJ_SK_EUlSX_E1_NS1_11comp_targetILNS1_3genE0ELNS1_11target_archE4294967295ELNS1_3gpuE0ELNS1_3repE0EEENS1_36merge_oddeven_config_static_selectorELNS0_4arch9wavefront6targetE0EEEvSJ_.has_indirect_call, 0
	.section	.AMDGPU.csdata,"",@progbits
; Kernel info:
; codeLenInByte = 0
; TotalNumSgprs: 0
; NumVgprs: 0
; ScratchSize: 0
; MemoryBound: 0
; FloatMode: 240
; IeeeMode: 1
; LDSByteSize: 0 bytes/workgroup (compile time only)
; SGPRBlocks: 0
; VGPRBlocks: 0
; NumSGPRsForWavesPerEU: 1
; NumVGPRsForWavesPerEU: 1
; Occupancy: 16
; WaveLimiterHint : 0
; COMPUTE_PGM_RSRC2:SCRATCH_EN: 0
; COMPUTE_PGM_RSRC2:USER_SGPR: 6
; COMPUTE_PGM_RSRC2:TRAP_HANDLER: 0
; COMPUTE_PGM_RSRC2:TGID_X_EN: 1
; COMPUTE_PGM_RSRC2:TGID_Y_EN: 0
; COMPUTE_PGM_RSRC2:TGID_Z_EN: 0
; COMPUTE_PGM_RSRC2:TIDIG_COMP_CNT: 0
	.section	.text._ZN7rocprim17ROCPRIM_400000_NS6detail17trampoline_kernelINS0_14default_configENS1_38merge_sort_block_merge_config_selectorIiiEEZZNS1_27merge_sort_block_merge_implIS3_N6thrust23THRUST_200600_302600_NS6detail15normal_iteratorINS8_10device_ptrIiEEEESD_jNS1_19radix_merge_compareILb1ELb1EiNS0_19identity_decomposerEEEEE10hipError_tT0_T1_T2_jT3_P12ihipStream_tbPNSt15iterator_traitsISI_E10value_typeEPNSO_ISJ_E10value_typeEPSK_NS1_7vsmem_tEENKUlT_SI_SJ_SK_E_clISD_PiSD_S10_EESH_SX_SI_SJ_SK_EUlSX_E1_NS1_11comp_targetILNS1_3genE10ELNS1_11target_archE1201ELNS1_3gpuE5ELNS1_3repE0EEENS1_36merge_oddeven_config_static_selectorELNS0_4arch9wavefront6targetE0EEEvSJ_,"axG",@progbits,_ZN7rocprim17ROCPRIM_400000_NS6detail17trampoline_kernelINS0_14default_configENS1_38merge_sort_block_merge_config_selectorIiiEEZZNS1_27merge_sort_block_merge_implIS3_N6thrust23THRUST_200600_302600_NS6detail15normal_iteratorINS8_10device_ptrIiEEEESD_jNS1_19radix_merge_compareILb1ELb1EiNS0_19identity_decomposerEEEEE10hipError_tT0_T1_T2_jT3_P12ihipStream_tbPNSt15iterator_traitsISI_E10value_typeEPNSO_ISJ_E10value_typeEPSK_NS1_7vsmem_tEENKUlT_SI_SJ_SK_E_clISD_PiSD_S10_EESH_SX_SI_SJ_SK_EUlSX_E1_NS1_11comp_targetILNS1_3genE10ELNS1_11target_archE1201ELNS1_3gpuE5ELNS1_3repE0EEENS1_36merge_oddeven_config_static_selectorELNS0_4arch9wavefront6targetE0EEEvSJ_,comdat
	.protected	_ZN7rocprim17ROCPRIM_400000_NS6detail17trampoline_kernelINS0_14default_configENS1_38merge_sort_block_merge_config_selectorIiiEEZZNS1_27merge_sort_block_merge_implIS3_N6thrust23THRUST_200600_302600_NS6detail15normal_iteratorINS8_10device_ptrIiEEEESD_jNS1_19radix_merge_compareILb1ELb1EiNS0_19identity_decomposerEEEEE10hipError_tT0_T1_T2_jT3_P12ihipStream_tbPNSt15iterator_traitsISI_E10value_typeEPNSO_ISJ_E10value_typeEPSK_NS1_7vsmem_tEENKUlT_SI_SJ_SK_E_clISD_PiSD_S10_EESH_SX_SI_SJ_SK_EUlSX_E1_NS1_11comp_targetILNS1_3genE10ELNS1_11target_archE1201ELNS1_3gpuE5ELNS1_3repE0EEENS1_36merge_oddeven_config_static_selectorELNS0_4arch9wavefront6targetE0EEEvSJ_ ; -- Begin function _ZN7rocprim17ROCPRIM_400000_NS6detail17trampoline_kernelINS0_14default_configENS1_38merge_sort_block_merge_config_selectorIiiEEZZNS1_27merge_sort_block_merge_implIS3_N6thrust23THRUST_200600_302600_NS6detail15normal_iteratorINS8_10device_ptrIiEEEESD_jNS1_19radix_merge_compareILb1ELb1EiNS0_19identity_decomposerEEEEE10hipError_tT0_T1_T2_jT3_P12ihipStream_tbPNSt15iterator_traitsISI_E10value_typeEPNSO_ISJ_E10value_typeEPSK_NS1_7vsmem_tEENKUlT_SI_SJ_SK_E_clISD_PiSD_S10_EESH_SX_SI_SJ_SK_EUlSX_E1_NS1_11comp_targetILNS1_3genE10ELNS1_11target_archE1201ELNS1_3gpuE5ELNS1_3repE0EEENS1_36merge_oddeven_config_static_selectorELNS0_4arch9wavefront6targetE0EEEvSJ_
	.globl	_ZN7rocprim17ROCPRIM_400000_NS6detail17trampoline_kernelINS0_14default_configENS1_38merge_sort_block_merge_config_selectorIiiEEZZNS1_27merge_sort_block_merge_implIS3_N6thrust23THRUST_200600_302600_NS6detail15normal_iteratorINS8_10device_ptrIiEEEESD_jNS1_19radix_merge_compareILb1ELb1EiNS0_19identity_decomposerEEEEE10hipError_tT0_T1_T2_jT3_P12ihipStream_tbPNSt15iterator_traitsISI_E10value_typeEPNSO_ISJ_E10value_typeEPSK_NS1_7vsmem_tEENKUlT_SI_SJ_SK_E_clISD_PiSD_S10_EESH_SX_SI_SJ_SK_EUlSX_E1_NS1_11comp_targetILNS1_3genE10ELNS1_11target_archE1201ELNS1_3gpuE5ELNS1_3repE0EEENS1_36merge_oddeven_config_static_selectorELNS0_4arch9wavefront6targetE0EEEvSJ_
	.p2align	8
	.type	_ZN7rocprim17ROCPRIM_400000_NS6detail17trampoline_kernelINS0_14default_configENS1_38merge_sort_block_merge_config_selectorIiiEEZZNS1_27merge_sort_block_merge_implIS3_N6thrust23THRUST_200600_302600_NS6detail15normal_iteratorINS8_10device_ptrIiEEEESD_jNS1_19radix_merge_compareILb1ELb1EiNS0_19identity_decomposerEEEEE10hipError_tT0_T1_T2_jT3_P12ihipStream_tbPNSt15iterator_traitsISI_E10value_typeEPNSO_ISJ_E10value_typeEPSK_NS1_7vsmem_tEENKUlT_SI_SJ_SK_E_clISD_PiSD_S10_EESH_SX_SI_SJ_SK_EUlSX_E1_NS1_11comp_targetILNS1_3genE10ELNS1_11target_archE1201ELNS1_3gpuE5ELNS1_3repE0EEENS1_36merge_oddeven_config_static_selectorELNS0_4arch9wavefront6targetE0EEEvSJ_,@function
_ZN7rocprim17ROCPRIM_400000_NS6detail17trampoline_kernelINS0_14default_configENS1_38merge_sort_block_merge_config_selectorIiiEEZZNS1_27merge_sort_block_merge_implIS3_N6thrust23THRUST_200600_302600_NS6detail15normal_iteratorINS8_10device_ptrIiEEEESD_jNS1_19radix_merge_compareILb1ELb1EiNS0_19identity_decomposerEEEEE10hipError_tT0_T1_T2_jT3_P12ihipStream_tbPNSt15iterator_traitsISI_E10value_typeEPNSO_ISJ_E10value_typeEPSK_NS1_7vsmem_tEENKUlT_SI_SJ_SK_E_clISD_PiSD_S10_EESH_SX_SI_SJ_SK_EUlSX_E1_NS1_11comp_targetILNS1_3genE10ELNS1_11target_archE1201ELNS1_3gpuE5ELNS1_3repE0EEENS1_36merge_oddeven_config_static_selectorELNS0_4arch9wavefront6targetE0EEEvSJ_: ; @_ZN7rocprim17ROCPRIM_400000_NS6detail17trampoline_kernelINS0_14default_configENS1_38merge_sort_block_merge_config_selectorIiiEEZZNS1_27merge_sort_block_merge_implIS3_N6thrust23THRUST_200600_302600_NS6detail15normal_iteratorINS8_10device_ptrIiEEEESD_jNS1_19radix_merge_compareILb1ELb1EiNS0_19identity_decomposerEEEEE10hipError_tT0_T1_T2_jT3_P12ihipStream_tbPNSt15iterator_traitsISI_E10value_typeEPNSO_ISJ_E10value_typeEPSK_NS1_7vsmem_tEENKUlT_SI_SJ_SK_E_clISD_PiSD_S10_EESH_SX_SI_SJ_SK_EUlSX_E1_NS1_11comp_targetILNS1_3genE10ELNS1_11target_archE1201ELNS1_3gpuE5ELNS1_3repE0EEENS1_36merge_oddeven_config_static_selectorELNS0_4arch9wavefront6targetE0EEEvSJ_
; %bb.0:
	.section	.rodata,"a",@progbits
	.p2align	6, 0x0
	.amdhsa_kernel _ZN7rocprim17ROCPRIM_400000_NS6detail17trampoline_kernelINS0_14default_configENS1_38merge_sort_block_merge_config_selectorIiiEEZZNS1_27merge_sort_block_merge_implIS3_N6thrust23THRUST_200600_302600_NS6detail15normal_iteratorINS8_10device_ptrIiEEEESD_jNS1_19radix_merge_compareILb1ELb1EiNS0_19identity_decomposerEEEEE10hipError_tT0_T1_T2_jT3_P12ihipStream_tbPNSt15iterator_traitsISI_E10value_typeEPNSO_ISJ_E10value_typeEPSK_NS1_7vsmem_tEENKUlT_SI_SJ_SK_E_clISD_PiSD_S10_EESH_SX_SI_SJ_SK_EUlSX_E1_NS1_11comp_targetILNS1_3genE10ELNS1_11target_archE1201ELNS1_3gpuE5ELNS1_3repE0EEENS1_36merge_oddeven_config_static_selectorELNS0_4arch9wavefront6targetE0EEEvSJ_
		.amdhsa_group_segment_fixed_size 0
		.amdhsa_private_segment_fixed_size 0
		.amdhsa_kernarg_size 48
		.amdhsa_user_sgpr_count 6
		.amdhsa_user_sgpr_private_segment_buffer 1
		.amdhsa_user_sgpr_dispatch_ptr 0
		.amdhsa_user_sgpr_queue_ptr 0
		.amdhsa_user_sgpr_kernarg_segment_ptr 1
		.amdhsa_user_sgpr_dispatch_id 0
		.amdhsa_user_sgpr_flat_scratch_init 0
		.amdhsa_user_sgpr_private_segment_size 0
		.amdhsa_wavefront_size32 1
		.amdhsa_uses_dynamic_stack 0
		.amdhsa_system_sgpr_private_segment_wavefront_offset 0
		.amdhsa_system_sgpr_workgroup_id_x 1
		.amdhsa_system_sgpr_workgroup_id_y 0
		.amdhsa_system_sgpr_workgroup_id_z 0
		.amdhsa_system_sgpr_workgroup_info 0
		.amdhsa_system_vgpr_workitem_id 0
		.amdhsa_next_free_vgpr 1
		.amdhsa_next_free_sgpr 1
		.amdhsa_reserve_vcc 0
		.amdhsa_reserve_flat_scratch 0
		.amdhsa_float_round_mode_32 0
		.amdhsa_float_round_mode_16_64 0
		.amdhsa_float_denorm_mode_32 3
		.amdhsa_float_denorm_mode_16_64 3
		.amdhsa_dx10_clamp 1
		.amdhsa_ieee_mode 1
		.amdhsa_fp16_overflow 0
		.amdhsa_workgroup_processor_mode 1
		.amdhsa_memory_ordered 1
		.amdhsa_forward_progress 1
		.amdhsa_shared_vgpr_count 0
		.amdhsa_exception_fp_ieee_invalid_op 0
		.amdhsa_exception_fp_denorm_src 0
		.amdhsa_exception_fp_ieee_div_zero 0
		.amdhsa_exception_fp_ieee_overflow 0
		.amdhsa_exception_fp_ieee_underflow 0
		.amdhsa_exception_fp_ieee_inexact 0
		.amdhsa_exception_int_div_zero 0
	.end_amdhsa_kernel
	.section	.text._ZN7rocprim17ROCPRIM_400000_NS6detail17trampoline_kernelINS0_14default_configENS1_38merge_sort_block_merge_config_selectorIiiEEZZNS1_27merge_sort_block_merge_implIS3_N6thrust23THRUST_200600_302600_NS6detail15normal_iteratorINS8_10device_ptrIiEEEESD_jNS1_19radix_merge_compareILb1ELb1EiNS0_19identity_decomposerEEEEE10hipError_tT0_T1_T2_jT3_P12ihipStream_tbPNSt15iterator_traitsISI_E10value_typeEPNSO_ISJ_E10value_typeEPSK_NS1_7vsmem_tEENKUlT_SI_SJ_SK_E_clISD_PiSD_S10_EESH_SX_SI_SJ_SK_EUlSX_E1_NS1_11comp_targetILNS1_3genE10ELNS1_11target_archE1201ELNS1_3gpuE5ELNS1_3repE0EEENS1_36merge_oddeven_config_static_selectorELNS0_4arch9wavefront6targetE0EEEvSJ_,"axG",@progbits,_ZN7rocprim17ROCPRIM_400000_NS6detail17trampoline_kernelINS0_14default_configENS1_38merge_sort_block_merge_config_selectorIiiEEZZNS1_27merge_sort_block_merge_implIS3_N6thrust23THRUST_200600_302600_NS6detail15normal_iteratorINS8_10device_ptrIiEEEESD_jNS1_19radix_merge_compareILb1ELb1EiNS0_19identity_decomposerEEEEE10hipError_tT0_T1_T2_jT3_P12ihipStream_tbPNSt15iterator_traitsISI_E10value_typeEPNSO_ISJ_E10value_typeEPSK_NS1_7vsmem_tEENKUlT_SI_SJ_SK_E_clISD_PiSD_S10_EESH_SX_SI_SJ_SK_EUlSX_E1_NS1_11comp_targetILNS1_3genE10ELNS1_11target_archE1201ELNS1_3gpuE5ELNS1_3repE0EEENS1_36merge_oddeven_config_static_selectorELNS0_4arch9wavefront6targetE0EEEvSJ_,comdat
.Lfunc_end974:
	.size	_ZN7rocprim17ROCPRIM_400000_NS6detail17trampoline_kernelINS0_14default_configENS1_38merge_sort_block_merge_config_selectorIiiEEZZNS1_27merge_sort_block_merge_implIS3_N6thrust23THRUST_200600_302600_NS6detail15normal_iteratorINS8_10device_ptrIiEEEESD_jNS1_19radix_merge_compareILb1ELb1EiNS0_19identity_decomposerEEEEE10hipError_tT0_T1_T2_jT3_P12ihipStream_tbPNSt15iterator_traitsISI_E10value_typeEPNSO_ISJ_E10value_typeEPSK_NS1_7vsmem_tEENKUlT_SI_SJ_SK_E_clISD_PiSD_S10_EESH_SX_SI_SJ_SK_EUlSX_E1_NS1_11comp_targetILNS1_3genE10ELNS1_11target_archE1201ELNS1_3gpuE5ELNS1_3repE0EEENS1_36merge_oddeven_config_static_selectorELNS0_4arch9wavefront6targetE0EEEvSJ_, .Lfunc_end974-_ZN7rocprim17ROCPRIM_400000_NS6detail17trampoline_kernelINS0_14default_configENS1_38merge_sort_block_merge_config_selectorIiiEEZZNS1_27merge_sort_block_merge_implIS3_N6thrust23THRUST_200600_302600_NS6detail15normal_iteratorINS8_10device_ptrIiEEEESD_jNS1_19radix_merge_compareILb1ELb1EiNS0_19identity_decomposerEEEEE10hipError_tT0_T1_T2_jT3_P12ihipStream_tbPNSt15iterator_traitsISI_E10value_typeEPNSO_ISJ_E10value_typeEPSK_NS1_7vsmem_tEENKUlT_SI_SJ_SK_E_clISD_PiSD_S10_EESH_SX_SI_SJ_SK_EUlSX_E1_NS1_11comp_targetILNS1_3genE10ELNS1_11target_archE1201ELNS1_3gpuE5ELNS1_3repE0EEENS1_36merge_oddeven_config_static_selectorELNS0_4arch9wavefront6targetE0EEEvSJ_
                                        ; -- End function
	.set _ZN7rocprim17ROCPRIM_400000_NS6detail17trampoline_kernelINS0_14default_configENS1_38merge_sort_block_merge_config_selectorIiiEEZZNS1_27merge_sort_block_merge_implIS3_N6thrust23THRUST_200600_302600_NS6detail15normal_iteratorINS8_10device_ptrIiEEEESD_jNS1_19radix_merge_compareILb1ELb1EiNS0_19identity_decomposerEEEEE10hipError_tT0_T1_T2_jT3_P12ihipStream_tbPNSt15iterator_traitsISI_E10value_typeEPNSO_ISJ_E10value_typeEPSK_NS1_7vsmem_tEENKUlT_SI_SJ_SK_E_clISD_PiSD_S10_EESH_SX_SI_SJ_SK_EUlSX_E1_NS1_11comp_targetILNS1_3genE10ELNS1_11target_archE1201ELNS1_3gpuE5ELNS1_3repE0EEENS1_36merge_oddeven_config_static_selectorELNS0_4arch9wavefront6targetE0EEEvSJ_.num_vgpr, 0
	.set _ZN7rocprim17ROCPRIM_400000_NS6detail17trampoline_kernelINS0_14default_configENS1_38merge_sort_block_merge_config_selectorIiiEEZZNS1_27merge_sort_block_merge_implIS3_N6thrust23THRUST_200600_302600_NS6detail15normal_iteratorINS8_10device_ptrIiEEEESD_jNS1_19radix_merge_compareILb1ELb1EiNS0_19identity_decomposerEEEEE10hipError_tT0_T1_T2_jT3_P12ihipStream_tbPNSt15iterator_traitsISI_E10value_typeEPNSO_ISJ_E10value_typeEPSK_NS1_7vsmem_tEENKUlT_SI_SJ_SK_E_clISD_PiSD_S10_EESH_SX_SI_SJ_SK_EUlSX_E1_NS1_11comp_targetILNS1_3genE10ELNS1_11target_archE1201ELNS1_3gpuE5ELNS1_3repE0EEENS1_36merge_oddeven_config_static_selectorELNS0_4arch9wavefront6targetE0EEEvSJ_.num_agpr, 0
	.set _ZN7rocprim17ROCPRIM_400000_NS6detail17trampoline_kernelINS0_14default_configENS1_38merge_sort_block_merge_config_selectorIiiEEZZNS1_27merge_sort_block_merge_implIS3_N6thrust23THRUST_200600_302600_NS6detail15normal_iteratorINS8_10device_ptrIiEEEESD_jNS1_19radix_merge_compareILb1ELb1EiNS0_19identity_decomposerEEEEE10hipError_tT0_T1_T2_jT3_P12ihipStream_tbPNSt15iterator_traitsISI_E10value_typeEPNSO_ISJ_E10value_typeEPSK_NS1_7vsmem_tEENKUlT_SI_SJ_SK_E_clISD_PiSD_S10_EESH_SX_SI_SJ_SK_EUlSX_E1_NS1_11comp_targetILNS1_3genE10ELNS1_11target_archE1201ELNS1_3gpuE5ELNS1_3repE0EEENS1_36merge_oddeven_config_static_selectorELNS0_4arch9wavefront6targetE0EEEvSJ_.numbered_sgpr, 0
	.set _ZN7rocprim17ROCPRIM_400000_NS6detail17trampoline_kernelINS0_14default_configENS1_38merge_sort_block_merge_config_selectorIiiEEZZNS1_27merge_sort_block_merge_implIS3_N6thrust23THRUST_200600_302600_NS6detail15normal_iteratorINS8_10device_ptrIiEEEESD_jNS1_19radix_merge_compareILb1ELb1EiNS0_19identity_decomposerEEEEE10hipError_tT0_T1_T2_jT3_P12ihipStream_tbPNSt15iterator_traitsISI_E10value_typeEPNSO_ISJ_E10value_typeEPSK_NS1_7vsmem_tEENKUlT_SI_SJ_SK_E_clISD_PiSD_S10_EESH_SX_SI_SJ_SK_EUlSX_E1_NS1_11comp_targetILNS1_3genE10ELNS1_11target_archE1201ELNS1_3gpuE5ELNS1_3repE0EEENS1_36merge_oddeven_config_static_selectorELNS0_4arch9wavefront6targetE0EEEvSJ_.num_named_barrier, 0
	.set _ZN7rocprim17ROCPRIM_400000_NS6detail17trampoline_kernelINS0_14default_configENS1_38merge_sort_block_merge_config_selectorIiiEEZZNS1_27merge_sort_block_merge_implIS3_N6thrust23THRUST_200600_302600_NS6detail15normal_iteratorINS8_10device_ptrIiEEEESD_jNS1_19radix_merge_compareILb1ELb1EiNS0_19identity_decomposerEEEEE10hipError_tT0_T1_T2_jT3_P12ihipStream_tbPNSt15iterator_traitsISI_E10value_typeEPNSO_ISJ_E10value_typeEPSK_NS1_7vsmem_tEENKUlT_SI_SJ_SK_E_clISD_PiSD_S10_EESH_SX_SI_SJ_SK_EUlSX_E1_NS1_11comp_targetILNS1_3genE10ELNS1_11target_archE1201ELNS1_3gpuE5ELNS1_3repE0EEENS1_36merge_oddeven_config_static_selectorELNS0_4arch9wavefront6targetE0EEEvSJ_.private_seg_size, 0
	.set _ZN7rocprim17ROCPRIM_400000_NS6detail17trampoline_kernelINS0_14default_configENS1_38merge_sort_block_merge_config_selectorIiiEEZZNS1_27merge_sort_block_merge_implIS3_N6thrust23THRUST_200600_302600_NS6detail15normal_iteratorINS8_10device_ptrIiEEEESD_jNS1_19radix_merge_compareILb1ELb1EiNS0_19identity_decomposerEEEEE10hipError_tT0_T1_T2_jT3_P12ihipStream_tbPNSt15iterator_traitsISI_E10value_typeEPNSO_ISJ_E10value_typeEPSK_NS1_7vsmem_tEENKUlT_SI_SJ_SK_E_clISD_PiSD_S10_EESH_SX_SI_SJ_SK_EUlSX_E1_NS1_11comp_targetILNS1_3genE10ELNS1_11target_archE1201ELNS1_3gpuE5ELNS1_3repE0EEENS1_36merge_oddeven_config_static_selectorELNS0_4arch9wavefront6targetE0EEEvSJ_.uses_vcc, 0
	.set _ZN7rocprim17ROCPRIM_400000_NS6detail17trampoline_kernelINS0_14default_configENS1_38merge_sort_block_merge_config_selectorIiiEEZZNS1_27merge_sort_block_merge_implIS3_N6thrust23THRUST_200600_302600_NS6detail15normal_iteratorINS8_10device_ptrIiEEEESD_jNS1_19radix_merge_compareILb1ELb1EiNS0_19identity_decomposerEEEEE10hipError_tT0_T1_T2_jT3_P12ihipStream_tbPNSt15iterator_traitsISI_E10value_typeEPNSO_ISJ_E10value_typeEPSK_NS1_7vsmem_tEENKUlT_SI_SJ_SK_E_clISD_PiSD_S10_EESH_SX_SI_SJ_SK_EUlSX_E1_NS1_11comp_targetILNS1_3genE10ELNS1_11target_archE1201ELNS1_3gpuE5ELNS1_3repE0EEENS1_36merge_oddeven_config_static_selectorELNS0_4arch9wavefront6targetE0EEEvSJ_.uses_flat_scratch, 0
	.set _ZN7rocprim17ROCPRIM_400000_NS6detail17trampoline_kernelINS0_14default_configENS1_38merge_sort_block_merge_config_selectorIiiEEZZNS1_27merge_sort_block_merge_implIS3_N6thrust23THRUST_200600_302600_NS6detail15normal_iteratorINS8_10device_ptrIiEEEESD_jNS1_19radix_merge_compareILb1ELb1EiNS0_19identity_decomposerEEEEE10hipError_tT0_T1_T2_jT3_P12ihipStream_tbPNSt15iterator_traitsISI_E10value_typeEPNSO_ISJ_E10value_typeEPSK_NS1_7vsmem_tEENKUlT_SI_SJ_SK_E_clISD_PiSD_S10_EESH_SX_SI_SJ_SK_EUlSX_E1_NS1_11comp_targetILNS1_3genE10ELNS1_11target_archE1201ELNS1_3gpuE5ELNS1_3repE0EEENS1_36merge_oddeven_config_static_selectorELNS0_4arch9wavefront6targetE0EEEvSJ_.has_dyn_sized_stack, 0
	.set _ZN7rocprim17ROCPRIM_400000_NS6detail17trampoline_kernelINS0_14default_configENS1_38merge_sort_block_merge_config_selectorIiiEEZZNS1_27merge_sort_block_merge_implIS3_N6thrust23THRUST_200600_302600_NS6detail15normal_iteratorINS8_10device_ptrIiEEEESD_jNS1_19radix_merge_compareILb1ELb1EiNS0_19identity_decomposerEEEEE10hipError_tT0_T1_T2_jT3_P12ihipStream_tbPNSt15iterator_traitsISI_E10value_typeEPNSO_ISJ_E10value_typeEPSK_NS1_7vsmem_tEENKUlT_SI_SJ_SK_E_clISD_PiSD_S10_EESH_SX_SI_SJ_SK_EUlSX_E1_NS1_11comp_targetILNS1_3genE10ELNS1_11target_archE1201ELNS1_3gpuE5ELNS1_3repE0EEENS1_36merge_oddeven_config_static_selectorELNS0_4arch9wavefront6targetE0EEEvSJ_.has_recursion, 0
	.set _ZN7rocprim17ROCPRIM_400000_NS6detail17trampoline_kernelINS0_14default_configENS1_38merge_sort_block_merge_config_selectorIiiEEZZNS1_27merge_sort_block_merge_implIS3_N6thrust23THRUST_200600_302600_NS6detail15normal_iteratorINS8_10device_ptrIiEEEESD_jNS1_19radix_merge_compareILb1ELb1EiNS0_19identity_decomposerEEEEE10hipError_tT0_T1_T2_jT3_P12ihipStream_tbPNSt15iterator_traitsISI_E10value_typeEPNSO_ISJ_E10value_typeEPSK_NS1_7vsmem_tEENKUlT_SI_SJ_SK_E_clISD_PiSD_S10_EESH_SX_SI_SJ_SK_EUlSX_E1_NS1_11comp_targetILNS1_3genE10ELNS1_11target_archE1201ELNS1_3gpuE5ELNS1_3repE0EEENS1_36merge_oddeven_config_static_selectorELNS0_4arch9wavefront6targetE0EEEvSJ_.has_indirect_call, 0
	.section	.AMDGPU.csdata,"",@progbits
; Kernel info:
; codeLenInByte = 0
; TotalNumSgprs: 0
; NumVgprs: 0
; ScratchSize: 0
; MemoryBound: 0
; FloatMode: 240
; IeeeMode: 1
; LDSByteSize: 0 bytes/workgroup (compile time only)
; SGPRBlocks: 0
; VGPRBlocks: 0
; NumSGPRsForWavesPerEU: 1
; NumVGPRsForWavesPerEU: 1
; Occupancy: 16
; WaveLimiterHint : 0
; COMPUTE_PGM_RSRC2:SCRATCH_EN: 0
; COMPUTE_PGM_RSRC2:USER_SGPR: 6
; COMPUTE_PGM_RSRC2:TRAP_HANDLER: 0
; COMPUTE_PGM_RSRC2:TGID_X_EN: 1
; COMPUTE_PGM_RSRC2:TGID_Y_EN: 0
; COMPUTE_PGM_RSRC2:TGID_Z_EN: 0
; COMPUTE_PGM_RSRC2:TIDIG_COMP_CNT: 0
	.section	.text._ZN7rocprim17ROCPRIM_400000_NS6detail17trampoline_kernelINS0_14default_configENS1_38merge_sort_block_merge_config_selectorIiiEEZZNS1_27merge_sort_block_merge_implIS3_N6thrust23THRUST_200600_302600_NS6detail15normal_iteratorINS8_10device_ptrIiEEEESD_jNS1_19radix_merge_compareILb1ELb1EiNS0_19identity_decomposerEEEEE10hipError_tT0_T1_T2_jT3_P12ihipStream_tbPNSt15iterator_traitsISI_E10value_typeEPNSO_ISJ_E10value_typeEPSK_NS1_7vsmem_tEENKUlT_SI_SJ_SK_E_clISD_PiSD_S10_EESH_SX_SI_SJ_SK_EUlSX_E1_NS1_11comp_targetILNS1_3genE5ELNS1_11target_archE942ELNS1_3gpuE9ELNS1_3repE0EEENS1_36merge_oddeven_config_static_selectorELNS0_4arch9wavefront6targetE0EEEvSJ_,"axG",@progbits,_ZN7rocprim17ROCPRIM_400000_NS6detail17trampoline_kernelINS0_14default_configENS1_38merge_sort_block_merge_config_selectorIiiEEZZNS1_27merge_sort_block_merge_implIS3_N6thrust23THRUST_200600_302600_NS6detail15normal_iteratorINS8_10device_ptrIiEEEESD_jNS1_19radix_merge_compareILb1ELb1EiNS0_19identity_decomposerEEEEE10hipError_tT0_T1_T2_jT3_P12ihipStream_tbPNSt15iterator_traitsISI_E10value_typeEPNSO_ISJ_E10value_typeEPSK_NS1_7vsmem_tEENKUlT_SI_SJ_SK_E_clISD_PiSD_S10_EESH_SX_SI_SJ_SK_EUlSX_E1_NS1_11comp_targetILNS1_3genE5ELNS1_11target_archE942ELNS1_3gpuE9ELNS1_3repE0EEENS1_36merge_oddeven_config_static_selectorELNS0_4arch9wavefront6targetE0EEEvSJ_,comdat
	.protected	_ZN7rocprim17ROCPRIM_400000_NS6detail17trampoline_kernelINS0_14default_configENS1_38merge_sort_block_merge_config_selectorIiiEEZZNS1_27merge_sort_block_merge_implIS3_N6thrust23THRUST_200600_302600_NS6detail15normal_iteratorINS8_10device_ptrIiEEEESD_jNS1_19radix_merge_compareILb1ELb1EiNS0_19identity_decomposerEEEEE10hipError_tT0_T1_T2_jT3_P12ihipStream_tbPNSt15iterator_traitsISI_E10value_typeEPNSO_ISJ_E10value_typeEPSK_NS1_7vsmem_tEENKUlT_SI_SJ_SK_E_clISD_PiSD_S10_EESH_SX_SI_SJ_SK_EUlSX_E1_NS1_11comp_targetILNS1_3genE5ELNS1_11target_archE942ELNS1_3gpuE9ELNS1_3repE0EEENS1_36merge_oddeven_config_static_selectorELNS0_4arch9wavefront6targetE0EEEvSJ_ ; -- Begin function _ZN7rocprim17ROCPRIM_400000_NS6detail17trampoline_kernelINS0_14default_configENS1_38merge_sort_block_merge_config_selectorIiiEEZZNS1_27merge_sort_block_merge_implIS3_N6thrust23THRUST_200600_302600_NS6detail15normal_iteratorINS8_10device_ptrIiEEEESD_jNS1_19radix_merge_compareILb1ELb1EiNS0_19identity_decomposerEEEEE10hipError_tT0_T1_T2_jT3_P12ihipStream_tbPNSt15iterator_traitsISI_E10value_typeEPNSO_ISJ_E10value_typeEPSK_NS1_7vsmem_tEENKUlT_SI_SJ_SK_E_clISD_PiSD_S10_EESH_SX_SI_SJ_SK_EUlSX_E1_NS1_11comp_targetILNS1_3genE5ELNS1_11target_archE942ELNS1_3gpuE9ELNS1_3repE0EEENS1_36merge_oddeven_config_static_selectorELNS0_4arch9wavefront6targetE0EEEvSJ_
	.globl	_ZN7rocprim17ROCPRIM_400000_NS6detail17trampoline_kernelINS0_14default_configENS1_38merge_sort_block_merge_config_selectorIiiEEZZNS1_27merge_sort_block_merge_implIS3_N6thrust23THRUST_200600_302600_NS6detail15normal_iteratorINS8_10device_ptrIiEEEESD_jNS1_19radix_merge_compareILb1ELb1EiNS0_19identity_decomposerEEEEE10hipError_tT0_T1_T2_jT3_P12ihipStream_tbPNSt15iterator_traitsISI_E10value_typeEPNSO_ISJ_E10value_typeEPSK_NS1_7vsmem_tEENKUlT_SI_SJ_SK_E_clISD_PiSD_S10_EESH_SX_SI_SJ_SK_EUlSX_E1_NS1_11comp_targetILNS1_3genE5ELNS1_11target_archE942ELNS1_3gpuE9ELNS1_3repE0EEENS1_36merge_oddeven_config_static_selectorELNS0_4arch9wavefront6targetE0EEEvSJ_
	.p2align	8
	.type	_ZN7rocprim17ROCPRIM_400000_NS6detail17trampoline_kernelINS0_14default_configENS1_38merge_sort_block_merge_config_selectorIiiEEZZNS1_27merge_sort_block_merge_implIS3_N6thrust23THRUST_200600_302600_NS6detail15normal_iteratorINS8_10device_ptrIiEEEESD_jNS1_19radix_merge_compareILb1ELb1EiNS0_19identity_decomposerEEEEE10hipError_tT0_T1_T2_jT3_P12ihipStream_tbPNSt15iterator_traitsISI_E10value_typeEPNSO_ISJ_E10value_typeEPSK_NS1_7vsmem_tEENKUlT_SI_SJ_SK_E_clISD_PiSD_S10_EESH_SX_SI_SJ_SK_EUlSX_E1_NS1_11comp_targetILNS1_3genE5ELNS1_11target_archE942ELNS1_3gpuE9ELNS1_3repE0EEENS1_36merge_oddeven_config_static_selectorELNS0_4arch9wavefront6targetE0EEEvSJ_,@function
_ZN7rocprim17ROCPRIM_400000_NS6detail17trampoline_kernelINS0_14default_configENS1_38merge_sort_block_merge_config_selectorIiiEEZZNS1_27merge_sort_block_merge_implIS3_N6thrust23THRUST_200600_302600_NS6detail15normal_iteratorINS8_10device_ptrIiEEEESD_jNS1_19radix_merge_compareILb1ELb1EiNS0_19identity_decomposerEEEEE10hipError_tT0_T1_T2_jT3_P12ihipStream_tbPNSt15iterator_traitsISI_E10value_typeEPNSO_ISJ_E10value_typeEPSK_NS1_7vsmem_tEENKUlT_SI_SJ_SK_E_clISD_PiSD_S10_EESH_SX_SI_SJ_SK_EUlSX_E1_NS1_11comp_targetILNS1_3genE5ELNS1_11target_archE942ELNS1_3gpuE9ELNS1_3repE0EEENS1_36merge_oddeven_config_static_selectorELNS0_4arch9wavefront6targetE0EEEvSJ_: ; @_ZN7rocprim17ROCPRIM_400000_NS6detail17trampoline_kernelINS0_14default_configENS1_38merge_sort_block_merge_config_selectorIiiEEZZNS1_27merge_sort_block_merge_implIS3_N6thrust23THRUST_200600_302600_NS6detail15normal_iteratorINS8_10device_ptrIiEEEESD_jNS1_19radix_merge_compareILb1ELb1EiNS0_19identity_decomposerEEEEE10hipError_tT0_T1_T2_jT3_P12ihipStream_tbPNSt15iterator_traitsISI_E10value_typeEPNSO_ISJ_E10value_typeEPSK_NS1_7vsmem_tEENKUlT_SI_SJ_SK_E_clISD_PiSD_S10_EESH_SX_SI_SJ_SK_EUlSX_E1_NS1_11comp_targetILNS1_3genE5ELNS1_11target_archE942ELNS1_3gpuE9ELNS1_3repE0EEENS1_36merge_oddeven_config_static_selectorELNS0_4arch9wavefront6targetE0EEEvSJ_
; %bb.0:
	.section	.rodata,"a",@progbits
	.p2align	6, 0x0
	.amdhsa_kernel _ZN7rocprim17ROCPRIM_400000_NS6detail17trampoline_kernelINS0_14default_configENS1_38merge_sort_block_merge_config_selectorIiiEEZZNS1_27merge_sort_block_merge_implIS3_N6thrust23THRUST_200600_302600_NS6detail15normal_iteratorINS8_10device_ptrIiEEEESD_jNS1_19radix_merge_compareILb1ELb1EiNS0_19identity_decomposerEEEEE10hipError_tT0_T1_T2_jT3_P12ihipStream_tbPNSt15iterator_traitsISI_E10value_typeEPNSO_ISJ_E10value_typeEPSK_NS1_7vsmem_tEENKUlT_SI_SJ_SK_E_clISD_PiSD_S10_EESH_SX_SI_SJ_SK_EUlSX_E1_NS1_11comp_targetILNS1_3genE5ELNS1_11target_archE942ELNS1_3gpuE9ELNS1_3repE0EEENS1_36merge_oddeven_config_static_selectorELNS0_4arch9wavefront6targetE0EEEvSJ_
		.amdhsa_group_segment_fixed_size 0
		.amdhsa_private_segment_fixed_size 0
		.amdhsa_kernarg_size 48
		.amdhsa_user_sgpr_count 6
		.amdhsa_user_sgpr_private_segment_buffer 1
		.amdhsa_user_sgpr_dispatch_ptr 0
		.amdhsa_user_sgpr_queue_ptr 0
		.amdhsa_user_sgpr_kernarg_segment_ptr 1
		.amdhsa_user_sgpr_dispatch_id 0
		.amdhsa_user_sgpr_flat_scratch_init 0
		.amdhsa_user_sgpr_private_segment_size 0
		.amdhsa_wavefront_size32 1
		.amdhsa_uses_dynamic_stack 0
		.amdhsa_system_sgpr_private_segment_wavefront_offset 0
		.amdhsa_system_sgpr_workgroup_id_x 1
		.amdhsa_system_sgpr_workgroup_id_y 0
		.amdhsa_system_sgpr_workgroup_id_z 0
		.amdhsa_system_sgpr_workgroup_info 0
		.amdhsa_system_vgpr_workitem_id 0
		.amdhsa_next_free_vgpr 1
		.amdhsa_next_free_sgpr 1
		.amdhsa_reserve_vcc 0
		.amdhsa_reserve_flat_scratch 0
		.amdhsa_float_round_mode_32 0
		.amdhsa_float_round_mode_16_64 0
		.amdhsa_float_denorm_mode_32 3
		.amdhsa_float_denorm_mode_16_64 3
		.amdhsa_dx10_clamp 1
		.amdhsa_ieee_mode 1
		.amdhsa_fp16_overflow 0
		.amdhsa_workgroup_processor_mode 1
		.amdhsa_memory_ordered 1
		.amdhsa_forward_progress 1
		.amdhsa_shared_vgpr_count 0
		.amdhsa_exception_fp_ieee_invalid_op 0
		.amdhsa_exception_fp_denorm_src 0
		.amdhsa_exception_fp_ieee_div_zero 0
		.amdhsa_exception_fp_ieee_overflow 0
		.amdhsa_exception_fp_ieee_underflow 0
		.amdhsa_exception_fp_ieee_inexact 0
		.amdhsa_exception_int_div_zero 0
	.end_amdhsa_kernel
	.section	.text._ZN7rocprim17ROCPRIM_400000_NS6detail17trampoline_kernelINS0_14default_configENS1_38merge_sort_block_merge_config_selectorIiiEEZZNS1_27merge_sort_block_merge_implIS3_N6thrust23THRUST_200600_302600_NS6detail15normal_iteratorINS8_10device_ptrIiEEEESD_jNS1_19radix_merge_compareILb1ELb1EiNS0_19identity_decomposerEEEEE10hipError_tT0_T1_T2_jT3_P12ihipStream_tbPNSt15iterator_traitsISI_E10value_typeEPNSO_ISJ_E10value_typeEPSK_NS1_7vsmem_tEENKUlT_SI_SJ_SK_E_clISD_PiSD_S10_EESH_SX_SI_SJ_SK_EUlSX_E1_NS1_11comp_targetILNS1_3genE5ELNS1_11target_archE942ELNS1_3gpuE9ELNS1_3repE0EEENS1_36merge_oddeven_config_static_selectorELNS0_4arch9wavefront6targetE0EEEvSJ_,"axG",@progbits,_ZN7rocprim17ROCPRIM_400000_NS6detail17trampoline_kernelINS0_14default_configENS1_38merge_sort_block_merge_config_selectorIiiEEZZNS1_27merge_sort_block_merge_implIS3_N6thrust23THRUST_200600_302600_NS6detail15normal_iteratorINS8_10device_ptrIiEEEESD_jNS1_19radix_merge_compareILb1ELb1EiNS0_19identity_decomposerEEEEE10hipError_tT0_T1_T2_jT3_P12ihipStream_tbPNSt15iterator_traitsISI_E10value_typeEPNSO_ISJ_E10value_typeEPSK_NS1_7vsmem_tEENKUlT_SI_SJ_SK_E_clISD_PiSD_S10_EESH_SX_SI_SJ_SK_EUlSX_E1_NS1_11comp_targetILNS1_3genE5ELNS1_11target_archE942ELNS1_3gpuE9ELNS1_3repE0EEENS1_36merge_oddeven_config_static_selectorELNS0_4arch9wavefront6targetE0EEEvSJ_,comdat
.Lfunc_end975:
	.size	_ZN7rocprim17ROCPRIM_400000_NS6detail17trampoline_kernelINS0_14default_configENS1_38merge_sort_block_merge_config_selectorIiiEEZZNS1_27merge_sort_block_merge_implIS3_N6thrust23THRUST_200600_302600_NS6detail15normal_iteratorINS8_10device_ptrIiEEEESD_jNS1_19radix_merge_compareILb1ELb1EiNS0_19identity_decomposerEEEEE10hipError_tT0_T1_T2_jT3_P12ihipStream_tbPNSt15iterator_traitsISI_E10value_typeEPNSO_ISJ_E10value_typeEPSK_NS1_7vsmem_tEENKUlT_SI_SJ_SK_E_clISD_PiSD_S10_EESH_SX_SI_SJ_SK_EUlSX_E1_NS1_11comp_targetILNS1_3genE5ELNS1_11target_archE942ELNS1_3gpuE9ELNS1_3repE0EEENS1_36merge_oddeven_config_static_selectorELNS0_4arch9wavefront6targetE0EEEvSJ_, .Lfunc_end975-_ZN7rocprim17ROCPRIM_400000_NS6detail17trampoline_kernelINS0_14default_configENS1_38merge_sort_block_merge_config_selectorIiiEEZZNS1_27merge_sort_block_merge_implIS3_N6thrust23THRUST_200600_302600_NS6detail15normal_iteratorINS8_10device_ptrIiEEEESD_jNS1_19radix_merge_compareILb1ELb1EiNS0_19identity_decomposerEEEEE10hipError_tT0_T1_T2_jT3_P12ihipStream_tbPNSt15iterator_traitsISI_E10value_typeEPNSO_ISJ_E10value_typeEPSK_NS1_7vsmem_tEENKUlT_SI_SJ_SK_E_clISD_PiSD_S10_EESH_SX_SI_SJ_SK_EUlSX_E1_NS1_11comp_targetILNS1_3genE5ELNS1_11target_archE942ELNS1_3gpuE9ELNS1_3repE0EEENS1_36merge_oddeven_config_static_selectorELNS0_4arch9wavefront6targetE0EEEvSJ_
                                        ; -- End function
	.set _ZN7rocprim17ROCPRIM_400000_NS6detail17trampoline_kernelINS0_14default_configENS1_38merge_sort_block_merge_config_selectorIiiEEZZNS1_27merge_sort_block_merge_implIS3_N6thrust23THRUST_200600_302600_NS6detail15normal_iteratorINS8_10device_ptrIiEEEESD_jNS1_19radix_merge_compareILb1ELb1EiNS0_19identity_decomposerEEEEE10hipError_tT0_T1_T2_jT3_P12ihipStream_tbPNSt15iterator_traitsISI_E10value_typeEPNSO_ISJ_E10value_typeEPSK_NS1_7vsmem_tEENKUlT_SI_SJ_SK_E_clISD_PiSD_S10_EESH_SX_SI_SJ_SK_EUlSX_E1_NS1_11comp_targetILNS1_3genE5ELNS1_11target_archE942ELNS1_3gpuE9ELNS1_3repE0EEENS1_36merge_oddeven_config_static_selectorELNS0_4arch9wavefront6targetE0EEEvSJ_.num_vgpr, 0
	.set _ZN7rocprim17ROCPRIM_400000_NS6detail17trampoline_kernelINS0_14default_configENS1_38merge_sort_block_merge_config_selectorIiiEEZZNS1_27merge_sort_block_merge_implIS3_N6thrust23THRUST_200600_302600_NS6detail15normal_iteratorINS8_10device_ptrIiEEEESD_jNS1_19radix_merge_compareILb1ELb1EiNS0_19identity_decomposerEEEEE10hipError_tT0_T1_T2_jT3_P12ihipStream_tbPNSt15iterator_traitsISI_E10value_typeEPNSO_ISJ_E10value_typeEPSK_NS1_7vsmem_tEENKUlT_SI_SJ_SK_E_clISD_PiSD_S10_EESH_SX_SI_SJ_SK_EUlSX_E1_NS1_11comp_targetILNS1_3genE5ELNS1_11target_archE942ELNS1_3gpuE9ELNS1_3repE0EEENS1_36merge_oddeven_config_static_selectorELNS0_4arch9wavefront6targetE0EEEvSJ_.num_agpr, 0
	.set _ZN7rocprim17ROCPRIM_400000_NS6detail17trampoline_kernelINS0_14default_configENS1_38merge_sort_block_merge_config_selectorIiiEEZZNS1_27merge_sort_block_merge_implIS3_N6thrust23THRUST_200600_302600_NS6detail15normal_iteratorINS8_10device_ptrIiEEEESD_jNS1_19radix_merge_compareILb1ELb1EiNS0_19identity_decomposerEEEEE10hipError_tT0_T1_T2_jT3_P12ihipStream_tbPNSt15iterator_traitsISI_E10value_typeEPNSO_ISJ_E10value_typeEPSK_NS1_7vsmem_tEENKUlT_SI_SJ_SK_E_clISD_PiSD_S10_EESH_SX_SI_SJ_SK_EUlSX_E1_NS1_11comp_targetILNS1_3genE5ELNS1_11target_archE942ELNS1_3gpuE9ELNS1_3repE0EEENS1_36merge_oddeven_config_static_selectorELNS0_4arch9wavefront6targetE0EEEvSJ_.numbered_sgpr, 0
	.set _ZN7rocprim17ROCPRIM_400000_NS6detail17trampoline_kernelINS0_14default_configENS1_38merge_sort_block_merge_config_selectorIiiEEZZNS1_27merge_sort_block_merge_implIS3_N6thrust23THRUST_200600_302600_NS6detail15normal_iteratorINS8_10device_ptrIiEEEESD_jNS1_19radix_merge_compareILb1ELb1EiNS0_19identity_decomposerEEEEE10hipError_tT0_T1_T2_jT3_P12ihipStream_tbPNSt15iterator_traitsISI_E10value_typeEPNSO_ISJ_E10value_typeEPSK_NS1_7vsmem_tEENKUlT_SI_SJ_SK_E_clISD_PiSD_S10_EESH_SX_SI_SJ_SK_EUlSX_E1_NS1_11comp_targetILNS1_3genE5ELNS1_11target_archE942ELNS1_3gpuE9ELNS1_3repE0EEENS1_36merge_oddeven_config_static_selectorELNS0_4arch9wavefront6targetE0EEEvSJ_.num_named_barrier, 0
	.set _ZN7rocprim17ROCPRIM_400000_NS6detail17trampoline_kernelINS0_14default_configENS1_38merge_sort_block_merge_config_selectorIiiEEZZNS1_27merge_sort_block_merge_implIS3_N6thrust23THRUST_200600_302600_NS6detail15normal_iteratorINS8_10device_ptrIiEEEESD_jNS1_19radix_merge_compareILb1ELb1EiNS0_19identity_decomposerEEEEE10hipError_tT0_T1_T2_jT3_P12ihipStream_tbPNSt15iterator_traitsISI_E10value_typeEPNSO_ISJ_E10value_typeEPSK_NS1_7vsmem_tEENKUlT_SI_SJ_SK_E_clISD_PiSD_S10_EESH_SX_SI_SJ_SK_EUlSX_E1_NS1_11comp_targetILNS1_3genE5ELNS1_11target_archE942ELNS1_3gpuE9ELNS1_3repE0EEENS1_36merge_oddeven_config_static_selectorELNS0_4arch9wavefront6targetE0EEEvSJ_.private_seg_size, 0
	.set _ZN7rocprim17ROCPRIM_400000_NS6detail17trampoline_kernelINS0_14default_configENS1_38merge_sort_block_merge_config_selectorIiiEEZZNS1_27merge_sort_block_merge_implIS3_N6thrust23THRUST_200600_302600_NS6detail15normal_iteratorINS8_10device_ptrIiEEEESD_jNS1_19radix_merge_compareILb1ELb1EiNS0_19identity_decomposerEEEEE10hipError_tT0_T1_T2_jT3_P12ihipStream_tbPNSt15iterator_traitsISI_E10value_typeEPNSO_ISJ_E10value_typeEPSK_NS1_7vsmem_tEENKUlT_SI_SJ_SK_E_clISD_PiSD_S10_EESH_SX_SI_SJ_SK_EUlSX_E1_NS1_11comp_targetILNS1_3genE5ELNS1_11target_archE942ELNS1_3gpuE9ELNS1_3repE0EEENS1_36merge_oddeven_config_static_selectorELNS0_4arch9wavefront6targetE0EEEvSJ_.uses_vcc, 0
	.set _ZN7rocprim17ROCPRIM_400000_NS6detail17trampoline_kernelINS0_14default_configENS1_38merge_sort_block_merge_config_selectorIiiEEZZNS1_27merge_sort_block_merge_implIS3_N6thrust23THRUST_200600_302600_NS6detail15normal_iteratorINS8_10device_ptrIiEEEESD_jNS1_19radix_merge_compareILb1ELb1EiNS0_19identity_decomposerEEEEE10hipError_tT0_T1_T2_jT3_P12ihipStream_tbPNSt15iterator_traitsISI_E10value_typeEPNSO_ISJ_E10value_typeEPSK_NS1_7vsmem_tEENKUlT_SI_SJ_SK_E_clISD_PiSD_S10_EESH_SX_SI_SJ_SK_EUlSX_E1_NS1_11comp_targetILNS1_3genE5ELNS1_11target_archE942ELNS1_3gpuE9ELNS1_3repE0EEENS1_36merge_oddeven_config_static_selectorELNS0_4arch9wavefront6targetE0EEEvSJ_.uses_flat_scratch, 0
	.set _ZN7rocprim17ROCPRIM_400000_NS6detail17trampoline_kernelINS0_14default_configENS1_38merge_sort_block_merge_config_selectorIiiEEZZNS1_27merge_sort_block_merge_implIS3_N6thrust23THRUST_200600_302600_NS6detail15normal_iteratorINS8_10device_ptrIiEEEESD_jNS1_19radix_merge_compareILb1ELb1EiNS0_19identity_decomposerEEEEE10hipError_tT0_T1_T2_jT3_P12ihipStream_tbPNSt15iterator_traitsISI_E10value_typeEPNSO_ISJ_E10value_typeEPSK_NS1_7vsmem_tEENKUlT_SI_SJ_SK_E_clISD_PiSD_S10_EESH_SX_SI_SJ_SK_EUlSX_E1_NS1_11comp_targetILNS1_3genE5ELNS1_11target_archE942ELNS1_3gpuE9ELNS1_3repE0EEENS1_36merge_oddeven_config_static_selectorELNS0_4arch9wavefront6targetE0EEEvSJ_.has_dyn_sized_stack, 0
	.set _ZN7rocprim17ROCPRIM_400000_NS6detail17trampoline_kernelINS0_14default_configENS1_38merge_sort_block_merge_config_selectorIiiEEZZNS1_27merge_sort_block_merge_implIS3_N6thrust23THRUST_200600_302600_NS6detail15normal_iteratorINS8_10device_ptrIiEEEESD_jNS1_19radix_merge_compareILb1ELb1EiNS0_19identity_decomposerEEEEE10hipError_tT0_T1_T2_jT3_P12ihipStream_tbPNSt15iterator_traitsISI_E10value_typeEPNSO_ISJ_E10value_typeEPSK_NS1_7vsmem_tEENKUlT_SI_SJ_SK_E_clISD_PiSD_S10_EESH_SX_SI_SJ_SK_EUlSX_E1_NS1_11comp_targetILNS1_3genE5ELNS1_11target_archE942ELNS1_3gpuE9ELNS1_3repE0EEENS1_36merge_oddeven_config_static_selectorELNS0_4arch9wavefront6targetE0EEEvSJ_.has_recursion, 0
	.set _ZN7rocprim17ROCPRIM_400000_NS6detail17trampoline_kernelINS0_14default_configENS1_38merge_sort_block_merge_config_selectorIiiEEZZNS1_27merge_sort_block_merge_implIS3_N6thrust23THRUST_200600_302600_NS6detail15normal_iteratorINS8_10device_ptrIiEEEESD_jNS1_19radix_merge_compareILb1ELb1EiNS0_19identity_decomposerEEEEE10hipError_tT0_T1_T2_jT3_P12ihipStream_tbPNSt15iterator_traitsISI_E10value_typeEPNSO_ISJ_E10value_typeEPSK_NS1_7vsmem_tEENKUlT_SI_SJ_SK_E_clISD_PiSD_S10_EESH_SX_SI_SJ_SK_EUlSX_E1_NS1_11comp_targetILNS1_3genE5ELNS1_11target_archE942ELNS1_3gpuE9ELNS1_3repE0EEENS1_36merge_oddeven_config_static_selectorELNS0_4arch9wavefront6targetE0EEEvSJ_.has_indirect_call, 0
	.section	.AMDGPU.csdata,"",@progbits
; Kernel info:
; codeLenInByte = 0
; TotalNumSgprs: 0
; NumVgprs: 0
; ScratchSize: 0
; MemoryBound: 0
; FloatMode: 240
; IeeeMode: 1
; LDSByteSize: 0 bytes/workgroup (compile time only)
; SGPRBlocks: 0
; VGPRBlocks: 0
; NumSGPRsForWavesPerEU: 1
; NumVGPRsForWavesPerEU: 1
; Occupancy: 16
; WaveLimiterHint : 0
; COMPUTE_PGM_RSRC2:SCRATCH_EN: 0
; COMPUTE_PGM_RSRC2:USER_SGPR: 6
; COMPUTE_PGM_RSRC2:TRAP_HANDLER: 0
; COMPUTE_PGM_RSRC2:TGID_X_EN: 1
; COMPUTE_PGM_RSRC2:TGID_Y_EN: 0
; COMPUTE_PGM_RSRC2:TGID_Z_EN: 0
; COMPUTE_PGM_RSRC2:TIDIG_COMP_CNT: 0
	.section	.text._ZN7rocprim17ROCPRIM_400000_NS6detail17trampoline_kernelINS0_14default_configENS1_38merge_sort_block_merge_config_selectorIiiEEZZNS1_27merge_sort_block_merge_implIS3_N6thrust23THRUST_200600_302600_NS6detail15normal_iteratorINS8_10device_ptrIiEEEESD_jNS1_19radix_merge_compareILb1ELb1EiNS0_19identity_decomposerEEEEE10hipError_tT0_T1_T2_jT3_P12ihipStream_tbPNSt15iterator_traitsISI_E10value_typeEPNSO_ISJ_E10value_typeEPSK_NS1_7vsmem_tEENKUlT_SI_SJ_SK_E_clISD_PiSD_S10_EESH_SX_SI_SJ_SK_EUlSX_E1_NS1_11comp_targetILNS1_3genE4ELNS1_11target_archE910ELNS1_3gpuE8ELNS1_3repE0EEENS1_36merge_oddeven_config_static_selectorELNS0_4arch9wavefront6targetE0EEEvSJ_,"axG",@progbits,_ZN7rocprim17ROCPRIM_400000_NS6detail17trampoline_kernelINS0_14default_configENS1_38merge_sort_block_merge_config_selectorIiiEEZZNS1_27merge_sort_block_merge_implIS3_N6thrust23THRUST_200600_302600_NS6detail15normal_iteratorINS8_10device_ptrIiEEEESD_jNS1_19radix_merge_compareILb1ELb1EiNS0_19identity_decomposerEEEEE10hipError_tT0_T1_T2_jT3_P12ihipStream_tbPNSt15iterator_traitsISI_E10value_typeEPNSO_ISJ_E10value_typeEPSK_NS1_7vsmem_tEENKUlT_SI_SJ_SK_E_clISD_PiSD_S10_EESH_SX_SI_SJ_SK_EUlSX_E1_NS1_11comp_targetILNS1_3genE4ELNS1_11target_archE910ELNS1_3gpuE8ELNS1_3repE0EEENS1_36merge_oddeven_config_static_selectorELNS0_4arch9wavefront6targetE0EEEvSJ_,comdat
	.protected	_ZN7rocprim17ROCPRIM_400000_NS6detail17trampoline_kernelINS0_14default_configENS1_38merge_sort_block_merge_config_selectorIiiEEZZNS1_27merge_sort_block_merge_implIS3_N6thrust23THRUST_200600_302600_NS6detail15normal_iteratorINS8_10device_ptrIiEEEESD_jNS1_19radix_merge_compareILb1ELb1EiNS0_19identity_decomposerEEEEE10hipError_tT0_T1_T2_jT3_P12ihipStream_tbPNSt15iterator_traitsISI_E10value_typeEPNSO_ISJ_E10value_typeEPSK_NS1_7vsmem_tEENKUlT_SI_SJ_SK_E_clISD_PiSD_S10_EESH_SX_SI_SJ_SK_EUlSX_E1_NS1_11comp_targetILNS1_3genE4ELNS1_11target_archE910ELNS1_3gpuE8ELNS1_3repE0EEENS1_36merge_oddeven_config_static_selectorELNS0_4arch9wavefront6targetE0EEEvSJ_ ; -- Begin function _ZN7rocprim17ROCPRIM_400000_NS6detail17trampoline_kernelINS0_14default_configENS1_38merge_sort_block_merge_config_selectorIiiEEZZNS1_27merge_sort_block_merge_implIS3_N6thrust23THRUST_200600_302600_NS6detail15normal_iteratorINS8_10device_ptrIiEEEESD_jNS1_19radix_merge_compareILb1ELb1EiNS0_19identity_decomposerEEEEE10hipError_tT0_T1_T2_jT3_P12ihipStream_tbPNSt15iterator_traitsISI_E10value_typeEPNSO_ISJ_E10value_typeEPSK_NS1_7vsmem_tEENKUlT_SI_SJ_SK_E_clISD_PiSD_S10_EESH_SX_SI_SJ_SK_EUlSX_E1_NS1_11comp_targetILNS1_3genE4ELNS1_11target_archE910ELNS1_3gpuE8ELNS1_3repE0EEENS1_36merge_oddeven_config_static_selectorELNS0_4arch9wavefront6targetE0EEEvSJ_
	.globl	_ZN7rocprim17ROCPRIM_400000_NS6detail17trampoline_kernelINS0_14default_configENS1_38merge_sort_block_merge_config_selectorIiiEEZZNS1_27merge_sort_block_merge_implIS3_N6thrust23THRUST_200600_302600_NS6detail15normal_iteratorINS8_10device_ptrIiEEEESD_jNS1_19radix_merge_compareILb1ELb1EiNS0_19identity_decomposerEEEEE10hipError_tT0_T1_T2_jT3_P12ihipStream_tbPNSt15iterator_traitsISI_E10value_typeEPNSO_ISJ_E10value_typeEPSK_NS1_7vsmem_tEENKUlT_SI_SJ_SK_E_clISD_PiSD_S10_EESH_SX_SI_SJ_SK_EUlSX_E1_NS1_11comp_targetILNS1_3genE4ELNS1_11target_archE910ELNS1_3gpuE8ELNS1_3repE0EEENS1_36merge_oddeven_config_static_selectorELNS0_4arch9wavefront6targetE0EEEvSJ_
	.p2align	8
	.type	_ZN7rocprim17ROCPRIM_400000_NS6detail17trampoline_kernelINS0_14default_configENS1_38merge_sort_block_merge_config_selectorIiiEEZZNS1_27merge_sort_block_merge_implIS3_N6thrust23THRUST_200600_302600_NS6detail15normal_iteratorINS8_10device_ptrIiEEEESD_jNS1_19radix_merge_compareILb1ELb1EiNS0_19identity_decomposerEEEEE10hipError_tT0_T1_T2_jT3_P12ihipStream_tbPNSt15iterator_traitsISI_E10value_typeEPNSO_ISJ_E10value_typeEPSK_NS1_7vsmem_tEENKUlT_SI_SJ_SK_E_clISD_PiSD_S10_EESH_SX_SI_SJ_SK_EUlSX_E1_NS1_11comp_targetILNS1_3genE4ELNS1_11target_archE910ELNS1_3gpuE8ELNS1_3repE0EEENS1_36merge_oddeven_config_static_selectorELNS0_4arch9wavefront6targetE0EEEvSJ_,@function
_ZN7rocprim17ROCPRIM_400000_NS6detail17trampoline_kernelINS0_14default_configENS1_38merge_sort_block_merge_config_selectorIiiEEZZNS1_27merge_sort_block_merge_implIS3_N6thrust23THRUST_200600_302600_NS6detail15normal_iteratorINS8_10device_ptrIiEEEESD_jNS1_19radix_merge_compareILb1ELb1EiNS0_19identity_decomposerEEEEE10hipError_tT0_T1_T2_jT3_P12ihipStream_tbPNSt15iterator_traitsISI_E10value_typeEPNSO_ISJ_E10value_typeEPSK_NS1_7vsmem_tEENKUlT_SI_SJ_SK_E_clISD_PiSD_S10_EESH_SX_SI_SJ_SK_EUlSX_E1_NS1_11comp_targetILNS1_3genE4ELNS1_11target_archE910ELNS1_3gpuE8ELNS1_3repE0EEENS1_36merge_oddeven_config_static_selectorELNS0_4arch9wavefront6targetE0EEEvSJ_: ; @_ZN7rocprim17ROCPRIM_400000_NS6detail17trampoline_kernelINS0_14default_configENS1_38merge_sort_block_merge_config_selectorIiiEEZZNS1_27merge_sort_block_merge_implIS3_N6thrust23THRUST_200600_302600_NS6detail15normal_iteratorINS8_10device_ptrIiEEEESD_jNS1_19radix_merge_compareILb1ELb1EiNS0_19identity_decomposerEEEEE10hipError_tT0_T1_T2_jT3_P12ihipStream_tbPNSt15iterator_traitsISI_E10value_typeEPNSO_ISJ_E10value_typeEPSK_NS1_7vsmem_tEENKUlT_SI_SJ_SK_E_clISD_PiSD_S10_EESH_SX_SI_SJ_SK_EUlSX_E1_NS1_11comp_targetILNS1_3genE4ELNS1_11target_archE910ELNS1_3gpuE8ELNS1_3repE0EEENS1_36merge_oddeven_config_static_selectorELNS0_4arch9wavefront6targetE0EEEvSJ_
; %bb.0:
	.section	.rodata,"a",@progbits
	.p2align	6, 0x0
	.amdhsa_kernel _ZN7rocprim17ROCPRIM_400000_NS6detail17trampoline_kernelINS0_14default_configENS1_38merge_sort_block_merge_config_selectorIiiEEZZNS1_27merge_sort_block_merge_implIS3_N6thrust23THRUST_200600_302600_NS6detail15normal_iteratorINS8_10device_ptrIiEEEESD_jNS1_19radix_merge_compareILb1ELb1EiNS0_19identity_decomposerEEEEE10hipError_tT0_T1_T2_jT3_P12ihipStream_tbPNSt15iterator_traitsISI_E10value_typeEPNSO_ISJ_E10value_typeEPSK_NS1_7vsmem_tEENKUlT_SI_SJ_SK_E_clISD_PiSD_S10_EESH_SX_SI_SJ_SK_EUlSX_E1_NS1_11comp_targetILNS1_3genE4ELNS1_11target_archE910ELNS1_3gpuE8ELNS1_3repE0EEENS1_36merge_oddeven_config_static_selectorELNS0_4arch9wavefront6targetE0EEEvSJ_
		.amdhsa_group_segment_fixed_size 0
		.amdhsa_private_segment_fixed_size 0
		.amdhsa_kernarg_size 48
		.amdhsa_user_sgpr_count 6
		.amdhsa_user_sgpr_private_segment_buffer 1
		.amdhsa_user_sgpr_dispatch_ptr 0
		.amdhsa_user_sgpr_queue_ptr 0
		.amdhsa_user_sgpr_kernarg_segment_ptr 1
		.amdhsa_user_sgpr_dispatch_id 0
		.amdhsa_user_sgpr_flat_scratch_init 0
		.amdhsa_user_sgpr_private_segment_size 0
		.amdhsa_wavefront_size32 1
		.amdhsa_uses_dynamic_stack 0
		.amdhsa_system_sgpr_private_segment_wavefront_offset 0
		.amdhsa_system_sgpr_workgroup_id_x 1
		.amdhsa_system_sgpr_workgroup_id_y 0
		.amdhsa_system_sgpr_workgroup_id_z 0
		.amdhsa_system_sgpr_workgroup_info 0
		.amdhsa_system_vgpr_workitem_id 0
		.amdhsa_next_free_vgpr 1
		.amdhsa_next_free_sgpr 1
		.amdhsa_reserve_vcc 0
		.amdhsa_reserve_flat_scratch 0
		.amdhsa_float_round_mode_32 0
		.amdhsa_float_round_mode_16_64 0
		.amdhsa_float_denorm_mode_32 3
		.amdhsa_float_denorm_mode_16_64 3
		.amdhsa_dx10_clamp 1
		.amdhsa_ieee_mode 1
		.amdhsa_fp16_overflow 0
		.amdhsa_workgroup_processor_mode 1
		.amdhsa_memory_ordered 1
		.amdhsa_forward_progress 1
		.amdhsa_shared_vgpr_count 0
		.amdhsa_exception_fp_ieee_invalid_op 0
		.amdhsa_exception_fp_denorm_src 0
		.amdhsa_exception_fp_ieee_div_zero 0
		.amdhsa_exception_fp_ieee_overflow 0
		.amdhsa_exception_fp_ieee_underflow 0
		.amdhsa_exception_fp_ieee_inexact 0
		.amdhsa_exception_int_div_zero 0
	.end_amdhsa_kernel
	.section	.text._ZN7rocprim17ROCPRIM_400000_NS6detail17trampoline_kernelINS0_14default_configENS1_38merge_sort_block_merge_config_selectorIiiEEZZNS1_27merge_sort_block_merge_implIS3_N6thrust23THRUST_200600_302600_NS6detail15normal_iteratorINS8_10device_ptrIiEEEESD_jNS1_19radix_merge_compareILb1ELb1EiNS0_19identity_decomposerEEEEE10hipError_tT0_T1_T2_jT3_P12ihipStream_tbPNSt15iterator_traitsISI_E10value_typeEPNSO_ISJ_E10value_typeEPSK_NS1_7vsmem_tEENKUlT_SI_SJ_SK_E_clISD_PiSD_S10_EESH_SX_SI_SJ_SK_EUlSX_E1_NS1_11comp_targetILNS1_3genE4ELNS1_11target_archE910ELNS1_3gpuE8ELNS1_3repE0EEENS1_36merge_oddeven_config_static_selectorELNS0_4arch9wavefront6targetE0EEEvSJ_,"axG",@progbits,_ZN7rocprim17ROCPRIM_400000_NS6detail17trampoline_kernelINS0_14default_configENS1_38merge_sort_block_merge_config_selectorIiiEEZZNS1_27merge_sort_block_merge_implIS3_N6thrust23THRUST_200600_302600_NS6detail15normal_iteratorINS8_10device_ptrIiEEEESD_jNS1_19radix_merge_compareILb1ELb1EiNS0_19identity_decomposerEEEEE10hipError_tT0_T1_T2_jT3_P12ihipStream_tbPNSt15iterator_traitsISI_E10value_typeEPNSO_ISJ_E10value_typeEPSK_NS1_7vsmem_tEENKUlT_SI_SJ_SK_E_clISD_PiSD_S10_EESH_SX_SI_SJ_SK_EUlSX_E1_NS1_11comp_targetILNS1_3genE4ELNS1_11target_archE910ELNS1_3gpuE8ELNS1_3repE0EEENS1_36merge_oddeven_config_static_selectorELNS0_4arch9wavefront6targetE0EEEvSJ_,comdat
.Lfunc_end976:
	.size	_ZN7rocprim17ROCPRIM_400000_NS6detail17trampoline_kernelINS0_14default_configENS1_38merge_sort_block_merge_config_selectorIiiEEZZNS1_27merge_sort_block_merge_implIS3_N6thrust23THRUST_200600_302600_NS6detail15normal_iteratorINS8_10device_ptrIiEEEESD_jNS1_19radix_merge_compareILb1ELb1EiNS0_19identity_decomposerEEEEE10hipError_tT0_T1_T2_jT3_P12ihipStream_tbPNSt15iterator_traitsISI_E10value_typeEPNSO_ISJ_E10value_typeEPSK_NS1_7vsmem_tEENKUlT_SI_SJ_SK_E_clISD_PiSD_S10_EESH_SX_SI_SJ_SK_EUlSX_E1_NS1_11comp_targetILNS1_3genE4ELNS1_11target_archE910ELNS1_3gpuE8ELNS1_3repE0EEENS1_36merge_oddeven_config_static_selectorELNS0_4arch9wavefront6targetE0EEEvSJ_, .Lfunc_end976-_ZN7rocprim17ROCPRIM_400000_NS6detail17trampoline_kernelINS0_14default_configENS1_38merge_sort_block_merge_config_selectorIiiEEZZNS1_27merge_sort_block_merge_implIS3_N6thrust23THRUST_200600_302600_NS6detail15normal_iteratorINS8_10device_ptrIiEEEESD_jNS1_19radix_merge_compareILb1ELb1EiNS0_19identity_decomposerEEEEE10hipError_tT0_T1_T2_jT3_P12ihipStream_tbPNSt15iterator_traitsISI_E10value_typeEPNSO_ISJ_E10value_typeEPSK_NS1_7vsmem_tEENKUlT_SI_SJ_SK_E_clISD_PiSD_S10_EESH_SX_SI_SJ_SK_EUlSX_E1_NS1_11comp_targetILNS1_3genE4ELNS1_11target_archE910ELNS1_3gpuE8ELNS1_3repE0EEENS1_36merge_oddeven_config_static_selectorELNS0_4arch9wavefront6targetE0EEEvSJ_
                                        ; -- End function
	.set _ZN7rocprim17ROCPRIM_400000_NS6detail17trampoline_kernelINS0_14default_configENS1_38merge_sort_block_merge_config_selectorIiiEEZZNS1_27merge_sort_block_merge_implIS3_N6thrust23THRUST_200600_302600_NS6detail15normal_iteratorINS8_10device_ptrIiEEEESD_jNS1_19radix_merge_compareILb1ELb1EiNS0_19identity_decomposerEEEEE10hipError_tT0_T1_T2_jT3_P12ihipStream_tbPNSt15iterator_traitsISI_E10value_typeEPNSO_ISJ_E10value_typeEPSK_NS1_7vsmem_tEENKUlT_SI_SJ_SK_E_clISD_PiSD_S10_EESH_SX_SI_SJ_SK_EUlSX_E1_NS1_11comp_targetILNS1_3genE4ELNS1_11target_archE910ELNS1_3gpuE8ELNS1_3repE0EEENS1_36merge_oddeven_config_static_selectorELNS0_4arch9wavefront6targetE0EEEvSJ_.num_vgpr, 0
	.set _ZN7rocprim17ROCPRIM_400000_NS6detail17trampoline_kernelINS0_14default_configENS1_38merge_sort_block_merge_config_selectorIiiEEZZNS1_27merge_sort_block_merge_implIS3_N6thrust23THRUST_200600_302600_NS6detail15normal_iteratorINS8_10device_ptrIiEEEESD_jNS1_19radix_merge_compareILb1ELb1EiNS0_19identity_decomposerEEEEE10hipError_tT0_T1_T2_jT3_P12ihipStream_tbPNSt15iterator_traitsISI_E10value_typeEPNSO_ISJ_E10value_typeEPSK_NS1_7vsmem_tEENKUlT_SI_SJ_SK_E_clISD_PiSD_S10_EESH_SX_SI_SJ_SK_EUlSX_E1_NS1_11comp_targetILNS1_3genE4ELNS1_11target_archE910ELNS1_3gpuE8ELNS1_3repE0EEENS1_36merge_oddeven_config_static_selectorELNS0_4arch9wavefront6targetE0EEEvSJ_.num_agpr, 0
	.set _ZN7rocprim17ROCPRIM_400000_NS6detail17trampoline_kernelINS0_14default_configENS1_38merge_sort_block_merge_config_selectorIiiEEZZNS1_27merge_sort_block_merge_implIS3_N6thrust23THRUST_200600_302600_NS6detail15normal_iteratorINS8_10device_ptrIiEEEESD_jNS1_19radix_merge_compareILb1ELb1EiNS0_19identity_decomposerEEEEE10hipError_tT0_T1_T2_jT3_P12ihipStream_tbPNSt15iterator_traitsISI_E10value_typeEPNSO_ISJ_E10value_typeEPSK_NS1_7vsmem_tEENKUlT_SI_SJ_SK_E_clISD_PiSD_S10_EESH_SX_SI_SJ_SK_EUlSX_E1_NS1_11comp_targetILNS1_3genE4ELNS1_11target_archE910ELNS1_3gpuE8ELNS1_3repE0EEENS1_36merge_oddeven_config_static_selectorELNS0_4arch9wavefront6targetE0EEEvSJ_.numbered_sgpr, 0
	.set _ZN7rocprim17ROCPRIM_400000_NS6detail17trampoline_kernelINS0_14default_configENS1_38merge_sort_block_merge_config_selectorIiiEEZZNS1_27merge_sort_block_merge_implIS3_N6thrust23THRUST_200600_302600_NS6detail15normal_iteratorINS8_10device_ptrIiEEEESD_jNS1_19radix_merge_compareILb1ELb1EiNS0_19identity_decomposerEEEEE10hipError_tT0_T1_T2_jT3_P12ihipStream_tbPNSt15iterator_traitsISI_E10value_typeEPNSO_ISJ_E10value_typeEPSK_NS1_7vsmem_tEENKUlT_SI_SJ_SK_E_clISD_PiSD_S10_EESH_SX_SI_SJ_SK_EUlSX_E1_NS1_11comp_targetILNS1_3genE4ELNS1_11target_archE910ELNS1_3gpuE8ELNS1_3repE0EEENS1_36merge_oddeven_config_static_selectorELNS0_4arch9wavefront6targetE0EEEvSJ_.num_named_barrier, 0
	.set _ZN7rocprim17ROCPRIM_400000_NS6detail17trampoline_kernelINS0_14default_configENS1_38merge_sort_block_merge_config_selectorIiiEEZZNS1_27merge_sort_block_merge_implIS3_N6thrust23THRUST_200600_302600_NS6detail15normal_iteratorINS8_10device_ptrIiEEEESD_jNS1_19radix_merge_compareILb1ELb1EiNS0_19identity_decomposerEEEEE10hipError_tT0_T1_T2_jT3_P12ihipStream_tbPNSt15iterator_traitsISI_E10value_typeEPNSO_ISJ_E10value_typeEPSK_NS1_7vsmem_tEENKUlT_SI_SJ_SK_E_clISD_PiSD_S10_EESH_SX_SI_SJ_SK_EUlSX_E1_NS1_11comp_targetILNS1_3genE4ELNS1_11target_archE910ELNS1_3gpuE8ELNS1_3repE0EEENS1_36merge_oddeven_config_static_selectorELNS0_4arch9wavefront6targetE0EEEvSJ_.private_seg_size, 0
	.set _ZN7rocprim17ROCPRIM_400000_NS6detail17trampoline_kernelINS0_14default_configENS1_38merge_sort_block_merge_config_selectorIiiEEZZNS1_27merge_sort_block_merge_implIS3_N6thrust23THRUST_200600_302600_NS6detail15normal_iteratorINS8_10device_ptrIiEEEESD_jNS1_19radix_merge_compareILb1ELb1EiNS0_19identity_decomposerEEEEE10hipError_tT0_T1_T2_jT3_P12ihipStream_tbPNSt15iterator_traitsISI_E10value_typeEPNSO_ISJ_E10value_typeEPSK_NS1_7vsmem_tEENKUlT_SI_SJ_SK_E_clISD_PiSD_S10_EESH_SX_SI_SJ_SK_EUlSX_E1_NS1_11comp_targetILNS1_3genE4ELNS1_11target_archE910ELNS1_3gpuE8ELNS1_3repE0EEENS1_36merge_oddeven_config_static_selectorELNS0_4arch9wavefront6targetE0EEEvSJ_.uses_vcc, 0
	.set _ZN7rocprim17ROCPRIM_400000_NS6detail17trampoline_kernelINS0_14default_configENS1_38merge_sort_block_merge_config_selectorIiiEEZZNS1_27merge_sort_block_merge_implIS3_N6thrust23THRUST_200600_302600_NS6detail15normal_iteratorINS8_10device_ptrIiEEEESD_jNS1_19radix_merge_compareILb1ELb1EiNS0_19identity_decomposerEEEEE10hipError_tT0_T1_T2_jT3_P12ihipStream_tbPNSt15iterator_traitsISI_E10value_typeEPNSO_ISJ_E10value_typeEPSK_NS1_7vsmem_tEENKUlT_SI_SJ_SK_E_clISD_PiSD_S10_EESH_SX_SI_SJ_SK_EUlSX_E1_NS1_11comp_targetILNS1_3genE4ELNS1_11target_archE910ELNS1_3gpuE8ELNS1_3repE0EEENS1_36merge_oddeven_config_static_selectorELNS0_4arch9wavefront6targetE0EEEvSJ_.uses_flat_scratch, 0
	.set _ZN7rocprim17ROCPRIM_400000_NS6detail17trampoline_kernelINS0_14default_configENS1_38merge_sort_block_merge_config_selectorIiiEEZZNS1_27merge_sort_block_merge_implIS3_N6thrust23THRUST_200600_302600_NS6detail15normal_iteratorINS8_10device_ptrIiEEEESD_jNS1_19radix_merge_compareILb1ELb1EiNS0_19identity_decomposerEEEEE10hipError_tT0_T1_T2_jT3_P12ihipStream_tbPNSt15iterator_traitsISI_E10value_typeEPNSO_ISJ_E10value_typeEPSK_NS1_7vsmem_tEENKUlT_SI_SJ_SK_E_clISD_PiSD_S10_EESH_SX_SI_SJ_SK_EUlSX_E1_NS1_11comp_targetILNS1_3genE4ELNS1_11target_archE910ELNS1_3gpuE8ELNS1_3repE0EEENS1_36merge_oddeven_config_static_selectorELNS0_4arch9wavefront6targetE0EEEvSJ_.has_dyn_sized_stack, 0
	.set _ZN7rocprim17ROCPRIM_400000_NS6detail17trampoline_kernelINS0_14default_configENS1_38merge_sort_block_merge_config_selectorIiiEEZZNS1_27merge_sort_block_merge_implIS3_N6thrust23THRUST_200600_302600_NS6detail15normal_iteratorINS8_10device_ptrIiEEEESD_jNS1_19radix_merge_compareILb1ELb1EiNS0_19identity_decomposerEEEEE10hipError_tT0_T1_T2_jT3_P12ihipStream_tbPNSt15iterator_traitsISI_E10value_typeEPNSO_ISJ_E10value_typeEPSK_NS1_7vsmem_tEENKUlT_SI_SJ_SK_E_clISD_PiSD_S10_EESH_SX_SI_SJ_SK_EUlSX_E1_NS1_11comp_targetILNS1_3genE4ELNS1_11target_archE910ELNS1_3gpuE8ELNS1_3repE0EEENS1_36merge_oddeven_config_static_selectorELNS0_4arch9wavefront6targetE0EEEvSJ_.has_recursion, 0
	.set _ZN7rocprim17ROCPRIM_400000_NS6detail17trampoline_kernelINS0_14default_configENS1_38merge_sort_block_merge_config_selectorIiiEEZZNS1_27merge_sort_block_merge_implIS3_N6thrust23THRUST_200600_302600_NS6detail15normal_iteratorINS8_10device_ptrIiEEEESD_jNS1_19radix_merge_compareILb1ELb1EiNS0_19identity_decomposerEEEEE10hipError_tT0_T1_T2_jT3_P12ihipStream_tbPNSt15iterator_traitsISI_E10value_typeEPNSO_ISJ_E10value_typeEPSK_NS1_7vsmem_tEENKUlT_SI_SJ_SK_E_clISD_PiSD_S10_EESH_SX_SI_SJ_SK_EUlSX_E1_NS1_11comp_targetILNS1_3genE4ELNS1_11target_archE910ELNS1_3gpuE8ELNS1_3repE0EEENS1_36merge_oddeven_config_static_selectorELNS0_4arch9wavefront6targetE0EEEvSJ_.has_indirect_call, 0
	.section	.AMDGPU.csdata,"",@progbits
; Kernel info:
; codeLenInByte = 0
; TotalNumSgprs: 0
; NumVgprs: 0
; ScratchSize: 0
; MemoryBound: 0
; FloatMode: 240
; IeeeMode: 1
; LDSByteSize: 0 bytes/workgroup (compile time only)
; SGPRBlocks: 0
; VGPRBlocks: 0
; NumSGPRsForWavesPerEU: 1
; NumVGPRsForWavesPerEU: 1
; Occupancy: 16
; WaveLimiterHint : 0
; COMPUTE_PGM_RSRC2:SCRATCH_EN: 0
; COMPUTE_PGM_RSRC2:USER_SGPR: 6
; COMPUTE_PGM_RSRC2:TRAP_HANDLER: 0
; COMPUTE_PGM_RSRC2:TGID_X_EN: 1
; COMPUTE_PGM_RSRC2:TGID_Y_EN: 0
; COMPUTE_PGM_RSRC2:TGID_Z_EN: 0
; COMPUTE_PGM_RSRC2:TIDIG_COMP_CNT: 0
	.section	.text._ZN7rocprim17ROCPRIM_400000_NS6detail17trampoline_kernelINS0_14default_configENS1_38merge_sort_block_merge_config_selectorIiiEEZZNS1_27merge_sort_block_merge_implIS3_N6thrust23THRUST_200600_302600_NS6detail15normal_iteratorINS8_10device_ptrIiEEEESD_jNS1_19radix_merge_compareILb1ELb1EiNS0_19identity_decomposerEEEEE10hipError_tT0_T1_T2_jT3_P12ihipStream_tbPNSt15iterator_traitsISI_E10value_typeEPNSO_ISJ_E10value_typeEPSK_NS1_7vsmem_tEENKUlT_SI_SJ_SK_E_clISD_PiSD_S10_EESH_SX_SI_SJ_SK_EUlSX_E1_NS1_11comp_targetILNS1_3genE3ELNS1_11target_archE908ELNS1_3gpuE7ELNS1_3repE0EEENS1_36merge_oddeven_config_static_selectorELNS0_4arch9wavefront6targetE0EEEvSJ_,"axG",@progbits,_ZN7rocprim17ROCPRIM_400000_NS6detail17trampoline_kernelINS0_14default_configENS1_38merge_sort_block_merge_config_selectorIiiEEZZNS1_27merge_sort_block_merge_implIS3_N6thrust23THRUST_200600_302600_NS6detail15normal_iteratorINS8_10device_ptrIiEEEESD_jNS1_19radix_merge_compareILb1ELb1EiNS0_19identity_decomposerEEEEE10hipError_tT0_T1_T2_jT3_P12ihipStream_tbPNSt15iterator_traitsISI_E10value_typeEPNSO_ISJ_E10value_typeEPSK_NS1_7vsmem_tEENKUlT_SI_SJ_SK_E_clISD_PiSD_S10_EESH_SX_SI_SJ_SK_EUlSX_E1_NS1_11comp_targetILNS1_3genE3ELNS1_11target_archE908ELNS1_3gpuE7ELNS1_3repE0EEENS1_36merge_oddeven_config_static_selectorELNS0_4arch9wavefront6targetE0EEEvSJ_,comdat
	.protected	_ZN7rocprim17ROCPRIM_400000_NS6detail17trampoline_kernelINS0_14default_configENS1_38merge_sort_block_merge_config_selectorIiiEEZZNS1_27merge_sort_block_merge_implIS3_N6thrust23THRUST_200600_302600_NS6detail15normal_iteratorINS8_10device_ptrIiEEEESD_jNS1_19radix_merge_compareILb1ELb1EiNS0_19identity_decomposerEEEEE10hipError_tT0_T1_T2_jT3_P12ihipStream_tbPNSt15iterator_traitsISI_E10value_typeEPNSO_ISJ_E10value_typeEPSK_NS1_7vsmem_tEENKUlT_SI_SJ_SK_E_clISD_PiSD_S10_EESH_SX_SI_SJ_SK_EUlSX_E1_NS1_11comp_targetILNS1_3genE3ELNS1_11target_archE908ELNS1_3gpuE7ELNS1_3repE0EEENS1_36merge_oddeven_config_static_selectorELNS0_4arch9wavefront6targetE0EEEvSJ_ ; -- Begin function _ZN7rocprim17ROCPRIM_400000_NS6detail17trampoline_kernelINS0_14default_configENS1_38merge_sort_block_merge_config_selectorIiiEEZZNS1_27merge_sort_block_merge_implIS3_N6thrust23THRUST_200600_302600_NS6detail15normal_iteratorINS8_10device_ptrIiEEEESD_jNS1_19radix_merge_compareILb1ELb1EiNS0_19identity_decomposerEEEEE10hipError_tT0_T1_T2_jT3_P12ihipStream_tbPNSt15iterator_traitsISI_E10value_typeEPNSO_ISJ_E10value_typeEPSK_NS1_7vsmem_tEENKUlT_SI_SJ_SK_E_clISD_PiSD_S10_EESH_SX_SI_SJ_SK_EUlSX_E1_NS1_11comp_targetILNS1_3genE3ELNS1_11target_archE908ELNS1_3gpuE7ELNS1_3repE0EEENS1_36merge_oddeven_config_static_selectorELNS0_4arch9wavefront6targetE0EEEvSJ_
	.globl	_ZN7rocprim17ROCPRIM_400000_NS6detail17trampoline_kernelINS0_14default_configENS1_38merge_sort_block_merge_config_selectorIiiEEZZNS1_27merge_sort_block_merge_implIS3_N6thrust23THRUST_200600_302600_NS6detail15normal_iteratorINS8_10device_ptrIiEEEESD_jNS1_19radix_merge_compareILb1ELb1EiNS0_19identity_decomposerEEEEE10hipError_tT0_T1_T2_jT3_P12ihipStream_tbPNSt15iterator_traitsISI_E10value_typeEPNSO_ISJ_E10value_typeEPSK_NS1_7vsmem_tEENKUlT_SI_SJ_SK_E_clISD_PiSD_S10_EESH_SX_SI_SJ_SK_EUlSX_E1_NS1_11comp_targetILNS1_3genE3ELNS1_11target_archE908ELNS1_3gpuE7ELNS1_3repE0EEENS1_36merge_oddeven_config_static_selectorELNS0_4arch9wavefront6targetE0EEEvSJ_
	.p2align	8
	.type	_ZN7rocprim17ROCPRIM_400000_NS6detail17trampoline_kernelINS0_14default_configENS1_38merge_sort_block_merge_config_selectorIiiEEZZNS1_27merge_sort_block_merge_implIS3_N6thrust23THRUST_200600_302600_NS6detail15normal_iteratorINS8_10device_ptrIiEEEESD_jNS1_19radix_merge_compareILb1ELb1EiNS0_19identity_decomposerEEEEE10hipError_tT0_T1_T2_jT3_P12ihipStream_tbPNSt15iterator_traitsISI_E10value_typeEPNSO_ISJ_E10value_typeEPSK_NS1_7vsmem_tEENKUlT_SI_SJ_SK_E_clISD_PiSD_S10_EESH_SX_SI_SJ_SK_EUlSX_E1_NS1_11comp_targetILNS1_3genE3ELNS1_11target_archE908ELNS1_3gpuE7ELNS1_3repE0EEENS1_36merge_oddeven_config_static_selectorELNS0_4arch9wavefront6targetE0EEEvSJ_,@function
_ZN7rocprim17ROCPRIM_400000_NS6detail17trampoline_kernelINS0_14default_configENS1_38merge_sort_block_merge_config_selectorIiiEEZZNS1_27merge_sort_block_merge_implIS3_N6thrust23THRUST_200600_302600_NS6detail15normal_iteratorINS8_10device_ptrIiEEEESD_jNS1_19radix_merge_compareILb1ELb1EiNS0_19identity_decomposerEEEEE10hipError_tT0_T1_T2_jT3_P12ihipStream_tbPNSt15iterator_traitsISI_E10value_typeEPNSO_ISJ_E10value_typeEPSK_NS1_7vsmem_tEENKUlT_SI_SJ_SK_E_clISD_PiSD_S10_EESH_SX_SI_SJ_SK_EUlSX_E1_NS1_11comp_targetILNS1_3genE3ELNS1_11target_archE908ELNS1_3gpuE7ELNS1_3repE0EEENS1_36merge_oddeven_config_static_selectorELNS0_4arch9wavefront6targetE0EEEvSJ_: ; @_ZN7rocprim17ROCPRIM_400000_NS6detail17trampoline_kernelINS0_14default_configENS1_38merge_sort_block_merge_config_selectorIiiEEZZNS1_27merge_sort_block_merge_implIS3_N6thrust23THRUST_200600_302600_NS6detail15normal_iteratorINS8_10device_ptrIiEEEESD_jNS1_19radix_merge_compareILb1ELb1EiNS0_19identity_decomposerEEEEE10hipError_tT0_T1_T2_jT3_P12ihipStream_tbPNSt15iterator_traitsISI_E10value_typeEPNSO_ISJ_E10value_typeEPSK_NS1_7vsmem_tEENKUlT_SI_SJ_SK_E_clISD_PiSD_S10_EESH_SX_SI_SJ_SK_EUlSX_E1_NS1_11comp_targetILNS1_3genE3ELNS1_11target_archE908ELNS1_3gpuE7ELNS1_3repE0EEENS1_36merge_oddeven_config_static_selectorELNS0_4arch9wavefront6targetE0EEEvSJ_
; %bb.0:
	.section	.rodata,"a",@progbits
	.p2align	6, 0x0
	.amdhsa_kernel _ZN7rocprim17ROCPRIM_400000_NS6detail17trampoline_kernelINS0_14default_configENS1_38merge_sort_block_merge_config_selectorIiiEEZZNS1_27merge_sort_block_merge_implIS3_N6thrust23THRUST_200600_302600_NS6detail15normal_iteratorINS8_10device_ptrIiEEEESD_jNS1_19radix_merge_compareILb1ELb1EiNS0_19identity_decomposerEEEEE10hipError_tT0_T1_T2_jT3_P12ihipStream_tbPNSt15iterator_traitsISI_E10value_typeEPNSO_ISJ_E10value_typeEPSK_NS1_7vsmem_tEENKUlT_SI_SJ_SK_E_clISD_PiSD_S10_EESH_SX_SI_SJ_SK_EUlSX_E1_NS1_11comp_targetILNS1_3genE3ELNS1_11target_archE908ELNS1_3gpuE7ELNS1_3repE0EEENS1_36merge_oddeven_config_static_selectorELNS0_4arch9wavefront6targetE0EEEvSJ_
		.amdhsa_group_segment_fixed_size 0
		.amdhsa_private_segment_fixed_size 0
		.amdhsa_kernarg_size 48
		.amdhsa_user_sgpr_count 6
		.amdhsa_user_sgpr_private_segment_buffer 1
		.amdhsa_user_sgpr_dispatch_ptr 0
		.amdhsa_user_sgpr_queue_ptr 0
		.amdhsa_user_sgpr_kernarg_segment_ptr 1
		.amdhsa_user_sgpr_dispatch_id 0
		.amdhsa_user_sgpr_flat_scratch_init 0
		.amdhsa_user_sgpr_private_segment_size 0
		.amdhsa_wavefront_size32 1
		.amdhsa_uses_dynamic_stack 0
		.amdhsa_system_sgpr_private_segment_wavefront_offset 0
		.amdhsa_system_sgpr_workgroup_id_x 1
		.amdhsa_system_sgpr_workgroup_id_y 0
		.amdhsa_system_sgpr_workgroup_id_z 0
		.amdhsa_system_sgpr_workgroup_info 0
		.amdhsa_system_vgpr_workitem_id 0
		.amdhsa_next_free_vgpr 1
		.amdhsa_next_free_sgpr 1
		.amdhsa_reserve_vcc 0
		.amdhsa_reserve_flat_scratch 0
		.amdhsa_float_round_mode_32 0
		.amdhsa_float_round_mode_16_64 0
		.amdhsa_float_denorm_mode_32 3
		.amdhsa_float_denorm_mode_16_64 3
		.amdhsa_dx10_clamp 1
		.amdhsa_ieee_mode 1
		.amdhsa_fp16_overflow 0
		.amdhsa_workgroup_processor_mode 1
		.amdhsa_memory_ordered 1
		.amdhsa_forward_progress 1
		.amdhsa_shared_vgpr_count 0
		.amdhsa_exception_fp_ieee_invalid_op 0
		.amdhsa_exception_fp_denorm_src 0
		.amdhsa_exception_fp_ieee_div_zero 0
		.amdhsa_exception_fp_ieee_overflow 0
		.amdhsa_exception_fp_ieee_underflow 0
		.amdhsa_exception_fp_ieee_inexact 0
		.amdhsa_exception_int_div_zero 0
	.end_amdhsa_kernel
	.section	.text._ZN7rocprim17ROCPRIM_400000_NS6detail17trampoline_kernelINS0_14default_configENS1_38merge_sort_block_merge_config_selectorIiiEEZZNS1_27merge_sort_block_merge_implIS3_N6thrust23THRUST_200600_302600_NS6detail15normal_iteratorINS8_10device_ptrIiEEEESD_jNS1_19radix_merge_compareILb1ELb1EiNS0_19identity_decomposerEEEEE10hipError_tT0_T1_T2_jT3_P12ihipStream_tbPNSt15iterator_traitsISI_E10value_typeEPNSO_ISJ_E10value_typeEPSK_NS1_7vsmem_tEENKUlT_SI_SJ_SK_E_clISD_PiSD_S10_EESH_SX_SI_SJ_SK_EUlSX_E1_NS1_11comp_targetILNS1_3genE3ELNS1_11target_archE908ELNS1_3gpuE7ELNS1_3repE0EEENS1_36merge_oddeven_config_static_selectorELNS0_4arch9wavefront6targetE0EEEvSJ_,"axG",@progbits,_ZN7rocprim17ROCPRIM_400000_NS6detail17trampoline_kernelINS0_14default_configENS1_38merge_sort_block_merge_config_selectorIiiEEZZNS1_27merge_sort_block_merge_implIS3_N6thrust23THRUST_200600_302600_NS6detail15normal_iteratorINS8_10device_ptrIiEEEESD_jNS1_19radix_merge_compareILb1ELb1EiNS0_19identity_decomposerEEEEE10hipError_tT0_T1_T2_jT3_P12ihipStream_tbPNSt15iterator_traitsISI_E10value_typeEPNSO_ISJ_E10value_typeEPSK_NS1_7vsmem_tEENKUlT_SI_SJ_SK_E_clISD_PiSD_S10_EESH_SX_SI_SJ_SK_EUlSX_E1_NS1_11comp_targetILNS1_3genE3ELNS1_11target_archE908ELNS1_3gpuE7ELNS1_3repE0EEENS1_36merge_oddeven_config_static_selectorELNS0_4arch9wavefront6targetE0EEEvSJ_,comdat
.Lfunc_end977:
	.size	_ZN7rocprim17ROCPRIM_400000_NS6detail17trampoline_kernelINS0_14default_configENS1_38merge_sort_block_merge_config_selectorIiiEEZZNS1_27merge_sort_block_merge_implIS3_N6thrust23THRUST_200600_302600_NS6detail15normal_iteratorINS8_10device_ptrIiEEEESD_jNS1_19radix_merge_compareILb1ELb1EiNS0_19identity_decomposerEEEEE10hipError_tT0_T1_T2_jT3_P12ihipStream_tbPNSt15iterator_traitsISI_E10value_typeEPNSO_ISJ_E10value_typeEPSK_NS1_7vsmem_tEENKUlT_SI_SJ_SK_E_clISD_PiSD_S10_EESH_SX_SI_SJ_SK_EUlSX_E1_NS1_11comp_targetILNS1_3genE3ELNS1_11target_archE908ELNS1_3gpuE7ELNS1_3repE0EEENS1_36merge_oddeven_config_static_selectorELNS0_4arch9wavefront6targetE0EEEvSJ_, .Lfunc_end977-_ZN7rocprim17ROCPRIM_400000_NS6detail17trampoline_kernelINS0_14default_configENS1_38merge_sort_block_merge_config_selectorIiiEEZZNS1_27merge_sort_block_merge_implIS3_N6thrust23THRUST_200600_302600_NS6detail15normal_iteratorINS8_10device_ptrIiEEEESD_jNS1_19radix_merge_compareILb1ELb1EiNS0_19identity_decomposerEEEEE10hipError_tT0_T1_T2_jT3_P12ihipStream_tbPNSt15iterator_traitsISI_E10value_typeEPNSO_ISJ_E10value_typeEPSK_NS1_7vsmem_tEENKUlT_SI_SJ_SK_E_clISD_PiSD_S10_EESH_SX_SI_SJ_SK_EUlSX_E1_NS1_11comp_targetILNS1_3genE3ELNS1_11target_archE908ELNS1_3gpuE7ELNS1_3repE0EEENS1_36merge_oddeven_config_static_selectorELNS0_4arch9wavefront6targetE0EEEvSJ_
                                        ; -- End function
	.set _ZN7rocprim17ROCPRIM_400000_NS6detail17trampoline_kernelINS0_14default_configENS1_38merge_sort_block_merge_config_selectorIiiEEZZNS1_27merge_sort_block_merge_implIS3_N6thrust23THRUST_200600_302600_NS6detail15normal_iteratorINS8_10device_ptrIiEEEESD_jNS1_19radix_merge_compareILb1ELb1EiNS0_19identity_decomposerEEEEE10hipError_tT0_T1_T2_jT3_P12ihipStream_tbPNSt15iterator_traitsISI_E10value_typeEPNSO_ISJ_E10value_typeEPSK_NS1_7vsmem_tEENKUlT_SI_SJ_SK_E_clISD_PiSD_S10_EESH_SX_SI_SJ_SK_EUlSX_E1_NS1_11comp_targetILNS1_3genE3ELNS1_11target_archE908ELNS1_3gpuE7ELNS1_3repE0EEENS1_36merge_oddeven_config_static_selectorELNS0_4arch9wavefront6targetE0EEEvSJ_.num_vgpr, 0
	.set _ZN7rocprim17ROCPRIM_400000_NS6detail17trampoline_kernelINS0_14default_configENS1_38merge_sort_block_merge_config_selectorIiiEEZZNS1_27merge_sort_block_merge_implIS3_N6thrust23THRUST_200600_302600_NS6detail15normal_iteratorINS8_10device_ptrIiEEEESD_jNS1_19radix_merge_compareILb1ELb1EiNS0_19identity_decomposerEEEEE10hipError_tT0_T1_T2_jT3_P12ihipStream_tbPNSt15iterator_traitsISI_E10value_typeEPNSO_ISJ_E10value_typeEPSK_NS1_7vsmem_tEENKUlT_SI_SJ_SK_E_clISD_PiSD_S10_EESH_SX_SI_SJ_SK_EUlSX_E1_NS1_11comp_targetILNS1_3genE3ELNS1_11target_archE908ELNS1_3gpuE7ELNS1_3repE0EEENS1_36merge_oddeven_config_static_selectorELNS0_4arch9wavefront6targetE0EEEvSJ_.num_agpr, 0
	.set _ZN7rocprim17ROCPRIM_400000_NS6detail17trampoline_kernelINS0_14default_configENS1_38merge_sort_block_merge_config_selectorIiiEEZZNS1_27merge_sort_block_merge_implIS3_N6thrust23THRUST_200600_302600_NS6detail15normal_iteratorINS8_10device_ptrIiEEEESD_jNS1_19radix_merge_compareILb1ELb1EiNS0_19identity_decomposerEEEEE10hipError_tT0_T1_T2_jT3_P12ihipStream_tbPNSt15iterator_traitsISI_E10value_typeEPNSO_ISJ_E10value_typeEPSK_NS1_7vsmem_tEENKUlT_SI_SJ_SK_E_clISD_PiSD_S10_EESH_SX_SI_SJ_SK_EUlSX_E1_NS1_11comp_targetILNS1_3genE3ELNS1_11target_archE908ELNS1_3gpuE7ELNS1_3repE0EEENS1_36merge_oddeven_config_static_selectorELNS0_4arch9wavefront6targetE0EEEvSJ_.numbered_sgpr, 0
	.set _ZN7rocprim17ROCPRIM_400000_NS6detail17trampoline_kernelINS0_14default_configENS1_38merge_sort_block_merge_config_selectorIiiEEZZNS1_27merge_sort_block_merge_implIS3_N6thrust23THRUST_200600_302600_NS6detail15normal_iteratorINS8_10device_ptrIiEEEESD_jNS1_19radix_merge_compareILb1ELb1EiNS0_19identity_decomposerEEEEE10hipError_tT0_T1_T2_jT3_P12ihipStream_tbPNSt15iterator_traitsISI_E10value_typeEPNSO_ISJ_E10value_typeEPSK_NS1_7vsmem_tEENKUlT_SI_SJ_SK_E_clISD_PiSD_S10_EESH_SX_SI_SJ_SK_EUlSX_E1_NS1_11comp_targetILNS1_3genE3ELNS1_11target_archE908ELNS1_3gpuE7ELNS1_3repE0EEENS1_36merge_oddeven_config_static_selectorELNS0_4arch9wavefront6targetE0EEEvSJ_.num_named_barrier, 0
	.set _ZN7rocprim17ROCPRIM_400000_NS6detail17trampoline_kernelINS0_14default_configENS1_38merge_sort_block_merge_config_selectorIiiEEZZNS1_27merge_sort_block_merge_implIS3_N6thrust23THRUST_200600_302600_NS6detail15normal_iteratorINS8_10device_ptrIiEEEESD_jNS1_19radix_merge_compareILb1ELb1EiNS0_19identity_decomposerEEEEE10hipError_tT0_T1_T2_jT3_P12ihipStream_tbPNSt15iterator_traitsISI_E10value_typeEPNSO_ISJ_E10value_typeEPSK_NS1_7vsmem_tEENKUlT_SI_SJ_SK_E_clISD_PiSD_S10_EESH_SX_SI_SJ_SK_EUlSX_E1_NS1_11comp_targetILNS1_3genE3ELNS1_11target_archE908ELNS1_3gpuE7ELNS1_3repE0EEENS1_36merge_oddeven_config_static_selectorELNS0_4arch9wavefront6targetE0EEEvSJ_.private_seg_size, 0
	.set _ZN7rocprim17ROCPRIM_400000_NS6detail17trampoline_kernelINS0_14default_configENS1_38merge_sort_block_merge_config_selectorIiiEEZZNS1_27merge_sort_block_merge_implIS3_N6thrust23THRUST_200600_302600_NS6detail15normal_iteratorINS8_10device_ptrIiEEEESD_jNS1_19radix_merge_compareILb1ELb1EiNS0_19identity_decomposerEEEEE10hipError_tT0_T1_T2_jT3_P12ihipStream_tbPNSt15iterator_traitsISI_E10value_typeEPNSO_ISJ_E10value_typeEPSK_NS1_7vsmem_tEENKUlT_SI_SJ_SK_E_clISD_PiSD_S10_EESH_SX_SI_SJ_SK_EUlSX_E1_NS1_11comp_targetILNS1_3genE3ELNS1_11target_archE908ELNS1_3gpuE7ELNS1_3repE0EEENS1_36merge_oddeven_config_static_selectorELNS0_4arch9wavefront6targetE0EEEvSJ_.uses_vcc, 0
	.set _ZN7rocprim17ROCPRIM_400000_NS6detail17trampoline_kernelINS0_14default_configENS1_38merge_sort_block_merge_config_selectorIiiEEZZNS1_27merge_sort_block_merge_implIS3_N6thrust23THRUST_200600_302600_NS6detail15normal_iteratorINS8_10device_ptrIiEEEESD_jNS1_19radix_merge_compareILb1ELb1EiNS0_19identity_decomposerEEEEE10hipError_tT0_T1_T2_jT3_P12ihipStream_tbPNSt15iterator_traitsISI_E10value_typeEPNSO_ISJ_E10value_typeEPSK_NS1_7vsmem_tEENKUlT_SI_SJ_SK_E_clISD_PiSD_S10_EESH_SX_SI_SJ_SK_EUlSX_E1_NS1_11comp_targetILNS1_3genE3ELNS1_11target_archE908ELNS1_3gpuE7ELNS1_3repE0EEENS1_36merge_oddeven_config_static_selectorELNS0_4arch9wavefront6targetE0EEEvSJ_.uses_flat_scratch, 0
	.set _ZN7rocprim17ROCPRIM_400000_NS6detail17trampoline_kernelINS0_14default_configENS1_38merge_sort_block_merge_config_selectorIiiEEZZNS1_27merge_sort_block_merge_implIS3_N6thrust23THRUST_200600_302600_NS6detail15normal_iteratorINS8_10device_ptrIiEEEESD_jNS1_19radix_merge_compareILb1ELb1EiNS0_19identity_decomposerEEEEE10hipError_tT0_T1_T2_jT3_P12ihipStream_tbPNSt15iterator_traitsISI_E10value_typeEPNSO_ISJ_E10value_typeEPSK_NS1_7vsmem_tEENKUlT_SI_SJ_SK_E_clISD_PiSD_S10_EESH_SX_SI_SJ_SK_EUlSX_E1_NS1_11comp_targetILNS1_3genE3ELNS1_11target_archE908ELNS1_3gpuE7ELNS1_3repE0EEENS1_36merge_oddeven_config_static_selectorELNS0_4arch9wavefront6targetE0EEEvSJ_.has_dyn_sized_stack, 0
	.set _ZN7rocprim17ROCPRIM_400000_NS6detail17trampoline_kernelINS0_14default_configENS1_38merge_sort_block_merge_config_selectorIiiEEZZNS1_27merge_sort_block_merge_implIS3_N6thrust23THRUST_200600_302600_NS6detail15normal_iteratorINS8_10device_ptrIiEEEESD_jNS1_19radix_merge_compareILb1ELb1EiNS0_19identity_decomposerEEEEE10hipError_tT0_T1_T2_jT3_P12ihipStream_tbPNSt15iterator_traitsISI_E10value_typeEPNSO_ISJ_E10value_typeEPSK_NS1_7vsmem_tEENKUlT_SI_SJ_SK_E_clISD_PiSD_S10_EESH_SX_SI_SJ_SK_EUlSX_E1_NS1_11comp_targetILNS1_3genE3ELNS1_11target_archE908ELNS1_3gpuE7ELNS1_3repE0EEENS1_36merge_oddeven_config_static_selectorELNS0_4arch9wavefront6targetE0EEEvSJ_.has_recursion, 0
	.set _ZN7rocprim17ROCPRIM_400000_NS6detail17trampoline_kernelINS0_14default_configENS1_38merge_sort_block_merge_config_selectorIiiEEZZNS1_27merge_sort_block_merge_implIS3_N6thrust23THRUST_200600_302600_NS6detail15normal_iteratorINS8_10device_ptrIiEEEESD_jNS1_19radix_merge_compareILb1ELb1EiNS0_19identity_decomposerEEEEE10hipError_tT0_T1_T2_jT3_P12ihipStream_tbPNSt15iterator_traitsISI_E10value_typeEPNSO_ISJ_E10value_typeEPSK_NS1_7vsmem_tEENKUlT_SI_SJ_SK_E_clISD_PiSD_S10_EESH_SX_SI_SJ_SK_EUlSX_E1_NS1_11comp_targetILNS1_3genE3ELNS1_11target_archE908ELNS1_3gpuE7ELNS1_3repE0EEENS1_36merge_oddeven_config_static_selectorELNS0_4arch9wavefront6targetE0EEEvSJ_.has_indirect_call, 0
	.section	.AMDGPU.csdata,"",@progbits
; Kernel info:
; codeLenInByte = 0
; TotalNumSgprs: 0
; NumVgprs: 0
; ScratchSize: 0
; MemoryBound: 0
; FloatMode: 240
; IeeeMode: 1
; LDSByteSize: 0 bytes/workgroup (compile time only)
; SGPRBlocks: 0
; VGPRBlocks: 0
; NumSGPRsForWavesPerEU: 1
; NumVGPRsForWavesPerEU: 1
; Occupancy: 16
; WaveLimiterHint : 0
; COMPUTE_PGM_RSRC2:SCRATCH_EN: 0
; COMPUTE_PGM_RSRC2:USER_SGPR: 6
; COMPUTE_PGM_RSRC2:TRAP_HANDLER: 0
; COMPUTE_PGM_RSRC2:TGID_X_EN: 1
; COMPUTE_PGM_RSRC2:TGID_Y_EN: 0
; COMPUTE_PGM_RSRC2:TGID_Z_EN: 0
; COMPUTE_PGM_RSRC2:TIDIG_COMP_CNT: 0
	.section	.text._ZN7rocprim17ROCPRIM_400000_NS6detail17trampoline_kernelINS0_14default_configENS1_38merge_sort_block_merge_config_selectorIiiEEZZNS1_27merge_sort_block_merge_implIS3_N6thrust23THRUST_200600_302600_NS6detail15normal_iteratorINS8_10device_ptrIiEEEESD_jNS1_19radix_merge_compareILb1ELb1EiNS0_19identity_decomposerEEEEE10hipError_tT0_T1_T2_jT3_P12ihipStream_tbPNSt15iterator_traitsISI_E10value_typeEPNSO_ISJ_E10value_typeEPSK_NS1_7vsmem_tEENKUlT_SI_SJ_SK_E_clISD_PiSD_S10_EESH_SX_SI_SJ_SK_EUlSX_E1_NS1_11comp_targetILNS1_3genE2ELNS1_11target_archE906ELNS1_3gpuE6ELNS1_3repE0EEENS1_36merge_oddeven_config_static_selectorELNS0_4arch9wavefront6targetE0EEEvSJ_,"axG",@progbits,_ZN7rocprim17ROCPRIM_400000_NS6detail17trampoline_kernelINS0_14default_configENS1_38merge_sort_block_merge_config_selectorIiiEEZZNS1_27merge_sort_block_merge_implIS3_N6thrust23THRUST_200600_302600_NS6detail15normal_iteratorINS8_10device_ptrIiEEEESD_jNS1_19radix_merge_compareILb1ELb1EiNS0_19identity_decomposerEEEEE10hipError_tT0_T1_T2_jT3_P12ihipStream_tbPNSt15iterator_traitsISI_E10value_typeEPNSO_ISJ_E10value_typeEPSK_NS1_7vsmem_tEENKUlT_SI_SJ_SK_E_clISD_PiSD_S10_EESH_SX_SI_SJ_SK_EUlSX_E1_NS1_11comp_targetILNS1_3genE2ELNS1_11target_archE906ELNS1_3gpuE6ELNS1_3repE0EEENS1_36merge_oddeven_config_static_selectorELNS0_4arch9wavefront6targetE0EEEvSJ_,comdat
	.protected	_ZN7rocprim17ROCPRIM_400000_NS6detail17trampoline_kernelINS0_14default_configENS1_38merge_sort_block_merge_config_selectorIiiEEZZNS1_27merge_sort_block_merge_implIS3_N6thrust23THRUST_200600_302600_NS6detail15normal_iteratorINS8_10device_ptrIiEEEESD_jNS1_19radix_merge_compareILb1ELb1EiNS0_19identity_decomposerEEEEE10hipError_tT0_T1_T2_jT3_P12ihipStream_tbPNSt15iterator_traitsISI_E10value_typeEPNSO_ISJ_E10value_typeEPSK_NS1_7vsmem_tEENKUlT_SI_SJ_SK_E_clISD_PiSD_S10_EESH_SX_SI_SJ_SK_EUlSX_E1_NS1_11comp_targetILNS1_3genE2ELNS1_11target_archE906ELNS1_3gpuE6ELNS1_3repE0EEENS1_36merge_oddeven_config_static_selectorELNS0_4arch9wavefront6targetE0EEEvSJ_ ; -- Begin function _ZN7rocprim17ROCPRIM_400000_NS6detail17trampoline_kernelINS0_14default_configENS1_38merge_sort_block_merge_config_selectorIiiEEZZNS1_27merge_sort_block_merge_implIS3_N6thrust23THRUST_200600_302600_NS6detail15normal_iteratorINS8_10device_ptrIiEEEESD_jNS1_19radix_merge_compareILb1ELb1EiNS0_19identity_decomposerEEEEE10hipError_tT0_T1_T2_jT3_P12ihipStream_tbPNSt15iterator_traitsISI_E10value_typeEPNSO_ISJ_E10value_typeEPSK_NS1_7vsmem_tEENKUlT_SI_SJ_SK_E_clISD_PiSD_S10_EESH_SX_SI_SJ_SK_EUlSX_E1_NS1_11comp_targetILNS1_3genE2ELNS1_11target_archE906ELNS1_3gpuE6ELNS1_3repE0EEENS1_36merge_oddeven_config_static_selectorELNS0_4arch9wavefront6targetE0EEEvSJ_
	.globl	_ZN7rocprim17ROCPRIM_400000_NS6detail17trampoline_kernelINS0_14default_configENS1_38merge_sort_block_merge_config_selectorIiiEEZZNS1_27merge_sort_block_merge_implIS3_N6thrust23THRUST_200600_302600_NS6detail15normal_iteratorINS8_10device_ptrIiEEEESD_jNS1_19radix_merge_compareILb1ELb1EiNS0_19identity_decomposerEEEEE10hipError_tT0_T1_T2_jT3_P12ihipStream_tbPNSt15iterator_traitsISI_E10value_typeEPNSO_ISJ_E10value_typeEPSK_NS1_7vsmem_tEENKUlT_SI_SJ_SK_E_clISD_PiSD_S10_EESH_SX_SI_SJ_SK_EUlSX_E1_NS1_11comp_targetILNS1_3genE2ELNS1_11target_archE906ELNS1_3gpuE6ELNS1_3repE0EEENS1_36merge_oddeven_config_static_selectorELNS0_4arch9wavefront6targetE0EEEvSJ_
	.p2align	8
	.type	_ZN7rocprim17ROCPRIM_400000_NS6detail17trampoline_kernelINS0_14default_configENS1_38merge_sort_block_merge_config_selectorIiiEEZZNS1_27merge_sort_block_merge_implIS3_N6thrust23THRUST_200600_302600_NS6detail15normal_iteratorINS8_10device_ptrIiEEEESD_jNS1_19radix_merge_compareILb1ELb1EiNS0_19identity_decomposerEEEEE10hipError_tT0_T1_T2_jT3_P12ihipStream_tbPNSt15iterator_traitsISI_E10value_typeEPNSO_ISJ_E10value_typeEPSK_NS1_7vsmem_tEENKUlT_SI_SJ_SK_E_clISD_PiSD_S10_EESH_SX_SI_SJ_SK_EUlSX_E1_NS1_11comp_targetILNS1_3genE2ELNS1_11target_archE906ELNS1_3gpuE6ELNS1_3repE0EEENS1_36merge_oddeven_config_static_selectorELNS0_4arch9wavefront6targetE0EEEvSJ_,@function
_ZN7rocprim17ROCPRIM_400000_NS6detail17trampoline_kernelINS0_14default_configENS1_38merge_sort_block_merge_config_selectorIiiEEZZNS1_27merge_sort_block_merge_implIS3_N6thrust23THRUST_200600_302600_NS6detail15normal_iteratorINS8_10device_ptrIiEEEESD_jNS1_19radix_merge_compareILb1ELb1EiNS0_19identity_decomposerEEEEE10hipError_tT0_T1_T2_jT3_P12ihipStream_tbPNSt15iterator_traitsISI_E10value_typeEPNSO_ISJ_E10value_typeEPSK_NS1_7vsmem_tEENKUlT_SI_SJ_SK_E_clISD_PiSD_S10_EESH_SX_SI_SJ_SK_EUlSX_E1_NS1_11comp_targetILNS1_3genE2ELNS1_11target_archE906ELNS1_3gpuE6ELNS1_3repE0EEENS1_36merge_oddeven_config_static_selectorELNS0_4arch9wavefront6targetE0EEEvSJ_: ; @_ZN7rocprim17ROCPRIM_400000_NS6detail17trampoline_kernelINS0_14default_configENS1_38merge_sort_block_merge_config_selectorIiiEEZZNS1_27merge_sort_block_merge_implIS3_N6thrust23THRUST_200600_302600_NS6detail15normal_iteratorINS8_10device_ptrIiEEEESD_jNS1_19radix_merge_compareILb1ELb1EiNS0_19identity_decomposerEEEEE10hipError_tT0_T1_T2_jT3_P12ihipStream_tbPNSt15iterator_traitsISI_E10value_typeEPNSO_ISJ_E10value_typeEPSK_NS1_7vsmem_tEENKUlT_SI_SJ_SK_E_clISD_PiSD_S10_EESH_SX_SI_SJ_SK_EUlSX_E1_NS1_11comp_targetILNS1_3genE2ELNS1_11target_archE906ELNS1_3gpuE6ELNS1_3repE0EEENS1_36merge_oddeven_config_static_selectorELNS0_4arch9wavefront6targetE0EEEvSJ_
; %bb.0:
	.section	.rodata,"a",@progbits
	.p2align	6, 0x0
	.amdhsa_kernel _ZN7rocprim17ROCPRIM_400000_NS6detail17trampoline_kernelINS0_14default_configENS1_38merge_sort_block_merge_config_selectorIiiEEZZNS1_27merge_sort_block_merge_implIS3_N6thrust23THRUST_200600_302600_NS6detail15normal_iteratorINS8_10device_ptrIiEEEESD_jNS1_19radix_merge_compareILb1ELb1EiNS0_19identity_decomposerEEEEE10hipError_tT0_T1_T2_jT3_P12ihipStream_tbPNSt15iterator_traitsISI_E10value_typeEPNSO_ISJ_E10value_typeEPSK_NS1_7vsmem_tEENKUlT_SI_SJ_SK_E_clISD_PiSD_S10_EESH_SX_SI_SJ_SK_EUlSX_E1_NS1_11comp_targetILNS1_3genE2ELNS1_11target_archE906ELNS1_3gpuE6ELNS1_3repE0EEENS1_36merge_oddeven_config_static_selectorELNS0_4arch9wavefront6targetE0EEEvSJ_
		.amdhsa_group_segment_fixed_size 0
		.amdhsa_private_segment_fixed_size 0
		.amdhsa_kernarg_size 48
		.amdhsa_user_sgpr_count 6
		.amdhsa_user_sgpr_private_segment_buffer 1
		.amdhsa_user_sgpr_dispatch_ptr 0
		.amdhsa_user_sgpr_queue_ptr 0
		.amdhsa_user_sgpr_kernarg_segment_ptr 1
		.amdhsa_user_sgpr_dispatch_id 0
		.amdhsa_user_sgpr_flat_scratch_init 0
		.amdhsa_user_sgpr_private_segment_size 0
		.amdhsa_wavefront_size32 1
		.amdhsa_uses_dynamic_stack 0
		.amdhsa_system_sgpr_private_segment_wavefront_offset 0
		.amdhsa_system_sgpr_workgroup_id_x 1
		.amdhsa_system_sgpr_workgroup_id_y 0
		.amdhsa_system_sgpr_workgroup_id_z 0
		.amdhsa_system_sgpr_workgroup_info 0
		.amdhsa_system_vgpr_workitem_id 0
		.amdhsa_next_free_vgpr 1
		.amdhsa_next_free_sgpr 1
		.amdhsa_reserve_vcc 0
		.amdhsa_reserve_flat_scratch 0
		.amdhsa_float_round_mode_32 0
		.amdhsa_float_round_mode_16_64 0
		.amdhsa_float_denorm_mode_32 3
		.amdhsa_float_denorm_mode_16_64 3
		.amdhsa_dx10_clamp 1
		.amdhsa_ieee_mode 1
		.amdhsa_fp16_overflow 0
		.amdhsa_workgroup_processor_mode 1
		.amdhsa_memory_ordered 1
		.amdhsa_forward_progress 1
		.amdhsa_shared_vgpr_count 0
		.amdhsa_exception_fp_ieee_invalid_op 0
		.amdhsa_exception_fp_denorm_src 0
		.amdhsa_exception_fp_ieee_div_zero 0
		.amdhsa_exception_fp_ieee_overflow 0
		.amdhsa_exception_fp_ieee_underflow 0
		.amdhsa_exception_fp_ieee_inexact 0
		.amdhsa_exception_int_div_zero 0
	.end_amdhsa_kernel
	.section	.text._ZN7rocprim17ROCPRIM_400000_NS6detail17trampoline_kernelINS0_14default_configENS1_38merge_sort_block_merge_config_selectorIiiEEZZNS1_27merge_sort_block_merge_implIS3_N6thrust23THRUST_200600_302600_NS6detail15normal_iteratorINS8_10device_ptrIiEEEESD_jNS1_19radix_merge_compareILb1ELb1EiNS0_19identity_decomposerEEEEE10hipError_tT0_T1_T2_jT3_P12ihipStream_tbPNSt15iterator_traitsISI_E10value_typeEPNSO_ISJ_E10value_typeEPSK_NS1_7vsmem_tEENKUlT_SI_SJ_SK_E_clISD_PiSD_S10_EESH_SX_SI_SJ_SK_EUlSX_E1_NS1_11comp_targetILNS1_3genE2ELNS1_11target_archE906ELNS1_3gpuE6ELNS1_3repE0EEENS1_36merge_oddeven_config_static_selectorELNS0_4arch9wavefront6targetE0EEEvSJ_,"axG",@progbits,_ZN7rocprim17ROCPRIM_400000_NS6detail17trampoline_kernelINS0_14default_configENS1_38merge_sort_block_merge_config_selectorIiiEEZZNS1_27merge_sort_block_merge_implIS3_N6thrust23THRUST_200600_302600_NS6detail15normal_iteratorINS8_10device_ptrIiEEEESD_jNS1_19radix_merge_compareILb1ELb1EiNS0_19identity_decomposerEEEEE10hipError_tT0_T1_T2_jT3_P12ihipStream_tbPNSt15iterator_traitsISI_E10value_typeEPNSO_ISJ_E10value_typeEPSK_NS1_7vsmem_tEENKUlT_SI_SJ_SK_E_clISD_PiSD_S10_EESH_SX_SI_SJ_SK_EUlSX_E1_NS1_11comp_targetILNS1_3genE2ELNS1_11target_archE906ELNS1_3gpuE6ELNS1_3repE0EEENS1_36merge_oddeven_config_static_selectorELNS0_4arch9wavefront6targetE0EEEvSJ_,comdat
.Lfunc_end978:
	.size	_ZN7rocprim17ROCPRIM_400000_NS6detail17trampoline_kernelINS0_14default_configENS1_38merge_sort_block_merge_config_selectorIiiEEZZNS1_27merge_sort_block_merge_implIS3_N6thrust23THRUST_200600_302600_NS6detail15normal_iteratorINS8_10device_ptrIiEEEESD_jNS1_19radix_merge_compareILb1ELb1EiNS0_19identity_decomposerEEEEE10hipError_tT0_T1_T2_jT3_P12ihipStream_tbPNSt15iterator_traitsISI_E10value_typeEPNSO_ISJ_E10value_typeEPSK_NS1_7vsmem_tEENKUlT_SI_SJ_SK_E_clISD_PiSD_S10_EESH_SX_SI_SJ_SK_EUlSX_E1_NS1_11comp_targetILNS1_3genE2ELNS1_11target_archE906ELNS1_3gpuE6ELNS1_3repE0EEENS1_36merge_oddeven_config_static_selectorELNS0_4arch9wavefront6targetE0EEEvSJ_, .Lfunc_end978-_ZN7rocprim17ROCPRIM_400000_NS6detail17trampoline_kernelINS0_14default_configENS1_38merge_sort_block_merge_config_selectorIiiEEZZNS1_27merge_sort_block_merge_implIS3_N6thrust23THRUST_200600_302600_NS6detail15normal_iteratorINS8_10device_ptrIiEEEESD_jNS1_19radix_merge_compareILb1ELb1EiNS0_19identity_decomposerEEEEE10hipError_tT0_T1_T2_jT3_P12ihipStream_tbPNSt15iterator_traitsISI_E10value_typeEPNSO_ISJ_E10value_typeEPSK_NS1_7vsmem_tEENKUlT_SI_SJ_SK_E_clISD_PiSD_S10_EESH_SX_SI_SJ_SK_EUlSX_E1_NS1_11comp_targetILNS1_3genE2ELNS1_11target_archE906ELNS1_3gpuE6ELNS1_3repE0EEENS1_36merge_oddeven_config_static_selectorELNS0_4arch9wavefront6targetE0EEEvSJ_
                                        ; -- End function
	.set _ZN7rocprim17ROCPRIM_400000_NS6detail17trampoline_kernelINS0_14default_configENS1_38merge_sort_block_merge_config_selectorIiiEEZZNS1_27merge_sort_block_merge_implIS3_N6thrust23THRUST_200600_302600_NS6detail15normal_iteratorINS8_10device_ptrIiEEEESD_jNS1_19radix_merge_compareILb1ELb1EiNS0_19identity_decomposerEEEEE10hipError_tT0_T1_T2_jT3_P12ihipStream_tbPNSt15iterator_traitsISI_E10value_typeEPNSO_ISJ_E10value_typeEPSK_NS1_7vsmem_tEENKUlT_SI_SJ_SK_E_clISD_PiSD_S10_EESH_SX_SI_SJ_SK_EUlSX_E1_NS1_11comp_targetILNS1_3genE2ELNS1_11target_archE906ELNS1_3gpuE6ELNS1_3repE0EEENS1_36merge_oddeven_config_static_selectorELNS0_4arch9wavefront6targetE0EEEvSJ_.num_vgpr, 0
	.set _ZN7rocprim17ROCPRIM_400000_NS6detail17trampoline_kernelINS0_14default_configENS1_38merge_sort_block_merge_config_selectorIiiEEZZNS1_27merge_sort_block_merge_implIS3_N6thrust23THRUST_200600_302600_NS6detail15normal_iteratorINS8_10device_ptrIiEEEESD_jNS1_19radix_merge_compareILb1ELb1EiNS0_19identity_decomposerEEEEE10hipError_tT0_T1_T2_jT3_P12ihipStream_tbPNSt15iterator_traitsISI_E10value_typeEPNSO_ISJ_E10value_typeEPSK_NS1_7vsmem_tEENKUlT_SI_SJ_SK_E_clISD_PiSD_S10_EESH_SX_SI_SJ_SK_EUlSX_E1_NS1_11comp_targetILNS1_3genE2ELNS1_11target_archE906ELNS1_3gpuE6ELNS1_3repE0EEENS1_36merge_oddeven_config_static_selectorELNS0_4arch9wavefront6targetE0EEEvSJ_.num_agpr, 0
	.set _ZN7rocprim17ROCPRIM_400000_NS6detail17trampoline_kernelINS0_14default_configENS1_38merge_sort_block_merge_config_selectorIiiEEZZNS1_27merge_sort_block_merge_implIS3_N6thrust23THRUST_200600_302600_NS6detail15normal_iteratorINS8_10device_ptrIiEEEESD_jNS1_19radix_merge_compareILb1ELb1EiNS0_19identity_decomposerEEEEE10hipError_tT0_T1_T2_jT3_P12ihipStream_tbPNSt15iterator_traitsISI_E10value_typeEPNSO_ISJ_E10value_typeEPSK_NS1_7vsmem_tEENKUlT_SI_SJ_SK_E_clISD_PiSD_S10_EESH_SX_SI_SJ_SK_EUlSX_E1_NS1_11comp_targetILNS1_3genE2ELNS1_11target_archE906ELNS1_3gpuE6ELNS1_3repE0EEENS1_36merge_oddeven_config_static_selectorELNS0_4arch9wavefront6targetE0EEEvSJ_.numbered_sgpr, 0
	.set _ZN7rocprim17ROCPRIM_400000_NS6detail17trampoline_kernelINS0_14default_configENS1_38merge_sort_block_merge_config_selectorIiiEEZZNS1_27merge_sort_block_merge_implIS3_N6thrust23THRUST_200600_302600_NS6detail15normal_iteratorINS8_10device_ptrIiEEEESD_jNS1_19radix_merge_compareILb1ELb1EiNS0_19identity_decomposerEEEEE10hipError_tT0_T1_T2_jT3_P12ihipStream_tbPNSt15iterator_traitsISI_E10value_typeEPNSO_ISJ_E10value_typeEPSK_NS1_7vsmem_tEENKUlT_SI_SJ_SK_E_clISD_PiSD_S10_EESH_SX_SI_SJ_SK_EUlSX_E1_NS1_11comp_targetILNS1_3genE2ELNS1_11target_archE906ELNS1_3gpuE6ELNS1_3repE0EEENS1_36merge_oddeven_config_static_selectorELNS0_4arch9wavefront6targetE0EEEvSJ_.num_named_barrier, 0
	.set _ZN7rocprim17ROCPRIM_400000_NS6detail17trampoline_kernelINS0_14default_configENS1_38merge_sort_block_merge_config_selectorIiiEEZZNS1_27merge_sort_block_merge_implIS3_N6thrust23THRUST_200600_302600_NS6detail15normal_iteratorINS8_10device_ptrIiEEEESD_jNS1_19radix_merge_compareILb1ELb1EiNS0_19identity_decomposerEEEEE10hipError_tT0_T1_T2_jT3_P12ihipStream_tbPNSt15iterator_traitsISI_E10value_typeEPNSO_ISJ_E10value_typeEPSK_NS1_7vsmem_tEENKUlT_SI_SJ_SK_E_clISD_PiSD_S10_EESH_SX_SI_SJ_SK_EUlSX_E1_NS1_11comp_targetILNS1_3genE2ELNS1_11target_archE906ELNS1_3gpuE6ELNS1_3repE0EEENS1_36merge_oddeven_config_static_selectorELNS0_4arch9wavefront6targetE0EEEvSJ_.private_seg_size, 0
	.set _ZN7rocprim17ROCPRIM_400000_NS6detail17trampoline_kernelINS0_14default_configENS1_38merge_sort_block_merge_config_selectorIiiEEZZNS1_27merge_sort_block_merge_implIS3_N6thrust23THRUST_200600_302600_NS6detail15normal_iteratorINS8_10device_ptrIiEEEESD_jNS1_19radix_merge_compareILb1ELb1EiNS0_19identity_decomposerEEEEE10hipError_tT0_T1_T2_jT3_P12ihipStream_tbPNSt15iterator_traitsISI_E10value_typeEPNSO_ISJ_E10value_typeEPSK_NS1_7vsmem_tEENKUlT_SI_SJ_SK_E_clISD_PiSD_S10_EESH_SX_SI_SJ_SK_EUlSX_E1_NS1_11comp_targetILNS1_3genE2ELNS1_11target_archE906ELNS1_3gpuE6ELNS1_3repE0EEENS1_36merge_oddeven_config_static_selectorELNS0_4arch9wavefront6targetE0EEEvSJ_.uses_vcc, 0
	.set _ZN7rocprim17ROCPRIM_400000_NS6detail17trampoline_kernelINS0_14default_configENS1_38merge_sort_block_merge_config_selectorIiiEEZZNS1_27merge_sort_block_merge_implIS3_N6thrust23THRUST_200600_302600_NS6detail15normal_iteratorINS8_10device_ptrIiEEEESD_jNS1_19radix_merge_compareILb1ELb1EiNS0_19identity_decomposerEEEEE10hipError_tT0_T1_T2_jT3_P12ihipStream_tbPNSt15iterator_traitsISI_E10value_typeEPNSO_ISJ_E10value_typeEPSK_NS1_7vsmem_tEENKUlT_SI_SJ_SK_E_clISD_PiSD_S10_EESH_SX_SI_SJ_SK_EUlSX_E1_NS1_11comp_targetILNS1_3genE2ELNS1_11target_archE906ELNS1_3gpuE6ELNS1_3repE0EEENS1_36merge_oddeven_config_static_selectorELNS0_4arch9wavefront6targetE0EEEvSJ_.uses_flat_scratch, 0
	.set _ZN7rocprim17ROCPRIM_400000_NS6detail17trampoline_kernelINS0_14default_configENS1_38merge_sort_block_merge_config_selectorIiiEEZZNS1_27merge_sort_block_merge_implIS3_N6thrust23THRUST_200600_302600_NS6detail15normal_iteratorINS8_10device_ptrIiEEEESD_jNS1_19radix_merge_compareILb1ELb1EiNS0_19identity_decomposerEEEEE10hipError_tT0_T1_T2_jT3_P12ihipStream_tbPNSt15iterator_traitsISI_E10value_typeEPNSO_ISJ_E10value_typeEPSK_NS1_7vsmem_tEENKUlT_SI_SJ_SK_E_clISD_PiSD_S10_EESH_SX_SI_SJ_SK_EUlSX_E1_NS1_11comp_targetILNS1_3genE2ELNS1_11target_archE906ELNS1_3gpuE6ELNS1_3repE0EEENS1_36merge_oddeven_config_static_selectorELNS0_4arch9wavefront6targetE0EEEvSJ_.has_dyn_sized_stack, 0
	.set _ZN7rocprim17ROCPRIM_400000_NS6detail17trampoline_kernelINS0_14default_configENS1_38merge_sort_block_merge_config_selectorIiiEEZZNS1_27merge_sort_block_merge_implIS3_N6thrust23THRUST_200600_302600_NS6detail15normal_iteratorINS8_10device_ptrIiEEEESD_jNS1_19radix_merge_compareILb1ELb1EiNS0_19identity_decomposerEEEEE10hipError_tT0_T1_T2_jT3_P12ihipStream_tbPNSt15iterator_traitsISI_E10value_typeEPNSO_ISJ_E10value_typeEPSK_NS1_7vsmem_tEENKUlT_SI_SJ_SK_E_clISD_PiSD_S10_EESH_SX_SI_SJ_SK_EUlSX_E1_NS1_11comp_targetILNS1_3genE2ELNS1_11target_archE906ELNS1_3gpuE6ELNS1_3repE0EEENS1_36merge_oddeven_config_static_selectorELNS0_4arch9wavefront6targetE0EEEvSJ_.has_recursion, 0
	.set _ZN7rocprim17ROCPRIM_400000_NS6detail17trampoline_kernelINS0_14default_configENS1_38merge_sort_block_merge_config_selectorIiiEEZZNS1_27merge_sort_block_merge_implIS3_N6thrust23THRUST_200600_302600_NS6detail15normal_iteratorINS8_10device_ptrIiEEEESD_jNS1_19radix_merge_compareILb1ELb1EiNS0_19identity_decomposerEEEEE10hipError_tT0_T1_T2_jT3_P12ihipStream_tbPNSt15iterator_traitsISI_E10value_typeEPNSO_ISJ_E10value_typeEPSK_NS1_7vsmem_tEENKUlT_SI_SJ_SK_E_clISD_PiSD_S10_EESH_SX_SI_SJ_SK_EUlSX_E1_NS1_11comp_targetILNS1_3genE2ELNS1_11target_archE906ELNS1_3gpuE6ELNS1_3repE0EEENS1_36merge_oddeven_config_static_selectorELNS0_4arch9wavefront6targetE0EEEvSJ_.has_indirect_call, 0
	.section	.AMDGPU.csdata,"",@progbits
; Kernel info:
; codeLenInByte = 0
; TotalNumSgprs: 0
; NumVgprs: 0
; ScratchSize: 0
; MemoryBound: 0
; FloatMode: 240
; IeeeMode: 1
; LDSByteSize: 0 bytes/workgroup (compile time only)
; SGPRBlocks: 0
; VGPRBlocks: 0
; NumSGPRsForWavesPerEU: 1
; NumVGPRsForWavesPerEU: 1
; Occupancy: 16
; WaveLimiterHint : 0
; COMPUTE_PGM_RSRC2:SCRATCH_EN: 0
; COMPUTE_PGM_RSRC2:USER_SGPR: 6
; COMPUTE_PGM_RSRC2:TRAP_HANDLER: 0
; COMPUTE_PGM_RSRC2:TGID_X_EN: 1
; COMPUTE_PGM_RSRC2:TGID_Y_EN: 0
; COMPUTE_PGM_RSRC2:TGID_Z_EN: 0
; COMPUTE_PGM_RSRC2:TIDIG_COMP_CNT: 0
	.section	.text._ZN7rocprim17ROCPRIM_400000_NS6detail17trampoline_kernelINS0_14default_configENS1_38merge_sort_block_merge_config_selectorIiiEEZZNS1_27merge_sort_block_merge_implIS3_N6thrust23THRUST_200600_302600_NS6detail15normal_iteratorINS8_10device_ptrIiEEEESD_jNS1_19radix_merge_compareILb1ELb1EiNS0_19identity_decomposerEEEEE10hipError_tT0_T1_T2_jT3_P12ihipStream_tbPNSt15iterator_traitsISI_E10value_typeEPNSO_ISJ_E10value_typeEPSK_NS1_7vsmem_tEENKUlT_SI_SJ_SK_E_clISD_PiSD_S10_EESH_SX_SI_SJ_SK_EUlSX_E1_NS1_11comp_targetILNS1_3genE9ELNS1_11target_archE1100ELNS1_3gpuE3ELNS1_3repE0EEENS1_36merge_oddeven_config_static_selectorELNS0_4arch9wavefront6targetE0EEEvSJ_,"axG",@progbits,_ZN7rocprim17ROCPRIM_400000_NS6detail17trampoline_kernelINS0_14default_configENS1_38merge_sort_block_merge_config_selectorIiiEEZZNS1_27merge_sort_block_merge_implIS3_N6thrust23THRUST_200600_302600_NS6detail15normal_iteratorINS8_10device_ptrIiEEEESD_jNS1_19radix_merge_compareILb1ELb1EiNS0_19identity_decomposerEEEEE10hipError_tT0_T1_T2_jT3_P12ihipStream_tbPNSt15iterator_traitsISI_E10value_typeEPNSO_ISJ_E10value_typeEPSK_NS1_7vsmem_tEENKUlT_SI_SJ_SK_E_clISD_PiSD_S10_EESH_SX_SI_SJ_SK_EUlSX_E1_NS1_11comp_targetILNS1_3genE9ELNS1_11target_archE1100ELNS1_3gpuE3ELNS1_3repE0EEENS1_36merge_oddeven_config_static_selectorELNS0_4arch9wavefront6targetE0EEEvSJ_,comdat
	.protected	_ZN7rocprim17ROCPRIM_400000_NS6detail17trampoline_kernelINS0_14default_configENS1_38merge_sort_block_merge_config_selectorIiiEEZZNS1_27merge_sort_block_merge_implIS3_N6thrust23THRUST_200600_302600_NS6detail15normal_iteratorINS8_10device_ptrIiEEEESD_jNS1_19radix_merge_compareILb1ELb1EiNS0_19identity_decomposerEEEEE10hipError_tT0_T1_T2_jT3_P12ihipStream_tbPNSt15iterator_traitsISI_E10value_typeEPNSO_ISJ_E10value_typeEPSK_NS1_7vsmem_tEENKUlT_SI_SJ_SK_E_clISD_PiSD_S10_EESH_SX_SI_SJ_SK_EUlSX_E1_NS1_11comp_targetILNS1_3genE9ELNS1_11target_archE1100ELNS1_3gpuE3ELNS1_3repE0EEENS1_36merge_oddeven_config_static_selectorELNS0_4arch9wavefront6targetE0EEEvSJ_ ; -- Begin function _ZN7rocprim17ROCPRIM_400000_NS6detail17trampoline_kernelINS0_14default_configENS1_38merge_sort_block_merge_config_selectorIiiEEZZNS1_27merge_sort_block_merge_implIS3_N6thrust23THRUST_200600_302600_NS6detail15normal_iteratorINS8_10device_ptrIiEEEESD_jNS1_19radix_merge_compareILb1ELb1EiNS0_19identity_decomposerEEEEE10hipError_tT0_T1_T2_jT3_P12ihipStream_tbPNSt15iterator_traitsISI_E10value_typeEPNSO_ISJ_E10value_typeEPSK_NS1_7vsmem_tEENKUlT_SI_SJ_SK_E_clISD_PiSD_S10_EESH_SX_SI_SJ_SK_EUlSX_E1_NS1_11comp_targetILNS1_3genE9ELNS1_11target_archE1100ELNS1_3gpuE3ELNS1_3repE0EEENS1_36merge_oddeven_config_static_selectorELNS0_4arch9wavefront6targetE0EEEvSJ_
	.globl	_ZN7rocprim17ROCPRIM_400000_NS6detail17trampoline_kernelINS0_14default_configENS1_38merge_sort_block_merge_config_selectorIiiEEZZNS1_27merge_sort_block_merge_implIS3_N6thrust23THRUST_200600_302600_NS6detail15normal_iteratorINS8_10device_ptrIiEEEESD_jNS1_19radix_merge_compareILb1ELb1EiNS0_19identity_decomposerEEEEE10hipError_tT0_T1_T2_jT3_P12ihipStream_tbPNSt15iterator_traitsISI_E10value_typeEPNSO_ISJ_E10value_typeEPSK_NS1_7vsmem_tEENKUlT_SI_SJ_SK_E_clISD_PiSD_S10_EESH_SX_SI_SJ_SK_EUlSX_E1_NS1_11comp_targetILNS1_3genE9ELNS1_11target_archE1100ELNS1_3gpuE3ELNS1_3repE0EEENS1_36merge_oddeven_config_static_selectorELNS0_4arch9wavefront6targetE0EEEvSJ_
	.p2align	8
	.type	_ZN7rocprim17ROCPRIM_400000_NS6detail17trampoline_kernelINS0_14default_configENS1_38merge_sort_block_merge_config_selectorIiiEEZZNS1_27merge_sort_block_merge_implIS3_N6thrust23THRUST_200600_302600_NS6detail15normal_iteratorINS8_10device_ptrIiEEEESD_jNS1_19radix_merge_compareILb1ELb1EiNS0_19identity_decomposerEEEEE10hipError_tT0_T1_T2_jT3_P12ihipStream_tbPNSt15iterator_traitsISI_E10value_typeEPNSO_ISJ_E10value_typeEPSK_NS1_7vsmem_tEENKUlT_SI_SJ_SK_E_clISD_PiSD_S10_EESH_SX_SI_SJ_SK_EUlSX_E1_NS1_11comp_targetILNS1_3genE9ELNS1_11target_archE1100ELNS1_3gpuE3ELNS1_3repE0EEENS1_36merge_oddeven_config_static_selectorELNS0_4arch9wavefront6targetE0EEEvSJ_,@function
_ZN7rocprim17ROCPRIM_400000_NS6detail17trampoline_kernelINS0_14default_configENS1_38merge_sort_block_merge_config_selectorIiiEEZZNS1_27merge_sort_block_merge_implIS3_N6thrust23THRUST_200600_302600_NS6detail15normal_iteratorINS8_10device_ptrIiEEEESD_jNS1_19radix_merge_compareILb1ELb1EiNS0_19identity_decomposerEEEEE10hipError_tT0_T1_T2_jT3_P12ihipStream_tbPNSt15iterator_traitsISI_E10value_typeEPNSO_ISJ_E10value_typeEPSK_NS1_7vsmem_tEENKUlT_SI_SJ_SK_E_clISD_PiSD_S10_EESH_SX_SI_SJ_SK_EUlSX_E1_NS1_11comp_targetILNS1_3genE9ELNS1_11target_archE1100ELNS1_3gpuE3ELNS1_3repE0EEENS1_36merge_oddeven_config_static_selectorELNS0_4arch9wavefront6targetE0EEEvSJ_: ; @_ZN7rocprim17ROCPRIM_400000_NS6detail17trampoline_kernelINS0_14default_configENS1_38merge_sort_block_merge_config_selectorIiiEEZZNS1_27merge_sort_block_merge_implIS3_N6thrust23THRUST_200600_302600_NS6detail15normal_iteratorINS8_10device_ptrIiEEEESD_jNS1_19radix_merge_compareILb1ELb1EiNS0_19identity_decomposerEEEEE10hipError_tT0_T1_T2_jT3_P12ihipStream_tbPNSt15iterator_traitsISI_E10value_typeEPNSO_ISJ_E10value_typeEPSK_NS1_7vsmem_tEENKUlT_SI_SJ_SK_E_clISD_PiSD_S10_EESH_SX_SI_SJ_SK_EUlSX_E1_NS1_11comp_targetILNS1_3genE9ELNS1_11target_archE1100ELNS1_3gpuE3ELNS1_3repE0EEENS1_36merge_oddeven_config_static_selectorELNS0_4arch9wavefront6targetE0EEEvSJ_
; %bb.0:
	.section	.rodata,"a",@progbits
	.p2align	6, 0x0
	.amdhsa_kernel _ZN7rocprim17ROCPRIM_400000_NS6detail17trampoline_kernelINS0_14default_configENS1_38merge_sort_block_merge_config_selectorIiiEEZZNS1_27merge_sort_block_merge_implIS3_N6thrust23THRUST_200600_302600_NS6detail15normal_iteratorINS8_10device_ptrIiEEEESD_jNS1_19radix_merge_compareILb1ELb1EiNS0_19identity_decomposerEEEEE10hipError_tT0_T1_T2_jT3_P12ihipStream_tbPNSt15iterator_traitsISI_E10value_typeEPNSO_ISJ_E10value_typeEPSK_NS1_7vsmem_tEENKUlT_SI_SJ_SK_E_clISD_PiSD_S10_EESH_SX_SI_SJ_SK_EUlSX_E1_NS1_11comp_targetILNS1_3genE9ELNS1_11target_archE1100ELNS1_3gpuE3ELNS1_3repE0EEENS1_36merge_oddeven_config_static_selectorELNS0_4arch9wavefront6targetE0EEEvSJ_
		.amdhsa_group_segment_fixed_size 0
		.amdhsa_private_segment_fixed_size 0
		.amdhsa_kernarg_size 48
		.amdhsa_user_sgpr_count 6
		.amdhsa_user_sgpr_private_segment_buffer 1
		.amdhsa_user_sgpr_dispatch_ptr 0
		.amdhsa_user_sgpr_queue_ptr 0
		.amdhsa_user_sgpr_kernarg_segment_ptr 1
		.amdhsa_user_sgpr_dispatch_id 0
		.amdhsa_user_sgpr_flat_scratch_init 0
		.amdhsa_user_sgpr_private_segment_size 0
		.amdhsa_wavefront_size32 1
		.amdhsa_uses_dynamic_stack 0
		.amdhsa_system_sgpr_private_segment_wavefront_offset 0
		.amdhsa_system_sgpr_workgroup_id_x 1
		.amdhsa_system_sgpr_workgroup_id_y 0
		.amdhsa_system_sgpr_workgroup_id_z 0
		.amdhsa_system_sgpr_workgroup_info 0
		.amdhsa_system_vgpr_workitem_id 0
		.amdhsa_next_free_vgpr 1
		.amdhsa_next_free_sgpr 1
		.amdhsa_reserve_vcc 0
		.amdhsa_reserve_flat_scratch 0
		.amdhsa_float_round_mode_32 0
		.amdhsa_float_round_mode_16_64 0
		.amdhsa_float_denorm_mode_32 3
		.amdhsa_float_denorm_mode_16_64 3
		.amdhsa_dx10_clamp 1
		.amdhsa_ieee_mode 1
		.amdhsa_fp16_overflow 0
		.amdhsa_workgroup_processor_mode 1
		.amdhsa_memory_ordered 1
		.amdhsa_forward_progress 1
		.amdhsa_shared_vgpr_count 0
		.amdhsa_exception_fp_ieee_invalid_op 0
		.amdhsa_exception_fp_denorm_src 0
		.amdhsa_exception_fp_ieee_div_zero 0
		.amdhsa_exception_fp_ieee_overflow 0
		.amdhsa_exception_fp_ieee_underflow 0
		.amdhsa_exception_fp_ieee_inexact 0
		.amdhsa_exception_int_div_zero 0
	.end_amdhsa_kernel
	.section	.text._ZN7rocprim17ROCPRIM_400000_NS6detail17trampoline_kernelINS0_14default_configENS1_38merge_sort_block_merge_config_selectorIiiEEZZNS1_27merge_sort_block_merge_implIS3_N6thrust23THRUST_200600_302600_NS6detail15normal_iteratorINS8_10device_ptrIiEEEESD_jNS1_19radix_merge_compareILb1ELb1EiNS0_19identity_decomposerEEEEE10hipError_tT0_T1_T2_jT3_P12ihipStream_tbPNSt15iterator_traitsISI_E10value_typeEPNSO_ISJ_E10value_typeEPSK_NS1_7vsmem_tEENKUlT_SI_SJ_SK_E_clISD_PiSD_S10_EESH_SX_SI_SJ_SK_EUlSX_E1_NS1_11comp_targetILNS1_3genE9ELNS1_11target_archE1100ELNS1_3gpuE3ELNS1_3repE0EEENS1_36merge_oddeven_config_static_selectorELNS0_4arch9wavefront6targetE0EEEvSJ_,"axG",@progbits,_ZN7rocprim17ROCPRIM_400000_NS6detail17trampoline_kernelINS0_14default_configENS1_38merge_sort_block_merge_config_selectorIiiEEZZNS1_27merge_sort_block_merge_implIS3_N6thrust23THRUST_200600_302600_NS6detail15normal_iteratorINS8_10device_ptrIiEEEESD_jNS1_19radix_merge_compareILb1ELb1EiNS0_19identity_decomposerEEEEE10hipError_tT0_T1_T2_jT3_P12ihipStream_tbPNSt15iterator_traitsISI_E10value_typeEPNSO_ISJ_E10value_typeEPSK_NS1_7vsmem_tEENKUlT_SI_SJ_SK_E_clISD_PiSD_S10_EESH_SX_SI_SJ_SK_EUlSX_E1_NS1_11comp_targetILNS1_3genE9ELNS1_11target_archE1100ELNS1_3gpuE3ELNS1_3repE0EEENS1_36merge_oddeven_config_static_selectorELNS0_4arch9wavefront6targetE0EEEvSJ_,comdat
.Lfunc_end979:
	.size	_ZN7rocprim17ROCPRIM_400000_NS6detail17trampoline_kernelINS0_14default_configENS1_38merge_sort_block_merge_config_selectorIiiEEZZNS1_27merge_sort_block_merge_implIS3_N6thrust23THRUST_200600_302600_NS6detail15normal_iteratorINS8_10device_ptrIiEEEESD_jNS1_19radix_merge_compareILb1ELb1EiNS0_19identity_decomposerEEEEE10hipError_tT0_T1_T2_jT3_P12ihipStream_tbPNSt15iterator_traitsISI_E10value_typeEPNSO_ISJ_E10value_typeEPSK_NS1_7vsmem_tEENKUlT_SI_SJ_SK_E_clISD_PiSD_S10_EESH_SX_SI_SJ_SK_EUlSX_E1_NS1_11comp_targetILNS1_3genE9ELNS1_11target_archE1100ELNS1_3gpuE3ELNS1_3repE0EEENS1_36merge_oddeven_config_static_selectorELNS0_4arch9wavefront6targetE0EEEvSJ_, .Lfunc_end979-_ZN7rocprim17ROCPRIM_400000_NS6detail17trampoline_kernelINS0_14default_configENS1_38merge_sort_block_merge_config_selectorIiiEEZZNS1_27merge_sort_block_merge_implIS3_N6thrust23THRUST_200600_302600_NS6detail15normal_iteratorINS8_10device_ptrIiEEEESD_jNS1_19radix_merge_compareILb1ELb1EiNS0_19identity_decomposerEEEEE10hipError_tT0_T1_T2_jT3_P12ihipStream_tbPNSt15iterator_traitsISI_E10value_typeEPNSO_ISJ_E10value_typeEPSK_NS1_7vsmem_tEENKUlT_SI_SJ_SK_E_clISD_PiSD_S10_EESH_SX_SI_SJ_SK_EUlSX_E1_NS1_11comp_targetILNS1_3genE9ELNS1_11target_archE1100ELNS1_3gpuE3ELNS1_3repE0EEENS1_36merge_oddeven_config_static_selectorELNS0_4arch9wavefront6targetE0EEEvSJ_
                                        ; -- End function
	.set _ZN7rocprim17ROCPRIM_400000_NS6detail17trampoline_kernelINS0_14default_configENS1_38merge_sort_block_merge_config_selectorIiiEEZZNS1_27merge_sort_block_merge_implIS3_N6thrust23THRUST_200600_302600_NS6detail15normal_iteratorINS8_10device_ptrIiEEEESD_jNS1_19radix_merge_compareILb1ELb1EiNS0_19identity_decomposerEEEEE10hipError_tT0_T1_T2_jT3_P12ihipStream_tbPNSt15iterator_traitsISI_E10value_typeEPNSO_ISJ_E10value_typeEPSK_NS1_7vsmem_tEENKUlT_SI_SJ_SK_E_clISD_PiSD_S10_EESH_SX_SI_SJ_SK_EUlSX_E1_NS1_11comp_targetILNS1_3genE9ELNS1_11target_archE1100ELNS1_3gpuE3ELNS1_3repE0EEENS1_36merge_oddeven_config_static_selectorELNS0_4arch9wavefront6targetE0EEEvSJ_.num_vgpr, 0
	.set _ZN7rocprim17ROCPRIM_400000_NS6detail17trampoline_kernelINS0_14default_configENS1_38merge_sort_block_merge_config_selectorIiiEEZZNS1_27merge_sort_block_merge_implIS3_N6thrust23THRUST_200600_302600_NS6detail15normal_iteratorINS8_10device_ptrIiEEEESD_jNS1_19radix_merge_compareILb1ELb1EiNS0_19identity_decomposerEEEEE10hipError_tT0_T1_T2_jT3_P12ihipStream_tbPNSt15iterator_traitsISI_E10value_typeEPNSO_ISJ_E10value_typeEPSK_NS1_7vsmem_tEENKUlT_SI_SJ_SK_E_clISD_PiSD_S10_EESH_SX_SI_SJ_SK_EUlSX_E1_NS1_11comp_targetILNS1_3genE9ELNS1_11target_archE1100ELNS1_3gpuE3ELNS1_3repE0EEENS1_36merge_oddeven_config_static_selectorELNS0_4arch9wavefront6targetE0EEEvSJ_.num_agpr, 0
	.set _ZN7rocprim17ROCPRIM_400000_NS6detail17trampoline_kernelINS0_14default_configENS1_38merge_sort_block_merge_config_selectorIiiEEZZNS1_27merge_sort_block_merge_implIS3_N6thrust23THRUST_200600_302600_NS6detail15normal_iteratorINS8_10device_ptrIiEEEESD_jNS1_19radix_merge_compareILb1ELb1EiNS0_19identity_decomposerEEEEE10hipError_tT0_T1_T2_jT3_P12ihipStream_tbPNSt15iterator_traitsISI_E10value_typeEPNSO_ISJ_E10value_typeEPSK_NS1_7vsmem_tEENKUlT_SI_SJ_SK_E_clISD_PiSD_S10_EESH_SX_SI_SJ_SK_EUlSX_E1_NS1_11comp_targetILNS1_3genE9ELNS1_11target_archE1100ELNS1_3gpuE3ELNS1_3repE0EEENS1_36merge_oddeven_config_static_selectorELNS0_4arch9wavefront6targetE0EEEvSJ_.numbered_sgpr, 0
	.set _ZN7rocprim17ROCPRIM_400000_NS6detail17trampoline_kernelINS0_14default_configENS1_38merge_sort_block_merge_config_selectorIiiEEZZNS1_27merge_sort_block_merge_implIS3_N6thrust23THRUST_200600_302600_NS6detail15normal_iteratorINS8_10device_ptrIiEEEESD_jNS1_19radix_merge_compareILb1ELb1EiNS0_19identity_decomposerEEEEE10hipError_tT0_T1_T2_jT3_P12ihipStream_tbPNSt15iterator_traitsISI_E10value_typeEPNSO_ISJ_E10value_typeEPSK_NS1_7vsmem_tEENKUlT_SI_SJ_SK_E_clISD_PiSD_S10_EESH_SX_SI_SJ_SK_EUlSX_E1_NS1_11comp_targetILNS1_3genE9ELNS1_11target_archE1100ELNS1_3gpuE3ELNS1_3repE0EEENS1_36merge_oddeven_config_static_selectorELNS0_4arch9wavefront6targetE0EEEvSJ_.num_named_barrier, 0
	.set _ZN7rocprim17ROCPRIM_400000_NS6detail17trampoline_kernelINS0_14default_configENS1_38merge_sort_block_merge_config_selectorIiiEEZZNS1_27merge_sort_block_merge_implIS3_N6thrust23THRUST_200600_302600_NS6detail15normal_iteratorINS8_10device_ptrIiEEEESD_jNS1_19radix_merge_compareILb1ELb1EiNS0_19identity_decomposerEEEEE10hipError_tT0_T1_T2_jT3_P12ihipStream_tbPNSt15iterator_traitsISI_E10value_typeEPNSO_ISJ_E10value_typeEPSK_NS1_7vsmem_tEENKUlT_SI_SJ_SK_E_clISD_PiSD_S10_EESH_SX_SI_SJ_SK_EUlSX_E1_NS1_11comp_targetILNS1_3genE9ELNS1_11target_archE1100ELNS1_3gpuE3ELNS1_3repE0EEENS1_36merge_oddeven_config_static_selectorELNS0_4arch9wavefront6targetE0EEEvSJ_.private_seg_size, 0
	.set _ZN7rocprim17ROCPRIM_400000_NS6detail17trampoline_kernelINS0_14default_configENS1_38merge_sort_block_merge_config_selectorIiiEEZZNS1_27merge_sort_block_merge_implIS3_N6thrust23THRUST_200600_302600_NS6detail15normal_iteratorINS8_10device_ptrIiEEEESD_jNS1_19radix_merge_compareILb1ELb1EiNS0_19identity_decomposerEEEEE10hipError_tT0_T1_T2_jT3_P12ihipStream_tbPNSt15iterator_traitsISI_E10value_typeEPNSO_ISJ_E10value_typeEPSK_NS1_7vsmem_tEENKUlT_SI_SJ_SK_E_clISD_PiSD_S10_EESH_SX_SI_SJ_SK_EUlSX_E1_NS1_11comp_targetILNS1_3genE9ELNS1_11target_archE1100ELNS1_3gpuE3ELNS1_3repE0EEENS1_36merge_oddeven_config_static_selectorELNS0_4arch9wavefront6targetE0EEEvSJ_.uses_vcc, 0
	.set _ZN7rocprim17ROCPRIM_400000_NS6detail17trampoline_kernelINS0_14default_configENS1_38merge_sort_block_merge_config_selectorIiiEEZZNS1_27merge_sort_block_merge_implIS3_N6thrust23THRUST_200600_302600_NS6detail15normal_iteratorINS8_10device_ptrIiEEEESD_jNS1_19radix_merge_compareILb1ELb1EiNS0_19identity_decomposerEEEEE10hipError_tT0_T1_T2_jT3_P12ihipStream_tbPNSt15iterator_traitsISI_E10value_typeEPNSO_ISJ_E10value_typeEPSK_NS1_7vsmem_tEENKUlT_SI_SJ_SK_E_clISD_PiSD_S10_EESH_SX_SI_SJ_SK_EUlSX_E1_NS1_11comp_targetILNS1_3genE9ELNS1_11target_archE1100ELNS1_3gpuE3ELNS1_3repE0EEENS1_36merge_oddeven_config_static_selectorELNS0_4arch9wavefront6targetE0EEEvSJ_.uses_flat_scratch, 0
	.set _ZN7rocprim17ROCPRIM_400000_NS6detail17trampoline_kernelINS0_14default_configENS1_38merge_sort_block_merge_config_selectorIiiEEZZNS1_27merge_sort_block_merge_implIS3_N6thrust23THRUST_200600_302600_NS6detail15normal_iteratorINS8_10device_ptrIiEEEESD_jNS1_19radix_merge_compareILb1ELb1EiNS0_19identity_decomposerEEEEE10hipError_tT0_T1_T2_jT3_P12ihipStream_tbPNSt15iterator_traitsISI_E10value_typeEPNSO_ISJ_E10value_typeEPSK_NS1_7vsmem_tEENKUlT_SI_SJ_SK_E_clISD_PiSD_S10_EESH_SX_SI_SJ_SK_EUlSX_E1_NS1_11comp_targetILNS1_3genE9ELNS1_11target_archE1100ELNS1_3gpuE3ELNS1_3repE0EEENS1_36merge_oddeven_config_static_selectorELNS0_4arch9wavefront6targetE0EEEvSJ_.has_dyn_sized_stack, 0
	.set _ZN7rocprim17ROCPRIM_400000_NS6detail17trampoline_kernelINS0_14default_configENS1_38merge_sort_block_merge_config_selectorIiiEEZZNS1_27merge_sort_block_merge_implIS3_N6thrust23THRUST_200600_302600_NS6detail15normal_iteratorINS8_10device_ptrIiEEEESD_jNS1_19radix_merge_compareILb1ELb1EiNS0_19identity_decomposerEEEEE10hipError_tT0_T1_T2_jT3_P12ihipStream_tbPNSt15iterator_traitsISI_E10value_typeEPNSO_ISJ_E10value_typeEPSK_NS1_7vsmem_tEENKUlT_SI_SJ_SK_E_clISD_PiSD_S10_EESH_SX_SI_SJ_SK_EUlSX_E1_NS1_11comp_targetILNS1_3genE9ELNS1_11target_archE1100ELNS1_3gpuE3ELNS1_3repE0EEENS1_36merge_oddeven_config_static_selectorELNS0_4arch9wavefront6targetE0EEEvSJ_.has_recursion, 0
	.set _ZN7rocprim17ROCPRIM_400000_NS6detail17trampoline_kernelINS0_14default_configENS1_38merge_sort_block_merge_config_selectorIiiEEZZNS1_27merge_sort_block_merge_implIS3_N6thrust23THRUST_200600_302600_NS6detail15normal_iteratorINS8_10device_ptrIiEEEESD_jNS1_19radix_merge_compareILb1ELb1EiNS0_19identity_decomposerEEEEE10hipError_tT0_T1_T2_jT3_P12ihipStream_tbPNSt15iterator_traitsISI_E10value_typeEPNSO_ISJ_E10value_typeEPSK_NS1_7vsmem_tEENKUlT_SI_SJ_SK_E_clISD_PiSD_S10_EESH_SX_SI_SJ_SK_EUlSX_E1_NS1_11comp_targetILNS1_3genE9ELNS1_11target_archE1100ELNS1_3gpuE3ELNS1_3repE0EEENS1_36merge_oddeven_config_static_selectorELNS0_4arch9wavefront6targetE0EEEvSJ_.has_indirect_call, 0
	.section	.AMDGPU.csdata,"",@progbits
; Kernel info:
; codeLenInByte = 0
; TotalNumSgprs: 0
; NumVgprs: 0
; ScratchSize: 0
; MemoryBound: 0
; FloatMode: 240
; IeeeMode: 1
; LDSByteSize: 0 bytes/workgroup (compile time only)
; SGPRBlocks: 0
; VGPRBlocks: 0
; NumSGPRsForWavesPerEU: 1
; NumVGPRsForWavesPerEU: 1
; Occupancy: 16
; WaveLimiterHint : 0
; COMPUTE_PGM_RSRC2:SCRATCH_EN: 0
; COMPUTE_PGM_RSRC2:USER_SGPR: 6
; COMPUTE_PGM_RSRC2:TRAP_HANDLER: 0
; COMPUTE_PGM_RSRC2:TGID_X_EN: 1
; COMPUTE_PGM_RSRC2:TGID_Y_EN: 0
; COMPUTE_PGM_RSRC2:TGID_Z_EN: 0
; COMPUTE_PGM_RSRC2:TIDIG_COMP_CNT: 0
	.section	.text._ZN7rocprim17ROCPRIM_400000_NS6detail17trampoline_kernelINS0_14default_configENS1_38merge_sort_block_merge_config_selectorIiiEEZZNS1_27merge_sort_block_merge_implIS3_N6thrust23THRUST_200600_302600_NS6detail15normal_iteratorINS8_10device_ptrIiEEEESD_jNS1_19radix_merge_compareILb1ELb1EiNS0_19identity_decomposerEEEEE10hipError_tT0_T1_T2_jT3_P12ihipStream_tbPNSt15iterator_traitsISI_E10value_typeEPNSO_ISJ_E10value_typeEPSK_NS1_7vsmem_tEENKUlT_SI_SJ_SK_E_clISD_PiSD_S10_EESH_SX_SI_SJ_SK_EUlSX_E1_NS1_11comp_targetILNS1_3genE8ELNS1_11target_archE1030ELNS1_3gpuE2ELNS1_3repE0EEENS1_36merge_oddeven_config_static_selectorELNS0_4arch9wavefront6targetE0EEEvSJ_,"axG",@progbits,_ZN7rocprim17ROCPRIM_400000_NS6detail17trampoline_kernelINS0_14default_configENS1_38merge_sort_block_merge_config_selectorIiiEEZZNS1_27merge_sort_block_merge_implIS3_N6thrust23THRUST_200600_302600_NS6detail15normal_iteratorINS8_10device_ptrIiEEEESD_jNS1_19radix_merge_compareILb1ELb1EiNS0_19identity_decomposerEEEEE10hipError_tT0_T1_T2_jT3_P12ihipStream_tbPNSt15iterator_traitsISI_E10value_typeEPNSO_ISJ_E10value_typeEPSK_NS1_7vsmem_tEENKUlT_SI_SJ_SK_E_clISD_PiSD_S10_EESH_SX_SI_SJ_SK_EUlSX_E1_NS1_11comp_targetILNS1_3genE8ELNS1_11target_archE1030ELNS1_3gpuE2ELNS1_3repE0EEENS1_36merge_oddeven_config_static_selectorELNS0_4arch9wavefront6targetE0EEEvSJ_,comdat
	.protected	_ZN7rocprim17ROCPRIM_400000_NS6detail17trampoline_kernelINS0_14default_configENS1_38merge_sort_block_merge_config_selectorIiiEEZZNS1_27merge_sort_block_merge_implIS3_N6thrust23THRUST_200600_302600_NS6detail15normal_iteratorINS8_10device_ptrIiEEEESD_jNS1_19radix_merge_compareILb1ELb1EiNS0_19identity_decomposerEEEEE10hipError_tT0_T1_T2_jT3_P12ihipStream_tbPNSt15iterator_traitsISI_E10value_typeEPNSO_ISJ_E10value_typeEPSK_NS1_7vsmem_tEENKUlT_SI_SJ_SK_E_clISD_PiSD_S10_EESH_SX_SI_SJ_SK_EUlSX_E1_NS1_11comp_targetILNS1_3genE8ELNS1_11target_archE1030ELNS1_3gpuE2ELNS1_3repE0EEENS1_36merge_oddeven_config_static_selectorELNS0_4arch9wavefront6targetE0EEEvSJ_ ; -- Begin function _ZN7rocprim17ROCPRIM_400000_NS6detail17trampoline_kernelINS0_14default_configENS1_38merge_sort_block_merge_config_selectorIiiEEZZNS1_27merge_sort_block_merge_implIS3_N6thrust23THRUST_200600_302600_NS6detail15normal_iteratorINS8_10device_ptrIiEEEESD_jNS1_19radix_merge_compareILb1ELb1EiNS0_19identity_decomposerEEEEE10hipError_tT0_T1_T2_jT3_P12ihipStream_tbPNSt15iterator_traitsISI_E10value_typeEPNSO_ISJ_E10value_typeEPSK_NS1_7vsmem_tEENKUlT_SI_SJ_SK_E_clISD_PiSD_S10_EESH_SX_SI_SJ_SK_EUlSX_E1_NS1_11comp_targetILNS1_3genE8ELNS1_11target_archE1030ELNS1_3gpuE2ELNS1_3repE0EEENS1_36merge_oddeven_config_static_selectorELNS0_4arch9wavefront6targetE0EEEvSJ_
	.globl	_ZN7rocprim17ROCPRIM_400000_NS6detail17trampoline_kernelINS0_14default_configENS1_38merge_sort_block_merge_config_selectorIiiEEZZNS1_27merge_sort_block_merge_implIS3_N6thrust23THRUST_200600_302600_NS6detail15normal_iteratorINS8_10device_ptrIiEEEESD_jNS1_19radix_merge_compareILb1ELb1EiNS0_19identity_decomposerEEEEE10hipError_tT0_T1_T2_jT3_P12ihipStream_tbPNSt15iterator_traitsISI_E10value_typeEPNSO_ISJ_E10value_typeEPSK_NS1_7vsmem_tEENKUlT_SI_SJ_SK_E_clISD_PiSD_S10_EESH_SX_SI_SJ_SK_EUlSX_E1_NS1_11comp_targetILNS1_3genE8ELNS1_11target_archE1030ELNS1_3gpuE2ELNS1_3repE0EEENS1_36merge_oddeven_config_static_selectorELNS0_4arch9wavefront6targetE0EEEvSJ_
	.p2align	8
	.type	_ZN7rocprim17ROCPRIM_400000_NS6detail17trampoline_kernelINS0_14default_configENS1_38merge_sort_block_merge_config_selectorIiiEEZZNS1_27merge_sort_block_merge_implIS3_N6thrust23THRUST_200600_302600_NS6detail15normal_iteratorINS8_10device_ptrIiEEEESD_jNS1_19radix_merge_compareILb1ELb1EiNS0_19identity_decomposerEEEEE10hipError_tT0_T1_T2_jT3_P12ihipStream_tbPNSt15iterator_traitsISI_E10value_typeEPNSO_ISJ_E10value_typeEPSK_NS1_7vsmem_tEENKUlT_SI_SJ_SK_E_clISD_PiSD_S10_EESH_SX_SI_SJ_SK_EUlSX_E1_NS1_11comp_targetILNS1_3genE8ELNS1_11target_archE1030ELNS1_3gpuE2ELNS1_3repE0EEENS1_36merge_oddeven_config_static_selectorELNS0_4arch9wavefront6targetE0EEEvSJ_,@function
_ZN7rocprim17ROCPRIM_400000_NS6detail17trampoline_kernelINS0_14default_configENS1_38merge_sort_block_merge_config_selectorIiiEEZZNS1_27merge_sort_block_merge_implIS3_N6thrust23THRUST_200600_302600_NS6detail15normal_iteratorINS8_10device_ptrIiEEEESD_jNS1_19radix_merge_compareILb1ELb1EiNS0_19identity_decomposerEEEEE10hipError_tT0_T1_T2_jT3_P12ihipStream_tbPNSt15iterator_traitsISI_E10value_typeEPNSO_ISJ_E10value_typeEPSK_NS1_7vsmem_tEENKUlT_SI_SJ_SK_E_clISD_PiSD_S10_EESH_SX_SI_SJ_SK_EUlSX_E1_NS1_11comp_targetILNS1_3genE8ELNS1_11target_archE1030ELNS1_3gpuE2ELNS1_3repE0EEENS1_36merge_oddeven_config_static_selectorELNS0_4arch9wavefront6targetE0EEEvSJ_: ; @_ZN7rocprim17ROCPRIM_400000_NS6detail17trampoline_kernelINS0_14default_configENS1_38merge_sort_block_merge_config_selectorIiiEEZZNS1_27merge_sort_block_merge_implIS3_N6thrust23THRUST_200600_302600_NS6detail15normal_iteratorINS8_10device_ptrIiEEEESD_jNS1_19radix_merge_compareILb1ELb1EiNS0_19identity_decomposerEEEEE10hipError_tT0_T1_T2_jT3_P12ihipStream_tbPNSt15iterator_traitsISI_E10value_typeEPNSO_ISJ_E10value_typeEPSK_NS1_7vsmem_tEENKUlT_SI_SJ_SK_E_clISD_PiSD_S10_EESH_SX_SI_SJ_SK_EUlSX_E1_NS1_11comp_targetILNS1_3genE8ELNS1_11target_archE1030ELNS1_3gpuE2ELNS1_3repE0EEENS1_36merge_oddeven_config_static_selectorELNS0_4arch9wavefront6targetE0EEEvSJ_
; %bb.0:
	s_load_dword s16, s[4:5], 0x20
	s_waitcnt lgkmcnt(0)
	s_lshr_b32 s0, s16, 8
	s_cmp_eq_u32 s6, s0
	s_cselect_b32 s7, -1, 0
	s_cmp_lg_u32 s6, s0
	s_cselect_b32 s0, -1, 0
	s_lshl_b32 s2, s6, 8
	s_sub_i32 s1, s16, s2
	v_cmp_gt_u32_e64 s1, s1, v0
	s_or_b32 s0, s0, s1
	s_and_saveexec_b32 s3, s0
	s_cbranch_execz .LBB980_24
; %bb.1:
	s_load_dwordx8 s[8:15], s[4:5], 0x0
	s_mov_b32 s3, 0
	v_lshlrev_b32_e32 v1, 2, v0
	s_lshl_b64 s[18:19], s[2:3], 2
	v_add_nc_u32_e32 v0, s2, v0
	s_mov_b32 s2, -1
	s_waitcnt lgkmcnt(0)
	s_add_u32 s20, s8, s18
	s_addc_u32 s21, s9, s19
	s_add_u32 s12, s12, s18
	s_addc_u32 s13, s13, s19
	s_clause 0x1
	global_load_dword v2, v1, s[12:13]
	global_load_dword v3, v1, s[20:21]
	s_load_dword s12, s[4:5], 0x24
	s_waitcnt lgkmcnt(0)
	s_lshr_b32 s0, s12, 8
	s_sub_i32 s3, 0, s0
	s_and_b32 s3, s6, s3
	s_and_b32 s0, s3, s0
	s_lshl_b32 s6, s3, 8
	s_sub_i32 s3, 0, s12
	s_cmp_eq_u32 s0, 0
	s_cselect_b32 s0, -1, 0
	s_and_b32 s13, s0, exec_lo
	s_cselect_b32 s3, s12, s3
	s_add_i32 s3, s3, s6
	s_cmp_gt_u32 s16, s3
	s_cbranch_scc1 .LBB980_9
; %bb.2:
	s_and_b32 vcc_lo, exec_lo, s7
	s_cbranch_vccz .LBB980_6
; %bb.3:
	s_mov_b32 s2, exec_lo
	v_cmpx_gt_u32_e64 s16, v0
	s_cbranch_execz .LBB980_5
; %bb.4:
	v_mov_b32_e32 v1, 0
	v_lshlrev_b64 v[4:5], 2, v[0:1]
	v_add_co_u32 v6, vcc_lo, s10, v4
	v_add_co_ci_u32_e64 v7, null, s11, v5, vcc_lo
	v_add_co_u32 v4, vcc_lo, s14, v4
	v_add_co_ci_u32_e64 v5, null, s15, v5, vcc_lo
	s_waitcnt vmcnt(0)
	global_store_dword v[6:7], v3, off
	global_store_dword v[4:5], v2, off
.LBB980_5:
	s_or_b32 exec_lo, exec_lo, s2
	s_mov_b32 s2, 0
.LBB980_6:
	s_andn2_b32 vcc_lo, exec_lo, s2
	s_cbranch_vccnz .LBB980_8
; %bb.7:
	v_mov_b32_e32 v1, 0
	v_lshlrev_b64 v[4:5], 2, v[0:1]
	v_add_co_u32 v6, vcc_lo, s10, v4
	v_add_co_ci_u32_e64 v7, null, s11, v5, vcc_lo
	v_add_co_u32 v4, vcc_lo, s14, v4
	v_add_co_ci_u32_e64 v5, null, s15, v5, vcc_lo
	s_waitcnt vmcnt(0)
	global_store_dword v[6:7], v3, off
	global_store_dword v[4:5], v2, off
.LBB980_8:
	s_mov_b32 s2, 0
.LBB980_9:
	s_andn2_b32 vcc_lo, exec_lo, s2
	s_cbranch_vccnz .LBB980_24
; %bb.10:
	s_load_dword s2, s[4:5], 0x28
	s_min_u32 s4, s3, s16
	s_and_b32 vcc_lo, exec_lo, s7
	s_add_i32 s5, s6, s4
	s_min_u32 s6, s6, s4
	v_subrev_nc_u32_e32 v0, s5, v0
	s_add_i32 s5, s4, s12
	s_min_u32 s5, s5, s16
	v_add_nc_u32_e32 v4, s6, v0
	s_mov_b32 s6, -1
	s_waitcnt vmcnt(0) lgkmcnt(0)
	v_and_b32_e32 v5, s2, v3
	s_cbranch_vccz .LBB980_18
; %bb.11:
	s_and_saveexec_b32 s6, s1
	s_cbranch_execz .LBB980_17
; %bb.12:
	v_mov_b32_e32 v6, s4
	s_cmp_ge_u32 s3, s5
	s_cbranch_scc1 .LBB980_16
; %bb.13:
	v_mov_b32_e32 v7, s5
	v_mov_b32_e32 v6, s4
	;; [unrolled: 1-line block ×3, first 2 shown]
	s_mov_b32 s1, 0
	.p2align	6
.LBB980_14:                             ; =>This Inner Loop Header: Depth=1
	v_add_nc_u32_e32 v0, v6, v7
	v_lshrrev_b32_e32 v0, 1, v0
	v_lshlrev_b64 v[8:9], 2, v[0:1]
	v_add_co_u32 v8, vcc_lo, s8, v8
	v_add_co_ci_u32_e64 v9, null, s9, v9, vcc_lo
	global_load_dword v8, v[8:9], off
	s_waitcnt vmcnt(0)
	v_and_b32_e32 v8, s2, v8
	v_cmp_gt_i32_e32 vcc_lo, v8, v5
	v_cndmask_b32_e64 v9, 0, 1, vcc_lo
	v_cmp_le_i32_e32 vcc_lo, v5, v8
	v_cndmask_b32_e64 v8, 0, 1, vcc_lo
	v_cndmask_b32_e64 v8, v8, v9, s0
	v_add_nc_u32_e32 v9, 1, v0
	v_and_b32_e32 v8, 1, v8
	v_cmp_eq_u32_e32 vcc_lo, 1, v8
	v_cndmask_b32_e32 v7, v0, v7, vcc_lo
	v_cndmask_b32_e32 v6, v6, v9, vcc_lo
	v_cmp_ge_u32_e32 vcc_lo, v6, v7
	s_or_b32 s1, vcc_lo, s1
	s_andn2_b32 exec_lo, exec_lo, s1
	s_cbranch_execnz .LBB980_14
; %bb.15:
	s_or_b32 exec_lo, exec_lo, s1
.LBB980_16:
	v_add_nc_u32_e32 v0, v6, v4
	v_mov_b32_e32 v1, 0
	v_lshlrev_b64 v[0:1], 2, v[0:1]
	v_add_co_u32 v6, vcc_lo, s10, v0
	v_add_co_ci_u32_e64 v7, null, s11, v1, vcc_lo
	v_add_co_u32 v0, vcc_lo, s14, v0
	v_add_co_ci_u32_e64 v1, null, s15, v1, vcc_lo
	global_store_dword v[6:7], v3, off
	global_store_dword v[0:1], v2, off
.LBB980_17:
	s_or_b32 exec_lo, exec_lo, s6
	s_mov_b32 s6, 0
.LBB980_18:
	s_andn2_b32 vcc_lo, exec_lo, s6
	s_cbranch_vccnz .LBB980_24
; %bb.19:
	v_mov_b32_e32 v6, s4
	s_cmp_ge_u32 s3, s5
	s_cbranch_scc1 .LBB980_23
; %bb.20:
	v_mov_b32_e32 v7, s5
	v_mov_b32_e32 v6, s4
	;; [unrolled: 1-line block ×3, first 2 shown]
	s_mov_b32 s1, 0
	.p2align	6
.LBB980_21:                             ; =>This Inner Loop Header: Depth=1
	v_add_nc_u32_e32 v0, v6, v7
	v_lshrrev_b32_e32 v0, 1, v0
	v_lshlrev_b64 v[8:9], 2, v[0:1]
	v_add_co_u32 v8, vcc_lo, s8, v8
	v_add_co_ci_u32_e64 v9, null, s9, v9, vcc_lo
	global_load_dword v8, v[8:9], off
	s_waitcnt vmcnt(0)
	v_and_b32_e32 v8, s2, v8
	v_cmp_gt_i32_e32 vcc_lo, v8, v5
	v_cndmask_b32_e64 v9, 0, 1, vcc_lo
	v_cmp_le_i32_e32 vcc_lo, v5, v8
	v_cndmask_b32_e64 v8, 0, 1, vcc_lo
	v_cndmask_b32_e64 v8, v8, v9, s0
	v_add_nc_u32_e32 v9, 1, v0
	v_and_b32_e32 v8, 1, v8
	v_cmp_eq_u32_e32 vcc_lo, 1, v8
	v_cndmask_b32_e32 v7, v0, v7, vcc_lo
	v_cndmask_b32_e32 v6, v6, v9, vcc_lo
	v_cmp_ge_u32_e32 vcc_lo, v6, v7
	s_or_b32 s1, vcc_lo, s1
	s_andn2_b32 exec_lo, exec_lo, s1
	s_cbranch_execnz .LBB980_21
; %bb.22:
	s_or_b32 exec_lo, exec_lo, s1
.LBB980_23:
	v_add_nc_u32_e32 v0, v6, v4
	v_mov_b32_e32 v1, 0
	v_lshlrev_b64 v[0:1], 2, v[0:1]
	v_add_co_u32 v4, vcc_lo, s10, v0
	v_add_co_ci_u32_e64 v5, null, s11, v1, vcc_lo
	v_add_co_u32 v0, vcc_lo, s14, v0
	v_add_co_ci_u32_e64 v1, null, s15, v1, vcc_lo
	global_store_dword v[4:5], v3, off
	global_store_dword v[0:1], v2, off
.LBB980_24:
	s_endpgm
	.section	.rodata,"a",@progbits
	.p2align	6, 0x0
	.amdhsa_kernel _ZN7rocprim17ROCPRIM_400000_NS6detail17trampoline_kernelINS0_14default_configENS1_38merge_sort_block_merge_config_selectorIiiEEZZNS1_27merge_sort_block_merge_implIS3_N6thrust23THRUST_200600_302600_NS6detail15normal_iteratorINS8_10device_ptrIiEEEESD_jNS1_19radix_merge_compareILb1ELb1EiNS0_19identity_decomposerEEEEE10hipError_tT0_T1_T2_jT3_P12ihipStream_tbPNSt15iterator_traitsISI_E10value_typeEPNSO_ISJ_E10value_typeEPSK_NS1_7vsmem_tEENKUlT_SI_SJ_SK_E_clISD_PiSD_S10_EESH_SX_SI_SJ_SK_EUlSX_E1_NS1_11comp_targetILNS1_3genE8ELNS1_11target_archE1030ELNS1_3gpuE2ELNS1_3repE0EEENS1_36merge_oddeven_config_static_selectorELNS0_4arch9wavefront6targetE0EEEvSJ_
		.amdhsa_group_segment_fixed_size 0
		.amdhsa_private_segment_fixed_size 0
		.amdhsa_kernarg_size 48
		.amdhsa_user_sgpr_count 6
		.amdhsa_user_sgpr_private_segment_buffer 1
		.amdhsa_user_sgpr_dispatch_ptr 0
		.amdhsa_user_sgpr_queue_ptr 0
		.amdhsa_user_sgpr_kernarg_segment_ptr 1
		.amdhsa_user_sgpr_dispatch_id 0
		.amdhsa_user_sgpr_flat_scratch_init 0
		.amdhsa_user_sgpr_private_segment_size 0
		.amdhsa_wavefront_size32 1
		.amdhsa_uses_dynamic_stack 0
		.amdhsa_system_sgpr_private_segment_wavefront_offset 0
		.amdhsa_system_sgpr_workgroup_id_x 1
		.amdhsa_system_sgpr_workgroup_id_y 0
		.amdhsa_system_sgpr_workgroup_id_z 0
		.amdhsa_system_sgpr_workgroup_info 0
		.amdhsa_system_vgpr_workitem_id 0
		.amdhsa_next_free_vgpr 10
		.amdhsa_next_free_sgpr 22
		.amdhsa_reserve_vcc 1
		.amdhsa_reserve_flat_scratch 0
		.amdhsa_float_round_mode_32 0
		.amdhsa_float_round_mode_16_64 0
		.amdhsa_float_denorm_mode_32 3
		.amdhsa_float_denorm_mode_16_64 3
		.amdhsa_dx10_clamp 1
		.amdhsa_ieee_mode 1
		.amdhsa_fp16_overflow 0
		.amdhsa_workgroup_processor_mode 1
		.amdhsa_memory_ordered 1
		.amdhsa_forward_progress 1
		.amdhsa_shared_vgpr_count 0
		.amdhsa_exception_fp_ieee_invalid_op 0
		.amdhsa_exception_fp_denorm_src 0
		.amdhsa_exception_fp_ieee_div_zero 0
		.amdhsa_exception_fp_ieee_overflow 0
		.amdhsa_exception_fp_ieee_underflow 0
		.amdhsa_exception_fp_ieee_inexact 0
		.amdhsa_exception_int_div_zero 0
	.end_amdhsa_kernel
	.section	.text._ZN7rocprim17ROCPRIM_400000_NS6detail17trampoline_kernelINS0_14default_configENS1_38merge_sort_block_merge_config_selectorIiiEEZZNS1_27merge_sort_block_merge_implIS3_N6thrust23THRUST_200600_302600_NS6detail15normal_iteratorINS8_10device_ptrIiEEEESD_jNS1_19radix_merge_compareILb1ELb1EiNS0_19identity_decomposerEEEEE10hipError_tT0_T1_T2_jT3_P12ihipStream_tbPNSt15iterator_traitsISI_E10value_typeEPNSO_ISJ_E10value_typeEPSK_NS1_7vsmem_tEENKUlT_SI_SJ_SK_E_clISD_PiSD_S10_EESH_SX_SI_SJ_SK_EUlSX_E1_NS1_11comp_targetILNS1_3genE8ELNS1_11target_archE1030ELNS1_3gpuE2ELNS1_3repE0EEENS1_36merge_oddeven_config_static_selectorELNS0_4arch9wavefront6targetE0EEEvSJ_,"axG",@progbits,_ZN7rocprim17ROCPRIM_400000_NS6detail17trampoline_kernelINS0_14default_configENS1_38merge_sort_block_merge_config_selectorIiiEEZZNS1_27merge_sort_block_merge_implIS3_N6thrust23THRUST_200600_302600_NS6detail15normal_iteratorINS8_10device_ptrIiEEEESD_jNS1_19radix_merge_compareILb1ELb1EiNS0_19identity_decomposerEEEEE10hipError_tT0_T1_T2_jT3_P12ihipStream_tbPNSt15iterator_traitsISI_E10value_typeEPNSO_ISJ_E10value_typeEPSK_NS1_7vsmem_tEENKUlT_SI_SJ_SK_E_clISD_PiSD_S10_EESH_SX_SI_SJ_SK_EUlSX_E1_NS1_11comp_targetILNS1_3genE8ELNS1_11target_archE1030ELNS1_3gpuE2ELNS1_3repE0EEENS1_36merge_oddeven_config_static_selectorELNS0_4arch9wavefront6targetE0EEEvSJ_,comdat
.Lfunc_end980:
	.size	_ZN7rocprim17ROCPRIM_400000_NS6detail17trampoline_kernelINS0_14default_configENS1_38merge_sort_block_merge_config_selectorIiiEEZZNS1_27merge_sort_block_merge_implIS3_N6thrust23THRUST_200600_302600_NS6detail15normal_iteratorINS8_10device_ptrIiEEEESD_jNS1_19radix_merge_compareILb1ELb1EiNS0_19identity_decomposerEEEEE10hipError_tT0_T1_T2_jT3_P12ihipStream_tbPNSt15iterator_traitsISI_E10value_typeEPNSO_ISJ_E10value_typeEPSK_NS1_7vsmem_tEENKUlT_SI_SJ_SK_E_clISD_PiSD_S10_EESH_SX_SI_SJ_SK_EUlSX_E1_NS1_11comp_targetILNS1_3genE8ELNS1_11target_archE1030ELNS1_3gpuE2ELNS1_3repE0EEENS1_36merge_oddeven_config_static_selectorELNS0_4arch9wavefront6targetE0EEEvSJ_, .Lfunc_end980-_ZN7rocprim17ROCPRIM_400000_NS6detail17trampoline_kernelINS0_14default_configENS1_38merge_sort_block_merge_config_selectorIiiEEZZNS1_27merge_sort_block_merge_implIS3_N6thrust23THRUST_200600_302600_NS6detail15normal_iteratorINS8_10device_ptrIiEEEESD_jNS1_19radix_merge_compareILb1ELb1EiNS0_19identity_decomposerEEEEE10hipError_tT0_T1_T2_jT3_P12ihipStream_tbPNSt15iterator_traitsISI_E10value_typeEPNSO_ISJ_E10value_typeEPSK_NS1_7vsmem_tEENKUlT_SI_SJ_SK_E_clISD_PiSD_S10_EESH_SX_SI_SJ_SK_EUlSX_E1_NS1_11comp_targetILNS1_3genE8ELNS1_11target_archE1030ELNS1_3gpuE2ELNS1_3repE0EEENS1_36merge_oddeven_config_static_selectorELNS0_4arch9wavefront6targetE0EEEvSJ_
                                        ; -- End function
	.set _ZN7rocprim17ROCPRIM_400000_NS6detail17trampoline_kernelINS0_14default_configENS1_38merge_sort_block_merge_config_selectorIiiEEZZNS1_27merge_sort_block_merge_implIS3_N6thrust23THRUST_200600_302600_NS6detail15normal_iteratorINS8_10device_ptrIiEEEESD_jNS1_19radix_merge_compareILb1ELb1EiNS0_19identity_decomposerEEEEE10hipError_tT0_T1_T2_jT3_P12ihipStream_tbPNSt15iterator_traitsISI_E10value_typeEPNSO_ISJ_E10value_typeEPSK_NS1_7vsmem_tEENKUlT_SI_SJ_SK_E_clISD_PiSD_S10_EESH_SX_SI_SJ_SK_EUlSX_E1_NS1_11comp_targetILNS1_3genE8ELNS1_11target_archE1030ELNS1_3gpuE2ELNS1_3repE0EEENS1_36merge_oddeven_config_static_selectorELNS0_4arch9wavefront6targetE0EEEvSJ_.num_vgpr, 10
	.set _ZN7rocprim17ROCPRIM_400000_NS6detail17trampoline_kernelINS0_14default_configENS1_38merge_sort_block_merge_config_selectorIiiEEZZNS1_27merge_sort_block_merge_implIS3_N6thrust23THRUST_200600_302600_NS6detail15normal_iteratorINS8_10device_ptrIiEEEESD_jNS1_19radix_merge_compareILb1ELb1EiNS0_19identity_decomposerEEEEE10hipError_tT0_T1_T2_jT3_P12ihipStream_tbPNSt15iterator_traitsISI_E10value_typeEPNSO_ISJ_E10value_typeEPSK_NS1_7vsmem_tEENKUlT_SI_SJ_SK_E_clISD_PiSD_S10_EESH_SX_SI_SJ_SK_EUlSX_E1_NS1_11comp_targetILNS1_3genE8ELNS1_11target_archE1030ELNS1_3gpuE2ELNS1_3repE0EEENS1_36merge_oddeven_config_static_selectorELNS0_4arch9wavefront6targetE0EEEvSJ_.num_agpr, 0
	.set _ZN7rocprim17ROCPRIM_400000_NS6detail17trampoline_kernelINS0_14default_configENS1_38merge_sort_block_merge_config_selectorIiiEEZZNS1_27merge_sort_block_merge_implIS3_N6thrust23THRUST_200600_302600_NS6detail15normal_iteratorINS8_10device_ptrIiEEEESD_jNS1_19radix_merge_compareILb1ELb1EiNS0_19identity_decomposerEEEEE10hipError_tT0_T1_T2_jT3_P12ihipStream_tbPNSt15iterator_traitsISI_E10value_typeEPNSO_ISJ_E10value_typeEPSK_NS1_7vsmem_tEENKUlT_SI_SJ_SK_E_clISD_PiSD_S10_EESH_SX_SI_SJ_SK_EUlSX_E1_NS1_11comp_targetILNS1_3genE8ELNS1_11target_archE1030ELNS1_3gpuE2ELNS1_3repE0EEENS1_36merge_oddeven_config_static_selectorELNS0_4arch9wavefront6targetE0EEEvSJ_.numbered_sgpr, 22
	.set _ZN7rocprim17ROCPRIM_400000_NS6detail17trampoline_kernelINS0_14default_configENS1_38merge_sort_block_merge_config_selectorIiiEEZZNS1_27merge_sort_block_merge_implIS3_N6thrust23THRUST_200600_302600_NS6detail15normal_iteratorINS8_10device_ptrIiEEEESD_jNS1_19radix_merge_compareILb1ELb1EiNS0_19identity_decomposerEEEEE10hipError_tT0_T1_T2_jT3_P12ihipStream_tbPNSt15iterator_traitsISI_E10value_typeEPNSO_ISJ_E10value_typeEPSK_NS1_7vsmem_tEENKUlT_SI_SJ_SK_E_clISD_PiSD_S10_EESH_SX_SI_SJ_SK_EUlSX_E1_NS1_11comp_targetILNS1_3genE8ELNS1_11target_archE1030ELNS1_3gpuE2ELNS1_3repE0EEENS1_36merge_oddeven_config_static_selectorELNS0_4arch9wavefront6targetE0EEEvSJ_.num_named_barrier, 0
	.set _ZN7rocprim17ROCPRIM_400000_NS6detail17trampoline_kernelINS0_14default_configENS1_38merge_sort_block_merge_config_selectorIiiEEZZNS1_27merge_sort_block_merge_implIS3_N6thrust23THRUST_200600_302600_NS6detail15normal_iteratorINS8_10device_ptrIiEEEESD_jNS1_19radix_merge_compareILb1ELb1EiNS0_19identity_decomposerEEEEE10hipError_tT0_T1_T2_jT3_P12ihipStream_tbPNSt15iterator_traitsISI_E10value_typeEPNSO_ISJ_E10value_typeEPSK_NS1_7vsmem_tEENKUlT_SI_SJ_SK_E_clISD_PiSD_S10_EESH_SX_SI_SJ_SK_EUlSX_E1_NS1_11comp_targetILNS1_3genE8ELNS1_11target_archE1030ELNS1_3gpuE2ELNS1_3repE0EEENS1_36merge_oddeven_config_static_selectorELNS0_4arch9wavefront6targetE0EEEvSJ_.private_seg_size, 0
	.set _ZN7rocprim17ROCPRIM_400000_NS6detail17trampoline_kernelINS0_14default_configENS1_38merge_sort_block_merge_config_selectorIiiEEZZNS1_27merge_sort_block_merge_implIS3_N6thrust23THRUST_200600_302600_NS6detail15normal_iteratorINS8_10device_ptrIiEEEESD_jNS1_19radix_merge_compareILb1ELb1EiNS0_19identity_decomposerEEEEE10hipError_tT0_T1_T2_jT3_P12ihipStream_tbPNSt15iterator_traitsISI_E10value_typeEPNSO_ISJ_E10value_typeEPSK_NS1_7vsmem_tEENKUlT_SI_SJ_SK_E_clISD_PiSD_S10_EESH_SX_SI_SJ_SK_EUlSX_E1_NS1_11comp_targetILNS1_3genE8ELNS1_11target_archE1030ELNS1_3gpuE2ELNS1_3repE0EEENS1_36merge_oddeven_config_static_selectorELNS0_4arch9wavefront6targetE0EEEvSJ_.uses_vcc, 1
	.set _ZN7rocprim17ROCPRIM_400000_NS6detail17trampoline_kernelINS0_14default_configENS1_38merge_sort_block_merge_config_selectorIiiEEZZNS1_27merge_sort_block_merge_implIS3_N6thrust23THRUST_200600_302600_NS6detail15normal_iteratorINS8_10device_ptrIiEEEESD_jNS1_19radix_merge_compareILb1ELb1EiNS0_19identity_decomposerEEEEE10hipError_tT0_T1_T2_jT3_P12ihipStream_tbPNSt15iterator_traitsISI_E10value_typeEPNSO_ISJ_E10value_typeEPSK_NS1_7vsmem_tEENKUlT_SI_SJ_SK_E_clISD_PiSD_S10_EESH_SX_SI_SJ_SK_EUlSX_E1_NS1_11comp_targetILNS1_3genE8ELNS1_11target_archE1030ELNS1_3gpuE2ELNS1_3repE0EEENS1_36merge_oddeven_config_static_selectorELNS0_4arch9wavefront6targetE0EEEvSJ_.uses_flat_scratch, 0
	.set _ZN7rocprim17ROCPRIM_400000_NS6detail17trampoline_kernelINS0_14default_configENS1_38merge_sort_block_merge_config_selectorIiiEEZZNS1_27merge_sort_block_merge_implIS3_N6thrust23THRUST_200600_302600_NS6detail15normal_iteratorINS8_10device_ptrIiEEEESD_jNS1_19radix_merge_compareILb1ELb1EiNS0_19identity_decomposerEEEEE10hipError_tT0_T1_T2_jT3_P12ihipStream_tbPNSt15iterator_traitsISI_E10value_typeEPNSO_ISJ_E10value_typeEPSK_NS1_7vsmem_tEENKUlT_SI_SJ_SK_E_clISD_PiSD_S10_EESH_SX_SI_SJ_SK_EUlSX_E1_NS1_11comp_targetILNS1_3genE8ELNS1_11target_archE1030ELNS1_3gpuE2ELNS1_3repE0EEENS1_36merge_oddeven_config_static_selectorELNS0_4arch9wavefront6targetE0EEEvSJ_.has_dyn_sized_stack, 0
	.set _ZN7rocprim17ROCPRIM_400000_NS6detail17trampoline_kernelINS0_14default_configENS1_38merge_sort_block_merge_config_selectorIiiEEZZNS1_27merge_sort_block_merge_implIS3_N6thrust23THRUST_200600_302600_NS6detail15normal_iteratorINS8_10device_ptrIiEEEESD_jNS1_19radix_merge_compareILb1ELb1EiNS0_19identity_decomposerEEEEE10hipError_tT0_T1_T2_jT3_P12ihipStream_tbPNSt15iterator_traitsISI_E10value_typeEPNSO_ISJ_E10value_typeEPSK_NS1_7vsmem_tEENKUlT_SI_SJ_SK_E_clISD_PiSD_S10_EESH_SX_SI_SJ_SK_EUlSX_E1_NS1_11comp_targetILNS1_3genE8ELNS1_11target_archE1030ELNS1_3gpuE2ELNS1_3repE0EEENS1_36merge_oddeven_config_static_selectorELNS0_4arch9wavefront6targetE0EEEvSJ_.has_recursion, 0
	.set _ZN7rocprim17ROCPRIM_400000_NS6detail17trampoline_kernelINS0_14default_configENS1_38merge_sort_block_merge_config_selectorIiiEEZZNS1_27merge_sort_block_merge_implIS3_N6thrust23THRUST_200600_302600_NS6detail15normal_iteratorINS8_10device_ptrIiEEEESD_jNS1_19radix_merge_compareILb1ELb1EiNS0_19identity_decomposerEEEEE10hipError_tT0_T1_T2_jT3_P12ihipStream_tbPNSt15iterator_traitsISI_E10value_typeEPNSO_ISJ_E10value_typeEPSK_NS1_7vsmem_tEENKUlT_SI_SJ_SK_E_clISD_PiSD_S10_EESH_SX_SI_SJ_SK_EUlSX_E1_NS1_11comp_targetILNS1_3genE8ELNS1_11target_archE1030ELNS1_3gpuE2ELNS1_3repE0EEENS1_36merge_oddeven_config_static_selectorELNS0_4arch9wavefront6targetE0EEEvSJ_.has_indirect_call, 0
	.section	.AMDGPU.csdata,"",@progbits
; Kernel info:
; codeLenInByte = 956
; TotalNumSgprs: 24
; NumVgprs: 10
; ScratchSize: 0
; MemoryBound: 0
; FloatMode: 240
; IeeeMode: 1
; LDSByteSize: 0 bytes/workgroup (compile time only)
; SGPRBlocks: 0
; VGPRBlocks: 1
; NumSGPRsForWavesPerEU: 24
; NumVGPRsForWavesPerEU: 10
; Occupancy: 16
; WaveLimiterHint : 0
; COMPUTE_PGM_RSRC2:SCRATCH_EN: 0
; COMPUTE_PGM_RSRC2:USER_SGPR: 6
; COMPUTE_PGM_RSRC2:TRAP_HANDLER: 0
; COMPUTE_PGM_RSRC2:TGID_X_EN: 1
; COMPUTE_PGM_RSRC2:TGID_Y_EN: 0
; COMPUTE_PGM_RSRC2:TGID_Z_EN: 0
; COMPUTE_PGM_RSRC2:TIDIG_COMP_CNT: 0
	.section	.text._ZN7rocprim17ROCPRIM_400000_NS6detail17trampoline_kernelINS0_14default_configENS1_35radix_sort_onesweep_config_selectorIiiEEZNS1_34radix_sort_onesweep_global_offsetsIS3_Lb1EN6thrust23THRUST_200600_302600_NS6detail15normal_iteratorINS8_10device_ptrIiEEEESD_jNS0_19identity_decomposerEEE10hipError_tT1_T2_PT3_SI_jT4_jjP12ihipStream_tbEUlT_E_NS1_11comp_targetILNS1_3genE0ELNS1_11target_archE4294967295ELNS1_3gpuE0ELNS1_3repE0EEENS1_52radix_sort_onesweep_histogram_config_static_selectorELNS0_4arch9wavefront6targetE0EEEvSG_,"axG",@progbits,_ZN7rocprim17ROCPRIM_400000_NS6detail17trampoline_kernelINS0_14default_configENS1_35radix_sort_onesweep_config_selectorIiiEEZNS1_34radix_sort_onesweep_global_offsetsIS3_Lb1EN6thrust23THRUST_200600_302600_NS6detail15normal_iteratorINS8_10device_ptrIiEEEESD_jNS0_19identity_decomposerEEE10hipError_tT1_T2_PT3_SI_jT4_jjP12ihipStream_tbEUlT_E_NS1_11comp_targetILNS1_3genE0ELNS1_11target_archE4294967295ELNS1_3gpuE0ELNS1_3repE0EEENS1_52radix_sort_onesweep_histogram_config_static_selectorELNS0_4arch9wavefront6targetE0EEEvSG_,comdat
	.protected	_ZN7rocprim17ROCPRIM_400000_NS6detail17trampoline_kernelINS0_14default_configENS1_35radix_sort_onesweep_config_selectorIiiEEZNS1_34radix_sort_onesweep_global_offsetsIS3_Lb1EN6thrust23THRUST_200600_302600_NS6detail15normal_iteratorINS8_10device_ptrIiEEEESD_jNS0_19identity_decomposerEEE10hipError_tT1_T2_PT3_SI_jT4_jjP12ihipStream_tbEUlT_E_NS1_11comp_targetILNS1_3genE0ELNS1_11target_archE4294967295ELNS1_3gpuE0ELNS1_3repE0EEENS1_52radix_sort_onesweep_histogram_config_static_selectorELNS0_4arch9wavefront6targetE0EEEvSG_ ; -- Begin function _ZN7rocprim17ROCPRIM_400000_NS6detail17trampoline_kernelINS0_14default_configENS1_35radix_sort_onesweep_config_selectorIiiEEZNS1_34radix_sort_onesweep_global_offsetsIS3_Lb1EN6thrust23THRUST_200600_302600_NS6detail15normal_iteratorINS8_10device_ptrIiEEEESD_jNS0_19identity_decomposerEEE10hipError_tT1_T2_PT3_SI_jT4_jjP12ihipStream_tbEUlT_E_NS1_11comp_targetILNS1_3genE0ELNS1_11target_archE4294967295ELNS1_3gpuE0ELNS1_3repE0EEENS1_52radix_sort_onesweep_histogram_config_static_selectorELNS0_4arch9wavefront6targetE0EEEvSG_
	.globl	_ZN7rocprim17ROCPRIM_400000_NS6detail17trampoline_kernelINS0_14default_configENS1_35radix_sort_onesweep_config_selectorIiiEEZNS1_34radix_sort_onesweep_global_offsetsIS3_Lb1EN6thrust23THRUST_200600_302600_NS6detail15normal_iteratorINS8_10device_ptrIiEEEESD_jNS0_19identity_decomposerEEE10hipError_tT1_T2_PT3_SI_jT4_jjP12ihipStream_tbEUlT_E_NS1_11comp_targetILNS1_3genE0ELNS1_11target_archE4294967295ELNS1_3gpuE0ELNS1_3repE0EEENS1_52radix_sort_onesweep_histogram_config_static_selectorELNS0_4arch9wavefront6targetE0EEEvSG_
	.p2align	8
	.type	_ZN7rocprim17ROCPRIM_400000_NS6detail17trampoline_kernelINS0_14default_configENS1_35radix_sort_onesweep_config_selectorIiiEEZNS1_34radix_sort_onesweep_global_offsetsIS3_Lb1EN6thrust23THRUST_200600_302600_NS6detail15normal_iteratorINS8_10device_ptrIiEEEESD_jNS0_19identity_decomposerEEE10hipError_tT1_T2_PT3_SI_jT4_jjP12ihipStream_tbEUlT_E_NS1_11comp_targetILNS1_3genE0ELNS1_11target_archE4294967295ELNS1_3gpuE0ELNS1_3repE0EEENS1_52radix_sort_onesweep_histogram_config_static_selectorELNS0_4arch9wavefront6targetE0EEEvSG_,@function
_ZN7rocprim17ROCPRIM_400000_NS6detail17trampoline_kernelINS0_14default_configENS1_35radix_sort_onesweep_config_selectorIiiEEZNS1_34radix_sort_onesweep_global_offsetsIS3_Lb1EN6thrust23THRUST_200600_302600_NS6detail15normal_iteratorINS8_10device_ptrIiEEEESD_jNS0_19identity_decomposerEEE10hipError_tT1_T2_PT3_SI_jT4_jjP12ihipStream_tbEUlT_E_NS1_11comp_targetILNS1_3genE0ELNS1_11target_archE4294967295ELNS1_3gpuE0ELNS1_3repE0EEENS1_52radix_sort_onesweep_histogram_config_static_selectorELNS0_4arch9wavefront6targetE0EEEvSG_: ; @_ZN7rocprim17ROCPRIM_400000_NS6detail17trampoline_kernelINS0_14default_configENS1_35radix_sort_onesweep_config_selectorIiiEEZNS1_34radix_sort_onesweep_global_offsetsIS3_Lb1EN6thrust23THRUST_200600_302600_NS6detail15normal_iteratorINS8_10device_ptrIiEEEESD_jNS0_19identity_decomposerEEE10hipError_tT1_T2_PT3_SI_jT4_jjP12ihipStream_tbEUlT_E_NS1_11comp_targetILNS1_3genE0ELNS1_11target_archE4294967295ELNS1_3gpuE0ELNS1_3repE0EEENS1_52radix_sort_onesweep_histogram_config_static_selectorELNS0_4arch9wavefront6targetE0EEEvSG_
; %bb.0:
	.section	.rodata,"a",@progbits
	.p2align	6, 0x0
	.amdhsa_kernel _ZN7rocprim17ROCPRIM_400000_NS6detail17trampoline_kernelINS0_14default_configENS1_35radix_sort_onesweep_config_selectorIiiEEZNS1_34radix_sort_onesweep_global_offsetsIS3_Lb1EN6thrust23THRUST_200600_302600_NS6detail15normal_iteratorINS8_10device_ptrIiEEEESD_jNS0_19identity_decomposerEEE10hipError_tT1_T2_PT3_SI_jT4_jjP12ihipStream_tbEUlT_E_NS1_11comp_targetILNS1_3genE0ELNS1_11target_archE4294967295ELNS1_3gpuE0ELNS1_3repE0EEENS1_52radix_sort_onesweep_histogram_config_static_selectorELNS0_4arch9wavefront6targetE0EEEvSG_
		.amdhsa_group_segment_fixed_size 0
		.amdhsa_private_segment_fixed_size 0
		.amdhsa_kernarg_size 40
		.amdhsa_user_sgpr_count 6
		.amdhsa_user_sgpr_private_segment_buffer 1
		.amdhsa_user_sgpr_dispatch_ptr 0
		.amdhsa_user_sgpr_queue_ptr 0
		.amdhsa_user_sgpr_kernarg_segment_ptr 1
		.amdhsa_user_sgpr_dispatch_id 0
		.amdhsa_user_sgpr_flat_scratch_init 0
		.amdhsa_user_sgpr_private_segment_size 0
		.amdhsa_wavefront_size32 1
		.amdhsa_uses_dynamic_stack 0
		.amdhsa_system_sgpr_private_segment_wavefront_offset 0
		.amdhsa_system_sgpr_workgroup_id_x 1
		.amdhsa_system_sgpr_workgroup_id_y 0
		.amdhsa_system_sgpr_workgroup_id_z 0
		.amdhsa_system_sgpr_workgroup_info 0
		.amdhsa_system_vgpr_workitem_id 0
		.amdhsa_next_free_vgpr 1
		.amdhsa_next_free_sgpr 1
		.amdhsa_reserve_vcc 0
		.amdhsa_reserve_flat_scratch 0
		.amdhsa_float_round_mode_32 0
		.amdhsa_float_round_mode_16_64 0
		.amdhsa_float_denorm_mode_32 3
		.amdhsa_float_denorm_mode_16_64 3
		.amdhsa_dx10_clamp 1
		.amdhsa_ieee_mode 1
		.amdhsa_fp16_overflow 0
		.amdhsa_workgroup_processor_mode 1
		.amdhsa_memory_ordered 1
		.amdhsa_forward_progress 1
		.amdhsa_shared_vgpr_count 0
		.amdhsa_exception_fp_ieee_invalid_op 0
		.amdhsa_exception_fp_denorm_src 0
		.amdhsa_exception_fp_ieee_div_zero 0
		.amdhsa_exception_fp_ieee_overflow 0
		.amdhsa_exception_fp_ieee_underflow 0
		.amdhsa_exception_fp_ieee_inexact 0
		.amdhsa_exception_int_div_zero 0
	.end_amdhsa_kernel
	.section	.text._ZN7rocprim17ROCPRIM_400000_NS6detail17trampoline_kernelINS0_14default_configENS1_35radix_sort_onesweep_config_selectorIiiEEZNS1_34radix_sort_onesweep_global_offsetsIS3_Lb1EN6thrust23THRUST_200600_302600_NS6detail15normal_iteratorINS8_10device_ptrIiEEEESD_jNS0_19identity_decomposerEEE10hipError_tT1_T2_PT3_SI_jT4_jjP12ihipStream_tbEUlT_E_NS1_11comp_targetILNS1_3genE0ELNS1_11target_archE4294967295ELNS1_3gpuE0ELNS1_3repE0EEENS1_52radix_sort_onesweep_histogram_config_static_selectorELNS0_4arch9wavefront6targetE0EEEvSG_,"axG",@progbits,_ZN7rocprim17ROCPRIM_400000_NS6detail17trampoline_kernelINS0_14default_configENS1_35radix_sort_onesweep_config_selectorIiiEEZNS1_34radix_sort_onesweep_global_offsetsIS3_Lb1EN6thrust23THRUST_200600_302600_NS6detail15normal_iteratorINS8_10device_ptrIiEEEESD_jNS0_19identity_decomposerEEE10hipError_tT1_T2_PT3_SI_jT4_jjP12ihipStream_tbEUlT_E_NS1_11comp_targetILNS1_3genE0ELNS1_11target_archE4294967295ELNS1_3gpuE0ELNS1_3repE0EEENS1_52radix_sort_onesweep_histogram_config_static_selectorELNS0_4arch9wavefront6targetE0EEEvSG_,comdat
.Lfunc_end981:
	.size	_ZN7rocprim17ROCPRIM_400000_NS6detail17trampoline_kernelINS0_14default_configENS1_35radix_sort_onesweep_config_selectorIiiEEZNS1_34radix_sort_onesweep_global_offsetsIS3_Lb1EN6thrust23THRUST_200600_302600_NS6detail15normal_iteratorINS8_10device_ptrIiEEEESD_jNS0_19identity_decomposerEEE10hipError_tT1_T2_PT3_SI_jT4_jjP12ihipStream_tbEUlT_E_NS1_11comp_targetILNS1_3genE0ELNS1_11target_archE4294967295ELNS1_3gpuE0ELNS1_3repE0EEENS1_52radix_sort_onesweep_histogram_config_static_selectorELNS0_4arch9wavefront6targetE0EEEvSG_, .Lfunc_end981-_ZN7rocprim17ROCPRIM_400000_NS6detail17trampoline_kernelINS0_14default_configENS1_35radix_sort_onesweep_config_selectorIiiEEZNS1_34radix_sort_onesweep_global_offsetsIS3_Lb1EN6thrust23THRUST_200600_302600_NS6detail15normal_iteratorINS8_10device_ptrIiEEEESD_jNS0_19identity_decomposerEEE10hipError_tT1_T2_PT3_SI_jT4_jjP12ihipStream_tbEUlT_E_NS1_11comp_targetILNS1_3genE0ELNS1_11target_archE4294967295ELNS1_3gpuE0ELNS1_3repE0EEENS1_52radix_sort_onesweep_histogram_config_static_selectorELNS0_4arch9wavefront6targetE0EEEvSG_
                                        ; -- End function
	.set _ZN7rocprim17ROCPRIM_400000_NS6detail17trampoline_kernelINS0_14default_configENS1_35radix_sort_onesweep_config_selectorIiiEEZNS1_34radix_sort_onesweep_global_offsetsIS3_Lb1EN6thrust23THRUST_200600_302600_NS6detail15normal_iteratorINS8_10device_ptrIiEEEESD_jNS0_19identity_decomposerEEE10hipError_tT1_T2_PT3_SI_jT4_jjP12ihipStream_tbEUlT_E_NS1_11comp_targetILNS1_3genE0ELNS1_11target_archE4294967295ELNS1_3gpuE0ELNS1_3repE0EEENS1_52radix_sort_onesweep_histogram_config_static_selectorELNS0_4arch9wavefront6targetE0EEEvSG_.num_vgpr, 0
	.set _ZN7rocprim17ROCPRIM_400000_NS6detail17trampoline_kernelINS0_14default_configENS1_35radix_sort_onesweep_config_selectorIiiEEZNS1_34radix_sort_onesweep_global_offsetsIS3_Lb1EN6thrust23THRUST_200600_302600_NS6detail15normal_iteratorINS8_10device_ptrIiEEEESD_jNS0_19identity_decomposerEEE10hipError_tT1_T2_PT3_SI_jT4_jjP12ihipStream_tbEUlT_E_NS1_11comp_targetILNS1_3genE0ELNS1_11target_archE4294967295ELNS1_3gpuE0ELNS1_3repE0EEENS1_52radix_sort_onesweep_histogram_config_static_selectorELNS0_4arch9wavefront6targetE0EEEvSG_.num_agpr, 0
	.set _ZN7rocprim17ROCPRIM_400000_NS6detail17trampoline_kernelINS0_14default_configENS1_35radix_sort_onesweep_config_selectorIiiEEZNS1_34radix_sort_onesweep_global_offsetsIS3_Lb1EN6thrust23THRUST_200600_302600_NS6detail15normal_iteratorINS8_10device_ptrIiEEEESD_jNS0_19identity_decomposerEEE10hipError_tT1_T2_PT3_SI_jT4_jjP12ihipStream_tbEUlT_E_NS1_11comp_targetILNS1_3genE0ELNS1_11target_archE4294967295ELNS1_3gpuE0ELNS1_3repE0EEENS1_52radix_sort_onesweep_histogram_config_static_selectorELNS0_4arch9wavefront6targetE0EEEvSG_.numbered_sgpr, 0
	.set _ZN7rocprim17ROCPRIM_400000_NS6detail17trampoline_kernelINS0_14default_configENS1_35radix_sort_onesweep_config_selectorIiiEEZNS1_34radix_sort_onesweep_global_offsetsIS3_Lb1EN6thrust23THRUST_200600_302600_NS6detail15normal_iteratorINS8_10device_ptrIiEEEESD_jNS0_19identity_decomposerEEE10hipError_tT1_T2_PT3_SI_jT4_jjP12ihipStream_tbEUlT_E_NS1_11comp_targetILNS1_3genE0ELNS1_11target_archE4294967295ELNS1_3gpuE0ELNS1_3repE0EEENS1_52radix_sort_onesweep_histogram_config_static_selectorELNS0_4arch9wavefront6targetE0EEEvSG_.num_named_barrier, 0
	.set _ZN7rocprim17ROCPRIM_400000_NS6detail17trampoline_kernelINS0_14default_configENS1_35radix_sort_onesweep_config_selectorIiiEEZNS1_34radix_sort_onesweep_global_offsetsIS3_Lb1EN6thrust23THRUST_200600_302600_NS6detail15normal_iteratorINS8_10device_ptrIiEEEESD_jNS0_19identity_decomposerEEE10hipError_tT1_T2_PT3_SI_jT4_jjP12ihipStream_tbEUlT_E_NS1_11comp_targetILNS1_3genE0ELNS1_11target_archE4294967295ELNS1_3gpuE0ELNS1_3repE0EEENS1_52radix_sort_onesweep_histogram_config_static_selectorELNS0_4arch9wavefront6targetE0EEEvSG_.private_seg_size, 0
	.set _ZN7rocprim17ROCPRIM_400000_NS6detail17trampoline_kernelINS0_14default_configENS1_35radix_sort_onesweep_config_selectorIiiEEZNS1_34radix_sort_onesweep_global_offsetsIS3_Lb1EN6thrust23THRUST_200600_302600_NS6detail15normal_iteratorINS8_10device_ptrIiEEEESD_jNS0_19identity_decomposerEEE10hipError_tT1_T2_PT3_SI_jT4_jjP12ihipStream_tbEUlT_E_NS1_11comp_targetILNS1_3genE0ELNS1_11target_archE4294967295ELNS1_3gpuE0ELNS1_3repE0EEENS1_52radix_sort_onesweep_histogram_config_static_selectorELNS0_4arch9wavefront6targetE0EEEvSG_.uses_vcc, 0
	.set _ZN7rocprim17ROCPRIM_400000_NS6detail17trampoline_kernelINS0_14default_configENS1_35radix_sort_onesweep_config_selectorIiiEEZNS1_34radix_sort_onesweep_global_offsetsIS3_Lb1EN6thrust23THRUST_200600_302600_NS6detail15normal_iteratorINS8_10device_ptrIiEEEESD_jNS0_19identity_decomposerEEE10hipError_tT1_T2_PT3_SI_jT4_jjP12ihipStream_tbEUlT_E_NS1_11comp_targetILNS1_3genE0ELNS1_11target_archE4294967295ELNS1_3gpuE0ELNS1_3repE0EEENS1_52radix_sort_onesweep_histogram_config_static_selectorELNS0_4arch9wavefront6targetE0EEEvSG_.uses_flat_scratch, 0
	.set _ZN7rocprim17ROCPRIM_400000_NS6detail17trampoline_kernelINS0_14default_configENS1_35radix_sort_onesweep_config_selectorIiiEEZNS1_34radix_sort_onesweep_global_offsetsIS3_Lb1EN6thrust23THRUST_200600_302600_NS6detail15normal_iteratorINS8_10device_ptrIiEEEESD_jNS0_19identity_decomposerEEE10hipError_tT1_T2_PT3_SI_jT4_jjP12ihipStream_tbEUlT_E_NS1_11comp_targetILNS1_3genE0ELNS1_11target_archE4294967295ELNS1_3gpuE0ELNS1_3repE0EEENS1_52radix_sort_onesweep_histogram_config_static_selectorELNS0_4arch9wavefront6targetE0EEEvSG_.has_dyn_sized_stack, 0
	.set _ZN7rocprim17ROCPRIM_400000_NS6detail17trampoline_kernelINS0_14default_configENS1_35radix_sort_onesweep_config_selectorIiiEEZNS1_34radix_sort_onesweep_global_offsetsIS3_Lb1EN6thrust23THRUST_200600_302600_NS6detail15normal_iteratorINS8_10device_ptrIiEEEESD_jNS0_19identity_decomposerEEE10hipError_tT1_T2_PT3_SI_jT4_jjP12ihipStream_tbEUlT_E_NS1_11comp_targetILNS1_3genE0ELNS1_11target_archE4294967295ELNS1_3gpuE0ELNS1_3repE0EEENS1_52radix_sort_onesweep_histogram_config_static_selectorELNS0_4arch9wavefront6targetE0EEEvSG_.has_recursion, 0
	.set _ZN7rocprim17ROCPRIM_400000_NS6detail17trampoline_kernelINS0_14default_configENS1_35radix_sort_onesweep_config_selectorIiiEEZNS1_34radix_sort_onesweep_global_offsetsIS3_Lb1EN6thrust23THRUST_200600_302600_NS6detail15normal_iteratorINS8_10device_ptrIiEEEESD_jNS0_19identity_decomposerEEE10hipError_tT1_T2_PT3_SI_jT4_jjP12ihipStream_tbEUlT_E_NS1_11comp_targetILNS1_3genE0ELNS1_11target_archE4294967295ELNS1_3gpuE0ELNS1_3repE0EEENS1_52radix_sort_onesweep_histogram_config_static_selectorELNS0_4arch9wavefront6targetE0EEEvSG_.has_indirect_call, 0
	.section	.AMDGPU.csdata,"",@progbits
; Kernel info:
; codeLenInByte = 0
; TotalNumSgprs: 0
; NumVgprs: 0
; ScratchSize: 0
; MemoryBound: 0
; FloatMode: 240
; IeeeMode: 1
; LDSByteSize: 0 bytes/workgroup (compile time only)
; SGPRBlocks: 0
; VGPRBlocks: 0
; NumSGPRsForWavesPerEU: 1
; NumVGPRsForWavesPerEU: 1
; Occupancy: 16
; WaveLimiterHint : 0
; COMPUTE_PGM_RSRC2:SCRATCH_EN: 0
; COMPUTE_PGM_RSRC2:USER_SGPR: 6
; COMPUTE_PGM_RSRC2:TRAP_HANDLER: 0
; COMPUTE_PGM_RSRC2:TGID_X_EN: 1
; COMPUTE_PGM_RSRC2:TGID_Y_EN: 0
; COMPUTE_PGM_RSRC2:TGID_Z_EN: 0
; COMPUTE_PGM_RSRC2:TIDIG_COMP_CNT: 0
	.section	.text._ZN7rocprim17ROCPRIM_400000_NS6detail17trampoline_kernelINS0_14default_configENS1_35radix_sort_onesweep_config_selectorIiiEEZNS1_34radix_sort_onesweep_global_offsetsIS3_Lb1EN6thrust23THRUST_200600_302600_NS6detail15normal_iteratorINS8_10device_ptrIiEEEESD_jNS0_19identity_decomposerEEE10hipError_tT1_T2_PT3_SI_jT4_jjP12ihipStream_tbEUlT_E_NS1_11comp_targetILNS1_3genE6ELNS1_11target_archE950ELNS1_3gpuE13ELNS1_3repE0EEENS1_52radix_sort_onesweep_histogram_config_static_selectorELNS0_4arch9wavefront6targetE0EEEvSG_,"axG",@progbits,_ZN7rocprim17ROCPRIM_400000_NS6detail17trampoline_kernelINS0_14default_configENS1_35radix_sort_onesweep_config_selectorIiiEEZNS1_34radix_sort_onesweep_global_offsetsIS3_Lb1EN6thrust23THRUST_200600_302600_NS6detail15normal_iteratorINS8_10device_ptrIiEEEESD_jNS0_19identity_decomposerEEE10hipError_tT1_T2_PT3_SI_jT4_jjP12ihipStream_tbEUlT_E_NS1_11comp_targetILNS1_3genE6ELNS1_11target_archE950ELNS1_3gpuE13ELNS1_3repE0EEENS1_52radix_sort_onesweep_histogram_config_static_selectorELNS0_4arch9wavefront6targetE0EEEvSG_,comdat
	.protected	_ZN7rocprim17ROCPRIM_400000_NS6detail17trampoline_kernelINS0_14default_configENS1_35radix_sort_onesweep_config_selectorIiiEEZNS1_34radix_sort_onesweep_global_offsetsIS3_Lb1EN6thrust23THRUST_200600_302600_NS6detail15normal_iteratorINS8_10device_ptrIiEEEESD_jNS0_19identity_decomposerEEE10hipError_tT1_T2_PT3_SI_jT4_jjP12ihipStream_tbEUlT_E_NS1_11comp_targetILNS1_3genE6ELNS1_11target_archE950ELNS1_3gpuE13ELNS1_3repE0EEENS1_52radix_sort_onesweep_histogram_config_static_selectorELNS0_4arch9wavefront6targetE0EEEvSG_ ; -- Begin function _ZN7rocprim17ROCPRIM_400000_NS6detail17trampoline_kernelINS0_14default_configENS1_35radix_sort_onesweep_config_selectorIiiEEZNS1_34radix_sort_onesweep_global_offsetsIS3_Lb1EN6thrust23THRUST_200600_302600_NS6detail15normal_iteratorINS8_10device_ptrIiEEEESD_jNS0_19identity_decomposerEEE10hipError_tT1_T2_PT3_SI_jT4_jjP12ihipStream_tbEUlT_E_NS1_11comp_targetILNS1_3genE6ELNS1_11target_archE950ELNS1_3gpuE13ELNS1_3repE0EEENS1_52radix_sort_onesweep_histogram_config_static_selectorELNS0_4arch9wavefront6targetE0EEEvSG_
	.globl	_ZN7rocprim17ROCPRIM_400000_NS6detail17trampoline_kernelINS0_14default_configENS1_35radix_sort_onesweep_config_selectorIiiEEZNS1_34radix_sort_onesweep_global_offsetsIS3_Lb1EN6thrust23THRUST_200600_302600_NS6detail15normal_iteratorINS8_10device_ptrIiEEEESD_jNS0_19identity_decomposerEEE10hipError_tT1_T2_PT3_SI_jT4_jjP12ihipStream_tbEUlT_E_NS1_11comp_targetILNS1_3genE6ELNS1_11target_archE950ELNS1_3gpuE13ELNS1_3repE0EEENS1_52radix_sort_onesweep_histogram_config_static_selectorELNS0_4arch9wavefront6targetE0EEEvSG_
	.p2align	8
	.type	_ZN7rocprim17ROCPRIM_400000_NS6detail17trampoline_kernelINS0_14default_configENS1_35radix_sort_onesweep_config_selectorIiiEEZNS1_34radix_sort_onesweep_global_offsetsIS3_Lb1EN6thrust23THRUST_200600_302600_NS6detail15normal_iteratorINS8_10device_ptrIiEEEESD_jNS0_19identity_decomposerEEE10hipError_tT1_T2_PT3_SI_jT4_jjP12ihipStream_tbEUlT_E_NS1_11comp_targetILNS1_3genE6ELNS1_11target_archE950ELNS1_3gpuE13ELNS1_3repE0EEENS1_52radix_sort_onesweep_histogram_config_static_selectorELNS0_4arch9wavefront6targetE0EEEvSG_,@function
_ZN7rocprim17ROCPRIM_400000_NS6detail17trampoline_kernelINS0_14default_configENS1_35radix_sort_onesweep_config_selectorIiiEEZNS1_34radix_sort_onesweep_global_offsetsIS3_Lb1EN6thrust23THRUST_200600_302600_NS6detail15normal_iteratorINS8_10device_ptrIiEEEESD_jNS0_19identity_decomposerEEE10hipError_tT1_T2_PT3_SI_jT4_jjP12ihipStream_tbEUlT_E_NS1_11comp_targetILNS1_3genE6ELNS1_11target_archE950ELNS1_3gpuE13ELNS1_3repE0EEENS1_52radix_sort_onesweep_histogram_config_static_selectorELNS0_4arch9wavefront6targetE0EEEvSG_: ; @_ZN7rocprim17ROCPRIM_400000_NS6detail17trampoline_kernelINS0_14default_configENS1_35radix_sort_onesweep_config_selectorIiiEEZNS1_34radix_sort_onesweep_global_offsetsIS3_Lb1EN6thrust23THRUST_200600_302600_NS6detail15normal_iteratorINS8_10device_ptrIiEEEESD_jNS0_19identity_decomposerEEE10hipError_tT1_T2_PT3_SI_jT4_jjP12ihipStream_tbEUlT_E_NS1_11comp_targetILNS1_3genE6ELNS1_11target_archE950ELNS1_3gpuE13ELNS1_3repE0EEENS1_52radix_sort_onesweep_histogram_config_static_selectorELNS0_4arch9wavefront6targetE0EEEvSG_
; %bb.0:
	.section	.rodata,"a",@progbits
	.p2align	6, 0x0
	.amdhsa_kernel _ZN7rocprim17ROCPRIM_400000_NS6detail17trampoline_kernelINS0_14default_configENS1_35radix_sort_onesweep_config_selectorIiiEEZNS1_34radix_sort_onesweep_global_offsetsIS3_Lb1EN6thrust23THRUST_200600_302600_NS6detail15normal_iteratorINS8_10device_ptrIiEEEESD_jNS0_19identity_decomposerEEE10hipError_tT1_T2_PT3_SI_jT4_jjP12ihipStream_tbEUlT_E_NS1_11comp_targetILNS1_3genE6ELNS1_11target_archE950ELNS1_3gpuE13ELNS1_3repE0EEENS1_52radix_sort_onesweep_histogram_config_static_selectorELNS0_4arch9wavefront6targetE0EEEvSG_
		.amdhsa_group_segment_fixed_size 0
		.amdhsa_private_segment_fixed_size 0
		.amdhsa_kernarg_size 40
		.amdhsa_user_sgpr_count 6
		.amdhsa_user_sgpr_private_segment_buffer 1
		.amdhsa_user_sgpr_dispatch_ptr 0
		.amdhsa_user_sgpr_queue_ptr 0
		.amdhsa_user_sgpr_kernarg_segment_ptr 1
		.amdhsa_user_sgpr_dispatch_id 0
		.amdhsa_user_sgpr_flat_scratch_init 0
		.amdhsa_user_sgpr_private_segment_size 0
		.amdhsa_wavefront_size32 1
		.amdhsa_uses_dynamic_stack 0
		.amdhsa_system_sgpr_private_segment_wavefront_offset 0
		.amdhsa_system_sgpr_workgroup_id_x 1
		.amdhsa_system_sgpr_workgroup_id_y 0
		.amdhsa_system_sgpr_workgroup_id_z 0
		.amdhsa_system_sgpr_workgroup_info 0
		.amdhsa_system_vgpr_workitem_id 0
		.amdhsa_next_free_vgpr 1
		.amdhsa_next_free_sgpr 1
		.amdhsa_reserve_vcc 0
		.amdhsa_reserve_flat_scratch 0
		.amdhsa_float_round_mode_32 0
		.amdhsa_float_round_mode_16_64 0
		.amdhsa_float_denorm_mode_32 3
		.amdhsa_float_denorm_mode_16_64 3
		.amdhsa_dx10_clamp 1
		.amdhsa_ieee_mode 1
		.amdhsa_fp16_overflow 0
		.amdhsa_workgroup_processor_mode 1
		.amdhsa_memory_ordered 1
		.amdhsa_forward_progress 1
		.amdhsa_shared_vgpr_count 0
		.amdhsa_exception_fp_ieee_invalid_op 0
		.amdhsa_exception_fp_denorm_src 0
		.amdhsa_exception_fp_ieee_div_zero 0
		.amdhsa_exception_fp_ieee_overflow 0
		.amdhsa_exception_fp_ieee_underflow 0
		.amdhsa_exception_fp_ieee_inexact 0
		.amdhsa_exception_int_div_zero 0
	.end_amdhsa_kernel
	.section	.text._ZN7rocprim17ROCPRIM_400000_NS6detail17trampoline_kernelINS0_14default_configENS1_35radix_sort_onesweep_config_selectorIiiEEZNS1_34radix_sort_onesweep_global_offsetsIS3_Lb1EN6thrust23THRUST_200600_302600_NS6detail15normal_iteratorINS8_10device_ptrIiEEEESD_jNS0_19identity_decomposerEEE10hipError_tT1_T2_PT3_SI_jT4_jjP12ihipStream_tbEUlT_E_NS1_11comp_targetILNS1_3genE6ELNS1_11target_archE950ELNS1_3gpuE13ELNS1_3repE0EEENS1_52radix_sort_onesweep_histogram_config_static_selectorELNS0_4arch9wavefront6targetE0EEEvSG_,"axG",@progbits,_ZN7rocprim17ROCPRIM_400000_NS6detail17trampoline_kernelINS0_14default_configENS1_35radix_sort_onesweep_config_selectorIiiEEZNS1_34radix_sort_onesweep_global_offsetsIS3_Lb1EN6thrust23THRUST_200600_302600_NS6detail15normal_iteratorINS8_10device_ptrIiEEEESD_jNS0_19identity_decomposerEEE10hipError_tT1_T2_PT3_SI_jT4_jjP12ihipStream_tbEUlT_E_NS1_11comp_targetILNS1_3genE6ELNS1_11target_archE950ELNS1_3gpuE13ELNS1_3repE0EEENS1_52radix_sort_onesweep_histogram_config_static_selectorELNS0_4arch9wavefront6targetE0EEEvSG_,comdat
.Lfunc_end982:
	.size	_ZN7rocprim17ROCPRIM_400000_NS6detail17trampoline_kernelINS0_14default_configENS1_35radix_sort_onesweep_config_selectorIiiEEZNS1_34radix_sort_onesweep_global_offsetsIS3_Lb1EN6thrust23THRUST_200600_302600_NS6detail15normal_iteratorINS8_10device_ptrIiEEEESD_jNS0_19identity_decomposerEEE10hipError_tT1_T2_PT3_SI_jT4_jjP12ihipStream_tbEUlT_E_NS1_11comp_targetILNS1_3genE6ELNS1_11target_archE950ELNS1_3gpuE13ELNS1_3repE0EEENS1_52radix_sort_onesweep_histogram_config_static_selectorELNS0_4arch9wavefront6targetE0EEEvSG_, .Lfunc_end982-_ZN7rocprim17ROCPRIM_400000_NS6detail17trampoline_kernelINS0_14default_configENS1_35radix_sort_onesweep_config_selectorIiiEEZNS1_34radix_sort_onesweep_global_offsetsIS3_Lb1EN6thrust23THRUST_200600_302600_NS6detail15normal_iteratorINS8_10device_ptrIiEEEESD_jNS0_19identity_decomposerEEE10hipError_tT1_T2_PT3_SI_jT4_jjP12ihipStream_tbEUlT_E_NS1_11comp_targetILNS1_3genE6ELNS1_11target_archE950ELNS1_3gpuE13ELNS1_3repE0EEENS1_52radix_sort_onesweep_histogram_config_static_selectorELNS0_4arch9wavefront6targetE0EEEvSG_
                                        ; -- End function
	.set _ZN7rocprim17ROCPRIM_400000_NS6detail17trampoline_kernelINS0_14default_configENS1_35radix_sort_onesweep_config_selectorIiiEEZNS1_34radix_sort_onesweep_global_offsetsIS3_Lb1EN6thrust23THRUST_200600_302600_NS6detail15normal_iteratorINS8_10device_ptrIiEEEESD_jNS0_19identity_decomposerEEE10hipError_tT1_T2_PT3_SI_jT4_jjP12ihipStream_tbEUlT_E_NS1_11comp_targetILNS1_3genE6ELNS1_11target_archE950ELNS1_3gpuE13ELNS1_3repE0EEENS1_52radix_sort_onesweep_histogram_config_static_selectorELNS0_4arch9wavefront6targetE0EEEvSG_.num_vgpr, 0
	.set _ZN7rocprim17ROCPRIM_400000_NS6detail17trampoline_kernelINS0_14default_configENS1_35radix_sort_onesweep_config_selectorIiiEEZNS1_34radix_sort_onesweep_global_offsetsIS3_Lb1EN6thrust23THRUST_200600_302600_NS6detail15normal_iteratorINS8_10device_ptrIiEEEESD_jNS0_19identity_decomposerEEE10hipError_tT1_T2_PT3_SI_jT4_jjP12ihipStream_tbEUlT_E_NS1_11comp_targetILNS1_3genE6ELNS1_11target_archE950ELNS1_3gpuE13ELNS1_3repE0EEENS1_52radix_sort_onesweep_histogram_config_static_selectorELNS0_4arch9wavefront6targetE0EEEvSG_.num_agpr, 0
	.set _ZN7rocprim17ROCPRIM_400000_NS6detail17trampoline_kernelINS0_14default_configENS1_35radix_sort_onesweep_config_selectorIiiEEZNS1_34radix_sort_onesweep_global_offsetsIS3_Lb1EN6thrust23THRUST_200600_302600_NS6detail15normal_iteratorINS8_10device_ptrIiEEEESD_jNS0_19identity_decomposerEEE10hipError_tT1_T2_PT3_SI_jT4_jjP12ihipStream_tbEUlT_E_NS1_11comp_targetILNS1_3genE6ELNS1_11target_archE950ELNS1_3gpuE13ELNS1_3repE0EEENS1_52radix_sort_onesweep_histogram_config_static_selectorELNS0_4arch9wavefront6targetE0EEEvSG_.numbered_sgpr, 0
	.set _ZN7rocprim17ROCPRIM_400000_NS6detail17trampoline_kernelINS0_14default_configENS1_35radix_sort_onesweep_config_selectorIiiEEZNS1_34radix_sort_onesweep_global_offsetsIS3_Lb1EN6thrust23THRUST_200600_302600_NS6detail15normal_iteratorINS8_10device_ptrIiEEEESD_jNS0_19identity_decomposerEEE10hipError_tT1_T2_PT3_SI_jT4_jjP12ihipStream_tbEUlT_E_NS1_11comp_targetILNS1_3genE6ELNS1_11target_archE950ELNS1_3gpuE13ELNS1_3repE0EEENS1_52radix_sort_onesweep_histogram_config_static_selectorELNS0_4arch9wavefront6targetE0EEEvSG_.num_named_barrier, 0
	.set _ZN7rocprim17ROCPRIM_400000_NS6detail17trampoline_kernelINS0_14default_configENS1_35radix_sort_onesweep_config_selectorIiiEEZNS1_34radix_sort_onesweep_global_offsetsIS3_Lb1EN6thrust23THRUST_200600_302600_NS6detail15normal_iteratorINS8_10device_ptrIiEEEESD_jNS0_19identity_decomposerEEE10hipError_tT1_T2_PT3_SI_jT4_jjP12ihipStream_tbEUlT_E_NS1_11comp_targetILNS1_3genE6ELNS1_11target_archE950ELNS1_3gpuE13ELNS1_3repE0EEENS1_52radix_sort_onesweep_histogram_config_static_selectorELNS0_4arch9wavefront6targetE0EEEvSG_.private_seg_size, 0
	.set _ZN7rocprim17ROCPRIM_400000_NS6detail17trampoline_kernelINS0_14default_configENS1_35radix_sort_onesweep_config_selectorIiiEEZNS1_34radix_sort_onesweep_global_offsetsIS3_Lb1EN6thrust23THRUST_200600_302600_NS6detail15normal_iteratorINS8_10device_ptrIiEEEESD_jNS0_19identity_decomposerEEE10hipError_tT1_T2_PT3_SI_jT4_jjP12ihipStream_tbEUlT_E_NS1_11comp_targetILNS1_3genE6ELNS1_11target_archE950ELNS1_3gpuE13ELNS1_3repE0EEENS1_52radix_sort_onesweep_histogram_config_static_selectorELNS0_4arch9wavefront6targetE0EEEvSG_.uses_vcc, 0
	.set _ZN7rocprim17ROCPRIM_400000_NS6detail17trampoline_kernelINS0_14default_configENS1_35radix_sort_onesweep_config_selectorIiiEEZNS1_34radix_sort_onesweep_global_offsetsIS3_Lb1EN6thrust23THRUST_200600_302600_NS6detail15normal_iteratorINS8_10device_ptrIiEEEESD_jNS0_19identity_decomposerEEE10hipError_tT1_T2_PT3_SI_jT4_jjP12ihipStream_tbEUlT_E_NS1_11comp_targetILNS1_3genE6ELNS1_11target_archE950ELNS1_3gpuE13ELNS1_3repE0EEENS1_52radix_sort_onesweep_histogram_config_static_selectorELNS0_4arch9wavefront6targetE0EEEvSG_.uses_flat_scratch, 0
	.set _ZN7rocprim17ROCPRIM_400000_NS6detail17trampoline_kernelINS0_14default_configENS1_35radix_sort_onesweep_config_selectorIiiEEZNS1_34radix_sort_onesweep_global_offsetsIS3_Lb1EN6thrust23THRUST_200600_302600_NS6detail15normal_iteratorINS8_10device_ptrIiEEEESD_jNS0_19identity_decomposerEEE10hipError_tT1_T2_PT3_SI_jT4_jjP12ihipStream_tbEUlT_E_NS1_11comp_targetILNS1_3genE6ELNS1_11target_archE950ELNS1_3gpuE13ELNS1_3repE0EEENS1_52radix_sort_onesweep_histogram_config_static_selectorELNS0_4arch9wavefront6targetE0EEEvSG_.has_dyn_sized_stack, 0
	.set _ZN7rocprim17ROCPRIM_400000_NS6detail17trampoline_kernelINS0_14default_configENS1_35radix_sort_onesweep_config_selectorIiiEEZNS1_34radix_sort_onesweep_global_offsetsIS3_Lb1EN6thrust23THRUST_200600_302600_NS6detail15normal_iteratorINS8_10device_ptrIiEEEESD_jNS0_19identity_decomposerEEE10hipError_tT1_T2_PT3_SI_jT4_jjP12ihipStream_tbEUlT_E_NS1_11comp_targetILNS1_3genE6ELNS1_11target_archE950ELNS1_3gpuE13ELNS1_3repE0EEENS1_52radix_sort_onesweep_histogram_config_static_selectorELNS0_4arch9wavefront6targetE0EEEvSG_.has_recursion, 0
	.set _ZN7rocprim17ROCPRIM_400000_NS6detail17trampoline_kernelINS0_14default_configENS1_35radix_sort_onesweep_config_selectorIiiEEZNS1_34radix_sort_onesweep_global_offsetsIS3_Lb1EN6thrust23THRUST_200600_302600_NS6detail15normal_iteratorINS8_10device_ptrIiEEEESD_jNS0_19identity_decomposerEEE10hipError_tT1_T2_PT3_SI_jT4_jjP12ihipStream_tbEUlT_E_NS1_11comp_targetILNS1_3genE6ELNS1_11target_archE950ELNS1_3gpuE13ELNS1_3repE0EEENS1_52radix_sort_onesweep_histogram_config_static_selectorELNS0_4arch9wavefront6targetE0EEEvSG_.has_indirect_call, 0
	.section	.AMDGPU.csdata,"",@progbits
; Kernel info:
; codeLenInByte = 0
; TotalNumSgprs: 0
; NumVgprs: 0
; ScratchSize: 0
; MemoryBound: 0
; FloatMode: 240
; IeeeMode: 1
; LDSByteSize: 0 bytes/workgroup (compile time only)
; SGPRBlocks: 0
; VGPRBlocks: 0
; NumSGPRsForWavesPerEU: 1
; NumVGPRsForWavesPerEU: 1
; Occupancy: 16
; WaveLimiterHint : 0
; COMPUTE_PGM_RSRC2:SCRATCH_EN: 0
; COMPUTE_PGM_RSRC2:USER_SGPR: 6
; COMPUTE_PGM_RSRC2:TRAP_HANDLER: 0
; COMPUTE_PGM_RSRC2:TGID_X_EN: 1
; COMPUTE_PGM_RSRC2:TGID_Y_EN: 0
; COMPUTE_PGM_RSRC2:TGID_Z_EN: 0
; COMPUTE_PGM_RSRC2:TIDIG_COMP_CNT: 0
	.section	.text._ZN7rocprim17ROCPRIM_400000_NS6detail17trampoline_kernelINS0_14default_configENS1_35radix_sort_onesweep_config_selectorIiiEEZNS1_34radix_sort_onesweep_global_offsetsIS3_Lb1EN6thrust23THRUST_200600_302600_NS6detail15normal_iteratorINS8_10device_ptrIiEEEESD_jNS0_19identity_decomposerEEE10hipError_tT1_T2_PT3_SI_jT4_jjP12ihipStream_tbEUlT_E_NS1_11comp_targetILNS1_3genE5ELNS1_11target_archE942ELNS1_3gpuE9ELNS1_3repE0EEENS1_52radix_sort_onesweep_histogram_config_static_selectorELNS0_4arch9wavefront6targetE0EEEvSG_,"axG",@progbits,_ZN7rocprim17ROCPRIM_400000_NS6detail17trampoline_kernelINS0_14default_configENS1_35radix_sort_onesweep_config_selectorIiiEEZNS1_34radix_sort_onesweep_global_offsetsIS3_Lb1EN6thrust23THRUST_200600_302600_NS6detail15normal_iteratorINS8_10device_ptrIiEEEESD_jNS0_19identity_decomposerEEE10hipError_tT1_T2_PT3_SI_jT4_jjP12ihipStream_tbEUlT_E_NS1_11comp_targetILNS1_3genE5ELNS1_11target_archE942ELNS1_3gpuE9ELNS1_3repE0EEENS1_52radix_sort_onesweep_histogram_config_static_selectorELNS0_4arch9wavefront6targetE0EEEvSG_,comdat
	.protected	_ZN7rocprim17ROCPRIM_400000_NS6detail17trampoline_kernelINS0_14default_configENS1_35radix_sort_onesweep_config_selectorIiiEEZNS1_34radix_sort_onesweep_global_offsetsIS3_Lb1EN6thrust23THRUST_200600_302600_NS6detail15normal_iteratorINS8_10device_ptrIiEEEESD_jNS0_19identity_decomposerEEE10hipError_tT1_T2_PT3_SI_jT4_jjP12ihipStream_tbEUlT_E_NS1_11comp_targetILNS1_3genE5ELNS1_11target_archE942ELNS1_3gpuE9ELNS1_3repE0EEENS1_52radix_sort_onesweep_histogram_config_static_selectorELNS0_4arch9wavefront6targetE0EEEvSG_ ; -- Begin function _ZN7rocprim17ROCPRIM_400000_NS6detail17trampoline_kernelINS0_14default_configENS1_35radix_sort_onesweep_config_selectorIiiEEZNS1_34radix_sort_onesweep_global_offsetsIS3_Lb1EN6thrust23THRUST_200600_302600_NS6detail15normal_iteratorINS8_10device_ptrIiEEEESD_jNS0_19identity_decomposerEEE10hipError_tT1_T2_PT3_SI_jT4_jjP12ihipStream_tbEUlT_E_NS1_11comp_targetILNS1_3genE5ELNS1_11target_archE942ELNS1_3gpuE9ELNS1_3repE0EEENS1_52radix_sort_onesweep_histogram_config_static_selectorELNS0_4arch9wavefront6targetE0EEEvSG_
	.globl	_ZN7rocprim17ROCPRIM_400000_NS6detail17trampoline_kernelINS0_14default_configENS1_35radix_sort_onesweep_config_selectorIiiEEZNS1_34radix_sort_onesweep_global_offsetsIS3_Lb1EN6thrust23THRUST_200600_302600_NS6detail15normal_iteratorINS8_10device_ptrIiEEEESD_jNS0_19identity_decomposerEEE10hipError_tT1_T2_PT3_SI_jT4_jjP12ihipStream_tbEUlT_E_NS1_11comp_targetILNS1_3genE5ELNS1_11target_archE942ELNS1_3gpuE9ELNS1_3repE0EEENS1_52radix_sort_onesweep_histogram_config_static_selectorELNS0_4arch9wavefront6targetE0EEEvSG_
	.p2align	8
	.type	_ZN7rocprim17ROCPRIM_400000_NS6detail17trampoline_kernelINS0_14default_configENS1_35radix_sort_onesweep_config_selectorIiiEEZNS1_34radix_sort_onesweep_global_offsetsIS3_Lb1EN6thrust23THRUST_200600_302600_NS6detail15normal_iteratorINS8_10device_ptrIiEEEESD_jNS0_19identity_decomposerEEE10hipError_tT1_T2_PT3_SI_jT4_jjP12ihipStream_tbEUlT_E_NS1_11comp_targetILNS1_3genE5ELNS1_11target_archE942ELNS1_3gpuE9ELNS1_3repE0EEENS1_52radix_sort_onesweep_histogram_config_static_selectorELNS0_4arch9wavefront6targetE0EEEvSG_,@function
_ZN7rocprim17ROCPRIM_400000_NS6detail17trampoline_kernelINS0_14default_configENS1_35radix_sort_onesweep_config_selectorIiiEEZNS1_34radix_sort_onesweep_global_offsetsIS3_Lb1EN6thrust23THRUST_200600_302600_NS6detail15normal_iteratorINS8_10device_ptrIiEEEESD_jNS0_19identity_decomposerEEE10hipError_tT1_T2_PT3_SI_jT4_jjP12ihipStream_tbEUlT_E_NS1_11comp_targetILNS1_3genE5ELNS1_11target_archE942ELNS1_3gpuE9ELNS1_3repE0EEENS1_52radix_sort_onesweep_histogram_config_static_selectorELNS0_4arch9wavefront6targetE0EEEvSG_: ; @_ZN7rocprim17ROCPRIM_400000_NS6detail17trampoline_kernelINS0_14default_configENS1_35radix_sort_onesweep_config_selectorIiiEEZNS1_34radix_sort_onesweep_global_offsetsIS3_Lb1EN6thrust23THRUST_200600_302600_NS6detail15normal_iteratorINS8_10device_ptrIiEEEESD_jNS0_19identity_decomposerEEE10hipError_tT1_T2_PT3_SI_jT4_jjP12ihipStream_tbEUlT_E_NS1_11comp_targetILNS1_3genE5ELNS1_11target_archE942ELNS1_3gpuE9ELNS1_3repE0EEENS1_52radix_sort_onesweep_histogram_config_static_selectorELNS0_4arch9wavefront6targetE0EEEvSG_
; %bb.0:
	.section	.rodata,"a",@progbits
	.p2align	6, 0x0
	.amdhsa_kernel _ZN7rocprim17ROCPRIM_400000_NS6detail17trampoline_kernelINS0_14default_configENS1_35radix_sort_onesweep_config_selectorIiiEEZNS1_34radix_sort_onesweep_global_offsetsIS3_Lb1EN6thrust23THRUST_200600_302600_NS6detail15normal_iteratorINS8_10device_ptrIiEEEESD_jNS0_19identity_decomposerEEE10hipError_tT1_T2_PT3_SI_jT4_jjP12ihipStream_tbEUlT_E_NS1_11comp_targetILNS1_3genE5ELNS1_11target_archE942ELNS1_3gpuE9ELNS1_3repE0EEENS1_52radix_sort_onesweep_histogram_config_static_selectorELNS0_4arch9wavefront6targetE0EEEvSG_
		.amdhsa_group_segment_fixed_size 0
		.amdhsa_private_segment_fixed_size 0
		.amdhsa_kernarg_size 40
		.amdhsa_user_sgpr_count 6
		.amdhsa_user_sgpr_private_segment_buffer 1
		.amdhsa_user_sgpr_dispatch_ptr 0
		.amdhsa_user_sgpr_queue_ptr 0
		.amdhsa_user_sgpr_kernarg_segment_ptr 1
		.amdhsa_user_sgpr_dispatch_id 0
		.amdhsa_user_sgpr_flat_scratch_init 0
		.amdhsa_user_sgpr_private_segment_size 0
		.amdhsa_wavefront_size32 1
		.amdhsa_uses_dynamic_stack 0
		.amdhsa_system_sgpr_private_segment_wavefront_offset 0
		.amdhsa_system_sgpr_workgroup_id_x 1
		.amdhsa_system_sgpr_workgroup_id_y 0
		.amdhsa_system_sgpr_workgroup_id_z 0
		.amdhsa_system_sgpr_workgroup_info 0
		.amdhsa_system_vgpr_workitem_id 0
		.amdhsa_next_free_vgpr 1
		.amdhsa_next_free_sgpr 1
		.amdhsa_reserve_vcc 0
		.amdhsa_reserve_flat_scratch 0
		.amdhsa_float_round_mode_32 0
		.amdhsa_float_round_mode_16_64 0
		.amdhsa_float_denorm_mode_32 3
		.amdhsa_float_denorm_mode_16_64 3
		.amdhsa_dx10_clamp 1
		.amdhsa_ieee_mode 1
		.amdhsa_fp16_overflow 0
		.amdhsa_workgroup_processor_mode 1
		.amdhsa_memory_ordered 1
		.amdhsa_forward_progress 1
		.amdhsa_shared_vgpr_count 0
		.amdhsa_exception_fp_ieee_invalid_op 0
		.amdhsa_exception_fp_denorm_src 0
		.amdhsa_exception_fp_ieee_div_zero 0
		.amdhsa_exception_fp_ieee_overflow 0
		.amdhsa_exception_fp_ieee_underflow 0
		.amdhsa_exception_fp_ieee_inexact 0
		.amdhsa_exception_int_div_zero 0
	.end_amdhsa_kernel
	.section	.text._ZN7rocprim17ROCPRIM_400000_NS6detail17trampoline_kernelINS0_14default_configENS1_35radix_sort_onesweep_config_selectorIiiEEZNS1_34radix_sort_onesweep_global_offsetsIS3_Lb1EN6thrust23THRUST_200600_302600_NS6detail15normal_iteratorINS8_10device_ptrIiEEEESD_jNS0_19identity_decomposerEEE10hipError_tT1_T2_PT3_SI_jT4_jjP12ihipStream_tbEUlT_E_NS1_11comp_targetILNS1_3genE5ELNS1_11target_archE942ELNS1_3gpuE9ELNS1_3repE0EEENS1_52radix_sort_onesweep_histogram_config_static_selectorELNS0_4arch9wavefront6targetE0EEEvSG_,"axG",@progbits,_ZN7rocprim17ROCPRIM_400000_NS6detail17trampoline_kernelINS0_14default_configENS1_35radix_sort_onesweep_config_selectorIiiEEZNS1_34radix_sort_onesweep_global_offsetsIS3_Lb1EN6thrust23THRUST_200600_302600_NS6detail15normal_iteratorINS8_10device_ptrIiEEEESD_jNS0_19identity_decomposerEEE10hipError_tT1_T2_PT3_SI_jT4_jjP12ihipStream_tbEUlT_E_NS1_11comp_targetILNS1_3genE5ELNS1_11target_archE942ELNS1_3gpuE9ELNS1_3repE0EEENS1_52radix_sort_onesweep_histogram_config_static_selectorELNS0_4arch9wavefront6targetE0EEEvSG_,comdat
.Lfunc_end983:
	.size	_ZN7rocprim17ROCPRIM_400000_NS6detail17trampoline_kernelINS0_14default_configENS1_35radix_sort_onesweep_config_selectorIiiEEZNS1_34radix_sort_onesweep_global_offsetsIS3_Lb1EN6thrust23THRUST_200600_302600_NS6detail15normal_iteratorINS8_10device_ptrIiEEEESD_jNS0_19identity_decomposerEEE10hipError_tT1_T2_PT3_SI_jT4_jjP12ihipStream_tbEUlT_E_NS1_11comp_targetILNS1_3genE5ELNS1_11target_archE942ELNS1_3gpuE9ELNS1_3repE0EEENS1_52radix_sort_onesweep_histogram_config_static_selectorELNS0_4arch9wavefront6targetE0EEEvSG_, .Lfunc_end983-_ZN7rocprim17ROCPRIM_400000_NS6detail17trampoline_kernelINS0_14default_configENS1_35radix_sort_onesweep_config_selectorIiiEEZNS1_34radix_sort_onesweep_global_offsetsIS3_Lb1EN6thrust23THRUST_200600_302600_NS6detail15normal_iteratorINS8_10device_ptrIiEEEESD_jNS0_19identity_decomposerEEE10hipError_tT1_T2_PT3_SI_jT4_jjP12ihipStream_tbEUlT_E_NS1_11comp_targetILNS1_3genE5ELNS1_11target_archE942ELNS1_3gpuE9ELNS1_3repE0EEENS1_52radix_sort_onesweep_histogram_config_static_selectorELNS0_4arch9wavefront6targetE0EEEvSG_
                                        ; -- End function
	.set _ZN7rocprim17ROCPRIM_400000_NS6detail17trampoline_kernelINS0_14default_configENS1_35radix_sort_onesweep_config_selectorIiiEEZNS1_34radix_sort_onesweep_global_offsetsIS3_Lb1EN6thrust23THRUST_200600_302600_NS6detail15normal_iteratorINS8_10device_ptrIiEEEESD_jNS0_19identity_decomposerEEE10hipError_tT1_T2_PT3_SI_jT4_jjP12ihipStream_tbEUlT_E_NS1_11comp_targetILNS1_3genE5ELNS1_11target_archE942ELNS1_3gpuE9ELNS1_3repE0EEENS1_52radix_sort_onesweep_histogram_config_static_selectorELNS0_4arch9wavefront6targetE0EEEvSG_.num_vgpr, 0
	.set _ZN7rocprim17ROCPRIM_400000_NS6detail17trampoline_kernelINS0_14default_configENS1_35radix_sort_onesweep_config_selectorIiiEEZNS1_34radix_sort_onesweep_global_offsetsIS3_Lb1EN6thrust23THRUST_200600_302600_NS6detail15normal_iteratorINS8_10device_ptrIiEEEESD_jNS0_19identity_decomposerEEE10hipError_tT1_T2_PT3_SI_jT4_jjP12ihipStream_tbEUlT_E_NS1_11comp_targetILNS1_3genE5ELNS1_11target_archE942ELNS1_3gpuE9ELNS1_3repE0EEENS1_52radix_sort_onesweep_histogram_config_static_selectorELNS0_4arch9wavefront6targetE0EEEvSG_.num_agpr, 0
	.set _ZN7rocprim17ROCPRIM_400000_NS6detail17trampoline_kernelINS0_14default_configENS1_35radix_sort_onesweep_config_selectorIiiEEZNS1_34radix_sort_onesweep_global_offsetsIS3_Lb1EN6thrust23THRUST_200600_302600_NS6detail15normal_iteratorINS8_10device_ptrIiEEEESD_jNS0_19identity_decomposerEEE10hipError_tT1_T2_PT3_SI_jT4_jjP12ihipStream_tbEUlT_E_NS1_11comp_targetILNS1_3genE5ELNS1_11target_archE942ELNS1_3gpuE9ELNS1_3repE0EEENS1_52radix_sort_onesweep_histogram_config_static_selectorELNS0_4arch9wavefront6targetE0EEEvSG_.numbered_sgpr, 0
	.set _ZN7rocprim17ROCPRIM_400000_NS6detail17trampoline_kernelINS0_14default_configENS1_35radix_sort_onesweep_config_selectorIiiEEZNS1_34radix_sort_onesweep_global_offsetsIS3_Lb1EN6thrust23THRUST_200600_302600_NS6detail15normal_iteratorINS8_10device_ptrIiEEEESD_jNS0_19identity_decomposerEEE10hipError_tT1_T2_PT3_SI_jT4_jjP12ihipStream_tbEUlT_E_NS1_11comp_targetILNS1_3genE5ELNS1_11target_archE942ELNS1_3gpuE9ELNS1_3repE0EEENS1_52radix_sort_onesweep_histogram_config_static_selectorELNS0_4arch9wavefront6targetE0EEEvSG_.num_named_barrier, 0
	.set _ZN7rocprim17ROCPRIM_400000_NS6detail17trampoline_kernelINS0_14default_configENS1_35radix_sort_onesweep_config_selectorIiiEEZNS1_34radix_sort_onesweep_global_offsetsIS3_Lb1EN6thrust23THRUST_200600_302600_NS6detail15normal_iteratorINS8_10device_ptrIiEEEESD_jNS0_19identity_decomposerEEE10hipError_tT1_T2_PT3_SI_jT4_jjP12ihipStream_tbEUlT_E_NS1_11comp_targetILNS1_3genE5ELNS1_11target_archE942ELNS1_3gpuE9ELNS1_3repE0EEENS1_52radix_sort_onesweep_histogram_config_static_selectorELNS0_4arch9wavefront6targetE0EEEvSG_.private_seg_size, 0
	.set _ZN7rocprim17ROCPRIM_400000_NS6detail17trampoline_kernelINS0_14default_configENS1_35radix_sort_onesweep_config_selectorIiiEEZNS1_34radix_sort_onesweep_global_offsetsIS3_Lb1EN6thrust23THRUST_200600_302600_NS6detail15normal_iteratorINS8_10device_ptrIiEEEESD_jNS0_19identity_decomposerEEE10hipError_tT1_T2_PT3_SI_jT4_jjP12ihipStream_tbEUlT_E_NS1_11comp_targetILNS1_3genE5ELNS1_11target_archE942ELNS1_3gpuE9ELNS1_3repE0EEENS1_52radix_sort_onesweep_histogram_config_static_selectorELNS0_4arch9wavefront6targetE0EEEvSG_.uses_vcc, 0
	.set _ZN7rocprim17ROCPRIM_400000_NS6detail17trampoline_kernelINS0_14default_configENS1_35radix_sort_onesweep_config_selectorIiiEEZNS1_34radix_sort_onesweep_global_offsetsIS3_Lb1EN6thrust23THRUST_200600_302600_NS6detail15normal_iteratorINS8_10device_ptrIiEEEESD_jNS0_19identity_decomposerEEE10hipError_tT1_T2_PT3_SI_jT4_jjP12ihipStream_tbEUlT_E_NS1_11comp_targetILNS1_3genE5ELNS1_11target_archE942ELNS1_3gpuE9ELNS1_3repE0EEENS1_52radix_sort_onesweep_histogram_config_static_selectorELNS0_4arch9wavefront6targetE0EEEvSG_.uses_flat_scratch, 0
	.set _ZN7rocprim17ROCPRIM_400000_NS6detail17trampoline_kernelINS0_14default_configENS1_35radix_sort_onesweep_config_selectorIiiEEZNS1_34radix_sort_onesweep_global_offsetsIS3_Lb1EN6thrust23THRUST_200600_302600_NS6detail15normal_iteratorINS8_10device_ptrIiEEEESD_jNS0_19identity_decomposerEEE10hipError_tT1_T2_PT3_SI_jT4_jjP12ihipStream_tbEUlT_E_NS1_11comp_targetILNS1_3genE5ELNS1_11target_archE942ELNS1_3gpuE9ELNS1_3repE0EEENS1_52radix_sort_onesweep_histogram_config_static_selectorELNS0_4arch9wavefront6targetE0EEEvSG_.has_dyn_sized_stack, 0
	.set _ZN7rocprim17ROCPRIM_400000_NS6detail17trampoline_kernelINS0_14default_configENS1_35radix_sort_onesweep_config_selectorIiiEEZNS1_34radix_sort_onesweep_global_offsetsIS3_Lb1EN6thrust23THRUST_200600_302600_NS6detail15normal_iteratorINS8_10device_ptrIiEEEESD_jNS0_19identity_decomposerEEE10hipError_tT1_T2_PT3_SI_jT4_jjP12ihipStream_tbEUlT_E_NS1_11comp_targetILNS1_3genE5ELNS1_11target_archE942ELNS1_3gpuE9ELNS1_3repE0EEENS1_52radix_sort_onesweep_histogram_config_static_selectorELNS0_4arch9wavefront6targetE0EEEvSG_.has_recursion, 0
	.set _ZN7rocprim17ROCPRIM_400000_NS6detail17trampoline_kernelINS0_14default_configENS1_35radix_sort_onesweep_config_selectorIiiEEZNS1_34radix_sort_onesweep_global_offsetsIS3_Lb1EN6thrust23THRUST_200600_302600_NS6detail15normal_iteratorINS8_10device_ptrIiEEEESD_jNS0_19identity_decomposerEEE10hipError_tT1_T2_PT3_SI_jT4_jjP12ihipStream_tbEUlT_E_NS1_11comp_targetILNS1_3genE5ELNS1_11target_archE942ELNS1_3gpuE9ELNS1_3repE0EEENS1_52radix_sort_onesweep_histogram_config_static_selectorELNS0_4arch9wavefront6targetE0EEEvSG_.has_indirect_call, 0
	.section	.AMDGPU.csdata,"",@progbits
; Kernel info:
; codeLenInByte = 0
; TotalNumSgprs: 0
; NumVgprs: 0
; ScratchSize: 0
; MemoryBound: 0
; FloatMode: 240
; IeeeMode: 1
; LDSByteSize: 0 bytes/workgroup (compile time only)
; SGPRBlocks: 0
; VGPRBlocks: 0
; NumSGPRsForWavesPerEU: 1
; NumVGPRsForWavesPerEU: 1
; Occupancy: 16
; WaveLimiterHint : 0
; COMPUTE_PGM_RSRC2:SCRATCH_EN: 0
; COMPUTE_PGM_RSRC2:USER_SGPR: 6
; COMPUTE_PGM_RSRC2:TRAP_HANDLER: 0
; COMPUTE_PGM_RSRC2:TGID_X_EN: 1
; COMPUTE_PGM_RSRC2:TGID_Y_EN: 0
; COMPUTE_PGM_RSRC2:TGID_Z_EN: 0
; COMPUTE_PGM_RSRC2:TIDIG_COMP_CNT: 0
	.section	.text._ZN7rocprim17ROCPRIM_400000_NS6detail17trampoline_kernelINS0_14default_configENS1_35radix_sort_onesweep_config_selectorIiiEEZNS1_34radix_sort_onesweep_global_offsetsIS3_Lb1EN6thrust23THRUST_200600_302600_NS6detail15normal_iteratorINS8_10device_ptrIiEEEESD_jNS0_19identity_decomposerEEE10hipError_tT1_T2_PT3_SI_jT4_jjP12ihipStream_tbEUlT_E_NS1_11comp_targetILNS1_3genE2ELNS1_11target_archE906ELNS1_3gpuE6ELNS1_3repE0EEENS1_52radix_sort_onesweep_histogram_config_static_selectorELNS0_4arch9wavefront6targetE0EEEvSG_,"axG",@progbits,_ZN7rocprim17ROCPRIM_400000_NS6detail17trampoline_kernelINS0_14default_configENS1_35radix_sort_onesweep_config_selectorIiiEEZNS1_34radix_sort_onesweep_global_offsetsIS3_Lb1EN6thrust23THRUST_200600_302600_NS6detail15normal_iteratorINS8_10device_ptrIiEEEESD_jNS0_19identity_decomposerEEE10hipError_tT1_T2_PT3_SI_jT4_jjP12ihipStream_tbEUlT_E_NS1_11comp_targetILNS1_3genE2ELNS1_11target_archE906ELNS1_3gpuE6ELNS1_3repE0EEENS1_52radix_sort_onesweep_histogram_config_static_selectorELNS0_4arch9wavefront6targetE0EEEvSG_,comdat
	.protected	_ZN7rocprim17ROCPRIM_400000_NS6detail17trampoline_kernelINS0_14default_configENS1_35radix_sort_onesweep_config_selectorIiiEEZNS1_34radix_sort_onesweep_global_offsetsIS3_Lb1EN6thrust23THRUST_200600_302600_NS6detail15normal_iteratorINS8_10device_ptrIiEEEESD_jNS0_19identity_decomposerEEE10hipError_tT1_T2_PT3_SI_jT4_jjP12ihipStream_tbEUlT_E_NS1_11comp_targetILNS1_3genE2ELNS1_11target_archE906ELNS1_3gpuE6ELNS1_3repE0EEENS1_52radix_sort_onesweep_histogram_config_static_selectorELNS0_4arch9wavefront6targetE0EEEvSG_ ; -- Begin function _ZN7rocprim17ROCPRIM_400000_NS6detail17trampoline_kernelINS0_14default_configENS1_35radix_sort_onesweep_config_selectorIiiEEZNS1_34radix_sort_onesweep_global_offsetsIS3_Lb1EN6thrust23THRUST_200600_302600_NS6detail15normal_iteratorINS8_10device_ptrIiEEEESD_jNS0_19identity_decomposerEEE10hipError_tT1_T2_PT3_SI_jT4_jjP12ihipStream_tbEUlT_E_NS1_11comp_targetILNS1_3genE2ELNS1_11target_archE906ELNS1_3gpuE6ELNS1_3repE0EEENS1_52radix_sort_onesweep_histogram_config_static_selectorELNS0_4arch9wavefront6targetE0EEEvSG_
	.globl	_ZN7rocprim17ROCPRIM_400000_NS6detail17trampoline_kernelINS0_14default_configENS1_35radix_sort_onesweep_config_selectorIiiEEZNS1_34radix_sort_onesweep_global_offsetsIS3_Lb1EN6thrust23THRUST_200600_302600_NS6detail15normal_iteratorINS8_10device_ptrIiEEEESD_jNS0_19identity_decomposerEEE10hipError_tT1_T2_PT3_SI_jT4_jjP12ihipStream_tbEUlT_E_NS1_11comp_targetILNS1_3genE2ELNS1_11target_archE906ELNS1_3gpuE6ELNS1_3repE0EEENS1_52radix_sort_onesweep_histogram_config_static_selectorELNS0_4arch9wavefront6targetE0EEEvSG_
	.p2align	8
	.type	_ZN7rocprim17ROCPRIM_400000_NS6detail17trampoline_kernelINS0_14default_configENS1_35radix_sort_onesweep_config_selectorIiiEEZNS1_34radix_sort_onesweep_global_offsetsIS3_Lb1EN6thrust23THRUST_200600_302600_NS6detail15normal_iteratorINS8_10device_ptrIiEEEESD_jNS0_19identity_decomposerEEE10hipError_tT1_T2_PT3_SI_jT4_jjP12ihipStream_tbEUlT_E_NS1_11comp_targetILNS1_3genE2ELNS1_11target_archE906ELNS1_3gpuE6ELNS1_3repE0EEENS1_52radix_sort_onesweep_histogram_config_static_selectorELNS0_4arch9wavefront6targetE0EEEvSG_,@function
_ZN7rocprim17ROCPRIM_400000_NS6detail17trampoline_kernelINS0_14default_configENS1_35radix_sort_onesweep_config_selectorIiiEEZNS1_34radix_sort_onesweep_global_offsetsIS3_Lb1EN6thrust23THRUST_200600_302600_NS6detail15normal_iteratorINS8_10device_ptrIiEEEESD_jNS0_19identity_decomposerEEE10hipError_tT1_T2_PT3_SI_jT4_jjP12ihipStream_tbEUlT_E_NS1_11comp_targetILNS1_3genE2ELNS1_11target_archE906ELNS1_3gpuE6ELNS1_3repE0EEENS1_52radix_sort_onesweep_histogram_config_static_selectorELNS0_4arch9wavefront6targetE0EEEvSG_: ; @_ZN7rocprim17ROCPRIM_400000_NS6detail17trampoline_kernelINS0_14default_configENS1_35radix_sort_onesweep_config_selectorIiiEEZNS1_34radix_sort_onesweep_global_offsetsIS3_Lb1EN6thrust23THRUST_200600_302600_NS6detail15normal_iteratorINS8_10device_ptrIiEEEESD_jNS0_19identity_decomposerEEE10hipError_tT1_T2_PT3_SI_jT4_jjP12ihipStream_tbEUlT_E_NS1_11comp_targetILNS1_3genE2ELNS1_11target_archE906ELNS1_3gpuE6ELNS1_3repE0EEENS1_52radix_sort_onesweep_histogram_config_static_selectorELNS0_4arch9wavefront6targetE0EEEvSG_
; %bb.0:
	.section	.rodata,"a",@progbits
	.p2align	6, 0x0
	.amdhsa_kernel _ZN7rocprim17ROCPRIM_400000_NS6detail17trampoline_kernelINS0_14default_configENS1_35radix_sort_onesweep_config_selectorIiiEEZNS1_34radix_sort_onesweep_global_offsetsIS3_Lb1EN6thrust23THRUST_200600_302600_NS6detail15normal_iteratorINS8_10device_ptrIiEEEESD_jNS0_19identity_decomposerEEE10hipError_tT1_T2_PT3_SI_jT4_jjP12ihipStream_tbEUlT_E_NS1_11comp_targetILNS1_3genE2ELNS1_11target_archE906ELNS1_3gpuE6ELNS1_3repE0EEENS1_52radix_sort_onesweep_histogram_config_static_selectorELNS0_4arch9wavefront6targetE0EEEvSG_
		.amdhsa_group_segment_fixed_size 0
		.amdhsa_private_segment_fixed_size 0
		.amdhsa_kernarg_size 40
		.amdhsa_user_sgpr_count 6
		.amdhsa_user_sgpr_private_segment_buffer 1
		.amdhsa_user_sgpr_dispatch_ptr 0
		.amdhsa_user_sgpr_queue_ptr 0
		.amdhsa_user_sgpr_kernarg_segment_ptr 1
		.amdhsa_user_sgpr_dispatch_id 0
		.amdhsa_user_sgpr_flat_scratch_init 0
		.amdhsa_user_sgpr_private_segment_size 0
		.amdhsa_wavefront_size32 1
		.amdhsa_uses_dynamic_stack 0
		.amdhsa_system_sgpr_private_segment_wavefront_offset 0
		.amdhsa_system_sgpr_workgroup_id_x 1
		.amdhsa_system_sgpr_workgroup_id_y 0
		.amdhsa_system_sgpr_workgroup_id_z 0
		.amdhsa_system_sgpr_workgroup_info 0
		.amdhsa_system_vgpr_workitem_id 0
		.amdhsa_next_free_vgpr 1
		.amdhsa_next_free_sgpr 1
		.amdhsa_reserve_vcc 0
		.amdhsa_reserve_flat_scratch 0
		.amdhsa_float_round_mode_32 0
		.amdhsa_float_round_mode_16_64 0
		.amdhsa_float_denorm_mode_32 3
		.amdhsa_float_denorm_mode_16_64 3
		.amdhsa_dx10_clamp 1
		.amdhsa_ieee_mode 1
		.amdhsa_fp16_overflow 0
		.amdhsa_workgroup_processor_mode 1
		.amdhsa_memory_ordered 1
		.amdhsa_forward_progress 1
		.amdhsa_shared_vgpr_count 0
		.amdhsa_exception_fp_ieee_invalid_op 0
		.amdhsa_exception_fp_denorm_src 0
		.amdhsa_exception_fp_ieee_div_zero 0
		.amdhsa_exception_fp_ieee_overflow 0
		.amdhsa_exception_fp_ieee_underflow 0
		.amdhsa_exception_fp_ieee_inexact 0
		.amdhsa_exception_int_div_zero 0
	.end_amdhsa_kernel
	.section	.text._ZN7rocprim17ROCPRIM_400000_NS6detail17trampoline_kernelINS0_14default_configENS1_35radix_sort_onesweep_config_selectorIiiEEZNS1_34radix_sort_onesweep_global_offsetsIS3_Lb1EN6thrust23THRUST_200600_302600_NS6detail15normal_iteratorINS8_10device_ptrIiEEEESD_jNS0_19identity_decomposerEEE10hipError_tT1_T2_PT3_SI_jT4_jjP12ihipStream_tbEUlT_E_NS1_11comp_targetILNS1_3genE2ELNS1_11target_archE906ELNS1_3gpuE6ELNS1_3repE0EEENS1_52radix_sort_onesweep_histogram_config_static_selectorELNS0_4arch9wavefront6targetE0EEEvSG_,"axG",@progbits,_ZN7rocprim17ROCPRIM_400000_NS6detail17trampoline_kernelINS0_14default_configENS1_35radix_sort_onesweep_config_selectorIiiEEZNS1_34radix_sort_onesweep_global_offsetsIS3_Lb1EN6thrust23THRUST_200600_302600_NS6detail15normal_iteratorINS8_10device_ptrIiEEEESD_jNS0_19identity_decomposerEEE10hipError_tT1_T2_PT3_SI_jT4_jjP12ihipStream_tbEUlT_E_NS1_11comp_targetILNS1_3genE2ELNS1_11target_archE906ELNS1_3gpuE6ELNS1_3repE0EEENS1_52radix_sort_onesweep_histogram_config_static_selectorELNS0_4arch9wavefront6targetE0EEEvSG_,comdat
.Lfunc_end984:
	.size	_ZN7rocprim17ROCPRIM_400000_NS6detail17trampoline_kernelINS0_14default_configENS1_35radix_sort_onesweep_config_selectorIiiEEZNS1_34radix_sort_onesweep_global_offsetsIS3_Lb1EN6thrust23THRUST_200600_302600_NS6detail15normal_iteratorINS8_10device_ptrIiEEEESD_jNS0_19identity_decomposerEEE10hipError_tT1_T2_PT3_SI_jT4_jjP12ihipStream_tbEUlT_E_NS1_11comp_targetILNS1_3genE2ELNS1_11target_archE906ELNS1_3gpuE6ELNS1_3repE0EEENS1_52radix_sort_onesweep_histogram_config_static_selectorELNS0_4arch9wavefront6targetE0EEEvSG_, .Lfunc_end984-_ZN7rocprim17ROCPRIM_400000_NS6detail17trampoline_kernelINS0_14default_configENS1_35radix_sort_onesweep_config_selectorIiiEEZNS1_34radix_sort_onesweep_global_offsetsIS3_Lb1EN6thrust23THRUST_200600_302600_NS6detail15normal_iteratorINS8_10device_ptrIiEEEESD_jNS0_19identity_decomposerEEE10hipError_tT1_T2_PT3_SI_jT4_jjP12ihipStream_tbEUlT_E_NS1_11comp_targetILNS1_3genE2ELNS1_11target_archE906ELNS1_3gpuE6ELNS1_3repE0EEENS1_52radix_sort_onesweep_histogram_config_static_selectorELNS0_4arch9wavefront6targetE0EEEvSG_
                                        ; -- End function
	.set _ZN7rocprim17ROCPRIM_400000_NS6detail17trampoline_kernelINS0_14default_configENS1_35radix_sort_onesweep_config_selectorIiiEEZNS1_34radix_sort_onesweep_global_offsetsIS3_Lb1EN6thrust23THRUST_200600_302600_NS6detail15normal_iteratorINS8_10device_ptrIiEEEESD_jNS0_19identity_decomposerEEE10hipError_tT1_T2_PT3_SI_jT4_jjP12ihipStream_tbEUlT_E_NS1_11comp_targetILNS1_3genE2ELNS1_11target_archE906ELNS1_3gpuE6ELNS1_3repE0EEENS1_52radix_sort_onesweep_histogram_config_static_selectorELNS0_4arch9wavefront6targetE0EEEvSG_.num_vgpr, 0
	.set _ZN7rocprim17ROCPRIM_400000_NS6detail17trampoline_kernelINS0_14default_configENS1_35radix_sort_onesweep_config_selectorIiiEEZNS1_34radix_sort_onesweep_global_offsetsIS3_Lb1EN6thrust23THRUST_200600_302600_NS6detail15normal_iteratorINS8_10device_ptrIiEEEESD_jNS0_19identity_decomposerEEE10hipError_tT1_T2_PT3_SI_jT4_jjP12ihipStream_tbEUlT_E_NS1_11comp_targetILNS1_3genE2ELNS1_11target_archE906ELNS1_3gpuE6ELNS1_3repE0EEENS1_52radix_sort_onesweep_histogram_config_static_selectorELNS0_4arch9wavefront6targetE0EEEvSG_.num_agpr, 0
	.set _ZN7rocprim17ROCPRIM_400000_NS6detail17trampoline_kernelINS0_14default_configENS1_35radix_sort_onesweep_config_selectorIiiEEZNS1_34radix_sort_onesweep_global_offsetsIS3_Lb1EN6thrust23THRUST_200600_302600_NS6detail15normal_iteratorINS8_10device_ptrIiEEEESD_jNS0_19identity_decomposerEEE10hipError_tT1_T2_PT3_SI_jT4_jjP12ihipStream_tbEUlT_E_NS1_11comp_targetILNS1_3genE2ELNS1_11target_archE906ELNS1_3gpuE6ELNS1_3repE0EEENS1_52radix_sort_onesweep_histogram_config_static_selectorELNS0_4arch9wavefront6targetE0EEEvSG_.numbered_sgpr, 0
	.set _ZN7rocprim17ROCPRIM_400000_NS6detail17trampoline_kernelINS0_14default_configENS1_35radix_sort_onesweep_config_selectorIiiEEZNS1_34radix_sort_onesweep_global_offsetsIS3_Lb1EN6thrust23THRUST_200600_302600_NS6detail15normal_iteratorINS8_10device_ptrIiEEEESD_jNS0_19identity_decomposerEEE10hipError_tT1_T2_PT3_SI_jT4_jjP12ihipStream_tbEUlT_E_NS1_11comp_targetILNS1_3genE2ELNS1_11target_archE906ELNS1_3gpuE6ELNS1_3repE0EEENS1_52radix_sort_onesweep_histogram_config_static_selectorELNS0_4arch9wavefront6targetE0EEEvSG_.num_named_barrier, 0
	.set _ZN7rocprim17ROCPRIM_400000_NS6detail17trampoline_kernelINS0_14default_configENS1_35radix_sort_onesweep_config_selectorIiiEEZNS1_34radix_sort_onesweep_global_offsetsIS3_Lb1EN6thrust23THRUST_200600_302600_NS6detail15normal_iteratorINS8_10device_ptrIiEEEESD_jNS0_19identity_decomposerEEE10hipError_tT1_T2_PT3_SI_jT4_jjP12ihipStream_tbEUlT_E_NS1_11comp_targetILNS1_3genE2ELNS1_11target_archE906ELNS1_3gpuE6ELNS1_3repE0EEENS1_52radix_sort_onesweep_histogram_config_static_selectorELNS0_4arch9wavefront6targetE0EEEvSG_.private_seg_size, 0
	.set _ZN7rocprim17ROCPRIM_400000_NS6detail17trampoline_kernelINS0_14default_configENS1_35radix_sort_onesweep_config_selectorIiiEEZNS1_34radix_sort_onesweep_global_offsetsIS3_Lb1EN6thrust23THRUST_200600_302600_NS6detail15normal_iteratorINS8_10device_ptrIiEEEESD_jNS0_19identity_decomposerEEE10hipError_tT1_T2_PT3_SI_jT4_jjP12ihipStream_tbEUlT_E_NS1_11comp_targetILNS1_3genE2ELNS1_11target_archE906ELNS1_3gpuE6ELNS1_3repE0EEENS1_52radix_sort_onesweep_histogram_config_static_selectorELNS0_4arch9wavefront6targetE0EEEvSG_.uses_vcc, 0
	.set _ZN7rocprim17ROCPRIM_400000_NS6detail17trampoline_kernelINS0_14default_configENS1_35radix_sort_onesweep_config_selectorIiiEEZNS1_34radix_sort_onesweep_global_offsetsIS3_Lb1EN6thrust23THRUST_200600_302600_NS6detail15normal_iteratorINS8_10device_ptrIiEEEESD_jNS0_19identity_decomposerEEE10hipError_tT1_T2_PT3_SI_jT4_jjP12ihipStream_tbEUlT_E_NS1_11comp_targetILNS1_3genE2ELNS1_11target_archE906ELNS1_3gpuE6ELNS1_3repE0EEENS1_52radix_sort_onesweep_histogram_config_static_selectorELNS0_4arch9wavefront6targetE0EEEvSG_.uses_flat_scratch, 0
	.set _ZN7rocprim17ROCPRIM_400000_NS6detail17trampoline_kernelINS0_14default_configENS1_35radix_sort_onesweep_config_selectorIiiEEZNS1_34radix_sort_onesweep_global_offsetsIS3_Lb1EN6thrust23THRUST_200600_302600_NS6detail15normal_iteratorINS8_10device_ptrIiEEEESD_jNS0_19identity_decomposerEEE10hipError_tT1_T2_PT3_SI_jT4_jjP12ihipStream_tbEUlT_E_NS1_11comp_targetILNS1_3genE2ELNS1_11target_archE906ELNS1_3gpuE6ELNS1_3repE0EEENS1_52radix_sort_onesweep_histogram_config_static_selectorELNS0_4arch9wavefront6targetE0EEEvSG_.has_dyn_sized_stack, 0
	.set _ZN7rocprim17ROCPRIM_400000_NS6detail17trampoline_kernelINS0_14default_configENS1_35radix_sort_onesweep_config_selectorIiiEEZNS1_34radix_sort_onesweep_global_offsetsIS3_Lb1EN6thrust23THRUST_200600_302600_NS6detail15normal_iteratorINS8_10device_ptrIiEEEESD_jNS0_19identity_decomposerEEE10hipError_tT1_T2_PT3_SI_jT4_jjP12ihipStream_tbEUlT_E_NS1_11comp_targetILNS1_3genE2ELNS1_11target_archE906ELNS1_3gpuE6ELNS1_3repE0EEENS1_52radix_sort_onesweep_histogram_config_static_selectorELNS0_4arch9wavefront6targetE0EEEvSG_.has_recursion, 0
	.set _ZN7rocprim17ROCPRIM_400000_NS6detail17trampoline_kernelINS0_14default_configENS1_35radix_sort_onesweep_config_selectorIiiEEZNS1_34radix_sort_onesweep_global_offsetsIS3_Lb1EN6thrust23THRUST_200600_302600_NS6detail15normal_iteratorINS8_10device_ptrIiEEEESD_jNS0_19identity_decomposerEEE10hipError_tT1_T2_PT3_SI_jT4_jjP12ihipStream_tbEUlT_E_NS1_11comp_targetILNS1_3genE2ELNS1_11target_archE906ELNS1_3gpuE6ELNS1_3repE0EEENS1_52radix_sort_onesweep_histogram_config_static_selectorELNS0_4arch9wavefront6targetE0EEEvSG_.has_indirect_call, 0
	.section	.AMDGPU.csdata,"",@progbits
; Kernel info:
; codeLenInByte = 0
; TotalNumSgprs: 0
; NumVgprs: 0
; ScratchSize: 0
; MemoryBound: 0
; FloatMode: 240
; IeeeMode: 1
; LDSByteSize: 0 bytes/workgroup (compile time only)
; SGPRBlocks: 0
; VGPRBlocks: 0
; NumSGPRsForWavesPerEU: 1
; NumVGPRsForWavesPerEU: 1
; Occupancy: 16
; WaveLimiterHint : 0
; COMPUTE_PGM_RSRC2:SCRATCH_EN: 0
; COMPUTE_PGM_RSRC2:USER_SGPR: 6
; COMPUTE_PGM_RSRC2:TRAP_HANDLER: 0
; COMPUTE_PGM_RSRC2:TGID_X_EN: 1
; COMPUTE_PGM_RSRC2:TGID_Y_EN: 0
; COMPUTE_PGM_RSRC2:TGID_Z_EN: 0
; COMPUTE_PGM_RSRC2:TIDIG_COMP_CNT: 0
	.section	.text._ZN7rocprim17ROCPRIM_400000_NS6detail17trampoline_kernelINS0_14default_configENS1_35radix_sort_onesweep_config_selectorIiiEEZNS1_34radix_sort_onesweep_global_offsetsIS3_Lb1EN6thrust23THRUST_200600_302600_NS6detail15normal_iteratorINS8_10device_ptrIiEEEESD_jNS0_19identity_decomposerEEE10hipError_tT1_T2_PT3_SI_jT4_jjP12ihipStream_tbEUlT_E_NS1_11comp_targetILNS1_3genE4ELNS1_11target_archE910ELNS1_3gpuE8ELNS1_3repE0EEENS1_52radix_sort_onesweep_histogram_config_static_selectorELNS0_4arch9wavefront6targetE0EEEvSG_,"axG",@progbits,_ZN7rocprim17ROCPRIM_400000_NS6detail17trampoline_kernelINS0_14default_configENS1_35radix_sort_onesweep_config_selectorIiiEEZNS1_34radix_sort_onesweep_global_offsetsIS3_Lb1EN6thrust23THRUST_200600_302600_NS6detail15normal_iteratorINS8_10device_ptrIiEEEESD_jNS0_19identity_decomposerEEE10hipError_tT1_T2_PT3_SI_jT4_jjP12ihipStream_tbEUlT_E_NS1_11comp_targetILNS1_3genE4ELNS1_11target_archE910ELNS1_3gpuE8ELNS1_3repE0EEENS1_52radix_sort_onesweep_histogram_config_static_selectorELNS0_4arch9wavefront6targetE0EEEvSG_,comdat
	.protected	_ZN7rocprim17ROCPRIM_400000_NS6detail17trampoline_kernelINS0_14default_configENS1_35radix_sort_onesweep_config_selectorIiiEEZNS1_34radix_sort_onesweep_global_offsetsIS3_Lb1EN6thrust23THRUST_200600_302600_NS6detail15normal_iteratorINS8_10device_ptrIiEEEESD_jNS0_19identity_decomposerEEE10hipError_tT1_T2_PT3_SI_jT4_jjP12ihipStream_tbEUlT_E_NS1_11comp_targetILNS1_3genE4ELNS1_11target_archE910ELNS1_3gpuE8ELNS1_3repE0EEENS1_52radix_sort_onesweep_histogram_config_static_selectorELNS0_4arch9wavefront6targetE0EEEvSG_ ; -- Begin function _ZN7rocprim17ROCPRIM_400000_NS6detail17trampoline_kernelINS0_14default_configENS1_35radix_sort_onesweep_config_selectorIiiEEZNS1_34radix_sort_onesweep_global_offsetsIS3_Lb1EN6thrust23THRUST_200600_302600_NS6detail15normal_iteratorINS8_10device_ptrIiEEEESD_jNS0_19identity_decomposerEEE10hipError_tT1_T2_PT3_SI_jT4_jjP12ihipStream_tbEUlT_E_NS1_11comp_targetILNS1_3genE4ELNS1_11target_archE910ELNS1_3gpuE8ELNS1_3repE0EEENS1_52radix_sort_onesweep_histogram_config_static_selectorELNS0_4arch9wavefront6targetE0EEEvSG_
	.globl	_ZN7rocprim17ROCPRIM_400000_NS6detail17trampoline_kernelINS0_14default_configENS1_35radix_sort_onesweep_config_selectorIiiEEZNS1_34radix_sort_onesweep_global_offsetsIS3_Lb1EN6thrust23THRUST_200600_302600_NS6detail15normal_iteratorINS8_10device_ptrIiEEEESD_jNS0_19identity_decomposerEEE10hipError_tT1_T2_PT3_SI_jT4_jjP12ihipStream_tbEUlT_E_NS1_11comp_targetILNS1_3genE4ELNS1_11target_archE910ELNS1_3gpuE8ELNS1_3repE0EEENS1_52radix_sort_onesweep_histogram_config_static_selectorELNS0_4arch9wavefront6targetE0EEEvSG_
	.p2align	8
	.type	_ZN7rocprim17ROCPRIM_400000_NS6detail17trampoline_kernelINS0_14default_configENS1_35radix_sort_onesweep_config_selectorIiiEEZNS1_34radix_sort_onesweep_global_offsetsIS3_Lb1EN6thrust23THRUST_200600_302600_NS6detail15normal_iteratorINS8_10device_ptrIiEEEESD_jNS0_19identity_decomposerEEE10hipError_tT1_T2_PT3_SI_jT4_jjP12ihipStream_tbEUlT_E_NS1_11comp_targetILNS1_3genE4ELNS1_11target_archE910ELNS1_3gpuE8ELNS1_3repE0EEENS1_52radix_sort_onesweep_histogram_config_static_selectorELNS0_4arch9wavefront6targetE0EEEvSG_,@function
_ZN7rocprim17ROCPRIM_400000_NS6detail17trampoline_kernelINS0_14default_configENS1_35radix_sort_onesweep_config_selectorIiiEEZNS1_34radix_sort_onesweep_global_offsetsIS3_Lb1EN6thrust23THRUST_200600_302600_NS6detail15normal_iteratorINS8_10device_ptrIiEEEESD_jNS0_19identity_decomposerEEE10hipError_tT1_T2_PT3_SI_jT4_jjP12ihipStream_tbEUlT_E_NS1_11comp_targetILNS1_3genE4ELNS1_11target_archE910ELNS1_3gpuE8ELNS1_3repE0EEENS1_52radix_sort_onesweep_histogram_config_static_selectorELNS0_4arch9wavefront6targetE0EEEvSG_: ; @_ZN7rocprim17ROCPRIM_400000_NS6detail17trampoline_kernelINS0_14default_configENS1_35radix_sort_onesweep_config_selectorIiiEEZNS1_34radix_sort_onesweep_global_offsetsIS3_Lb1EN6thrust23THRUST_200600_302600_NS6detail15normal_iteratorINS8_10device_ptrIiEEEESD_jNS0_19identity_decomposerEEE10hipError_tT1_T2_PT3_SI_jT4_jjP12ihipStream_tbEUlT_E_NS1_11comp_targetILNS1_3genE4ELNS1_11target_archE910ELNS1_3gpuE8ELNS1_3repE0EEENS1_52radix_sort_onesweep_histogram_config_static_selectorELNS0_4arch9wavefront6targetE0EEEvSG_
; %bb.0:
	.section	.rodata,"a",@progbits
	.p2align	6, 0x0
	.amdhsa_kernel _ZN7rocprim17ROCPRIM_400000_NS6detail17trampoline_kernelINS0_14default_configENS1_35radix_sort_onesweep_config_selectorIiiEEZNS1_34radix_sort_onesweep_global_offsetsIS3_Lb1EN6thrust23THRUST_200600_302600_NS6detail15normal_iteratorINS8_10device_ptrIiEEEESD_jNS0_19identity_decomposerEEE10hipError_tT1_T2_PT3_SI_jT4_jjP12ihipStream_tbEUlT_E_NS1_11comp_targetILNS1_3genE4ELNS1_11target_archE910ELNS1_3gpuE8ELNS1_3repE0EEENS1_52radix_sort_onesweep_histogram_config_static_selectorELNS0_4arch9wavefront6targetE0EEEvSG_
		.amdhsa_group_segment_fixed_size 0
		.amdhsa_private_segment_fixed_size 0
		.amdhsa_kernarg_size 40
		.amdhsa_user_sgpr_count 6
		.amdhsa_user_sgpr_private_segment_buffer 1
		.amdhsa_user_sgpr_dispatch_ptr 0
		.amdhsa_user_sgpr_queue_ptr 0
		.amdhsa_user_sgpr_kernarg_segment_ptr 1
		.amdhsa_user_sgpr_dispatch_id 0
		.amdhsa_user_sgpr_flat_scratch_init 0
		.amdhsa_user_sgpr_private_segment_size 0
		.amdhsa_wavefront_size32 1
		.amdhsa_uses_dynamic_stack 0
		.amdhsa_system_sgpr_private_segment_wavefront_offset 0
		.amdhsa_system_sgpr_workgroup_id_x 1
		.amdhsa_system_sgpr_workgroup_id_y 0
		.amdhsa_system_sgpr_workgroup_id_z 0
		.amdhsa_system_sgpr_workgroup_info 0
		.amdhsa_system_vgpr_workitem_id 0
		.amdhsa_next_free_vgpr 1
		.amdhsa_next_free_sgpr 1
		.amdhsa_reserve_vcc 0
		.amdhsa_reserve_flat_scratch 0
		.amdhsa_float_round_mode_32 0
		.amdhsa_float_round_mode_16_64 0
		.amdhsa_float_denorm_mode_32 3
		.amdhsa_float_denorm_mode_16_64 3
		.amdhsa_dx10_clamp 1
		.amdhsa_ieee_mode 1
		.amdhsa_fp16_overflow 0
		.amdhsa_workgroup_processor_mode 1
		.amdhsa_memory_ordered 1
		.amdhsa_forward_progress 1
		.amdhsa_shared_vgpr_count 0
		.amdhsa_exception_fp_ieee_invalid_op 0
		.amdhsa_exception_fp_denorm_src 0
		.amdhsa_exception_fp_ieee_div_zero 0
		.amdhsa_exception_fp_ieee_overflow 0
		.amdhsa_exception_fp_ieee_underflow 0
		.amdhsa_exception_fp_ieee_inexact 0
		.amdhsa_exception_int_div_zero 0
	.end_amdhsa_kernel
	.section	.text._ZN7rocprim17ROCPRIM_400000_NS6detail17trampoline_kernelINS0_14default_configENS1_35radix_sort_onesweep_config_selectorIiiEEZNS1_34radix_sort_onesweep_global_offsetsIS3_Lb1EN6thrust23THRUST_200600_302600_NS6detail15normal_iteratorINS8_10device_ptrIiEEEESD_jNS0_19identity_decomposerEEE10hipError_tT1_T2_PT3_SI_jT4_jjP12ihipStream_tbEUlT_E_NS1_11comp_targetILNS1_3genE4ELNS1_11target_archE910ELNS1_3gpuE8ELNS1_3repE0EEENS1_52radix_sort_onesweep_histogram_config_static_selectorELNS0_4arch9wavefront6targetE0EEEvSG_,"axG",@progbits,_ZN7rocprim17ROCPRIM_400000_NS6detail17trampoline_kernelINS0_14default_configENS1_35radix_sort_onesweep_config_selectorIiiEEZNS1_34radix_sort_onesweep_global_offsetsIS3_Lb1EN6thrust23THRUST_200600_302600_NS6detail15normal_iteratorINS8_10device_ptrIiEEEESD_jNS0_19identity_decomposerEEE10hipError_tT1_T2_PT3_SI_jT4_jjP12ihipStream_tbEUlT_E_NS1_11comp_targetILNS1_3genE4ELNS1_11target_archE910ELNS1_3gpuE8ELNS1_3repE0EEENS1_52radix_sort_onesweep_histogram_config_static_selectorELNS0_4arch9wavefront6targetE0EEEvSG_,comdat
.Lfunc_end985:
	.size	_ZN7rocprim17ROCPRIM_400000_NS6detail17trampoline_kernelINS0_14default_configENS1_35radix_sort_onesweep_config_selectorIiiEEZNS1_34radix_sort_onesweep_global_offsetsIS3_Lb1EN6thrust23THRUST_200600_302600_NS6detail15normal_iteratorINS8_10device_ptrIiEEEESD_jNS0_19identity_decomposerEEE10hipError_tT1_T2_PT3_SI_jT4_jjP12ihipStream_tbEUlT_E_NS1_11comp_targetILNS1_3genE4ELNS1_11target_archE910ELNS1_3gpuE8ELNS1_3repE0EEENS1_52radix_sort_onesweep_histogram_config_static_selectorELNS0_4arch9wavefront6targetE0EEEvSG_, .Lfunc_end985-_ZN7rocprim17ROCPRIM_400000_NS6detail17trampoline_kernelINS0_14default_configENS1_35radix_sort_onesweep_config_selectorIiiEEZNS1_34radix_sort_onesweep_global_offsetsIS3_Lb1EN6thrust23THRUST_200600_302600_NS6detail15normal_iteratorINS8_10device_ptrIiEEEESD_jNS0_19identity_decomposerEEE10hipError_tT1_T2_PT3_SI_jT4_jjP12ihipStream_tbEUlT_E_NS1_11comp_targetILNS1_3genE4ELNS1_11target_archE910ELNS1_3gpuE8ELNS1_3repE0EEENS1_52radix_sort_onesweep_histogram_config_static_selectorELNS0_4arch9wavefront6targetE0EEEvSG_
                                        ; -- End function
	.set _ZN7rocprim17ROCPRIM_400000_NS6detail17trampoline_kernelINS0_14default_configENS1_35radix_sort_onesweep_config_selectorIiiEEZNS1_34radix_sort_onesweep_global_offsetsIS3_Lb1EN6thrust23THRUST_200600_302600_NS6detail15normal_iteratorINS8_10device_ptrIiEEEESD_jNS0_19identity_decomposerEEE10hipError_tT1_T2_PT3_SI_jT4_jjP12ihipStream_tbEUlT_E_NS1_11comp_targetILNS1_3genE4ELNS1_11target_archE910ELNS1_3gpuE8ELNS1_3repE0EEENS1_52radix_sort_onesweep_histogram_config_static_selectorELNS0_4arch9wavefront6targetE0EEEvSG_.num_vgpr, 0
	.set _ZN7rocprim17ROCPRIM_400000_NS6detail17trampoline_kernelINS0_14default_configENS1_35radix_sort_onesweep_config_selectorIiiEEZNS1_34radix_sort_onesweep_global_offsetsIS3_Lb1EN6thrust23THRUST_200600_302600_NS6detail15normal_iteratorINS8_10device_ptrIiEEEESD_jNS0_19identity_decomposerEEE10hipError_tT1_T2_PT3_SI_jT4_jjP12ihipStream_tbEUlT_E_NS1_11comp_targetILNS1_3genE4ELNS1_11target_archE910ELNS1_3gpuE8ELNS1_3repE0EEENS1_52radix_sort_onesweep_histogram_config_static_selectorELNS0_4arch9wavefront6targetE0EEEvSG_.num_agpr, 0
	.set _ZN7rocprim17ROCPRIM_400000_NS6detail17trampoline_kernelINS0_14default_configENS1_35radix_sort_onesweep_config_selectorIiiEEZNS1_34radix_sort_onesweep_global_offsetsIS3_Lb1EN6thrust23THRUST_200600_302600_NS6detail15normal_iteratorINS8_10device_ptrIiEEEESD_jNS0_19identity_decomposerEEE10hipError_tT1_T2_PT3_SI_jT4_jjP12ihipStream_tbEUlT_E_NS1_11comp_targetILNS1_3genE4ELNS1_11target_archE910ELNS1_3gpuE8ELNS1_3repE0EEENS1_52radix_sort_onesweep_histogram_config_static_selectorELNS0_4arch9wavefront6targetE0EEEvSG_.numbered_sgpr, 0
	.set _ZN7rocprim17ROCPRIM_400000_NS6detail17trampoline_kernelINS0_14default_configENS1_35radix_sort_onesweep_config_selectorIiiEEZNS1_34radix_sort_onesweep_global_offsetsIS3_Lb1EN6thrust23THRUST_200600_302600_NS6detail15normal_iteratorINS8_10device_ptrIiEEEESD_jNS0_19identity_decomposerEEE10hipError_tT1_T2_PT3_SI_jT4_jjP12ihipStream_tbEUlT_E_NS1_11comp_targetILNS1_3genE4ELNS1_11target_archE910ELNS1_3gpuE8ELNS1_3repE0EEENS1_52radix_sort_onesweep_histogram_config_static_selectorELNS0_4arch9wavefront6targetE0EEEvSG_.num_named_barrier, 0
	.set _ZN7rocprim17ROCPRIM_400000_NS6detail17trampoline_kernelINS0_14default_configENS1_35radix_sort_onesweep_config_selectorIiiEEZNS1_34radix_sort_onesweep_global_offsetsIS3_Lb1EN6thrust23THRUST_200600_302600_NS6detail15normal_iteratorINS8_10device_ptrIiEEEESD_jNS0_19identity_decomposerEEE10hipError_tT1_T2_PT3_SI_jT4_jjP12ihipStream_tbEUlT_E_NS1_11comp_targetILNS1_3genE4ELNS1_11target_archE910ELNS1_3gpuE8ELNS1_3repE0EEENS1_52radix_sort_onesweep_histogram_config_static_selectorELNS0_4arch9wavefront6targetE0EEEvSG_.private_seg_size, 0
	.set _ZN7rocprim17ROCPRIM_400000_NS6detail17trampoline_kernelINS0_14default_configENS1_35radix_sort_onesweep_config_selectorIiiEEZNS1_34radix_sort_onesweep_global_offsetsIS3_Lb1EN6thrust23THRUST_200600_302600_NS6detail15normal_iteratorINS8_10device_ptrIiEEEESD_jNS0_19identity_decomposerEEE10hipError_tT1_T2_PT3_SI_jT4_jjP12ihipStream_tbEUlT_E_NS1_11comp_targetILNS1_3genE4ELNS1_11target_archE910ELNS1_3gpuE8ELNS1_3repE0EEENS1_52radix_sort_onesweep_histogram_config_static_selectorELNS0_4arch9wavefront6targetE0EEEvSG_.uses_vcc, 0
	.set _ZN7rocprim17ROCPRIM_400000_NS6detail17trampoline_kernelINS0_14default_configENS1_35radix_sort_onesweep_config_selectorIiiEEZNS1_34radix_sort_onesweep_global_offsetsIS3_Lb1EN6thrust23THRUST_200600_302600_NS6detail15normal_iteratorINS8_10device_ptrIiEEEESD_jNS0_19identity_decomposerEEE10hipError_tT1_T2_PT3_SI_jT4_jjP12ihipStream_tbEUlT_E_NS1_11comp_targetILNS1_3genE4ELNS1_11target_archE910ELNS1_3gpuE8ELNS1_3repE0EEENS1_52radix_sort_onesweep_histogram_config_static_selectorELNS0_4arch9wavefront6targetE0EEEvSG_.uses_flat_scratch, 0
	.set _ZN7rocprim17ROCPRIM_400000_NS6detail17trampoline_kernelINS0_14default_configENS1_35radix_sort_onesweep_config_selectorIiiEEZNS1_34radix_sort_onesweep_global_offsetsIS3_Lb1EN6thrust23THRUST_200600_302600_NS6detail15normal_iteratorINS8_10device_ptrIiEEEESD_jNS0_19identity_decomposerEEE10hipError_tT1_T2_PT3_SI_jT4_jjP12ihipStream_tbEUlT_E_NS1_11comp_targetILNS1_3genE4ELNS1_11target_archE910ELNS1_3gpuE8ELNS1_3repE0EEENS1_52radix_sort_onesweep_histogram_config_static_selectorELNS0_4arch9wavefront6targetE0EEEvSG_.has_dyn_sized_stack, 0
	.set _ZN7rocprim17ROCPRIM_400000_NS6detail17trampoline_kernelINS0_14default_configENS1_35radix_sort_onesweep_config_selectorIiiEEZNS1_34radix_sort_onesweep_global_offsetsIS3_Lb1EN6thrust23THRUST_200600_302600_NS6detail15normal_iteratorINS8_10device_ptrIiEEEESD_jNS0_19identity_decomposerEEE10hipError_tT1_T2_PT3_SI_jT4_jjP12ihipStream_tbEUlT_E_NS1_11comp_targetILNS1_3genE4ELNS1_11target_archE910ELNS1_3gpuE8ELNS1_3repE0EEENS1_52radix_sort_onesweep_histogram_config_static_selectorELNS0_4arch9wavefront6targetE0EEEvSG_.has_recursion, 0
	.set _ZN7rocprim17ROCPRIM_400000_NS6detail17trampoline_kernelINS0_14default_configENS1_35radix_sort_onesweep_config_selectorIiiEEZNS1_34radix_sort_onesweep_global_offsetsIS3_Lb1EN6thrust23THRUST_200600_302600_NS6detail15normal_iteratorINS8_10device_ptrIiEEEESD_jNS0_19identity_decomposerEEE10hipError_tT1_T2_PT3_SI_jT4_jjP12ihipStream_tbEUlT_E_NS1_11comp_targetILNS1_3genE4ELNS1_11target_archE910ELNS1_3gpuE8ELNS1_3repE0EEENS1_52radix_sort_onesweep_histogram_config_static_selectorELNS0_4arch9wavefront6targetE0EEEvSG_.has_indirect_call, 0
	.section	.AMDGPU.csdata,"",@progbits
; Kernel info:
; codeLenInByte = 0
; TotalNumSgprs: 0
; NumVgprs: 0
; ScratchSize: 0
; MemoryBound: 0
; FloatMode: 240
; IeeeMode: 1
; LDSByteSize: 0 bytes/workgroup (compile time only)
; SGPRBlocks: 0
; VGPRBlocks: 0
; NumSGPRsForWavesPerEU: 1
; NumVGPRsForWavesPerEU: 1
; Occupancy: 16
; WaveLimiterHint : 0
; COMPUTE_PGM_RSRC2:SCRATCH_EN: 0
; COMPUTE_PGM_RSRC2:USER_SGPR: 6
; COMPUTE_PGM_RSRC2:TRAP_HANDLER: 0
; COMPUTE_PGM_RSRC2:TGID_X_EN: 1
; COMPUTE_PGM_RSRC2:TGID_Y_EN: 0
; COMPUTE_PGM_RSRC2:TGID_Z_EN: 0
; COMPUTE_PGM_RSRC2:TIDIG_COMP_CNT: 0
	.section	.text._ZN7rocprim17ROCPRIM_400000_NS6detail17trampoline_kernelINS0_14default_configENS1_35radix_sort_onesweep_config_selectorIiiEEZNS1_34radix_sort_onesweep_global_offsetsIS3_Lb1EN6thrust23THRUST_200600_302600_NS6detail15normal_iteratorINS8_10device_ptrIiEEEESD_jNS0_19identity_decomposerEEE10hipError_tT1_T2_PT3_SI_jT4_jjP12ihipStream_tbEUlT_E_NS1_11comp_targetILNS1_3genE3ELNS1_11target_archE908ELNS1_3gpuE7ELNS1_3repE0EEENS1_52radix_sort_onesweep_histogram_config_static_selectorELNS0_4arch9wavefront6targetE0EEEvSG_,"axG",@progbits,_ZN7rocprim17ROCPRIM_400000_NS6detail17trampoline_kernelINS0_14default_configENS1_35radix_sort_onesweep_config_selectorIiiEEZNS1_34radix_sort_onesweep_global_offsetsIS3_Lb1EN6thrust23THRUST_200600_302600_NS6detail15normal_iteratorINS8_10device_ptrIiEEEESD_jNS0_19identity_decomposerEEE10hipError_tT1_T2_PT3_SI_jT4_jjP12ihipStream_tbEUlT_E_NS1_11comp_targetILNS1_3genE3ELNS1_11target_archE908ELNS1_3gpuE7ELNS1_3repE0EEENS1_52radix_sort_onesweep_histogram_config_static_selectorELNS0_4arch9wavefront6targetE0EEEvSG_,comdat
	.protected	_ZN7rocprim17ROCPRIM_400000_NS6detail17trampoline_kernelINS0_14default_configENS1_35radix_sort_onesweep_config_selectorIiiEEZNS1_34radix_sort_onesweep_global_offsetsIS3_Lb1EN6thrust23THRUST_200600_302600_NS6detail15normal_iteratorINS8_10device_ptrIiEEEESD_jNS0_19identity_decomposerEEE10hipError_tT1_T2_PT3_SI_jT4_jjP12ihipStream_tbEUlT_E_NS1_11comp_targetILNS1_3genE3ELNS1_11target_archE908ELNS1_3gpuE7ELNS1_3repE0EEENS1_52radix_sort_onesweep_histogram_config_static_selectorELNS0_4arch9wavefront6targetE0EEEvSG_ ; -- Begin function _ZN7rocprim17ROCPRIM_400000_NS6detail17trampoline_kernelINS0_14default_configENS1_35radix_sort_onesweep_config_selectorIiiEEZNS1_34radix_sort_onesweep_global_offsetsIS3_Lb1EN6thrust23THRUST_200600_302600_NS6detail15normal_iteratorINS8_10device_ptrIiEEEESD_jNS0_19identity_decomposerEEE10hipError_tT1_T2_PT3_SI_jT4_jjP12ihipStream_tbEUlT_E_NS1_11comp_targetILNS1_3genE3ELNS1_11target_archE908ELNS1_3gpuE7ELNS1_3repE0EEENS1_52radix_sort_onesweep_histogram_config_static_selectorELNS0_4arch9wavefront6targetE0EEEvSG_
	.globl	_ZN7rocprim17ROCPRIM_400000_NS6detail17trampoline_kernelINS0_14default_configENS1_35radix_sort_onesweep_config_selectorIiiEEZNS1_34radix_sort_onesweep_global_offsetsIS3_Lb1EN6thrust23THRUST_200600_302600_NS6detail15normal_iteratorINS8_10device_ptrIiEEEESD_jNS0_19identity_decomposerEEE10hipError_tT1_T2_PT3_SI_jT4_jjP12ihipStream_tbEUlT_E_NS1_11comp_targetILNS1_3genE3ELNS1_11target_archE908ELNS1_3gpuE7ELNS1_3repE0EEENS1_52radix_sort_onesweep_histogram_config_static_selectorELNS0_4arch9wavefront6targetE0EEEvSG_
	.p2align	8
	.type	_ZN7rocprim17ROCPRIM_400000_NS6detail17trampoline_kernelINS0_14default_configENS1_35radix_sort_onesweep_config_selectorIiiEEZNS1_34radix_sort_onesweep_global_offsetsIS3_Lb1EN6thrust23THRUST_200600_302600_NS6detail15normal_iteratorINS8_10device_ptrIiEEEESD_jNS0_19identity_decomposerEEE10hipError_tT1_T2_PT3_SI_jT4_jjP12ihipStream_tbEUlT_E_NS1_11comp_targetILNS1_3genE3ELNS1_11target_archE908ELNS1_3gpuE7ELNS1_3repE0EEENS1_52radix_sort_onesweep_histogram_config_static_selectorELNS0_4arch9wavefront6targetE0EEEvSG_,@function
_ZN7rocprim17ROCPRIM_400000_NS6detail17trampoline_kernelINS0_14default_configENS1_35radix_sort_onesweep_config_selectorIiiEEZNS1_34radix_sort_onesweep_global_offsetsIS3_Lb1EN6thrust23THRUST_200600_302600_NS6detail15normal_iteratorINS8_10device_ptrIiEEEESD_jNS0_19identity_decomposerEEE10hipError_tT1_T2_PT3_SI_jT4_jjP12ihipStream_tbEUlT_E_NS1_11comp_targetILNS1_3genE3ELNS1_11target_archE908ELNS1_3gpuE7ELNS1_3repE0EEENS1_52radix_sort_onesweep_histogram_config_static_selectorELNS0_4arch9wavefront6targetE0EEEvSG_: ; @_ZN7rocprim17ROCPRIM_400000_NS6detail17trampoline_kernelINS0_14default_configENS1_35radix_sort_onesweep_config_selectorIiiEEZNS1_34radix_sort_onesweep_global_offsetsIS3_Lb1EN6thrust23THRUST_200600_302600_NS6detail15normal_iteratorINS8_10device_ptrIiEEEESD_jNS0_19identity_decomposerEEE10hipError_tT1_T2_PT3_SI_jT4_jjP12ihipStream_tbEUlT_E_NS1_11comp_targetILNS1_3genE3ELNS1_11target_archE908ELNS1_3gpuE7ELNS1_3repE0EEENS1_52radix_sort_onesweep_histogram_config_static_selectorELNS0_4arch9wavefront6targetE0EEEvSG_
; %bb.0:
	.section	.rodata,"a",@progbits
	.p2align	6, 0x0
	.amdhsa_kernel _ZN7rocprim17ROCPRIM_400000_NS6detail17trampoline_kernelINS0_14default_configENS1_35radix_sort_onesweep_config_selectorIiiEEZNS1_34radix_sort_onesweep_global_offsetsIS3_Lb1EN6thrust23THRUST_200600_302600_NS6detail15normal_iteratorINS8_10device_ptrIiEEEESD_jNS0_19identity_decomposerEEE10hipError_tT1_T2_PT3_SI_jT4_jjP12ihipStream_tbEUlT_E_NS1_11comp_targetILNS1_3genE3ELNS1_11target_archE908ELNS1_3gpuE7ELNS1_3repE0EEENS1_52radix_sort_onesweep_histogram_config_static_selectorELNS0_4arch9wavefront6targetE0EEEvSG_
		.amdhsa_group_segment_fixed_size 0
		.amdhsa_private_segment_fixed_size 0
		.amdhsa_kernarg_size 40
		.amdhsa_user_sgpr_count 6
		.amdhsa_user_sgpr_private_segment_buffer 1
		.amdhsa_user_sgpr_dispatch_ptr 0
		.amdhsa_user_sgpr_queue_ptr 0
		.amdhsa_user_sgpr_kernarg_segment_ptr 1
		.amdhsa_user_sgpr_dispatch_id 0
		.amdhsa_user_sgpr_flat_scratch_init 0
		.amdhsa_user_sgpr_private_segment_size 0
		.amdhsa_wavefront_size32 1
		.amdhsa_uses_dynamic_stack 0
		.amdhsa_system_sgpr_private_segment_wavefront_offset 0
		.amdhsa_system_sgpr_workgroup_id_x 1
		.amdhsa_system_sgpr_workgroup_id_y 0
		.amdhsa_system_sgpr_workgroup_id_z 0
		.amdhsa_system_sgpr_workgroup_info 0
		.amdhsa_system_vgpr_workitem_id 0
		.amdhsa_next_free_vgpr 1
		.amdhsa_next_free_sgpr 1
		.amdhsa_reserve_vcc 0
		.amdhsa_reserve_flat_scratch 0
		.amdhsa_float_round_mode_32 0
		.amdhsa_float_round_mode_16_64 0
		.amdhsa_float_denorm_mode_32 3
		.amdhsa_float_denorm_mode_16_64 3
		.amdhsa_dx10_clamp 1
		.amdhsa_ieee_mode 1
		.amdhsa_fp16_overflow 0
		.amdhsa_workgroup_processor_mode 1
		.amdhsa_memory_ordered 1
		.amdhsa_forward_progress 1
		.amdhsa_shared_vgpr_count 0
		.amdhsa_exception_fp_ieee_invalid_op 0
		.amdhsa_exception_fp_denorm_src 0
		.amdhsa_exception_fp_ieee_div_zero 0
		.amdhsa_exception_fp_ieee_overflow 0
		.amdhsa_exception_fp_ieee_underflow 0
		.amdhsa_exception_fp_ieee_inexact 0
		.amdhsa_exception_int_div_zero 0
	.end_amdhsa_kernel
	.section	.text._ZN7rocprim17ROCPRIM_400000_NS6detail17trampoline_kernelINS0_14default_configENS1_35radix_sort_onesweep_config_selectorIiiEEZNS1_34radix_sort_onesweep_global_offsetsIS3_Lb1EN6thrust23THRUST_200600_302600_NS6detail15normal_iteratorINS8_10device_ptrIiEEEESD_jNS0_19identity_decomposerEEE10hipError_tT1_T2_PT3_SI_jT4_jjP12ihipStream_tbEUlT_E_NS1_11comp_targetILNS1_3genE3ELNS1_11target_archE908ELNS1_3gpuE7ELNS1_3repE0EEENS1_52radix_sort_onesweep_histogram_config_static_selectorELNS0_4arch9wavefront6targetE0EEEvSG_,"axG",@progbits,_ZN7rocprim17ROCPRIM_400000_NS6detail17trampoline_kernelINS0_14default_configENS1_35radix_sort_onesweep_config_selectorIiiEEZNS1_34radix_sort_onesweep_global_offsetsIS3_Lb1EN6thrust23THRUST_200600_302600_NS6detail15normal_iteratorINS8_10device_ptrIiEEEESD_jNS0_19identity_decomposerEEE10hipError_tT1_T2_PT3_SI_jT4_jjP12ihipStream_tbEUlT_E_NS1_11comp_targetILNS1_3genE3ELNS1_11target_archE908ELNS1_3gpuE7ELNS1_3repE0EEENS1_52radix_sort_onesweep_histogram_config_static_selectorELNS0_4arch9wavefront6targetE0EEEvSG_,comdat
.Lfunc_end986:
	.size	_ZN7rocprim17ROCPRIM_400000_NS6detail17trampoline_kernelINS0_14default_configENS1_35radix_sort_onesweep_config_selectorIiiEEZNS1_34radix_sort_onesweep_global_offsetsIS3_Lb1EN6thrust23THRUST_200600_302600_NS6detail15normal_iteratorINS8_10device_ptrIiEEEESD_jNS0_19identity_decomposerEEE10hipError_tT1_T2_PT3_SI_jT4_jjP12ihipStream_tbEUlT_E_NS1_11comp_targetILNS1_3genE3ELNS1_11target_archE908ELNS1_3gpuE7ELNS1_3repE0EEENS1_52radix_sort_onesweep_histogram_config_static_selectorELNS0_4arch9wavefront6targetE0EEEvSG_, .Lfunc_end986-_ZN7rocprim17ROCPRIM_400000_NS6detail17trampoline_kernelINS0_14default_configENS1_35radix_sort_onesweep_config_selectorIiiEEZNS1_34radix_sort_onesweep_global_offsetsIS3_Lb1EN6thrust23THRUST_200600_302600_NS6detail15normal_iteratorINS8_10device_ptrIiEEEESD_jNS0_19identity_decomposerEEE10hipError_tT1_T2_PT3_SI_jT4_jjP12ihipStream_tbEUlT_E_NS1_11comp_targetILNS1_3genE3ELNS1_11target_archE908ELNS1_3gpuE7ELNS1_3repE0EEENS1_52radix_sort_onesweep_histogram_config_static_selectorELNS0_4arch9wavefront6targetE0EEEvSG_
                                        ; -- End function
	.set _ZN7rocprim17ROCPRIM_400000_NS6detail17trampoline_kernelINS0_14default_configENS1_35radix_sort_onesweep_config_selectorIiiEEZNS1_34radix_sort_onesweep_global_offsetsIS3_Lb1EN6thrust23THRUST_200600_302600_NS6detail15normal_iteratorINS8_10device_ptrIiEEEESD_jNS0_19identity_decomposerEEE10hipError_tT1_T2_PT3_SI_jT4_jjP12ihipStream_tbEUlT_E_NS1_11comp_targetILNS1_3genE3ELNS1_11target_archE908ELNS1_3gpuE7ELNS1_3repE0EEENS1_52radix_sort_onesweep_histogram_config_static_selectorELNS0_4arch9wavefront6targetE0EEEvSG_.num_vgpr, 0
	.set _ZN7rocprim17ROCPRIM_400000_NS6detail17trampoline_kernelINS0_14default_configENS1_35radix_sort_onesweep_config_selectorIiiEEZNS1_34radix_sort_onesweep_global_offsetsIS3_Lb1EN6thrust23THRUST_200600_302600_NS6detail15normal_iteratorINS8_10device_ptrIiEEEESD_jNS0_19identity_decomposerEEE10hipError_tT1_T2_PT3_SI_jT4_jjP12ihipStream_tbEUlT_E_NS1_11comp_targetILNS1_3genE3ELNS1_11target_archE908ELNS1_3gpuE7ELNS1_3repE0EEENS1_52radix_sort_onesweep_histogram_config_static_selectorELNS0_4arch9wavefront6targetE0EEEvSG_.num_agpr, 0
	.set _ZN7rocprim17ROCPRIM_400000_NS6detail17trampoline_kernelINS0_14default_configENS1_35radix_sort_onesweep_config_selectorIiiEEZNS1_34radix_sort_onesweep_global_offsetsIS3_Lb1EN6thrust23THRUST_200600_302600_NS6detail15normal_iteratorINS8_10device_ptrIiEEEESD_jNS0_19identity_decomposerEEE10hipError_tT1_T2_PT3_SI_jT4_jjP12ihipStream_tbEUlT_E_NS1_11comp_targetILNS1_3genE3ELNS1_11target_archE908ELNS1_3gpuE7ELNS1_3repE0EEENS1_52radix_sort_onesweep_histogram_config_static_selectorELNS0_4arch9wavefront6targetE0EEEvSG_.numbered_sgpr, 0
	.set _ZN7rocprim17ROCPRIM_400000_NS6detail17trampoline_kernelINS0_14default_configENS1_35radix_sort_onesweep_config_selectorIiiEEZNS1_34radix_sort_onesweep_global_offsetsIS3_Lb1EN6thrust23THRUST_200600_302600_NS6detail15normal_iteratorINS8_10device_ptrIiEEEESD_jNS0_19identity_decomposerEEE10hipError_tT1_T2_PT3_SI_jT4_jjP12ihipStream_tbEUlT_E_NS1_11comp_targetILNS1_3genE3ELNS1_11target_archE908ELNS1_3gpuE7ELNS1_3repE0EEENS1_52radix_sort_onesweep_histogram_config_static_selectorELNS0_4arch9wavefront6targetE0EEEvSG_.num_named_barrier, 0
	.set _ZN7rocprim17ROCPRIM_400000_NS6detail17trampoline_kernelINS0_14default_configENS1_35radix_sort_onesweep_config_selectorIiiEEZNS1_34radix_sort_onesweep_global_offsetsIS3_Lb1EN6thrust23THRUST_200600_302600_NS6detail15normal_iteratorINS8_10device_ptrIiEEEESD_jNS0_19identity_decomposerEEE10hipError_tT1_T2_PT3_SI_jT4_jjP12ihipStream_tbEUlT_E_NS1_11comp_targetILNS1_3genE3ELNS1_11target_archE908ELNS1_3gpuE7ELNS1_3repE0EEENS1_52radix_sort_onesweep_histogram_config_static_selectorELNS0_4arch9wavefront6targetE0EEEvSG_.private_seg_size, 0
	.set _ZN7rocprim17ROCPRIM_400000_NS6detail17trampoline_kernelINS0_14default_configENS1_35radix_sort_onesweep_config_selectorIiiEEZNS1_34radix_sort_onesweep_global_offsetsIS3_Lb1EN6thrust23THRUST_200600_302600_NS6detail15normal_iteratorINS8_10device_ptrIiEEEESD_jNS0_19identity_decomposerEEE10hipError_tT1_T2_PT3_SI_jT4_jjP12ihipStream_tbEUlT_E_NS1_11comp_targetILNS1_3genE3ELNS1_11target_archE908ELNS1_3gpuE7ELNS1_3repE0EEENS1_52radix_sort_onesweep_histogram_config_static_selectorELNS0_4arch9wavefront6targetE0EEEvSG_.uses_vcc, 0
	.set _ZN7rocprim17ROCPRIM_400000_NS6detail17trampoline_kernelINS0_14default_configENS1_35radix_sort_onesweep_config_selectorIiiEEZNS1_34radix_sort_onesweep_global_offsetsIS3_Lb1EN6thrust23THRUST_200600_302600_NS6detail15normal_iteratorINS8_10device_ptrIiEEEESD_jNS0_19identity_decomposerEEE10hipError_tT1_T2_PT3_SI_jT4_jjP12ihipStream_tbEUlT_E_NS1_11comp_targetILNS1_3genE3ELNS1_11target_archE908ELNS1_3gpuE7ELNS1_3repE0EEENS1_52radix_sort_onesweep_histogram_config_static_selectorELNS0_4arch9wavefront6targetE0EEEvSG_.uses_flat_scratch, 0
	.set _ZN7rocprim17ROCPRIM_400000_NS6detail17trampoline_kernelINS0_14default_configENS1_35radix_sort_onesweep_config_selectorIiiEEZNS1_34radix_sort_onesweep_global_offsetsIS3_Lb1EN6thrust23THRUST_200600_302600_NS6detail15normal_iteratorINS8_10device_ptrIiEEEESD_jNS0_19identity_decomposerEEE10hipError_tT1_T2_PT3_SI_jT4_jjP12ihipStream_tbEUlT_E_NS1_11comp_targetILNS1_3genE3ELNS1_11target_archE908ELNS1_3gpuE7ELNS1_3repE0EEENS1_52radix_sort_onesweep_histogram_config_static_selectorELNS0_4arch9wavefront6targetE0EEEvSG_.has_dyn_sized_stack, 0
	.set _ZN7rocprim17ROCPRIM_400000_NS6detail17trampoline_kernelINS0_14default_configENS1_35radix_sort_onesweep_config_selectorIiiEEZNS1_34radix_sort_onesweep_global_offsetsIS3_Lb1EN6thrust23THRUST_200600_302600_NS6detail15normal_iteratorINS8_10device_ptrIiEEEESD_jNS0_19identity_decomposerEEE10hipError_tT1_T2_PT3_SI_jT4_jjP12ihipStream_tbEUlT_E_NS1_11comp_targetILNS1_3genE3ELNS1_11target_archE908ELNS1_3gpuE7ELNS1_3repE0EEENS1_52radix_sort_onesweep_histogram_config_static_selectorELNS0_4arch9wavefront6targetE0EEEvSG_.has_recursion, 0
	.set _ZN7rocprim17ROCPRIM_400000_NS6detail17trampoline_kernelINS0_14default_configENS1_35radix_sort_onesweep_config_selectorIiiEEZNS1_34radix_sort_onesweep_global_offsetsIS3_Lb1EN6thrust23THRUST_200600_302600_NS6detail15normal_iteratorINS8_10device_ptrIiEEEESD_jNS0_19identity_decomposerEEE10hipError_tT1_T2_PT3_SI_jT4_jjP12ihipStream_tbEUlT_E_NS1_11comp_targetILNS1_3genE3ELNS1_11target_archE908ELNS1_3gpuE7ELNS1_3repE0EEENS1_52radix_sort_onesweep_histogram_config_static_selectorELNS0_4arch9wavefront6targetE0EEEvSG_.has_indirect_call, 0
	.section	.AMDGPU.csdata,"",@progbits
; Kernel info:
; codeLenInByte = 0
; TotalNumSgprs: 0
; NumVgprs: 0
; ScratchSize: 0
; MemoryBound: 0
; FloatMode: 240
; IeeeMode: 1
; LDSByteSize: 0 bytes/workgroup (compile time only)
; SGPRBlocks: 0
; VGPRBlocks: 0
; NumSGPRsForWavesPerEU: 1
; NumVGPRsForWavesPerEU: 1
; Occupancy: 16
; WaveLimiterHint : 0
; COMPUTE_PGM_RSRC2:SCRATCH_EN: 0
; COMPUTE_PGM_RSRC2:USER_SGPR: 6
; COMPUTE_PGM_RSRC2:TRAP_HANDLER: 0
; COMPUTE_PGM_RSRC2:TGID_X_EN: 1
; COMPUTE_PGM_RSRC2:TGID_Y_EN: 0
; COMPUTE_PGM_RSRC2:TGID_Z_EN: 0
; COMPUTE_PGM_RSRC2:TIDIG_COMP_CNT: 0
	.section	.text._ZN7rocprim17ROCPRIM_400000_NS6detail17trampoline_kernelINS0_14default_configENS1_35radix_sort_onesweep_config_selectorIiiEEZNS1_34radix_sort_onesweep_global_offsetsIS3_Lb1EN6thrust23THRUST_200600_302600_NS6detail15normal_iteratorINS8_10device_ptrIiEEEESD_jNS0_19identity_decomposerEEE10hipError_tT1_T2_PT3_SI_jT4_jjP12ihipStream_tbEUlT_E_NS1_11comp_targetILNS1_3genE10ELNS1_11target_archE1201ELNS1_3gpuE5ELNS1_3repE0EEENS1_52radix_sort_onesweep_histogram_config_static_selectorELNS0_4arch9wavefront6targetE0EEEvSG_,"axG",@progbits,_ZN7rocprim17ROCPRIM_400000_NS6detail17trampoline_kernelINS0_14default_configENS1_35radix_sort_onesweep_config_selectorIiiEEZNS1_34radix_sort_onesweep_global_offsetsIS3_Lb1EN6thrust23THRUST_200600_302600_NS6detail15normal_iteratorINS8_10device_ptrIiEEEESD_jNS0_19identity_decomposerEEE10hipError_tT1_T2_PT3_SI_jT4_jjP12ihipStream_tbEUlT_E_NS1_11comp_targetILNS1_3genE10ELNS1_11target_archE1201ELNS1_3gpuE5ELNS1_3repE0EEENS1_52radix_sort_onesweep_histogram_config_static_selectorELNS0_4arch9wavefront6targetE0EEEvSG_,comdat
	.protected	_ZN7rocprim17ROCPRIM_400000_NS6detail17trampoline_kernelINS0_14default_configENS1_35radix_sort_onesweep_config_selectorIiiEEZNS1_34radix_sort_onesweep_global_offsetsIS3_Lb1EN6thrust23THRUST_200600_302600_NS6detail15normal_iteratorINS8_10device_ptrIiEEEESD_jNS0_19identity_decomposerEEE10hipError_tT1_T2_PT3_SI_jT4_jjP12ihipStream_tbEUlT_E_NS1_11comp_targetILNS1_3genE10ELNS1_11target_archE1201ELNS1_3gpuE5ELNS1_3repE0EEENS1_52radix_sort_onesweep_histogram_config_static_selectorELNS0_4arch9wavefront6targetE0EEEvSG_ ; -- Begin function _ZN7rocprim17ROCPRIM_400000_NS6detail17trampoline_kernelINS0_14default_configENS1_35radix_sort_onesweep_config_selectorIiiEEZNS1_34radix_sort_onesweep_global_offsetsIS3_Lb1EN6thrust23THRUST_200600_302600_NS6detail15normal_iteratorINS8_10device_ptrIiEEEESD_jNS0_19identity_decomposerEEE10hipError_tT1_T2_PT3_SI_jT4_jjP12ihipStream_tbEUlT_E_NS1_11comp_targetILNS1_3genE10ELNS1_11target_archE1201ELNS1_3gpuE5ELNS1_3repE0EEENS1_52radix_sort_onesweep_histogram_config_static_selectorELNS0_4arch9wavefront6targetE0EEEvSG_
	.globl	_ZN7rocprim17ROCPRIM_400000_NS6detail17trampoline_kernelINS0_14default_configENS1_35radix_sort_onesweep_config_selectorIiiEEZNS1_34radix_sort_onesweep_global_offsetsIS3_Lb1EN6thrust23THRUST_200600_302600_NS6detail15normal_iteratorINS8_10device_ptrIiEEEESD_jNS0_19identity_decomposerEEE10hipError_tT1_T2_PT3_SI_jT4_jjP12ihipStream_tbEUlT_E_NS1_11comp_targetILNS1_3genE10ELNS1_11target_archE1201ELNS1_3gpuE5ELNS1_3repE0EEENS1_52radix_sort_onesweep_histogram_config_static_selectorELNS0_4arch9wavefront6targetE0EEEvSG_
	.p2align	8
	.type	_ZN7rocprim17ROCPRIM_400000_NS6detail17trampoline_kernelINS0_14default_configENS1_35radix_sort_onesweep_config_selectorIiiEEZNS1_34radix_sort_onesweep_global_offsetsIS3_Lb1EN6thrust23THRUST_200600_302600_NS6detail15normal_iteratorINS8_10device_ptrIiEEEESD_jNS0_19identity_decomposerEEE10hipError_tT1_T2_PT3_SI_jT4_jjP12ihipStream_tbEUlT_E_NS1_11comp_targetILNS1_3genE10ELNS1_11target_archE1201ELNS1_3gpuE5ELNS1_3repE0EEENS1_52radix_sort_onesweep_histogram_config_static_selectorELNS0_4arch9wavefront6targetE0EEEvSG_,@function
_ZN7rocprim17ROCPRIM_400000_NS6detail17trampoline_kernelINS0_14default_configENS1_35radix_sort_onesweep_config_selectorIiiEEZNS1_34radix_sort_onesweep_global_offsetsIS3_Lb1EN6thrust23THRUST_200600_302600_NS6detail15normal_iteratorINS8_10device_ptrIiEEEESD_jNS0_19identity_decomposerEEE10hipError_tT1_T2_PT3_SI_jT4_jjP12ihipStream_tbEUlT_E_NS1_11comp_targetILNS1_3genE10ELNS1_11target_archE1201ELNS1_3gpuE5ELNS1_3repE0EEENS1_52radix_sort_onesweep_histogram_config_static_selectorELNS0_4arch9wavefront6targetE0EEEvSG_: ; @_ZN7rocprim17ROCPRIM_400000_NS6detail17trampoline_kernelINS0_14default_configENS1_35radix_sort_onesweep_config_selectorIiiEEZNS1_34radix_sort_onesweep_global_offsetsIS3_Lb1EN6thrust23THRUST_200600_302600_NS6detail15normal_iteratorINS8_10device_ptrIiEEEESD_jNS0_19identity_decomposerEEE10hipError_tT1_T2_PT3_SI_jT4_jjP12ihipStream_tbEUlT_E_NS1_11comp_targetILNS1_3genE10ELNS1_11target_archE1201ELNS1_3gpuE5ELNS1_3repE0EEENS1_52radix_sort_onesweep_histogram_config_static_selectorELNS0_4arch9wavefront6targetE0EEEvSG_
; %bb.0:
	.section	.rodata,"a",@progbits
	.p2align	6, 0x0
	.amdhsa_kernel _ZN7rocprim17ROCPRIM_400000_NS6detail17trampoline_kernelINS0_14default_configENS1_35radix_sort_onesweep_config_selectorIiiEEZNS1_34radix_sort_onesweep_global_offsetsIS3_Lb1EN6thrust23THRUST_200600_302600_NS6detail15normal_iteratorINS8_10device_ptrIiEEEESD_jNS0_19identity_decomposerEEE10hipError_tT1_T2_PT3_SI_jT4_jjP12ihipStream_tbEUlT_E_NS1_11comp_targetILNS1_3genE10ELNS1_11target_archE1201ELNS1_3gpuE5ELNS1_3repE0EEENS1_52radix_sort_onesweep_histogram_config_static_selectorELNS0_4arch9wavefront6targetE0EEEvSG_
		.amdhsa_group_segment_fixed_size 0
		.amdhsa_private_segment_fixed_size 0
		.amdhsa_kernarg_size 40
		.amdhsa_user_sgpr_count 6
		.amdhsa_user_sgpr_private_segment_buffer 1
		.amdhsa_user_sgpr_dispatch_ptr 0
		.amdhsa_user_sgpr_queue_ptr 0
		.amdhsa_user_sgpr_kernarg_segment_ptr 1
		.amdhsa_user_sgpr_dispatch_id 0
		.amdhsa_user_sgpr_flat_scratch_init 0
		.amdhsa_user_sgpr_private_segment_size 0
		.amdhsa_wavefront_size32 1
		.amdhsa_uses_dynamic_stack 0
		.amdhsa_system_sgpr_private_segment_wavefront_offset 0
		.amdhsa_system_sgpr_workgroup_id_x 1
		.amdhsa_system_sgpr_workgroup_id_y 0
		.amdhsa_system_sgpr_workgroup_id_z 0
		.amdhsa_system_sgpr_workgroup_info 0
		.amdhsa_system_vgpr_workitem_id 0
		.amdhsa_next_free_vgpr 1
		.amdhsa_next_free_sgpr 1
		.amdhsa_reserve_vcc 0
		.amdhsa_reserve_flat_scratch 0
		.amdhsa_float_round_mode_32 0
		.amdhsa_float_round_mode_16_64 0
		.amdhsa_float_denorm_mode_32 3
		.amdhsa_float_denorm_mode_16_64 3
		.amdhsa_dx10_clamp 1
		.amdhsa_ieee_mode 1
		.amdhsa_fp16_overflow 0
		.amdhsa_workgroup_processor_mode 1
		.amdhsa_memory_ordered 1
		.amdhsa_forward_progress 1
		.amdhsa_shared_vgpr_count 0
		.amdhsa_exception_fp_ieee_invalid_op 0
		.amdhsa_exception_fp_denorm_src 0
		.amdhsa_exception_fp_ieee_div_zero 0
		.amdhsa_exception_fp_ieee_overflow 0
		.amdhsa_exception_fp_ieee_underflow 0
		.amdhsa_exception_fp_ieee_inexact 0
		.amdhsa_exception_int_div_zero 0
	.end_amdhsa_kernel
	.section	.text._ZN7rocprim17ROCPRIM_400000_NS6detail17trampoline_kernelINS0_14default_configENS1_35radix_sort_onesweep_config_selectorIiiEEZNS1_34radix_sort_onesweep_global_offsetsIS3_Lb1EN6thrust23THRUST_200600_302600_NS6detail15normal_iteratorINS8_10device_ptrIiEEEESD_jNS0_19identity_decomposerEEE10hipError_tT1_T2_PT3_SI_jT4_jjP12ihipStream_tbEUlT_E_NS1_11comp_targetILNS1_3genE10ELNS1_11target_archE1201ELNS1_3gpuE5ELNS1_3repE0EEENS1_52radix_sort_onesweep_histogram_config_static_selectorELNS0_4arch9wavefront6targetE0EEEvSG_,"axG",@progbits,_ZN7rocprim17ROCPRIM_400000_NS6detail17trampoline_kernelINS0_14default_configENS1_35radix_sort_onesweep_config_selectorIiiEEZNS1_34radix_sort_onesweep_global_offsetsIS3_Lb1EN6thrust23THRUST_200600_302600_NS6detail15normal_iteratorINS8_10device_ptrIiEEEESD_jNS0_19identity_decomposerEEE10hipError_tT1_T2_PT3_SI_jT4_jjP12ihipStream_tbEUlT_E_NS1_11comp_targetILNS1_3genE10ELNS1_11target_archE1201ELNS1_3gpuE5ELNS1_3repE0EEENS1_52radix_sort_onesweep_histogram_config_static_selectorELNS0_4arch9wavefront6targetE0EEEvSG_,comdat
.Lfunc_end987:
	.size	_ZN7rocprim17ROCPRIM_400000_NS6detail17trampoline_kernelINS0_14default_configENS1_35radix_sort_onesweep_config_selectorIiiEEZNS1_34radix_sort_onesweep_global_offsetsIS3_Lb1EN6thrust23THRUST_200600_302600_NS6detail15normal_iteratorINS8_10device_ptrIiEEEESD_jNS0_19identity_decomposerEEE10hipError_tT1_T2_PT3_SI_jT4_jjP12ihipStream_tbEUlT_E_NS1_11comp_targetILNS1_3genE10ELNS1_11target_archE1201ELNS1_3gpuE5ELNS1_3repE0EEENS1_52radix_sort_onesweep_histogram_config_static_selectorELNS0_4arch9wavefront6targetE0EEEvSG_, .Lfunc_end987-_ZN7rocprim17ROCPRIM_400000_NS6detail17trampoline_kernelINS0_14default_configENS1_35radix_sort_onesweep_config_selectorIiiEEZNS1_34radix_sort_onesweep_global_offsetsIS3_Lb1EN6thrust23THRUST_200600_302600_NS6detail15normal_iteratorINS8_10device_ptrIiEEEESD_jNS0_19identity_decomposerEEE10hipError_tT1_T2_PT3_SI_jT4_jjP12ihipStream_tbEUlT_E_NS1_11comp_targetILNS1_3genE10ELNS1_11target_archE1201ELNS1_3gpuE5ELNS1_3repE0EEENS1_52radix_sort_onesweep_histogram_config_static_selectorELNS0_4arch9wavefront6targetE0EEEvSG_
                                        ; -- End function
	.set _ZN7rocprim17ROCPRIM_400000_NS6detail17trampoline_kernelINS0_14default_configENS1_35radix_sort_onesweep_config_selectorIiiEEZNS1_34radix_sort_onesweep_global_offsetsIS3_Lb1EN6thrust23THRUST_200600_302600_NS6detail15normal_iteratorINS8_10device_ptrIiEEEESD_jNS0_19identity_decomposerEEE10hipError_tT1_T2_PT3_SI_jT4_jjP12ihipStream_tbEUlT_E_NS1_11comp_targetILNS1_3genE10ELNS1_11target_archE1201ELNS1_3gpuE5ELNS1_3repE0EEENS1_52radix_sort_onesweep_histogram_config_static_selectorELNS0_4arch9wavefront6targetE0EEEvSG_.num_vgpr, 0
	.set _ZN7rocprim17ROCPRIM_400000_NS6detail17trampoline_kernelINS0_14default_configENS1_35radix_sort_onesweep_config_selectorIiiEEZNS1_34radix_sort_onesweep_global_offsetsIS3_Lb1EN6thrust23THRUST_200600_302600_NS6detail15normal_iteratorINS8_10device_ptrIiEEEESD_jNS0_19identity_decomposerEEE10hipError_tT1_T2_PT3_SI_jT4_jjP12ihipStream_tbEUlT_E_NS1_11comp_targetILNS1_3genE10ELNS1_11target_archE1201ELNS1_3gpuE5ELNS1_3repE0EEENS1_52radix_sort_onesweep_histogram_config_static_selectorELNS0_4arch9wavefront6targetE0EEEvSG_.num_agpr, 0
	.set _ZN7rocprim17ROCPRIM_400000_NS6detail17trampoline_kernelINS0_14default_configENS1_35radix_sort_onesweep_config_selectorIiiEEZNS1_34radix_sort_onesweep_global_offsetsIS3_Lb1EN6thrust23THRUST_200600_302600_NS6detail15normal_iteratorINS8_10device_ptrIiEEEESD_jNS0_19identity_decomposerEEE10hipError_tT1_T2_PT3_SI_jT4_jjP12ihipStream_tbEUlT_E_NS1_11comp_targetILNS1_3genE10ELNS1_11target_archE1201ELNS1_3gpuE5ELNS1_3repE0EEENS1_52radix_sort_onesweep_histogram_config_static_selectorELNS0_4arch9wavefront6targetE0EEEvSG_.numbered_sgpr, 0
	.set _ZN7rocprim17ROCPRIM_400000_NS6detail17trampoline_kernelINS0_14default_configENS1_35radix_sort_onesweep_config_selectorIiiEEZNS1_34radix_sort_onesweep_global_offsetsIS3_Lb1EN6thrust23THRUST_200600_302600_NS6detail15normal_iteratorINS8_10device_ptrIiEEEESD_jNS0_19identity_decomposerEEE10hipError_tT1_T2_PT3_SI_jT4_jjP12ihipStream_tbEUlT_E_NS1_11comp_targetILNS1_3genE10ELNS1_11target_archE1201ELNS1_3gpuE5ELNS1_3repE0EEENS1_52radix_sort_onesweep_histogram_config_static_selectorELNS0_4arch9wavefront6targetE0EEEvSG_.num_named_barrier, 0
	.set _ZN7rocprim17ROCPRIM_400000_NS6detail17trampoline_kernelINS0_14default_configENS1_35radix_sort_onesweep_config_selectorIiiEEZNS1_34radix_sort_onesweep_global_offsetsIS3_Lb1EN6thrust23THRUST_200600_302600_NS6detail15normal_iteratorINS8_10device_ptrIiEEEESD_jNS0_19identity_decomposerEEE10hipError_tT1_T2_PT3_SI_jT4_jjP12ihipStream_tbEUlT_E_NS1_11comp_targetILNS1_3genE10ELNS1_11target_archE1201ELNS1_3gpuE5ELNS1_3repE0EEENS1_52radix_sort_onesweep_histogram_config_static_selectorELNS0_4arch9wavefront6targetE0EEEvSG_.private_seg_size, 0
	.set _ZN7rocprim17ROCPRIM_400000_NS6detail17trampoline_kernelINS0_14default_configENS1_35radix_sort_onesweep_config_selectorIiiEEZNS1_34radix_sort_onesweep_global_offsetsIS3_Lb1EN6thrust23THRUST_200600_302600_NS6detail15normal_iteratorINS8_10device_ptrIiEEEESD_jNS0_19identity_decomposerEEE10hipError_tT1_T2_PT3_SI_jT4_jjP12ihipStream_tbEUlT_E_NS1_11comp_targetILNS1_3genE10ELNS1_11target_archE1201ELNS1_3gpuE5ELNS1_3repE0EEENS1_52radix_sort_onesweep_histogram_config_static_selectorELNS0_4arch9wavefront6targetE0EEEvSG_.uses_vcc, 0
	.set _ZN7rocprim17ROCPRIM_400000_NS6detail17trampoline_kernelINS0_14default_configENS1_35radix_sort_onesweep_config_selectorIiiEEZNS1_34radix_sort_onesweep_global_offsetsIS3_Lb1EN6thrust23THRUST_200600_302600_NS6detail15normal_iteratorINS8_10device_ptrIiEEEESD_jNS0_19identity_decomposerEEE10hipError_tT1_T2_PT3_SI_jT4_jjP12ihipStream_tbEUlT_E_NS1_11comp_targetILNS1_3genE10ELNS1_11target_archE1201ELNS1_3gpuE5ELNS1_3repE0EEENS1_52radix_sort_onesweep_histogram_config_static_selectorELNS0_4arch9wavefront6targetE0EEEvSG_.uses_flat_scratch, 0
	.set _ZN7rocprim17ROCPRIM_400000_NS6detail17trampoline_kernelINS0_14default_configENS1_35radix_sort_onesweep_config_selectorIiiEEZNS1_34radix_sort_onesweep_global_offsetsIS3_Lb1EN6thrust23THRUST_200600_302600_NS6detail15normal_iteratorINS8_10device_ptrIiEEEESD_jNS0_19identity_decomposerEEE10hipError_tT1_T2_PT3_SI_jT4_jjP12ihipStream_tbEUlT_E_NS1_11comp_targetILNS1_3genE10ELNS1_11target_archE1201ELNS1_3gpuE5ELNS1_3repE0EEENS1_52radix_sort_onesweep_histogram_config_static_selectorELNS0_4arch9wavefront6targetE0EEEvSG_.has_dyn_sized_stack, 0
	.set _ZN7rocprim17ROCPRIM_400000_NS6detail17trampoline_kernelINS0_14default_configENS1_35radix_sort_onesweep_config_selectorIiiEEZNS1_34radix_sort_onesweep_global_offsetsIS3_Lb1EN6thrust23THRUST_200600_302600_NS6detail15normal_iteratorINS8_10device_ptrIiEEEESD_jNS0_19identity_decomposerEEE10hipError_tT1_T2_PT3_SI_jT4_jjP12ihipStream_tbEUlT_E_NS1_11comp_targetILNS1_3genE10ELNS1_11target_archE1201ELNS1_3gpuE5ELNS1_3repE0EEENS1_52radix_sort_onesweep_histogram_config_static_selectorELNS0_4arch9wavefront6targetE0EEEvSG_.has_recursion, 0
	.set _ZN7rocprim17ROCPRIM_400000_NS6detail17trampoline_kernelINS0_14default_configENS1_35radix_sort_onesweep_config_selectorIiiEEZNS1_34radix_sort_onesweep_global_offsetsIS3_Lb1EN6thrust23THRUST_200600_302600_NS6detail15normal_iteratorINS8_10device_ptrIiEEEESD_jNS0_19identity_decomposerEEE10hipError_tT1_T2_PT3_SI_jT4_jjP12ihipStream_tbEUlT_E_NS1_11comp_targetILNS1_3genE10ELNS1_11target_archE1201ELNS1_3gpuE5ELNS1_3repE0EEENS1_52radix_sort_onesweep_histogram_config_static_selectorELNS0_4arch9wavefront6targetE0EEEvSG_.has_indirect_call, 0
	.section	.AMDGPU.csdata,"",@progbits
; Kernel info:
; codeLenInByte = 0
; TotalNumSgprs: 0
; NumVgprs: 0
; ScratchSize: 0
; MemoryBound: 0
; FloatMode: 240
; IeeeMode: 1
; LDSByteSize: 0 bytes/workgroup (compile time only)
; SGPRBlocks: 0
; VGPRBlocks: 0
; NumSGPRsForWavesPerEU: 1
; NumVGPRsForWavesPerEU: 1
; Occupancy: 16
; WaveLimiterHint : 0
; COMPUTE_PGM_RSRC2:SCRATCH_EN: 0
; COMPUTE_PGM_RSRC2:USER_SGPR: 6
; COMPUTE_PGM_RSRC2:TRAP_HANDLER: 0
; COMPUTE_PGM_RSRC2:TGID_X_EN: 1
; COMPUTE_PGM_RSRC2:TGID_Y_EN: 0
; COMPUTE_PGM_RSRC2:TGID_Z_EN: 0
; COMPUTE_PGM_RSRC2:TIDIG_COMP_CNT: 0
	.section	.text._ZN7rocprim17ROCPRIM_400000_NS6detail17trampoline_kernelINS0_14default_configENS1_35radix_sort_onesweep_config_selectorIiiEEZNS1_34radix_sort_onesweep_global_offsetsIS3_Lb1EN6thrust23THRUST_200600_302600_NS6detail15normal_iteratorINS8_10device_ptrIiEEEESD_jNS0_19identity_decomposerEEE10hipError_tT1_T2_PT3_SI_jT4_jjP12ihipStream_tbEUlT_E_NS1_11comp_targetILNS1_3genE9ELNS1_11target_archE1100ELNS1_3gpuE3ELNS1_3repE0EEENS1_52radix_sort_onesweep_histogram_config_static_selectorELNS0_4arch9wavefront6targetE0EEEvSG_,"axG",@progbits,_ZN7rocprim17ROCPRIM_400000_NS6detail17trampoline_kernelINS0_14default_configENS1_35radix_sort_onesweep_config_selectorIiiEEZNS1_34radix_sort_onesweep_global_offsetsIS3_Lb1EN6thrust23THRUST_200600_302600_NS6detail15normal_iteratorINS8_10device_ptrIiEEEESD_jNS0_19identity_decomposerEEE10hipError_tT1_T2_PT3_SI_jT4_jjP12ihipStream_tbEUlT_E_NS1_11comp_targetILNS1_3genE9ELNS1_11target_archE1100ELNS1_3gpuE3ELNS1_3repE0EEENS1_52radix_sort_onesweep_histogram_config_static_selectorELNS0_4arch9wavefront6targetE0EEEvSG_,comdat
	.protected	_ZN7rocprim17ROCPRIM_400000_NS6detail17trampoline_kernelINS0_14default_configENS1_35radix_sort_onesweep_config_selectorIiiEEZNS1_34radix_sort_onesweep_global_offsetsIS3_Lb1EN6thrust23THRUST_200600_302600_NS6detail15normal_iteratorINS8_10device_ptrIiEEEESD_jNS0_19identity_decomposerEEE10hipError_tT1_T2_PT3_SI_jT4_jjP12ihipStream_tbEUlT_E_NS1_11comp_targetILNS1_3genE9ELNS1_11target_archE1100ELNS1_3gpuE3ELNS1_3repE0EEENS1_52radix_sort_onesweep_histogram_config_static_selectorELNS0_4arch9wavefront6targetE0EEEvSG_ ; -- Begin function _ZN7rocprim17ROCPRIM_400000_NS6detail17trampoline_kernelINS0_14default_configENS1_35radix_sort_onesweep_config_selectorIiiEEZNS1_34radix_sort_onesweep_global_offsetsIS3_Lb1EN6thrust23THRUST_200600_302600_NS6detail15normal_iteratorINS8_10device_ptrIiEEEESD_jNS0_19identity_decomposerEEE10hipError_tT1_T2_PT3_SI_jT4_jjP12ihipStream_tbEUlT_E_NS1_11comp_targetILNS1_3genE9ELNS1_11target_archE1100ELNS1_3gpuE3ELNS1_3repE0EEENS1_52radix_sort_onesweep_histogram_config_static_selectorELNS0_4arch9wavefront6targetE0EEEvSG_
	.globl	_ZN7rocprim17ROCPRIM_400000_NS6detail17trampoline_kernelINS0_14default_configENS1_35radix_sort_onesweep_config_selectorIiiEEZNS1_34radix_sort_onesweep_global_offsetsIS3_Lb1EN6thrust23THRUST_200600_302600_NS6detail15normal_iteratorINS8_10device_ptrIiEEEESD_jNS0_19identity_decomposerEEE10hipError_tT1_T2_PT3_SI_jT4_jjP12ihipStream_tbEUlT_E_NS1_11comp_targetILNS1_3genE9ELNS1_11target_archE1100ELNS1_3gpuE3ELNS1_3repE0EEENS1_52radix_sort_onesweep_histogram_config_static_selectorELNS0_4arch9wavefront6targetE0EEEvSG_
	.p2align	8
	.type	_ZN7rocprim17ROCPRIM_400000_NS6detail17trampoline_kernelINS0_14default_configENS1_35radix_sort_onesweep_config_selectorIiiEEZNS1_34radix_sort_onesweep_global_offsetsIS3_Lb1EN6thrust23THRUST_200600_302600_NS6detail15normal_iteratorINS8_10device_ptrIiEEEESD_jNS0_19identity_decomposerEEE10hipError_tT1_T2_PT3_SI_jT4_jjP12ihipStream_tbEUlT_E_NS1_11comp_targetILNS1_3genE9ELNS1_11target_archE1100ELNS1_3gpuE3ELNS1_3repE0EEENS1_52radix_sort_onesweep_histogram_config_static_selectorELNS0_4arch9wavefront6targetE0EEEvSG_,@function
_ZN7rocprim17ROCPRIM_400000_NS6detail17trampoline_kernelINS0_14default_configENS1_35radix_sort_onesweep_config_selectorIiiEEZNS1_34radix_sort_onesweep_global_offsetsIS3_Lb1EN6thrust23THRUST_200600_302600_NS6detail15normal_iteratorINS8_10device_ptrIiEEEESD_jNS0_19identity_decomposerEEE10hipError_tT1_T2_PT3_SI_jT4_jjP12ihipStream_tbEUlT_E_NS1_11comp_targetILNS1_3genE9ELNS1_11target_archE1100ELNS1_3gpuE3ELNS1_3repE0EEENS1_52radix_sort_onesweep_histogram_config_static_selectorELNS0_4arch9wavefront6targetE0EEEvSG_: ; @_ZN7rocprim17ROCPRIM_400000_NS6detail17trampoline_kernelINS0_14default_configENS1_35radix_sort_onesweep_config_selectorIiiEEZNS1_34radix_sort_onesweep_global_offsetsIS3_Lb1EN6thrust23THRUST_200600_302600_NS6detail15normal_iteratorINS8_10device_ptrIiEEEESD_jNS0_19identity_decomposerEEE10hipError_tT1_T2_PT3_SI_jT4_jjP12ihipStream_tbEUlT_E_NS1_11comp_targetILNS1_3genE9ELNS1_11target_archE1100ELNS1_3gpuE3ELNS1_3repE0EEENS1_52radix_sort_onesweep_histogram_config_static_selectorELNS0_4arch9wavefront6targetE0EEEvSG_
; %bb.0:
	.section	.rodata,"a",@progbits
	.p2align	6, 0x0
	.amdhsa_kernel _ZN7rocprim17ROCPRIM_400000_NS6detail17trampoline_kernelINS0_14default_configENS1_35radix_sort_onesweep_config_selectorIiiEEZNS1_34radix_sort_onesweep_global_offsetsIS3_Lb1EN6thrust23THRUST_200600_302600_NS6detail15normal_iteratorINS8_10device_ptrIiEEEESD_jNS0_19identity_decomposerEEE10hipError_tT1_T2_PT3_SI_jT4_jjP12ihipStream_tbEUlT_E_NS1_11comp_targetILNS1_3genE9ELNS1_11target_archE1100ELNS1_3gpuE3ELNS1_3repE0EEENS1_52radix_sort_onesweep_histogram_config_static_selectorELNS0_4arch9wavefront6targetE0EEEvSG_
		.amdhsa_group_segment_fixed_size 0
		.amdhsa_private_segment_fixed_size 0
		.amdhsa_kernarg_size 40
		.amdhsa_user_sgpr_count 6
		.amdhsa_user_sgpr_private_segment_buffer 1
		.amdhsa_user_sgpr_dispatch_ptr 0
		.amdhsa_user_sgpr_queue_ptr 0
		.amdhsa_user_sgpr_kernarg_segment_ptr 1
		.amdhsa_user_sgpr_dispatch_id 0
		.amdhsa_user_sgpr_flat_scratch_init 0
		.amdhsa_user_sgpr_private_segment_size 0
		.amdhsa_wavefront_size32 1
		.amdhsa_uses_dynamic_stack 0
		.amdhsa_system_sgpr_private_segment_wavefront_offset 0
		.amdhsa_system_sgpr_workgroup_id_x 1
		.amdhsa_system_sgpr_workgroup_id_y 0
		.amdhsa_system_sgpr_workgroup_id_z 0
		.amdhsa_system_sgpr_workgroup_info 0
		.amdhsa_system_vgpr_workitem_id 0
		.amdhsa_next_free_vgpr 1
		.amdhsa_next_free_sgpr 1
		.amdhsa_reserve_vcc 0
		.amdhsa_reserve_flat_scratch 0
		.amdhsa_float_round_mode_32 0
		.amdhsa_float_round_mode_16_64 0
		.amdhsa_float_denorm_mode_32 3
		.amdhsa_float_denorm_mode_16_64 3
		.amdhsa_dx10_clamp 1
		.amdhsa_ieee_mode 1
		.amdhsa_fp16_overflow 0
		.amdhsa_workgroup_processor_mode 1
		.amdhsa_memory_ordered 1
		.amdhsa_forward_progress 1
		.amdhsa_shared_vgpr_count 0
		.amdhsa_exception_fp_ieee_invalid_op 0
		.amdhsa_exception_fp_denorm_src 0
		.amdhsa_exception_fp_ieee_div_zero 0
		.amdhsa_exception_fp_ieee_overflow 0
		.amdhsa_exception_fp_ieee_underflow 0
		.amdhsa_exception_fp_ieee_inexact 0
		.amdhsa_exception_int_div_zero 0
	.end_amdhsa_kernel
	.section	.text._ZN7rocprim17ROCPRIM_400000_NS6detail17trampoline_kernelINS0_14default_configENS1_35radix_sort_onesweep_config_selectorIiiEEZNS1_34radix_sort_onesweep_global_offsetsIS3_Lb1EN6thrust23THRUST_200600_302600_NS6detail15normal_iteratorINS8_10device_ptrIiEEEESD_jNS0_19identity_decomposerEEE10hipError_tT1_T2_PT3_SI_jT4_jjP12ihipStream_tbEUlT_E_NS1_11comp_targetILNS1_3genE9ELNS1_11target_archE1100ELNS1_3gpuE3ELNS1_3repE0EEENS1_52radix_sort_onesweep_histogram_config_static_selectorELNS0_4arch9wavefront6targetE0EEEvSG_,"axG",@progbits,_ZN7rocprim17ROCPRIM_400000_NS6detail17trampoline_kernelINS0_14default_configENS1_35radix_sort_onesweep_config_selectorIiiEEZNS1_34radix_sort_onesweep_global_offsetsIS3_Lb1EN6thrust23THRUST_200600_302600_NS6detail15normal_iteratorINS8_10device_ptrIiEEEESD_jNS0_19identity_decomposerEEE10hipError_tT1_T2_PT3_SI_jT4_jjP12ihipStream_tbEUlT_E_NS1_11comp_targetILNS1_3genE9ELNS1_11target_archE1100ELNS1_3gpuE3ELNS1_3repE0EEENS1_52radix_sort_onesweep_histogram_config_static_selectorELNS0_4arch9wavefront6targetE0EEEvSG_,comdat
.Lfunc_end988:
	.size	_ZN7rocprim17ROCPRIM_400000_NS6detail17trampoline_kernelINS0_14default_configENS1_35radix_sort_onesweep_config_selectorIiiEEZNS1_34radix_sort_onesweep_global_offsetsIS3_Lb1EN6thrust23THRUST_200600_302600_NS6detail15normal_iteratorINS8_10device_ptrIiEEEESD_jNS0_19identity_decomposerEEE10hipError_tT1_T2_PT3_SI_jT4_jjP12ihipStream_tbEUlT_E_NS1_11comp_targetILNS1_3genE9ELNS1_11target_archE1100ELNS1_3gpuE3ELNS1_3repE0EEENS1_52radix_sort_onesweep_histogram_config_static_selectorELNS0_4arch9wavefront6targetE0EEEvSG_, .Lfunc_end988-_ZN7rocprim17ROCPRIM_400000_NS6detail17trampoline_kernelINS0_14default_configENS1_35radix_sort_onesweep_config_selectorIiiEEZNS1_34radix_sort_onesweep_global_offsetsIS3_Lb1EN6thrust23THRUST_200600_302600_NS6detail15normal_iteratorINS8_10device_ptrIiEEEESD_jNS0_19identity_decomposerEEE10hipError_tT1_T2_PT3_SI_jT4_jjP12ihipStream_tbEUlT_E_NS1_11comp_targetILNS1_3genE9ELNS1_11target_archE1100ELNS1_3gpuE3ELNS1_3repE0EEENS1_52radix_sort_onesweep_histogram_config_static_selectorELNS0_4arch9wavefront6targetE0EEEvSG_
                                        ; -- End function
	.set _ZN7rocprim17ROCPRIM_400000_NS6detail17trampoline_kernelINS0_14default_configENS1_35radix_sort_onesweep_config_selectorIiiEEZNS1_34radix_sort_onesweep_global_offsetsIS3_Lb1EN6thrust23THRUST_200600_302600_NS6detail15normal_iteratorINS8_10device_ptrIiEEEESD_jNS0_19identity_decomposerEEE10hipError_tT1_T2_PT3_SI_jT4_jjP12ihipStream_tbEUlT_E_NS1_11comp_targetILNS1_3genE9ELNS1_11target_archE1100ELNS1_3gpuE3ELNS1_3repE0EEENS1_52radix_sort_onesweep_histogram_config_static_selectorELNS0_4arch9wavefront6targetE0EEEvSG_.num_vgpr, 0
	.set _ZN7rocprim17ROCPRIM_400000_NS6detail17trampoline_kernelINS0_14default_configENS1_35radix_sort_onesweep_config_selectorIiiEEZNS1_34radix_sort_onesweep_global_offsetsIS3_Lb1EN6thrust23THRUST_200600_302600_NS6detail15normal_iteratorINS8_10device_ptrIiEEEESD_jNS0_19identity_decomposerEEE10hipError_tT1_T2_PT3_SI_jT4_jjP12ihipStream_tbEUlT_E_NS1_11comp_targetILNS1_3genE9ELNS1_11target_archE1100ELNS1_3gpuE3ELNS1_3repE0EEENS1_52radix_sort_onesweep_histogram_config_static_selectorELNS0_4arch9wavefront6targetE0EEEvSG_.num_agpr, 0
	.set _ZN7rocprim17ROCPRIM_400000_NS6detail17trampoline_kernelINS0_14default_configENS1_35radix_sort_onesweep_config_selectorIiiEEZNS1_34radix_sort_onesweep_global_offsetsIS3_Lb1EN6thrust23THRUST_200600_302600_NS6detail15normal_iteratorINS8_10device_ptrIiEEEESD_jNS0_19identity_decomposerEEE10hipError_tT1_T2_PT3_SI_jT4_jjP12ihipStream_tbEUlT_E_NS1_11comp_targetILNS1_3genE9ELNS1_11target_archE1100ELNS1_3gpuE3ELNS1_3repE0EEENS1_52radix_sort_onesweep_histogram_config_static_selectorELNS0_4arch9wavefront6targetE0EEEvSG_.numbered_sgpr, 0
	.set _ZN7rocprim17ROCPRIM_400000_NS6detail17trampoline_kernelINS0_14default_configENS1_35radix_sort_onesweep_config_selectorIiiEEZNS1_34radix_sort_onesweep_global_offsetsIS3_Lb1EN6thrust23THRUST_200600_302600_NS6detail15normal_iteratorINS8_10device_ptrIiEEEESD_jNS0_19identity_decomposerEEE10hipError_tT1_T2_PT3_SI_jT4_jjP12ihipStream_tbEUlT_E_NS1_11comp_targetILNS1_3genE9ELNS1_11target_archE1100ELNS1_3gpuE3ELNS1_3repE0EEENS1_52radix_sort_onesweep_histogram_config_static_selectorELNS0_4arch9wavefront6targetE0EEEvSG_.num_named_barrier, 0
	.set _ZN7rocprim17ROCPRIM_400000_NS6detail17trampoline_kernelINS0_14default_configENS1_35radix_sort_onesweep_config_selectorIiiEEZNS1_34radix_sort_onesweep_global_offsetsIS3_Lb1EN6thrust23THRUST_200600_302600_NS6detail15normal_iteratorINS8_10device_ptrIiEEEESD_jNS0_19identity_decomposerEEE10hipError_tT1_T2_PT3_SI_jT4_jjP12ihipStream_tbEUlT_E_NS1_11comp_targetILNS1_3genE9ELNS1_11target_archE1100ELNS1_3gpuE3ELNS1_3repE0EEENS1_52radix_sort_onesweep_histogram_config_static_selectorELNS0_4arch9wavefront6targetE0EEEvSG_.private_seg_size, 0
	.set _ZN7rocprim17ROCPRIM_400000_NS6detail17trampoline_kernelINS0_14default_configENS1_35radix_sort_onesweep_config_selectorIiiEEZNS1_34radix_sort_onesweep_global_offsetsIS3_Lb1EN6thrust23THRUST_200600_302600_NS6detail15normal_iteratorINS8_10device_ptrIiEEEESD_jNS0_19identity_decomposerEEE10hipError_tT1_T2_PT3_SI_jT4_jjP12ihipStream_tbEUlT_E_NS1_11comp_targetILNS1_3genE9ELNS1_11target_archE1100ELNS1_3gpuE3ELNS1_3repE0EEENS1_52radix_sort_onesweep_histogram_config_static_selectorELNS0_4arch9wavefront6targetE0EEEvSG_.uses_vcc, 0
	.set _ZN7rocprim17ROCPRIM_400000_NS6detail17trampoline_kernelINS0_14default_configENS1_35radix_sort_onesweep_config_selectorIiiEEZNS1_34radix_sort_onesweep_global_offsetsIS3_Lb1EN6thrust23THRUST_200600_302600_NS6detail15normal_iteratorINS8_10device_ptrIiEEEESD_jNS0_19identity_decomposerEEE10hipError_tT1_T2_PT3_SI_jT4_jjP12ihipStream_tbEUlT_E_NS1_11comp_targetILNS1_3genE9ELNS1_11target_archE1100ELNS1_3gpuE3ELNS1_3repE0EEENS1_52radix_sort_onesweep_histogram_config_static_selectorELNS0_4arch9wavefront6targetE0EEEvSG_.uses_flat_scratch, 0
	.set _ZN7rocprim17ROCPRIM_400000_NS6detail17trampoline_kernelINS0_14default_configENS1_35radix_sort_onesweep_config_selectorIiiEEZNS1_34radix_sort_onesweep_global_offsetsIS3_Lb1EN6thrust23THRUST_200600_302600_NS6detail15normal_iteratorINS8_10device_ptrIiEEEESD_jNS0_19identity_decomposerEEE10hipError_tT1_T2_PT3_SI_jT4_jjP12ihipStream_tbEUlT_E_NS1_11comp_targetILNS1_3genE9ELNS1_11target_archE1100ELNS1_3gpuE3ELNS1_3repE0EEENS1_52radix_sort_onesweep_histogram_config_static_selectorELNS0_4arch9wavefront6targetE0EEEvSG_.has_dyn_sized_stack, 0
	.set _ZN7rocprim17ROCPRIM_400000_NS6detail17trampoline_kernelINS0_14default_configENS1_35radix_sort_onesweep_config_selectorIiiEEZNS1_34radix_sort_onesweep_global_offsetsIS3_Lb1EN6thrust23THRUST_200600_302600_NS6detail15normal_iteratorINS8_10device_ptrIiEEEESD_jNS0_19identity_decomposerEEE10hipError_tT1_T2_PT3_SI_jT4_jjP12ihipStream_tbEUlT_E_NS1_11comp_targetILNS1_3genE9ELNS1_11target_archE1100ELNS1_3gpuE3ELNS1_3repE0EEENS1_52radix_sort_onesweep_histogram_config_static_selectorELNS0_4arch9wavefront6targetE0EEEvSG_.has_recursion, 0
	.set _ZN7rocprim17ROCPRIM_400000_NS6detail17trampoline_kernelINS0_14default_configENS1_35radix_sort_onesweep_config_selectorIiiEEZNS1_34radix_sort_onesweep_global_offsetsIS3_Lb1EN6thrust23THRUST_200600_302600_NS6detail15normal_iteratorINS8_10device_ptrIiEEEESD_jNS0_19identity_decomposerEEE10hipError_tT1_T2_PT3_SI_jT4_jjP12ihipStream_tbEUlT_E_NS1_11comp_targetILNS1_3genE9ELNS1_11target_archE1100ELNS1_3gpuE3ELNS1_3repE0EEENS1_52radix_sort_onesweep_histogram_config_static_selectorELNS0_4arch9wavefront6targetE0EEEvSG_.has_indirect_call, 0
	.section	.AMDGPU.csdata,"",@progbits
; Kernel info:
; codeLenInByte = 0
; TotalNumSgprs: 0
; NumVgprs: 0
; ScratchSize: 0
; MemoryBound: 0
; FloatMode: 240
; IeeeMode: 1
; LDSByteSize: 0 bytes/workgroup (compile time only)
; SGPRBlocks: 0
; VGPRBlocks: 0
; NumSGPRsForWavesPerEU: 1
; NumVGPRsForWavesPerEU: 1
; Occupancy: 16
; WaveLimiterHint : 0
; COMPUTE_PGM_RSRC2:SCRATCH_EN: 0
; COMPUTE_PGM_RSRC2:USER_SGPR: 6
; COMPUTE_PGM_RSRC2:TRAP_HANDLER: 0
; COMPUTE_PGM_RSRC2:TGID_X_EN: 1
; COMPUTE_PGM_RSRC2:TGID_Y_EN: 0
; COMPUTE_PGM_RSRC2:TGID_Z_EN: 0
; COMPUTE_PGM_RSRC2:TIDIG_COMP_CNT: 0
	.section	.text._ZN7rocprim17ROCPRIM_400000_NS6detail17trampoline_kernelINS0_14default_configENS1_35radix_sort_onesweep_config_selectorIiiEEZNS1_34radix_sort_onesweep_global_offsetsIS3_Lb1EN6thrust23THRUST_200600_302600_NS6detail15normal_iteratorINS8_10device_ptrIiEEEESD_jNS0_19identity_decomposerEEE10hipError_tT1_T2_PT3_SI_jT4_jjP12ihipStream_tbEUlT_E_NS1_11comp_targetILNS1_3genE8ELNS1_11target_archE1030ELNS1_3gpuE2ELNS1_3repE0EEENS1_52radix_sort_onesweep_histogram_config_static_selectorELNS0_4arch9wavefront6targetE0EEEvSG_,"axG",@progbits,_ZN7rocprim17ROCPRIM_400000_NS6detail17trampoline_kernelINS0_14default_configENS1_35radix_sort_onesweep_config_selectorIiiEEZNS1_34radix_sort_onesweep_global_offsetsIS3_Lb1EN6thrust23THRUST_200600_302600_NS6detail15normal_iteratorINS8_10device_ptrIiEEEESD_jNS0_19identity_decomposerEEE10hipError_tT1_T2_PT3_SI_jT4_jjP12ihipStream_tbEUlT_E_NS1_11comp_targetILNS1_3genE8ELNS1_11target_archE1030ELNS1_3gpuE2ELNS1_3repE0EEENS1_52radix_sort_onesweep_histogram_config_static_selectorELNS0_4arch9wavefront6targetE0EEEvSG_,comdat
	.protected	_ZN7rocprim17ROCPRIM_400000_NS6detail17trampoline_kernelINS0_14default_configENS1_35radix_sort_onesweep_config_selectorIiiEEZNS1_34radix_sort_onesweep_global_offsetsIS3_Lb1EN6thrust23THRUST_200600_302600_NS6detail15normal_iteratorINS8_10device_ptrIiEEEESD_jNS0_19identity_decomposerEEE10hipError_tT1_T2_PT3_SI_jT4_jjP12ihipStream_tbEUlT_E_NS1_11comp_targetILNS1_3genE8ELNS1_11target_archE1030ELNS1_3gpuE2ELNS1_3repE0EEENS1_52radix_sort_onesweep_histogram_config_static_selectorELNS0_4arch9wavefront6targetE0EEEvSG_ ; -- Begin function _ZN7rocprim17ROCPRIM_400000_NS6detail17trampoline_kernelINS0_14default_configENS1_35radix_sort_onesweep_config_selectorIiiEEZNS1_34radix_sort_onesweep_global_offsetsIS3_Lb1EN6thrust23THRUST_200600_302600_NS6detail15normal_iteratorINS8_10device_ptrIiEEEESD_jNS0_19identity_decomposerEEE10hipError_tT1_T2_PT3_SI_jT4_jjP12ihipStream_tbEUlT_E_NS1_11comp_targetILNS1_3genE8ELNS1_11target_archE1030ELNS1_3gpuE2ELNS1_3repE0EEENS1_52radix_sort_onesweep_histogram_config_static_selectorELNS0_4arch9wavefront6targetE0EEEvSG_
	.globl	_ZN7rocprim17ROCPRIM_400000_NS6detail17trampoline_kernelINS0_14default_configENS1_35radix_sort_onesweep_config_selectorIiiEEZNS1_34radix_sort_onesweep_global_offsetsIS3_Lb1EN6thrust23THRUST_200600_302600_NS6detail15normal_iteratorINS8_10device_ptrIiEEEESD_jNS0_19identity_decomposerEEE10hipError_tT1_T2_PT3_SI_jT4_jjP12ihipStream_tbEUlT_E_NS1_11comp_targetILNS1_3genE8ELNS1_11target_archE1030ELNS1_3gpuE2ELNS1_3repE0EEENS1_52radix_sort_onesweep_histogram_config_static_selectorELNS0_4arch9wavefront6targetE0EEEvSG_
	.p2align	8
	.type	_ZN7rocprim17ROCPRIM_400000_NS6detail17trampoline_kernelINS0_14default_configENS1_35radix_sort_onesweep_config_selectorIiiEEZNS1_34radix_sort_onesweep_global_offsetsIS3_Lb1EN6thrust23THRUST_200600_302600_NS6detail15normal_iteratorINS8_10device_ptrIiEEEESD_jNS0_19identity_decomposerEEE10hipError_tT1_T2_PT3_SI_jT4_jjP12ihipStream_tbEUlT_E_NS1_11comp_targetILNS1_3genE8ELNS1_11target_archE1030ELNS1_3gpuE2ELNS1_3repE0EEENS1_52radix_sort_onesweep_histogram_config_static_selectorELNS0_4arch9wavefront6targetE0EEEvSG_,@function
_ZN7rocprim17ROCPRIM_400000_NS6detail17trampoline_kernelINS0_14default_configENS1_35radix_sort_onesweep_config_selectorIiiEEZNS1_34radix_sort_onesweep_global_offsetsIS3_Lb1EN6thrust23THRUST_200600_302600_NS6detail15normal_iteratorINS8_10device_ptrIiEEEESD_jNS0_19identity_decomposerEEE10hipError_tT1_T2_PT3_SI_jT4_jjP12ihipStream_tbEUlT_E_NS1_11comp_targetILNS1_3genE8ELNS1_11target_archE1030ELNS1_3gpuE2ELNS1_3repE0EEENS1_52radix_sort_onesweep_histogram_config_static_selectorELNS0_4arch9wavefront6targetE0EEEvSG_: ; @_ZN7rocprim17ROCPRIM_400000_NS6detail17trampoline_kernelINS0_14default_configENS1_35radix_sort_onesweep_config_selectorIiiEEZNS1_34radix_sort_onesweep_global_offsetsIS3_Lb1EN6thrust23THRUST_200600_302600_NS6detail15normal_iteratorINS8_10device_ptrIiEEEESD_jNS0_19identity_decomposerEEE10hipError_tT1_T2_PT3_SI_jT4_jjP12ihipStream_tbEUlT_E_NS1_11comp_targetILNS1_3genE8ELNS1_11target_archE1030ELNS1_3gpuE2ELNS1_3repE0EEENS1_52radix_sort_onesweep_histogram_config_static_selectorELNS0_4arch9wavefront6targetE0EEEvSG_
; %bb.0:
	s_clause 0x2
	s_load_dword s0, s[4:5], 0x14
	s_load_dwordx4 s[8:11], s[4:5], 0x0
	s_load_dwordx2 s[2:3], s[4:5], 0x1c
	s_mul_i32 s12, s6, 0x3000
	s_mov_b32 s1, -1
	s_waitcnt lgkmcnt(0)
	s_cmp_ge_u32 s6, s0
	s_cbranch_scc0 .LBB989_237
; %bb.1:
	s_load_dword s4, s[4:5], 0x10
	s_mulk_i32 s0, 0xd000
	s_mov_b32 s13, 0
	s_mov_b32 s5, exec_lo
                                        ; implicit-def: $vgpr24
	s_waitcnt lgkmcnt(0)
	s_add_i32 s4, s4, s0
	s_lshl_b64 s[0:1], s[12:13], 2
	s_add_u32 s0, s8, s0
	s_addc_u32 s1, s9, s1
	v_cmpx_gt_u32_e64 s4, v0
	s_cbranch_execz .LBB989_3
; %bb.2:
	v_lshlrev_b32_e32 v1, 2, v0
	global_load_dword v1, v1, s[0:1]
	s_waitcnt vmcnt(0)
	v_xor_b32_e32 v24, 0x7fffffff, v1
.LBB989_3:
	s_or_b32 exec_lo, exec_lo, s5
	v_or_b32_e32 v23, 0x400, v0
	s_mov_b32 s5, exec_lo
                                        ; implicit-def: $vgpr22
	v_cmpx_gt_u32_e64 s4, v23
	s_cbranch_execz .LBB989_5
; %bb.4:
	v_lshlrev_b32_e32 v1, 2, v23
	global_load_dword v1, v1, s[0:1]
	s_waitcnt vmcnt(0)
	v_xor_b32_e32 v22, 0x7fffffff, v1
.LBB989_5:
	s_or_b32 exec_lo, exec_lo, s5
	v_or_b32_e32 v21, 0x800, v0
	s_mov_b32 s5, exec_lo
                                        ; implicit-def: $vgpr20
	v_cmpx_gt_u32_e64 s4, v21
	s_cbranch_execz .LBB989_7
; %bb.6:
	v_lshlrev_b32_e32 v1, 2, v21
	global_load_dword v1, v1, s[0:1]
	s_waitcnt vmcnt(0)
	v_xor_b32_e32 v20, 0x7fffffff, v1
.LBB989_7:
	s_or_b32 exec_lo, exec_lo, s5
	v_or_b32_e32 v19, 0xc00, v0
	s_mov_b32 s5, exec_lo
                                        ; implicit-def: $vgpr18
	v_cmpx_gt_u32_e64 s4, v19
	s_cbranch_execz .LBB989_9
; %bb.8:
	v_lshlrev_b32_e32 v1, 2, v19
	global_load_dword v1, v1, s[0:1]
	s_waitcnt vmcnt(0)
	v_xor_b32_e32 v18, 0x7fffffff, v1
.LBB989_9:
	s_or_b32 exec_lo, exec_lo, s5
	v_or_b32_e32 v17, 0x1000, v0
	s_mov_b32 s5, exec_lo
                                        ; implicit-def: $vgpr16
	v_cmpx_gt_u32_e64 s4, v17
	s_cbranch_execz .LBB989_11
; %bb.10:
	v_lshlrev_b32_e32 v1, 2, v17
	global_load_dword v1, v1, s[0:1]
	s_waitcnt vmcnt(0)
	v_xor_b32_e32 v16, 0x7fffffff, v1
.LBB989_11:
	s_or_b32 exec_lo, exec_lo, s5
	v_or_b32_e32 v15, 0x1400, v0
	s_mov_b32 s5, exec_lo
                                        ; implicit-def: $vgpr14
	v_cmpx_gt_u32_e64 s4, v15
	s_cbranch_execz .LBB989_13
; %bb.12:
	v_lshlrev_b32_e32 v1, 2, v15
	global_load_dword v1, v1, s[0:1]
	s_waitcnt vmcnt(0)
	v_xor_b32_e32 v14, 0x7fffffff, v1
.LBB989_13:
	s_or_b32 exec_lo, exec_lo, s5
	v_or_b32_e32 v13, 0x1800, v0
	s_mov_b32 s5, exec_lo
                                        ; implicit-def: $vgpr12
	v_cmpx_gt_u32_e64 s4, v13
	s_cbranch_execz .LBB989_15
; %bb.14:
	v_lshlrev_b32_e32 v1, 2, v13
	global_load_dword v1, v1, s[0:1]
	s_waitcnt vmcnt(0)
	v_xor_b32_e32 v12, 0x7fffffff, v1
.LBB989_15:
	s_or_b32 exec_lo, exec_lo, s5
	v_or_b32_e32 v11, 0x1c00, v0
	s_mov_b32 s5, exec_lo
                                        ; implicit-def: $vgpr10
	v_cmpx_gt_u32_e64 s4, v11
	s_cbranch_execz .LBB989_17
; %bb.16:
	v_lshlrev_b32_e32 v1, 2, v11
	global_load_dword v1, v1, s[0:1]
	s_waitcnt vmcnt(0)
	v_xor_b32_e32 v10, 0x7fffffff, v1
.LBB989_17:
	s_or_b32 exec_lo, exec_lo, s5
	v_or_b32_e32 v9, 0x2000, v0
	s_mov_b32 s5, exec_lo
                                        ; implicit-def: $vgpr8
	v_cmpx_gt_u32_e64 s4, v9
	s_cbranch_execz .LBB989_19
; %bb.18:
	v_lshlrev_b32_e32 v1, 2, v9
	global_load_dword v1, v1, s[0:1]
	s_waitcnt vmcnt(0)
	v_xor_b32_e32 v8, 0x7fffffff, v1
.LBB989_19:
	s_or_b32 exec_lo, exec_lo, s5
	v_or_b32_e32 v7, 0x2400, v0
	s_mov_b32 s5, exec_lo
                                        ; implicit-def: $vgpr6
	v_cmpx_gt_u32_e64 s4, v7
	s_cbranch_execz .LBB989_21
; %bb.20:
	v_lshlrev_b32_e32 v1, 2, v7
	global_load_dword v1, v1, s[0:1]
	s_waitcnt vmcnt(0)
	v_xor_b32_e32 v6, 0x7fffffff, v1
.LBB989_21:
	s_or_b32 exec_lo, exec_lo, s5
	v_or_b32_e32 v5, 0x2800, v0
	s_mov_b32 s5, exec_lo
                                        ; implicit-def: $vgpr4
	v_cmpx_gt_u32_e64 s4, v5
	s_cbranch_execz .LBB989_23
; %bb.22:
	v_lshlrev_b32_e32 v1, 2, v5
	global_load_dword v1, v1, s[0:1]
	s_waitcnt vmcnt(0)
	v_xor_b32_e32 v4, 0x7fffffff, v1
.LBB989_23:
	s_or_b32 exec_lo, exec_lo, s5
	v_or_b32_e32 v3, 0x2c00, v0
	s_mov_b32 s5, exec_lo
                                        ; implicit-def: $vgpr1
	v_cmpx_gt_u32_e64 s4, v3
	s_cbranch_execz .LBB989_25
; %bb.24:
	v_lshlrev_b32_e32 v1, 2, v3
	global_load_dword v1, v1, s[0:1]
	s_waitcnt vmcnt(0)
	v_xor_b32_e32 v1, 0x7fffffff, v1
.LBB989_25:
	s_or_b32 exec_lo, exec_lo, s5
	v_or_b32_e32 v2, 0xfffffc00, v0
	v_lshlrev_b32_e32 v25, 2, v0
	v_mov_b32_e32 v26, 0
	s_mov_b32 s0, 0
.LBB989_26:                             ; =>This Inner Loop Header: Depth=1
	v_add_nc_u32_e32 v2, 0x400, v2
	ds_write_b32 v25, v26
	v_add_nc_u32_e32 v25, 0x1000, v25
	v_cmp_lt_u32_e32 vcc_lo, 0xbff, v2
	s_or_b32 s0, vcc_lo, s0
	s_andn2_b32 exec_lo, exec_lo, s0
	s_cbranch_execnz .LBB989_26
; %bb.27:
	s_or_b32 exec_lo, exec_lo, s0
	s_cmp_le_u32 s3, s2
	v_cmp_le_u32_e32 vcc_lo, s4, v0
	s_cselect_b32 s1, -1, 0
	v_and_b32_e32 v2, 3, v0
	s_and_b32 s0, s1, exec_lo
	s_cselect_b32 s5, 8, 10
	s_nor_b32 s6, s1, vcc_lo
	v_mov_b32_e32 v25, s5
	s_waitcnt lgkmcnt(0)
	s_barrier
	buffer_gl0_inv
	s_and_saveexec_b32 s0, s6
	s_cbranch_execz .LBB989_29
; %bb.28:
	v_lshrrev_b32_e32 v25, s2, v24
	s_sub_i32 s6, s3, s2
	v_lshlrev_b32_e32 v26, 2, v2
	s_min_u32 s6, s6, 8
	v_bfe_u32 v25, v25, 0, s6
	v_lshl_or_b32 v25, v25, 4, v26
	v_mov_b32_e32 v26, 1
	ds_add_u32 v25, v26
	v_mov_b32_e32 v25, 0
.LBB989_29:
	s_or_b32 exec_lo, exec_lo, s0
	s_mov_b32 s7, -1
	s_mov_b32 s6, exec_lo
	v_cmpx_gt_i32_e32 10, v25
; %bb.30:
	v_cmp_eq_u32_e64 s0, 0, v25
	s_orn2_b32 s7, s0, exec_lo
; %bb.31:
	s_or_b32 exec_lo, exec_lo, s6
	s_and_saveexec_b32 s6, s7
	s_cbranch_execz .LBB989_44
; %bb.32:
	s_add_i32 s7, s2, 8
	s_cmp_le_u32 s3, s7
	s_cselect_b32 s0, -1, 0
	s_and_b32 s13, s0, exec_lo
	s_cselect_b32 s13, 8, 10
	v_mov_b32_e32 v25, s13
	s_nor_b32 s13, s0, vcc_lo
	s_and_saveexec_b32 s0, s13
	s_cbranch_execz .LBB989_34
; %bb.33:
	v_lshrrev_b32_e32 v25, s7, v24
	s_sub_i32 s7, s3, s7
	v_lshlrev_b32_e32 v26, 2, v2
	s_min_u32 s7, s7, 8
	v_bfe_u32 v25, v25, 0, s7
	v_lshl_or_b32 v25, v25, 4, v26
	v_mov_b32_e32 v26, 1
	ds_add_u32 v25, v26 offset:4096
	v_mov_b32_e32 v25, 0
.LBB989_34:
	s_or_b32 exec_lo, exec_lo, s0
	s_mov_b32 s7, -1
	s_mov_b32 s13, exec_lo
	v_cmpx_gt_i32_e32 10, v25
; %bb.35:
	v_cmp_eq_u32_e64 s0, 0, v25
	s_orn2_b32 s7, s0, exec_lo
; %bb.36:
	s_or_b32 exec_lo, exec_lo, s13
	s_and_b32 exec_lo, exec_lo, s7
	s_cbranch_execz .LBB989_44
; %bb.37:
	s_add_i32 s7, s2, 16
	s_cmp_le_u32 s3, s7
	s_cselect_b32 s0, -1, 0
	s_and_b32 s13, s0, exec_lo
	s_cselect_b32 s13, 8, 10
	v_mov_b32_e32 v25, s13
	s_nor_b32 s13, s0, vcc_lo
	s_and_saveexec_b32 s0, s13
	s_cbranch_execz .LBB989_39
; %bb.38:
	v_lshrrev_b32_e32 v25, s7, v24
	s_sub_i32 s7, s3, s7
	v_lshlrev_b32_e32 v26, 2, v2
	s_min_u32 s7, s7, 8
	v_bfe_u32 v25, v25, 0, s7
	v_lshl_or_b32 v25, v25, 4, v26
	v_mov_b32_e32 v26, 1
	ds_add_u32 v25, v26 offset:8192
	v_mov_b32_e32 v25, 0
.LBB989_39:
	s_or_b32 exec_lo, exec_lo, s0
	s_mov_b32 s7, -1
	s_mov_b32 s13, exec_lo
	v_cmpx_gt_i32_e32 10, v25
; %bb.40:
	v_cmp_eq_u32_e64 s0, 0, v25
	s_orn2_b32 s7, s0, exec_lo
; %bb.41:
	s_or_b32 exec_lo, exec_lo, s13
	s_and_b32 exec_lo, exec_lo, s7
	s_cbranch_execz .LBB989_44
; %bb.42:
	s_add_i32 s0, s2, 24
	s_cmp_gt_u32 s3, s0
	s_cselect_b32 s7, -1, 0
	s_xor_b32 s13, vcc_lo, -1
	s_and_b32 s7, s7, s13
	s_and_b32 exec_lo, exec_lo, s7
	s_cbranch_execz .LBB989_44
; %bb.43:
	v_lshrrev_b32_e32 v24, s0, v24
	s_sub_i32 s0, s3, s0
	v_lshlrev_b32_e32 v25, 2, v2
	s_min_u32 s0, s0, 8
	v_bfe_u32 v24, v24, 0, s0
	v_lshl_or_b32 v24, v24, 4, v25
	v_mov_b32_e32 v25, 1
	ds_add_u32 v24, v25 offset:12288
.LBB989_44:
	s_or_b32 exec_lo, exec_lo, s6
	v_cmp_le_u32_e32 vcc_lo, s4, v23
	v_mov_b32_e32 v23, s5
	s_nor_b32 s6, s1, vcc_lo
	s_and_saveexec_b32 s0, s6
	s_cbranch_execz .LBB989_46
; %bb.45:
	v_lshrrev_b32_e32 v23, s2, v22
	s_sub_i32 s6, s3, s2
	v_lshlrev_b32_e32 v24, 2, v2
	s_min_u32 s6, s6, 8
	v_bfe_u32 v23, v23, 0, s6
	v_lshl_or_b32 v23, v23, 4, v24
	v_mov_b32_e32 v24, 1
	ds_add_u32 v23, v24
	v_mov_b32_e32 v23, 0
.LBB989_46:
	s_or_b32 exec_lo, exec_lo, s0
	s_mov_b32 s7, -1
	s_mov_b32 s6, exec_lo
	v_cmpx_gt_i32_e32 10, v23
; %bb.47:
	v_cmp_eq_u32_e64 s0, 0, v23
	s_orn2_b32 s7, s0, exec_lo
; %bb.48:
	s_or_b32 exec_lo, exec_lo, s6
	s_and_saveexec_b32 s6, s7
	s_cbranch_execz .LBB989_61
; %bb.49:
	s_add_i32 s7, s2, 8
	s_cmp_le_u32 s3, s7
	s_cselect_b32 s0, -1, 0
	s_and_b32 s13, s0, exec_lo
	s_cselect_b32 s13, 8, 10
	v_mov_b32_e32 v23, s13
	s_nor_b32 s13, s0, vcc_lo
	s_and_saveexec_b32 s0, s13
	s_cbranch_execz .LBB989_51
; %bb.50:
	v_lshrrev_b32_e32 v23, s7, v22
	s_sub_i32 s7, s3, s7
	v_lshlrev_b32_e32 v24, 2, v2
	s_min_u32 s7, s7, 8
	v_bfe_u32 v23, v23, 0, s7
	v_lshl_or_b32 v23, v23, 4, v24
	v_mov_b32_e32 v24, 1
	ds_add_u32 v23, v24 offset:4096
	v_mov_b32_e32 v23, 0
.LBB989_51:
	s_or_b32 exec_lo, exec_lo, s0
	s_mov_b32 s7, -1
	s_mov_b32 s13, exec_lo
	v_cmpx_gt_i32_e32 10, v23
; %bb.52:
	v_cmp_eq_u32_e64 s0, 0, v23
	s_orn2_b32 s7, s0, exec_lo
; %bb.53:
	s_or_b32 exec_lo, exec_lo, s13
	s_and_b32 exec_lo, exec_lo, s7
	s_cbranch_execz .LBB989_61
; %bb.54:
	s_add_i32 s7, s2, 16
	s_cmp_le_u32 s3, s7
	s_cselect_b32 s0, -1, 0
	s_and_b32 s13, s0, exec_lo
	s_cselect_b32 s13, 8, 10
	v_mov_b32_e32 v23, s13
	s_nor_b32 s13, s0, vcc_lo
	s_and_saveexec_b32 s0, s13
	s_cbranch_execz .LBB989_56
; %bb.55:
	v_lshrrev_b32_e32 v23, s7, v22
	s_sub_i32 s7, s3, s7
	v_lshlrev_b32_e32 v24, 2, v2
	s_min_u32 s7, s7, 8
	v_bfe_u32 v23, v23, 0, s7
	v_lshl_or_b32 v23, v23, 4, v24
	v_mov_b32_e32 v24, 1
	ds_add_u32 v23, v24 offset:8192
	v_mov_b32_e32 v23, 0
.LBB989_56:
	s_or_b32 exec_lo, exec_lo, s0
	s_mov_b32 s7, -1
	s_mov_b32 s13, exec_lo
	v_cmpx_gt_i32_e32 10, v23
; %bb.57:
	v_cmp_eq_u32_e64 s0, 0, v23
	s_orn2_b32 s7, s0, exec_lo
; %bb.58:
	s_or_b32 exec_lo, exec_lo, s13
	s_and_b32 exec_lo, exec_lo, s7
	s_cbranch_execz .LBB989_61
; %bb.59:
	s_add_i32 s0, s2, 24
	s_cmp_gt_u32 s3, s0
	s_cselect_b32 s7, -1, 0
	s_xor_b32 s13, vcc_lo, -1
	s_and_b32 s7, s7, s13
	s_and_b32 exec_lo, exec_lo, s7
	s_cbranch_execz .LBB989_61
; %bb.60:
	v_lshrrev_b32_e32 v22, s0, v22
	s_sub_i32 s0, s3, s0
	v_lshlrev_b32_e32 v23, 2, v2
	s_min_u32 s0, s0, 8
	v_bfe_u32 v22, v22, 0, s0
	v_lshl_or_b32 v22, v22, 4, v23
	v_mov_b32_e32 v23, 1
	ds_add_u32 v22, v23 offset:12288
.LBB989_61:
	s_or_b32 exec_lo, exec_lo, s6
	v_cmp_le_u32_e32 vcc_lo, s4, v21
	v_mov_b32_e32 v21, s5
	s_nor_b32 s6, s1, vcc_lo
	s_and_saveexec_b32 s0, s6
	s_cbranch_execz .LBB989_63
; %bb.62:
	v_lshrrev_b32_e32 v21, s2, v20
	s_sub_i32 s6, s3, s2
	v_lshlrev_b32_e32 v22, 2, v2
	s_min_u32 s6, s6, 8
	v_bfe_u32 v21, v21, 0, s6
	v_lshl_or_b32 v21, v21, 4, v22
	v_mov_b32_e32 v22, 1
	ds_add_u32 v21, v22
	v_mov_b32_e32 v21, 0
.LBB989_63:
	s_or_b32 exec_lo, exec_lo, s0
	s_mov_b32 s7, -1
	s_mov_b32 s6, exec_lo
	v_cmpx_gt_i32_e32 10, v21
; %bb.64:
	v_cmp_eq_u32_e64 s0, 0, v21
	s_orn2_b32 s7, s0, exec_lo
; %bb.65:
	s_or_b32 exec_lo, exec_lo, s6
	s_and_saveexec_b32 s6, s7
	s_cbranch_execz .LBB989_78
; %bb.66:
	s_add_i32 s7, s2, 8
	s_cmp_le_u32 s3, s7
	s_cselect_b32 s0, -1, 0
	s_and_b32 s13, s0, exec_lo
	s_cselect_b32 s13, 8, 10
	v_mov_b32_e32 v21, s13
	s_nor_b32 s13, s0, vcc_lo
	s_and_saveexec_b32 s0, s13
	s_cbranch_execz .LBB989_68
; %bb.67:
	v_lshrrev_b32_e32 v21, s7, v20
	s_sub_i32 s7, s3, s7
	v_lshlrev_b32_e32 v22, 2, v2
	s_min_u32 s7, s7, 8
	v_bfe_u32 v21, v21, 0, s7
	v_lshl_or_b32 v21, v21, 4, v22
	v_mov_b32_e32 v22, 1
	ds_add_u32 v21, v22 offset:4096
	v_mov_b32_e32 v21, 0
.LBB989_68:
	s_or_b32 exec_lo, exec_lo, s0
	s_mov_b32 s7, -1
	s_mov_b32 s13, exec_lo
	v_cmpx_gt_i32_e32 10, v21
; %bb.69:
	v_cmp_eq_u32_e64 s0, 0, v21
	s_orn2_b32 s7, s0, exec_lo
; %bb.70:
	s_or_b32 exec_lo, exec_lo, s13
	s_and_b32 exec_lo, exec_lo, s7
	s_cbranch_execz .LBB989_78
; %bb.71:
	s_add_i32 s7, s2, 16
	s_cmp_le_u32 s3, s7
	s_cselect_b32 s0, -1, 0
	s_and_b32 s13, s0, exec_lo
	s_cselect_b32 s13, 8, 10
	v_mov_b32_e32 v21, s13
	s_nor_b32 s13, s0, vcc_lo
	s_and_saveexec_b32 s0, s13
	s_cbranch_execz .LBB989_73
; %bb.72:
	v_lshrrev_b32_e32 v21, s7, v20
	s_sub_i32 s7, s3, s7
	v_lshlrev_b32_e32 v22, 2, v2
	s_min_u32 s7, s7, 8
	v_bfe_u32 v21, v21, 0, s7
	v_lshl_or_b32 v21, v21, 4, v22
	v_mov_b32_e32 v22, 1
	ds_add_u32 v21, v22 offset:8192
	v_mov_b32_e32 v21, 0
.LBB989_73:
	s_or_b32 exec_lo, exec_lo, s0
	s_mov_b32 s7, -1
	s_mov_b32 s13, exec_lo
	v_cmpx_gt_i32_e32 10, v21
; %bb.74:
	v_cmp_eq_u32_e64 s0, 0, v21
	s_orn2_b32 s7, s0, exec_lo
; %bb.75:
	s_or_b32 exec_lo, exec_lo, s13
	s_and_b32 exec_lo, exec_lo, s7
	s_cbranch_execz .LBB989_78
; %bb.76:
	s_add_i32 s0, s2, 24
	s_cmp_gt_u32 s3, s0
	s_cselect_b32 s7, -1, 0
	s_xor_b32 s13, vcc_lo, -1
	s_and_b32 s7, s7, s13
	s_and_b32 exec_lo, exec_lo, s7
	s_cbranch_execz .LBB989_78
; %bb.77:
	v_lshrrev_b32_e32 v20, s0, v20
	s_sub_i32 s0, s3, s0
	v_lshlrev_b32_e32 v21, 2, v2
	s_min_u32 s0, s0, 8
	v_bfe_u32 v20, v20, 0, s0
	v_lshl_or_b32 v20, v20, 4, v21
	v_mov_b32_e32 v21, 1
	ds_add_u32 v20, v21 offset:12288
.LBB989_78:
	s_or_b32 exec_lo, exec_lo, s6
	v_cmp_le_u32_e32 vcc_lo, s4, v19
	v_mov_b32_e32 v19, s5
	s_nor_b32 s6, s1, vcc_lo
	s_and_saveexec_b32 s0, s6
	s_cbranch_execz .LBB989_80
; %bb.79:
	v_lshrrev_b32_e32 v19, s2, v18
	s_sub_i32 s6, s3, s2
	v_lshlrev_b32_e32 v20, 2, v2
	s_min_u32 s6, s6, 8
	v_bfe_u32 v19, v19, 0, s6
	v_lshl_or_b32 v19, v19, 4, v20
	v_mov_b32_e32 v20, 1
	ds_add_u32 v19, v20
	v_mov_b32_e32 v19, 0
.LBB989_80:
	s_or_b32 exec_lo, exec_lo, s0
	s_mov_b32 s7, -1
	s_mov_b32 s6, exec_lo
	v_cmpx_gt_i32_e32 10, v19
; %bb.81:
	v_cmp_eq_u32_e64 s0, 0, v19
	s_orn2_b32 s7, s0, exec_lo
; %bb.82:
	s_or_b32 exec_lo, exec_lo, s6
	s_and_saveexec_b32 s6, s7
	s_cbranch_execz .LBB989_95
; %bb.83:
	s_add_i32 s7, s2, 8
	s_cmp_le_u32 s3, s7
	s_cselect_b32 s0, -1, 0
	s_and_b32 s13, s0, exec_lo
	s_cselect_b32 s13, 8, 10
	v_mov_b32_e32 v19, s13
	s_nor_b32 s13, s0, vcc_lo
	s_and_saveexec_b32 s0, s13
	s_cbranch_execz .LBB989_85
; %bb.84:
	v_lshrrev_b32_e32 v19, s7, v18
	s_sub_i32 s7, s3, s7
	v_lshlrev_b32_e32 v20, 2, v2
	s_min_u32 s7, s7, 8
	v_bfe_u32 v19, v19, 0, s7
	v_lshl_or_b32 v19, v19, 4, v20
	v_mov_b32_e32 v20, 1
	ds_add_u32 v19, v20 offset:4096
	v_mov_b32_e32 v19, 0
.LBB989_85:
	s_or_b32 exec_lo, exec_lo, s0
	s_mov_b32 s7, -1
	s_mov_b32 s13, exec_lo
	v_cmpx_gt_i32_e32 10, v19
; %bb.86:
	v_cmp_eq_u32_e64 s0, 0, v19
	s_orn2_b32 s7, s0, exec_lo
; %bb.87:
	s_or_b32 exec_lo, exec_lo, s13
	s_and_b32 exec_lo, exec_lo, s7
	s_cbranch_execz .LBB989_95
; %bb.88:
	s_add_i32 s7, s2, 16
	s_cmp_le_u32 s3, s7
	s_cselect_b32 s0, -1, 0
	s_and_b32 s13, s0, exec_lo
	s_cselect_b32 s13, 8, 10
	v_mov_b32_e32 v19, s13
	s_nor_b32 s13, s0, vcc_lo
	s_and_saveexec_b32 s0, s13
	s_cbranch_execz .LBB989_90
; %bb.89:
	v_lshrrev_b32_e32 v19, s7, v18
	s_sub_i32 s7, s3, s7
	v_lshlrev_b32_e32 v20, 2, v2
	s_min_u32 s7, s7, 8
	v_bfe_u32 v19, v19, 0, s7
	v_lshl_or_b32 v19, v19, 4, v20
	v_mov_b32_e32 v20, 1
	ds_add_u32 v19, v20 offset:8192
	v_mov_b32_e32 v19, 0
.LBB989_90:
	s_or_b32 exec_lo, exec_lo, s0
	s_mov_b32 s7, -1
	s_mov_b32 s13, exec_lo
	v_cmpx_gt_i32_e32 10, v19
; %bb.91:
	v_cmp_eq_u32_e64 s0, 0, v19
	s_orn2_b32 s7, s0, exec_lo
; %bb.92:
	s_or_b32 exec_lo, exec_lo, s13
	s_and_b32 exec_lo, exec_lo, s7
	s_cbranch_execz .LBB989_95
; %bb.93:
	s_add_i32 s0, s2, 24
	s_cmp_gt_u32 s3, s0
	s_cselect_b32 s7, -1, 0
	s_xor_b32 s13, vcc_lo, -1
	s_and_b32 s7, s7, s13
	s_and_b32 exec_lo, exec_lo, s7
	s_cbranch_execz .LBB989_95
; %bb.94:
	v_lshrrev_b32_e32 v18, s0, v18
	s_sub_i32 s0, s3, s0
	v_lshlrev_b32_e32 v19, 2, v2
	s_min_u32 s0, s0, 8
	v_bfe_u32 v18, v18, 0, s0
	v_lshl_or_b32 v18, v18, 4, v19
	v_mov_b32_e32 v19, 1
	ds_add_u32 v18, v19 offset:12288
.LBB989_95:
	s_or_b32 exec_lo, exec_lo, s6
	v_cmp_le_u32_e32 vcc_lo, s4, v17
	v_mov_b32_e32 v17, s5
	s_nor_b32 s6, s1, vcc_lo
	s_and_saveexec_b32 s0, s6
	s_cbranch_execz .LBB989_97
; %bb.96:
	v_lshrrev_b32_e32 v17, s2, v16
	s_sub_i32 s6, s3, s2
	v_lshlrev_b32_e32 v18, 2, v2
	s_min_u32 s6, s6, 8
	v_bfe_u32 v17, v17, 0, s6
	v_lshl_or_b32 v17, v17, 4, v18
	v_mov_b32_e32 v18, 1
	ds_add_u32 v17, v18
	v_mov_b32_e32 v17, 0
.LBB989_97:
	s_or_b32 exec_lo, exec_lo, s0
	s_mov_b32 s7, -1
	s_mov_b32 s6, exec_lo
	v_cmpx_gt_i32_e32 10, v17
; %bb.98:
	v_cmp_eq_u32_e64 s0, 0, v17
	s_orn2_b32 s7, s0, exec_lo
; %bb.99:
	s_or_b32 exec_lo, exec_lo, s6
	s_and_saveexec_b32 s6, s7
	s_cbranch_execz .LBB989_112
; %bb.100:
	s_add_i32 s7, s2, 8
	s_cmp_le_u32 s3, s7
	s_cselect_b32 s0, -1, 0
	s_and_b32 s13, s0, exec_lo
	s_cselect_b32 s13, 8, 10
	v_mov_b32_e32 v17, s13
	s_nor_b32 s13, s0, vcc_lo
	s_and_saveexec_b32 s0, s13
	s_cbranch_execz .LBB989_102
; %bb.101:
	v_lshrrev_b32_e32 v17, s7, v16
	s_sub_i32 s7, s3, s7
	v_lshlrev_b32_e32 v18, 2, v2
	s_min_u32 s7, s7, 8
	v_bfe_u32 v17, v17, 0, s7
	v_lshl_or_b32 v17, v17, 4, v18
	v_mov_b32_e32 v18, 1
	ds_add_u32 v17, v18 offset:4096
	v_mov_b32_e32 v17, 0
.LBB989_102:
	s_or_b32 exec_lo, exec_lo, s0
	s_mov_b32 s7, -1
	s_mov_b32 s13, exec_lo
	v_cmpx_gt_i32_e32 10, v17
; %bb.103:
	v_cmp_eq_u32_e64 s0, 0, v17
	s_orn2_b32 s7, s0, exec_lo
; %bb.104:
	s_or_b32 exec_lo, exec_lo, s13
	s_and_b32 exec_lo, exec_lo, s7
	s_cbranch_execz .LBB989_112
; %bb.105:
	s_add_i32 s7, s2, 16
	s_cmp_le_u32 s3, s7
	s_cselect_b32 s0, -1, 0
	s_and_b32 s13, s0, exec_lo
	s_cselect_b32 s13, 8, 10
	v_mov_b32_e32 v17, s13
	s_nor_b32 s13, s0, vcc_lo
	s_and_saveexec_b32 s0, s13
	s_cbranch_execz .LBB989_107
; %bb.106:
	v_lshrrev_b32_e32 v17, s7, v16
	s_sub_i32 s7, s3, s7
	v_lshlrev_b32_e32 v18, 2, v2
	s_min_u32 s7, s7, 8
	v_bfe_u32 v17, v17, 0, s7
	v_lshl_or_b32 v17, v17, 4, v18
	v_mov_b32_e32 v18, 1
	ds_add_u32 v17, v18 offset:8192
	v_mov_b32_e32 v17, 0
.LBB989_107:
	s_or_b32 exec_lo, exec_lo, s0
	s_mov_b32 s7, -1
	s_mov_b32 s13, exec_lo
	v_cmpx_gt_i32_e32 10, v17
; %bb.108:
	v_cmp_eq_u32_e64 s0, 0, v17
	s_orn2_b32 s7, s0, exec_lo
; %bb.109:
	s_or_b32 exec_lo, exec_lo, s13
	s_and_b32 exec_lo, exec_lo, s7
	s_cbranch_execz .LBB989_112
; %bb.110:
	s_add_i32 s0, s2, 24
	s_cmp_gt_u32 s3, s0
	s_cselect_b32 s7, -1, 0
	s_xor_b32 s13, vcc_lo, -1
	s_and_b32 s7, s7, s13
	s_and_b32 exec_lo, exec_lo, s7
	s_cbranch_execz .LBB989_112
; %bb.111:
	v_lshrrev_b32_e32 v16, s0, v16
	s_sub_i32 s0, s3, s0
	v_lshlrev_b32_e32 v17, 2, v2
	s_min_u32 s0, s0, 8
	v_bfe_u32 v16, v16, 0, s0
	v_lshl_or_b32 v16, v16, 4, v17
	v_mov_b32_e32 v17, 1
	ds_add_u32 v16, v17 offset:12288
.LBB989_112:
	s_or_b32 exec_lo, exec_lo, s6
	v_cmp_le_u32_e32 vcc_lo, s4, v15
	v_mov_b32_e32 v15, s5
	s_nor_b32 s6, s1, vcc_lo
	s_and_saveexec_b32 s0, s6
	s_cbranch_execz .LBB989_114
; %bb.113:
	v_lshrrev_b32_e32 v15, s2, v14
	s_sub_i32 s6, s3, s2
	v_lshlrev_b32_e32 v16, 2, v2
	s_min_u32 s6, s6, 8
	v_bfe_u32 v15, v15, 0, s6
	v_lshl_or_b32 v15, v15, 4, v16
	v_mov_b32_e32 v16, 1
	ds_add_u32 v15, v16
	v_mov_b32_e32 v15, 0
.LBB989_114:
	s_or_b32 exec_lo, exec_lo, s0
	s_mov_b32 s7, -1
	s_mov_b32 s6, exec_lo
	v_cmpx_gt_i32_e32 10, v15
; %bb.115:
	v_cmp_eq_u32_e64 s0, 0, v15
	s_orn2_b32 s7, s0, exec_lo
; %bb.116:
	s_or_b32 exec_lo, exec_lo, s6
	s_and_saveexec_b32 s6, s7
	s_cbranch_execz .LBB989_129
; %bb.117:
	s_add_i32 s7, s2, 8
	s_cmp_le_u32 s3, s7
	s_cselect_b32 s0, -1, 0
	s_and_b32 s13, s0, exec_lo
	s_cselect_b32 s13, 8, 10
	v_mov_b32_e32 v15, s13
	s_nor_b32 s13, s0, vcc_lo
	s_and_saveexec_b32 s0, s13
	s_cbranch_execz .LBB989_119
; %bb.118:
	v_lshrrev_b32_e32 v15, s7, v14
	s_sub_i32 s7, s3, s7
	v_lshlrev_b32_e32 v16, 2, v2
	s_min_u32 s7, s7, 8
	v_bfe_u32 v15, v15, 0, s7
	v_lshl_or_b32 v15, v15, 4, v16
	v_mov_b32_e32 v16, 1
	ds_add_u32 v15, v16 offset:4096
	v_mov_b32_e32 v15, 0
.LBB989_119:
	s_or_b32 exec_lo, exec_lo, s0
	s_mov_b32 s7, -1
	s_mov_b32 s13, exec_lo
	v_cmpx_gt_i32_e32 10, v15
; %bb.120:
	v_cmp_eq_u32_e64 s0, 0, v15
	s_orn2_b32 s7, s0, exec_lo
; %bb.121:
	s_or_b32 exec_lo, exec_lo, s13
	s_and_b32 exec_lo, exec_lo, s7
	s_cbranch_execz .LBB989_129
; %bb.122:
	s_add_i32 s7, s2, 16
	s_cmp_le_u32 s3, s7
	s_cselect_b32 s0, -1, 0
	s_and_b32 s13, s0, exec_lo
	s_cselect_b32 s13, 8, 10
	v_mov_b32_e32 v15, s13
	s_nor_b32 s13, s0, vcc_lo
	s_and_saveexec_b32 s0, s13
	s_cbranch_execz .LBB989_124
; %bb.123:
	v_lshrrev_b32_e32 v15, s7, v14
	s_sub_i32 s7, s3, s7
	v_lshlrev_b32_e32 v16, 2, v2
	s_min_u32 s7, s7, 8
	v_bfe_u32 v15, v15, 0, s7
	v_lshl_or_b32 v15, v15, 4, v16
	v_mov_b32_e32 v16, 1
	ds_add_u32 v15, v16 offset:8192
	v_mov_b32_e32 v15, 0
.LBB989_124:
	s_or_b32 exec_lo, exec_lo, s0
	s_mov_b32 s7, -1
	s_mov_b32 s13, exec_lo
	v_cmpx_gt_i32_e32 10, v15
; %bb.125:
	v_cmp_eq_u32_e64 s0, 0, v15
	s_orn2_b32 s7, s0, exec_lo
; %bb.126:
	s_or_b32 exec_lo, exec_lo, s13
	s_and_b32 exec_lo, exec_lo, s7
	s_cbranch_execz .LBB989_129
; %bb.127:
	s_add_i32 s0, s2, 24
	s_cmp_gt_u32 s3, s0
	s_cselect_b32 s7, -1, 0
	s_xor_b32 s13, vcc_lo, -1
	s_and_b32 s7, s7, s13
	s_and_b32 exec_lo, exec_lo, s7
	s_cbranch_execz .LBB989_129
; %bb.128:
	v_lshrrev_b32_e32 v14, s0, v14
	s_sub_i32 s0, s3, s0
	v_lshlrev_b32_e32 v15, 2, v2
	s_min_u32 s0, s0, 8
	v_bfe_u32 v14, v14, 0, s0
	v_lshl_or_b32 v14, v14, 4, v15
	v_mov_b32_e32 v15, 1
	ds_add_u32 v14, v15 offset:12288
.LBB989_129:
	s_or_b32 exec_lo, exec_lo, s6
	v_cmp_le_u32_e32 vcc_lo, s4, v13
	v_mov_b32_e32 v13, s5
	s_nor_b32 s6, s1, vcc_lo
	s_and_saveexec_b32 s0, s6
	s_cbranch_execz .LBB989_131
; %bb.130:
	v_lshrrev_b32_e32 v13, s2, v12
	s_sub_i32 s6, s3, s2
	v_lshlrev_b32_e32 v14, 2, v2
	s_min_u32 s6, s6, 8
	v_bfe_u32 v13, v13, 0, s6
	v_lshl_or_b32 v13, v13, 4, v14
	v_mov_b32_e32 v14, 1
	ds_add_u32 v13, v14
	v_mov_b32_e32 v13, 0
.LBB989_131:
	s_or_b32 exec_lo, exec_lo, s0
	s_mov_b32 s7, -1
	s_mov_b32 s6, exec_lo
	v_cmpx_gt_i32_e32 10, v13
; %bb.132:
	v_cmp_eq_u32_e64 s0, 0, v13
	s_orn2_b32 s7, s0, exec_lo
; %bb.133:
	s_or_b32 exec_lo, exec_lo, s6
	s_and_saveexec_b32 s6, s7
	s_cbranch_execz .LBB989_146
; %bb.134:
	s_add_i32 s7, s2, 8
	s_cmp_le_u32 s3, s7
	s_cselect_b32 s0, -1, 0
	s_and_b32 s13, s0, exec_lo
	s_cselect_b32 s13, 8, 10
	v_mov_b32_e32 v13, s13
	s_nor_b32 s13, s0, vcc_lo
	s_and_saveexec_b32 s0, s13
	s_cbranch_execz .LBB989_136
; %bb.135:
	v_lshrrev_b32_e32 v13, s7, v12
	s_sub_i32 s7, s3, s7
	v_lshlrev_b32_e32 v14, 2, v2
	s_min_u32 s7, s7, 8
	v_bfe_u32 v13, v13, 0, s7
	v_lshl_or_b32 v13, v13, 4, v14
	v_mov_b32_e32 v14, 1
	ds_add_u32 v13, v14 offset:4096
	v_mov_b32_e32 v13, 0
.LBB989_136:
	s_or_b32 exec_lo, exec_lo, s0
	s_mov_b32 s7, -1
	s_mov_b32 s13, exec_lo
	v_cmpx_gt_i32_e32 10, v13
; %bb.137:
	v_cmp_eq_u32_e64 s0, 0, v13
	s_orn2_b32 s7, s0, exec_lo
; %bb.138:
	s_or_b32 exec_lo, exec_lo, s13
	s_and_b32 exec_lo, exec_lo, s7
	s_cbranch_execz .LBB989_146
; %bb.139:
	s_add_i32 s7, s2, 16
	s_cmp_le_u32 s3, s7
	s_cselect_b32 s0, -1, 0
	s_and_b32 s13, s0, exec_lo
	s_cselect_b32 s13, 8, 10
	v_mov_b32_e32 v13, s13
	s_nor_b32 s13, s0, vcc_lo
	s_and_saveexec_b32 s0, s13
	s_cbranch_execz .LBB989_141
; %bb.140:
	v_lshrrev_b32_e32 v13, s7, v12
	s_sub_i32 s7, s3, s7
	v_lshlrev_b32_e32 v14, 2, v2
	s_min_u32 s7, s7, 8
	v_bfe_u32 v13, v13, 0, s7
	v_lshl_or_b32 v13, v13, 4, v14
	v_mov_b32_e32 v14, 1
	ds_add_u32 v13, v14 offset:8192
	v_mov_b32_e32 v13, 0
.LBB989_141:
	s_or_b32 exec_lo, exec_lo, s0
	s_mov_b32 s7, -1
	s_mov_b32 s13, exec_lo
	v_cmpx_gt_i32_e32 10, v13
; %bb.142:
	v_cmp_eq_u32_e64 s0, 0, v13
	s_orn2_b32 s7, s0, exec_lo
; %bb.143:
	s_or_b32 exec_lo, exec_lo, s13
	s_and_b32 exec_lo, exec_lo, s7
	s_cbranch_execz .LBB989_146
; %bb.144:
	s_add_i32 s0, s2, 24
	s_cmp_gt_u32 s3, s0
	s_cselect_b32 s7, -1, 0
	s_xor_b32 s13, vcc_lo, -1
	s_and_b32 s7, s7, s13
	s_and_b32 exec_lo, exec_lo, s7
	s_cbranch_execz .LBB989_146
; %bb.145:
	v_lshrrev_b32_e32 v12, s0, v12
	s_sub_i32 s0, s3, s0
	v_lshlrev_b32_e32 v13, 2, v2
	s_min_u32 s0, s0, 8
	v_bfe_u32 v12, v12, 0, s0
	v_lshl_or_b32 v12, v12, 4, v13
	v_mov_b32_e32 v13, 1
	ds_add_u32 v12, v13 offset:12288
.LBB989_146:
	s_or_b32 exec_lo, exec_lo, s6
	v_cmp_le_u32_e32 vcc_lo, s4, v11
	v_mov_b32_e32 v11, s5
	s_nor_b32 s6, s1, vcc_lo
	s_and_saveexec_b32 s0, s6
	s_cbranch_execz .LBB989_148
; %bb.147:
	v_lshrrev_b32_e32 v11, s2, v10
	s_sub_i32 s6, s3, s2
	v_lshlrev_b32_e32 v12, 2, v2
	s_min_u32 s6, s6, 8
	v_bfe_u32 v11, v11, 0, s6
	v_lshl_or_b32 v11, v11, 4, v12
	v_mov_b32_e32 v12, 1
	ds_add_u32 v11, v12
	v_mov_b32_e32 v11, 0
.LBB989_148:
	s_or_b32 exec_lo, exec_lo, s0
	s_mov_b32 s7, -1
	s_mov_b32 s6, exec_lo
	v_cmpx_gt_i32_e32 10, v11
; %bb.149:
	v_cmp_eq_u32_e64 s0, 0, v11
	s_orn2_b32 s7, s0, exec_lo
; %bb.150:
	s_or_b32 exec_lo, exec_lo, s6
	s_and_saveexec_b32 s6, s7
	s_cbranch_execz .LBB989_163
; %bb.151:
	s_add_i32 s7, s2, 8
	s_cmp_le_u32 s3, s7
	s_cselect_b32 s0, -1, 0
	s_and_b32 s13, s0, exec_lo
	s_cselect_b32 s13, 8, 10
	v_mov_b32_e32 v11, s13
	s_nor_b32 s13, s0, vcc_lo
	s_and_saveexec_b32 s0, s13
	s_cbranch_execz .LBB989_153
; %bb.152:
	v_lshrrev_b32_e32 v11, s7, v10
	s_sub_i32 s7, s3, s7
	v_lshlrev_b32_e32 v12, 2, v2
	s_min_u32 s7, s7, 8
	v_bfe_u32 v11, v11, 0, s7
	v_lshl_or_b32 v11, v11, 4, v12
	v_mov_b32_e32 v12, 1
	ds_add_u32 v11, v12 offset:4096
	v_mov_b32_e32 v11, 0
.LBB989_153:
	s_or_b32 exec_lo, exec_lo, s0
	s_mov_b32 s7, -1
	s_mov_b32 s13, exec_lo
	v_cmpx_gt_i32_e32 10, v11
; %bb.154:
	v_cmp_eq_u32_e64 s0, 0, v11
	s_orn2_b32 s7, s0, exec_lo
; %bb.155:
	s_or_b32 exec_lo, exec_lo, s13
	s_and_b32 exec_lo, exec_lo, s7
	s_cbranch_execz .LBB989_163
; %bb.156:
	s_add_i32 s7, s2, 16
	s_cmp_le_u32 s3, s7
	s_cselect_b32 s0, -1, 0
	s_and_b32 s13, s0, exec_lo
	s_cselect_b32 s13, 8, 10
	v_mov_b32_e32 v11, s13
	s_nor_b32 s13, s0, vcc_lo
	s_and_saveexec_b32 s0, s13
	s_cbranch_execz .LBB989_158
; %bb.157:
	v_lshrrev_b32_e32 v11, s7, v10
	s_sub_i32 s7, s3, s7
	v_lshlrev_b32_e32 v12, 2, v2
	s_min_u32 s7, s7, 8
	v_bfe_u32 v11, v11, 0, s7
	v_lshl_or_b32 v11, v11, 4, v12
	v_mov_b32_e32 v12, 1
	ds_add_u32 v11, v12 offset:8192
	v_mov_b32_e32 v11, 0
.LBB989_158:
	s_or_b32 exec_lo, exec_lo, s0
	s_mov_b32 s7, -1
	s_mov_b32 s13, exec_lo
	v_cmpx_gt_i32_e32 10, v11
; %bb.159:
	v_cmp_eq_u32_e64 s0, 0, v11
	s_orn2_b32 s7, s0, exec_lo
; %bb.160:
	s_or_b32 exec_lo, exec_lo, s13
	s_and_b32 exec_lo, exec_lo, s7
	s_cbranch_execz .LBB989_163
; %bb.161:
	s_add_i32 s0, s2, 24
	s_cmp_gt_u32 s3, s0
	s_cselect_b32 s7, -1, 0
	s_xor_b32 s13, vcc_lo, -1
	s_and_b32 s7, s7, s13
	s_and_b32 exec_lo, exec_lo, s7
	s_cbranch_execz .LBB989_163
; %bb.162:
	v_lshrrev_b32_e32 v10, s0, v10
	s_sub_i32 s0, s3, s0
	v_lshlrev_b32_e32 v11, 2, v2
	s_min_u32 s0, s0, 8
	v_bfe_u32 v10, v10, 0, s0
	v_lshl_or_b32 v10, v10, 4, v11
	v_mov_b32_e32 v11, 1
	ds_add_u32 v10, v11 offset:12288
.LBB989_163:
	s_or_b32 exec_lo, exec_lo, s6
	v_cmp_le_u32_e32 vcc_lo, s4, v9
	v_mov_b32_e32 v9, s5
	s_nor_b32 s6, s1, vcc_lo
	s_and_saveexec_b32 s0, s6
	s_cbranch_execz .LBB989_165
; %bb.164:
	v_lshrrev_b32_e32 v9, s2, v8
	s_sub_i32 s6, s3, s2
	v_lshlrev_b32_e32 v10, 2, v2
	s_min_u32 s6, s6, 8
	v_bfe_u32 v9, v9, 0, s6
	v_lshl_or_b32 v9, v9, 4, v10
	v_mov_b32_e32 v10, 1
	ds_add_u32 v9, v10
	v_mov_b32_e32 v9, 0
.LBB989_165:
	s_or_b32 exec_lo, exec_lo, s0
	s_mov_b32 s7, -1
	s_mov_b32 s6, exec_lo
	v_cmpx_gt_i32_e32 10, v9
; %bb.166:
	v_cmp_eq_u32_e64 s0, 0, v9
	s_orn2_b32 s7, s0, exec_lo
; %bb.167:
	s_or_b32 exec_lo, exec_lo, s6
	s_and_saveexec_b32 s6, s7
	s_cbranch_execz .LBB989_180
; %bb.168:
	s_add_i32 s7, s2, 8
	s_cmp_le_u32 s3, s7
	s_cselect_b32 s0, -1, 0
	s_and_b32 s13, s0, exec_lo
	s_cselect_b32 s13, 8, 10
	v_mov_b32_e32 v9, s13
	s_nor_b32 s13, s0, vcc_lo
	s_and_saveexec_b32 s0, s13
	s_cbranch_execz .LBB989_170
; %bb.169:
	v_lshrrev_b32_e32 v9, s7, v8
	s_sub_i32 s7, s3, s7
	v_lshlrev_b32_e32 v10, 2, v2
	s_min_u32 s7, s7, 8
	v_bfe_u32 v9, v9, 0, s7
	v_lshl_or_b32 v9, v9, 4, v10
	v_mov_b32_e32 v10, 1
	ds_add_u32 v9, v10 offset:4096
	v_mov_b32_e32 v9, 0
.LBB989_170:
	s_or_b32 exec_lo, exec_lo, s0
	s_mov_b32 s7, -1
	s_mov_b32 s13, exec_lo
	v_cmpx_gt_i32_e32 10, v9
; %bb.171:
	v_cmp_eq_u32_e64 s0, 0, v9
	s_orn2_b32 s7, s0, exec_lo
; %bb.172:
	s_or_b32 exec_lo, exec_lo, s13
	s_and_b32 exec_lo, exec_lo, s7
	s_cbranch_execz .LBB989_180
; %bb.173:
	s_add_i32 s7, s2, 16
	s_cmp_le_u32 s3, s7
	s_cselect_b32 s0, -1, 0
	s_and_b32 s13, s0, exec_lo
	s_cselect_b32 s13, 8, 10
	v_mov_b32_e32 v9, s13
	s_nor_b32 s13, s0, vcc_lo
	s_and_saveexec_b32 s0, s13
	s_cbranch_execz .LBB989_175
; %bb.174:
	v_lshrrev_b32_e32 v9, s7, v8
	s_sub_i32 s7, s3, s7
	v_lshlrev_b32_e32 v10, 2, v2
	s_min_u32 s7, s7, 8
	v_bfe_u32 v9, v9, 0, s7
	v_lshl_or_b32 v9, v9, 4, v10
	v_mov_b32_e32 v10, 1
	ds_add_u32 v9, v10 offset:8192
	v_mov_b32_e32 v9, 0
.LBB989_175:
	s_or_b32 exec_lo, exec_lo, s0
	s_mov_b32 s7, -1
	s_mov_b32 s13, exec_lo
	v_cmpx_gt_i32_e32 10, v9
; %bb.176:
	v_cmp_eq_u32_e64 s0, 0, v9
	s_orn2_b32 s7, s0, exec_lo
; %bb.177:
	s_or_b32 exec_lo, exec_lo, s13
	s_and_b32 exec_lo, exec_lo, s7
	s_cbranch_execz .LBB989_180
; %bb.178:
	s_add_i32 s0, s2, 24
	s_cmp_gt_u32 s3, s0
	s_cselect_b32 s7, -1, 0
	s_xor_b32 s13, vcc_lo, -1
	s_and_b32 s7, s7, s13
	s_and_b32 exec_lo, exec_lo, s7
	s_cbranch_execz .LBB989_180
; %bb.179:
	v_lshrrev_b32_e32 v8, s0, v8
	s_sub_i32 s0, s3, s0
	v_lshlrev_b32_e32 v9, 2, v2
	s_min_u32 s0, s0, 8
	v_bfe_u32 v8, v8, 0, s0
	v_lshl_or_b32 v8, v8, 4, v9
	v_mov_b32_e32 v9, 1
	ds_add_u32 v8, v9 offset:12288
.LBB989_180:
	s_or_b32 exec_lo, exec_lo, s6
	v_cmp_le_u32_e32 vcc_lo, s4, v7
	v_mov_b32_e32 v7, s5
	s_nor_b32 s6, s1, vcc_lo
	s_and_saveexec_b32 s0, s6
	s_cbranch_execz .LBB989_182
; %bb.181:
	v_lshrrev_b32_e32 v7, s2, v6
	s_sub_i32 s6, s3, s2
	v_lshlrev_b32_e32 v8, 2, v2
	s_min_u32 s6, s6, 8
	v_bfe_u32 v7, v7, 0, s6
	v_lshl_or_b32 v7, v7, 4, v8
	v_mov_b32_e32 v8, 1
	ds_add_u32 v7, v8
	v_mov_b32_e32 v7, 0
.LBB989_182:
	s_or_b32 exec_lo, exec_lo, s0
	s_mov_b32 s7, -1
	s_mov_b32 s6, exec_lo
	v_cmpx_gt_i32_e32 10, v7
; %bb.183:
	v_cmp_eq_u32_e64 s0, 0, v7
	s_orn2_b32 s7, s0, exec_lo
; %bb.184:
	s_or_b32 exec_lo, exec_lo, s6
	s_and_saveexec_b32 s6, s7
	s_cbranch_execz .LBB989_197
; %bb.185:
	s_add_i32 s7, s2, 8
	s_cmp_le_u32 s3, s7
	s_cselect_b32 s0, -1, 0
	s_and_b32 s13, s0, exec_lo
	s_cselect_b32 s13, 8, 10
	v_mov_b32_e32 v7, s13
	s_nor_b32 s13, s0, vcc_lo
	s_and_saveexec_b32 s0, s13
	s_cbranch_execz .LBB989_187
; %bb.186:
	v_lshrrev_b32_e32 v7, s7, v6
	s_sub_i32 s7, s3, s7
	v_lshlrev_b32_e32 v8, 2, v2
	s_min_u32 s7, s7, 8
	v_bfe_u32 v7, v7, 0, s7
	v_lshl_or_b32 v7, v7, 4, v8
	v_mov_b32_e32 v8, 1
	ds_add_u32 v7, v8 offset:4096
	v_mov_b32_e32 v7, 0
.LBB989_187:
	s_or_b32 exec_lo, exec_lo, s0
	s_mov_b32 s7, -1
	s_mov_b32 s13, exec_lo
	v_cmpx_gt_i32_e32 10, v7
; %bb.188:
	v_cmp_eq_u32_e64 s0, 0, v7
	s_orn2_b32 s7, s0, exec_lo
; %bb.189:
	s_or_b32 exec_lo, exec_lo, s13
	s_and_b32 exec_lo, exec_lo, s7
	s_cbranch_execz .LBB989_197
; %bb.190:
	s_add_i32 s7, s2, 16
	s_cmp_le_u32 s3, s7
	s_cselect_b32 s0, -1, 0
	s_and_b32 s13, s0, exec_lo
	s_cselect_b32 s13, 8, 10
	v_mov_b32_e32 v7, s13
	s_nor_b32 s13, s0, vcc_lo
	s_and_saveexec_b32 s0, s13
	s_cbranch_execz .LBB989_192
; %bb.191:
	v_lshrrev_b32_e32 v7, s7, v6
	s_sub_i32 s7, s3, s7
	v_lshlrev_b32_e32 v8, 2, v2
	s_min_u32 s7, s7, 8
	v_bfe_u32 v7, v7, 0, s7
	v_lshl_or_b32 v7, v7, 4, v8
	v_mov_b32_e32 v8, 1
	ds_add_u32 v7, v8 offset:8192
	v_mov_b32_e32 v7, 0
.LBB989_192:
	s_or_b32 exec_lo, exec_lo, s0
	s_mov_b32 s7, -1
	s_mov_b32 s13, exec_lo
	v_cmpx_gt_i32_e32 10, v7
; %bb.193:
	v_cmp_eq_u32_e64 s0, 0, v7
	s_orn2_b32 s7, s0, exec_lo
; %bb.194:
	s_or_b32 exec_lo, exec_lo, s13
	s_and_b32 exec_lo, exec_lo, s7
	s_cbranch_execz .LBB989_197
; %bb.195:
	s_add_i32 s0, s2, 24
	s_cmp_gt_u32 s3, s0
	s_cselect_b32 s7, -1, 0
	s_xor_b32 s13, vcc_lo, -1
	s_and_b32 s7, s7, s13
	s_and_b32 exec_lo, exec_lo, s7
	s_cbranch_execz .LBB989_197
; %bb.196:
	v_lshrrev_b32_e32 v6, s0, v6
	s_sub_i32 s0, s3, s0
	v_lshlrev_b32_e32 v7, 2, v2
	s_min_u32 s0, s0, 8
	v_bfe_u32 v6, v6, 0, s0
	v_lshl_or_b32 v6, v6, 4, v7
	v_mov_b32_e32 v7, 1
	ds_add_u32 v6, v7 offset:12288
.LBB989_197:
	s_or_b32 exec_lo, exec_lo, s6
	v_cmp_le_u32_e32 vcc_lo, s4, v5
	v_mov_b32_e32 v5, s5
	s_nor_b32 s6, s1, vcc_lo
	s_and_saveexec_b32 s0, s6
	s_cbranch_execz .LBB989_199
; %bb.198:
	v_lshrrev_b32_e32 v5, s2, v4
	s_sub_i32 s6, s3, s2
	v_lshlrev_b32_e32 v6, 2, v2
	s_min_u32 s6, s6, 8
	v_bfe_u32 v5, v5, 0, s6
	v_lshl_or_b32 v5, v5, 4, v6
	v_mov_b32_e32 v6, 1
	ds_add_u32 v5, v6
	v_mov_b32_e32 v5, 0
.LBB989_199:
	s_or_b32 exec_lo, exec_lo, s0
	s_mov_b32 s7, -1
	s_mov_b32 s6, exec_lo
	v_cmpx_gt_i32_e32 10, v5
; %bb.200:
	v_cmp_eq_u32_e64 s0, 0, v5
	s_orn2_b32 s7, s0, exec_lo
; %bb.201:
	s_or_b32 exec_lo, exec_lo, s6
	s_and_saveexec_b32 s6, s7
	s_cbranch_execz .LBB989_214
; %bb.202:
	s_add_i32 s7, s2, 8
	s_cmp_le_u32 s3, s7
	s_cselect_b32 s0, -1, 0
	s_and_b32 s13, s0, exec_lo
	s_cselect_b32 s13, 8, 10
	v_mov_b32_e32 v5, s13
	s_nor_b32 s13, s0, vcc_lo
	s_and_saveexec_b32 s0, s13
	s_cbranch_execz .LBB989_204
; %bb.203:
	v_lshrrev_b32_e32 v5, s7, v4
	s_sub_i32 s7, s3, s7
	v_lshlrev_b32_e32 v6, 2, v2
	s_min_u32 s7, s7, 8
	v_bfe_u32 v5, v5, 0, s7
	v_lshl_or_b32 v5, v5, 4, v6
	v_mov_b32_e32 v6, 1
	ds_add_u32 v5, v6 offset:4096
	v_mov_b32_e32 v5, 0
.LBB989_204:
	s_or_b32 exec_lo, exec_lo, s0
	s_mov_b32 s7, -1
	s_mov_b32 s13, exec_lo
	v_cmpx_gt_i32_e32 10, v5
; %bb.205:
	v_cmp_eq_u32_e64 s0, 0, v5
	s_orn2_b32 s7, s0, exec_lo
; %bb.206:
	s_or_b32 exec_lo, exec_lo, s13
	s_and_b32 exec_lo, exec_lo, s7
	s_cbranch_execz .LBB989_214
; %bb.207:
	s_add_i32 s7, s2, 16
	s_cmp_le_u32 s3, s7
	s_cselect_b32 s0, -1, 0
	s_and_b32 s13, s0, exec_lo
	s_cselect_b32 s13, 8, 10
	v_mov_b32_e32 v5, s13
	s_nor_b32 s13, s0, vcc_lo
	s_and_saveexec_b32 s0, s13
	s_cbranch_execz .LBB989_209
; %bb.208:
	v_lshrrev_b32_e32 v5, s7, v4
	s_sub_i32 s7, s3, s7
	v_lshlrev_b32_e32 v6, 2, v2
	s_min_u32 s7, s7, 8
	v_bfe_u32 v5, v5, 0, s7
	v_lshl_or_b32 v5, v5, 4, v6
	v_mov_b32_e32 v6, 1
	ds_add_u32 v5, v6 offset:8192
	v_mov_b32_e32 v5, 0
.LBB989_209:
	s_or_b32 exec_lo, exec_lo, s0
	s_mov_b32 s7, -1
	s_mov_b32 s13, exec_lo
	v_cmpx_gt_i32_e32 10, v5
; %bb.210:
	v_cmp_eq_u32_e64 s0, 0, v5
	s_orn2_b32 s7, s0, exec_lo
; %bb.211:
	s_or_b32 exec_lo, exec_lo, s13
	s_and_b32 exec_lo, exec_lo, s7
	s_cbranch_execz .LBB989_214
; %bb.212:
	s_add_i32 s0, s2, 24
	s_cmp_gt_u32 s3, s0
	s_cselect_b32 s7, -1, 0
	s_xor_b32 s13, vcc_lo, -1
	s_and_b32 s7, s7, s13
	s_and_b32 exec_lo, exec_lo, s7
	s_cbranch_execz .LBB989_214
; %bb.213:
	v_lshrrev_b32_e32 v4, s0, v4
	s_sub_i32 s0, s3, s0
	v_lshlrev_b32_e32 v5, 2, v2
	s_min_u32 s0, s0, 8
	v_bfe_u32 v4, v4, 0, s0
	v_lshl_or_b32 v4, v4, 4, v5
	v_mov_b32_e32 v5, 1
	ds_add_u32 v4, v5 offset:12288
.LBB989_214:
	s_or_b32 exec_lo, exec_lo, s6
	v_cmp_le_u32_e32 vcc_lo, s4, v3
	v_mov_b32_e32 v3, s5
	s_nor_b32 s1, s1, vcc_lo
	s_and_saveexec_b32 s0, s1
	s_cbranch_execz .LBB989_216
; %bb.215:
	v_lshrrev_b32_e32 v3, s2, v1
	s_sub_i32 s1, s3, s2
	v_lshlrev_b32_e32 v4, 2, v2
	s_min_u32 s1, s1, 8
	v_bfe_u32 v3, v3, 0, s1
	v_lshl_or_b32 v3, v3, 4, v4
	v_mov_b32_e32 v4, 1
	ds_add_u32 v3, v4
	v_mov_b32_e32 v3, 0
.LBB989_216:
	s_or_b32 exec_lo, exec_lo, s0
	s_mov_b32 s4, -1
	s_mov_b32 s1, exec_lo
	v_cmpx_gt_i32_e32 10, v3
; %bb.217:
	v_cmp_eq_u32_e64 s0, 0, v3
	s_orn2_b32 s4, s0, exec_lo
; %bb.218:
	s_or_b32 exec_lo, exec_lo, s1
	s_and_saveexec_b32 s1, s4
	s_cbranch_execz .LBB989_231
; %bb.219:
	s_add_i32 s4, s2, 8
	s_cmp_le_u32 s3, s4
	s_cselect_b32 s0, -1, 0
	s_and_b32 s5, s0, exec_lo
	s_cselect_b32 s5, 8, 10
	v_mov_b32_e32 v3, s5
	s_nor_b32 s5, s0, vcc_lo
	s_and_saveexec_b32 s0, s5
	s_cbranch_execz .LBB989_221
; %bb.220:
	v_lshrrev_b32_e32 v3, s4, v1
	s_sub_i32 s4, s3, s4
	v_lshlrev_b32_e32 v4, 2, v2
	s_min_u32 s4, s4, 8
	v_bfe_u32 v3, v3, 0, s4
	v_lshl_or_b32 v3, v3, 4, v4
	v_mov_b32_e32 v4, 1
	ds_add_u32 v3, v4 offset:4096
	v_mov_b32_e32 v3, 0
.LBB989_221:
	s_or_b32 exec_lo, exec_lo, s0
	s_mov_b32 s4, -1
	s_mov_b32 s5, exec_lo
	v_cmpx_gt_i32_e32 10, v3
; %bb.222:
	v_cmp_eq_u32_e64 s0, 0, v3
	s_orn2_b32 s4, s0, exec_lo
; %bb.223:
	s_or_b32 exec_lo, exec_lo, s5
	s_and_b32 exec_lo, exec_lo, s4
	s_cbranch_execz .LBB989_231
; %bb.224:
	s_add_i32 s4, s2, 16
	s_cmp_le_u32 s3, s4
	s_cselect_b32 s0, -1, 0
	s_and_b32 s5, s0, exec_lo
	s_cselect_b32 s5, 8, 10
	v_mov_b32_e32 v3, s5
	s_nor_b32 s5, s0, vcc_lo
	s_and_saveexec_b32 s0, s5
	s_cbranch_execz .LBB989_226
; %bb.225:
	v_lshrrev_b32_e32 v3, s4, v1
	s_sub_i32 s4, s3, s4
	v_lshlrev_b32_e32 v4, 2, v2
	s_min_u32 s4, s4, 8
	v_bfe_u32 v3, v3, 0, s4
	v_lshl_or_b32 v3, v3, 4, v4
	v_mov_b32_e32 v4, 1
	ds_add_u32 v3, v4 offset:8192
	v_mov_b32_e32 v3, 0
.LBB989_226:
	s_or_b32 exec_lo, exec_lo, s0
	s_mov_b32 s4, -1
	s_mov_b32 s5, exec_lo
	v_cmpx_gt_i32_e32 10, v3
; %bb.227:
	v_cmp_eq_u32_e64 s0, 0, v3
	s_orn2_b32 s4, s0, exec_lo
; %bb.228:
	s_or_b32 exec_lo, exec_lo, s5
	s_and_b32 exec_lo, exec_lo, s4
	s_cbranch_execz .LBB989_231
; %bb.229:
	s_add_i32 s0, s2, 24
	s_cmp_gt_u32 s3, s0
	s_cselect_b32 s4, -1, 0
	s_xor_b32 s5, vcc_lo, -1
	s_and_b32 s4, s4, s5
	s_and_b32 exec_lo, exec_lo, s4
	s_cbranch_execz .LBB989_231
; %bb.230:
	v_lshrrev_b32_e32 v1, s0, v1
	s_sub_i32 s0, s3, s0
	v_lshlrev_b32_e32 v2, 2, v2
	s_min_u32 s0, s0, 8
	v_bfe_u32 v1, v1, 0, s0
	v_lshl_or_b32 v1, v1, 4, v2
	v_mov_b32_e32 v2, 1
	ds_add_u32 v1, v2 offset:12288
.LBB989_231:
	s_or_b32 exec_lo, exec_lo, s1
	s_cmp_gt_u32 s3, s2
	s_waitcnt lgkmcnt(0)
	s_barrier
	buffer_gl0_inv
	s_cbranch_scc0 .LBB989_236
; %bb.232:
	v_lshlrev_b32_e32 v3, 4, v0
	v_mov_b32_e32 v2, 0
	v_mov_b32_e32 v1, v0
	s_mov_b32 s1, s2
	v_cmp_gt_u32_e32 vcc_lo, 0x100, v0
	s_inst_prefetch 0x1
	s_branch .LBB989_234
	.p2align	6
.LBB989_233:                            ;   in Loop: Header=BB989_234 Depth=1
	s_or_b32 exec_lo, exec_lo, s4
	v_add_nc_u32_e32 v1, 0x100, v1
	v_add_nc_u32_e32 v3, 0x1000, v3
	s_add_i32 s1, s1, 8
	s_cmp_lt_u32 s1, s3
	s_cbranch_scc0 .LBB989_236
.LBB989_234:                            ; =>This Inner Loop Header: Depth=1
	s_and_saveexec_b32 s4, vcc_lo
	s_cbranch_execz .LBB989_233
; %bb.235:                              ;   in Loop: Header=BB989_234 Depth=1
	ds_read2_b32 v[4:5], v3 offset1:1
	ds_read2_b32 v[6:7], v3 offset0:2 offset1:3
	s_waitcnt lgkmcnt(1)
	v_add_nc_u32_e32 v8, v5, v4
	v_lshlrev_b64 v[4:5], 2, v[1:2]
	s_waitcnt lgkmcnt(0)
	v_add3_u32 v6, v8, v6, v7
	v_add_co_u32 v4, s0, s10, v4
	v_add_co_ci_u32_e64 v5, null, s11, v5, s0
	global_atomic_add v[4:5], v6, off
	s_branch .LBB989_233
.LBB989_236:
	s_inst_prefetch 0x2
	s_mov_b32 s1, 0
.LBB989_237:
	s_and_b32 vcc_lo, exec_lo, s1
	s_cbranch_vccz .LBB989_325
; %bb.238:
	s_cmp_eq_u32 s2, 0
	s_mov_b32 s13, 0
	s_cselect_b32 s4, -1, 0
	s_cmp_eq_u32 s3, 32
	v_lshlrev_b32_e32 v1, 2, v0
	s_cselect_b32 s5, -1, 0
	s_lshl_b64 s[0:1], s[12:13], 2
	s_and_b32 s4, s4, s5
	s_add_u32 s0, s8, s0
	s_addc_u32 s1, s9, s1
	v_add_co_u32 v10, s5, s0, v1
	v_add_co_ci_u32_e64 v11, null, s1, 0, s5
	v_add_co_u32 v2, vcc_lo, 0x1000, v10
	v_add_co_ci_u32_e64 v3, null, 0, v11, vcc_lo
	v_add_co_u32 v4, vcc_lo, 0x2000, v10
	v_add_co_ci_u32_e64 v5, null, 0, v11, vcc_lo
	;; [unrolled: 2-line block ×11, first 2 shown]
	s_clause 0xb
	global_load_dword v10, v[2:3], off
	global_load_dword v11, v[4:5], off
	;; [unrolled: 1-line block ×8, first 2 shown]
	global_load_dword v14, v1, s[0:1]
	global_load_dword v5, v[22:23], off
	global_load_dword v3, v[24:25], off
	;; [unrolled: 1-line block ×3, first 2 shown]
	v_mov_b32_e32 v2, 0
	v_or_b32_e32 v15, 0xfffffc00, v0
	s_and_b32 vcc_lo, exec_lo, s4
	s_mov_b32 s0, -1
	s_cbranch_vccnz .LBB989_320
; %bb.239:
	v_or_b32_e32 v16, 0xfffffc00, v0
.LBB989_240:                            ; =>This Inner Loop Header: Depth=1
	v_add_nc_u32_e32 v16, 0x400, v16
	ds_write_b32 v1, v2
	v_add_nc_u32_e32 v1, 0x1000, v1
	v_cmp_lt_u32_e32 vcc_lo, 0xbff, v16
	s_or_b32 s13, vcc_lo, s13
	s_andn2_b32 exec_lo, exec_lo, s13
	s_cbranch_execnz .LBB989_240
; %bb.241:
	s_or_b32 exec_lo, exec_lo, s13
	s_cmp_gt_u32 s3, s2
	s_waitcnt vmcnt(0) lgkmcnt(0)
	s_waitcnt_vscnt null, 0x0
	s_cselect_b32 s0, -1, 0
	s_barrier
	s_and_b32 vcc_lo, exec_lo, s0
	buffer_gl0_inv
	s_cbranch_vccz .LBB989_314
; %bb.242:
	v_xor_b32_e32 v17, 0x7fffffff, v14
	s_sub_i32 s1, s3, s2
	v_and_b32_e32 v1, 3, v0
	s_min_u32 s1, s1, 8
	v_mov_b32_e32 v18, 1
	v_lshrrev_b32_e32 v16, s2, v17
	s_lshl_b32 s1, -1, s1
	v_lshlrev_b32_e32 v2, 2, v1
	s_not_b32 s4, s1
	s_add_i32 s1, s2, 8
	v_and_b32_e32 v16, s4, v16
	s_cmp_le_u32 s3, s1
	s_mov_b32 s7, -1
	s_cselect_b32 s5, -1, 0
	s_and_b32 vcc_lo, exec_lo, s5
	v_lshl_or_b32 v16, v16, 4, v2
	ds_add_u32 v16, v18
	v_xor_b32_e32 v16, 0x7fffffff, v10
	v_lshrrev_b32_e32 v18, s2, v16
	v_and_b32_e32 v18, s4, v18
	s_cbranch_vccz .LBB989_244
; %bb.243:
	v_lshlrev_b32_e32 v19, 4, v18
	s_mov_b32 s6, -1
	s_cbranch_execz .LBB989_245
	s_branch .LBB989_252
.LBB989_244:
	s_mov_b32 s6, 0
                                        ; implicit-def: $vgpr19
	s_andn2_b32 vcc_lo, exec_lo, s7
	s_cbranch_vccnz .LBB989_252
.LBB989_245:
	s_sub_i32 s7, s3, s1
	v_lshrrev_b32_e32 v19, s1, v17
	s_min_u32 s7, s7, 8
	s_lshl_b32 s7, -1, s7
	s_not_b32 s8, s7
	s_add_i32 s7, s2, 16
	v_and_b32_e32 v19, s8, v19
	s_cmp_gt_u32 s3, s7
	s_cselect_b32 s9, -1, 0
	s_cmp_le_u32 s3, s7
	v_lshl_or_b32 v20, v19, 4, v2
	v_mov_b32_e32 v19, 1
	ds_add_u32 v20, v19 offset:4096
	s_cbranch_scc1 .LBB989_248
; %bb.246:
	v_lshrrev_b32_e32 v20, s7, v17
	s_sub_i32 s12, s3, s7
	s_min_u32 s12, s12, 8
	v_bfe_u32 v20, v20, 0, s12
	s_add_i32 s12, s2, 24
	s_cmp_le_u32 s3, s12
	v_lshl_or_b32 v20, v20, 4, v2
	ds_add_u32 v20, v19 offset:8192
	s_cbranch_scc1 .LBB989_248
; %bb.247:
	v_lshrrev_b32_e32 v17, s12, v17
	s_sub_i32 s12, s3, s12
	v_mov_b32_e32 v20, 1
	s_min_u32 s12, s12, 8
	v_bfe_u32 v17, v17, 0, s12
	v_lshl_or_b32 v17, v17, 4, v2
	ds_add_u32 v17, v20 offset:12288
.LBB989_248:
	v_lshrrev_b32_e32 v17, s1, v16
	v_lshl_or_b32 v18, v18, 4, v2
	s_andn2_b32 vcc_lo, exec_lo, s9
	v_and_b32_e32 v17, s8, v17
	v_lshl_or_b32 v17, v17, 4, v2
	ds_add_u32 v18, v19
	ds_add_u32 v17, v19 offset:4096
	s_cbranch_vccnz .LBB989_251
; %bb.249:
	v_lshrrev_b32_e32 v17, s7, v16
	s_sub_i32 s7, s3, s7
	v_mov_b32_e32 v18, 1
	s_min_u32 s7, s7, 8
                                        ; implicit-def: $vgpr19
	v_bfe_u32 v17, v17, 0, s7
	s_add_i32 s7, s2, 24
	s_cmp_gt_u32 s3, s7
	v_lshl_or_b32 v17, v17, 4, v2
	ds_add_u32 v17, v18 offset:8192
	s_cbranch_scc0 .LBB989_252
; %bb.250:
	v_lshrrev_b32_e32 v16, s7, v16
	s_sub_i32 s6, s3, s7
	s_min_u32 s6, s6, 8
	v_bfe_u32 v16, v16, 0, s6
	s_mov_b32 s6, -1
	v_lshl_add_u32 v19, v16, 4, 0x3000
	s_branch .LBB989_252
.LBB989_251:
                                        ; implicit-def: $vgpr19
.LBB989_252:
	s_and_b32 vcc_lo, exec_lo, s6
	s_cbranch_vccz .LBB989_254
; %bb.253:
	v_lshl_add_u32 v16, v1, 2, v19
	v_mov_b32_e32 v17, 1
	ds_add_u32 v16, v17
.LBB989_254:
	v_xor_b32_e32 v18, 0x7fffffff, v11
	v_mov_b32_e32 v17, 1
	s_and_b32 vcc_lo, exec_lo, s5
	v_lshrrev_b32_e32 v16, s2, v18
	v_and_b32_e32 v16, s4, v16
	v_lshl_or_b32 v16, v16, 4, v2
	ds_add_u32 v16, v17
	v_xor_b32_e32 v16, 0x7fffffff, v12
	v_lshrrev_b32_e32 v17, s2, v16
	v_and_b32_e32 v17, s4, v17
	s_cbranch_vccz .LBB989_256
; %bb.255:
	v_lshlrev_b32_e32 v19, 4, v17
	s_mov_b32 s6, -1
	s_cbranch_execz .LBB989_257
	s_branch .LBB989_264
.LBB989_256:
	s_mov_b32 s6, 0
                                        ; implicit-def: $vgpr19
.LBB989_257:
	s_sub_i32 s7, s3, s1
	v_lshrrev_b32_e32 v19, s1, v18
	s_min_u32 s7, s7, 8
	s_lshl_b32 s7, -1, s7
	s_not_b32 s8, s7
	s_add_i32 s7, s2, 16
	v_and_b32_e32 v19, s8, v19
	s_cmp_gt_u32 s3, s7
	s_cselect_b32 s9, -1, 0
	s_cmp_le_u32 s3, s7
	v_lshl_or_b32 v20, v19, 4, v2
	v_mov_b32_e32 v19, 1
	ds_add_u32 v20, v19 offset:4096
	s_cbranch_scc1 .LBB989_260
; %bb.258:
	v_lshrrev_b32_e32 v20, s7, v18
	s_sub_i32 s12, s3, s7
	s_min_u32 s12, s12, 8
	v_bfe_u32 v20, v20, 0, s12
	s_add_i32 s12, s2, 24
	s_cmp_le_u32 s3, s12
	v_lshl_or_b32 v20, v20, 4, v2
	ds_add_u32 v20, v19 offset:8192
	s_cbranch_scc1 .LBB989_260
; %bb.259:
	v_lshrrev_b32_e32 v18, s12, v18
	s_sub_i32 s12, s3, s12
	v_mov_b32_e32 v20, 1
	s_min_u32 s12, s12, 8
	v_bfe_u32 v18, v18, 0, s12
	v_lshl_or_b32 v18, v18, 4, v2
	ds_add_u32 v18, v20 offset:12288
.LBB989_260:
	v_lshrrev_b32_e32 v18, s1, v16
	v_lshl_or_b32 v17, v17, 4, v2
	s_andn2_b32 vcc_lo, exec_lo, s9
	v_and_b32_e32 v18, s8, v18
	v_lshl_or_b32 v18, v18, 4, v2
	ds_add_u32 v17, v19
	ds_add_u32 v18, v19 offset:4096
	s_cbranch_vccnz .LBB989_263
; %bb.261:
	v_lshrrev_b32_e32 v17, s7, v16
	s_sub_i32 s7, s3, s7
	v_mov_b32_e32 v18, 1
	s_min_u32 s7, s7, 8
                                        ; implicit-def: $vgpr19
	v_bfe_u32 v17, v17, 0, s7
	s_add_i32 s7, s2, 24
	s_cmp_gt_u32 s3, s7
	v_lshl_or_b32 v17, v17, 4, v2
	ds_add_u32 v17, v18 offset:8192
	s_cbranch_scc0 .LBB989_264
; %bb.262:
	v_lshrrev_b32_e32 v16, s7, v16
	s_sub_i32 s6, s3, s7
	s_min_u32 s6, s6, 8
	v_bfe_u32 v16, v16, 0, s6
	s_mov_b32 s6, -1
	v_lshl_add_u32 v19, v16, 4, 0x3000
	s_branch .LBB989_264
.LBB989_263:
                                        ; implicit-def: $vgpr19
.LBB989_264:
	s_and_b32 vcc_lo, exec_lo, s6
	s_cbranch_vccz .LBB989_266
; %bb.265:
	v_lshl_add_u32 v16, v1, 2, v19
	v_mov_b32_e32 v17, 1
	ds_add_u32 v16, v17
.LBB989_266:
	v_xor_b32_e32 v18, 0x7fffffff, v13
	v_mov_b32_e32 v17, 1
	s_and_b32 vcc_lo, exec_lo, s5
	v_lshrrev_b32_e32 v16, s2, v18
	v_and_b32_e32 v16, s4, v16
	v_lshl_or_b32 v16, v16, 4, v2
	ds_add_u32 v16, v17
	v_xor_b32_e32 v16, 0x7fffffff, v7
	v_lshrrev_b32_e32 v17, s2, v16
	v_and_b32_e32 v17, s4, v17
	s_cbranch_vccz .LBB989_268
; %bb.267:
	v_lshlrev_b32_e32 v19, 4, v17
	s_mov_b32 s6, -1
	s_cbranch_execz .LBB989_269
	s_branch .LBB989_276
.LBB989_268:
	s_mov_b32 s6, 0
                                        ; implicit-def: $vgpr19
.LBB989_269:
	s_sub_i32 s7, s3, s1
	v_lshrrev_b32_e32 v19, s1, v18
	s_min_u32 s7, s7, 8
	s_lshl_b32 s7, -1, s7
	s_not_b32 s8, s7
	s_add_i32 s7, s2, 16
	v_and_b32_e32 v19, s8, v19
	s_cmp_gt_u32 s3, s7
	s_cselect_b32 s9, -1, 0
	s_cmp_le_u32 s3, s7
	v_lshl_or_b32 v20, v19, 4, v2
	v_mov_b32_e32 v19, 1
	ds_add_u32 v20, v19 offset:4096
	s_cbranch_scc1 .LBB989_272
; %bb.270:
	v_lshrrev_b32_e32 v20, s7, v18
	s_sub_i32 s12, s3, s7
	s_min_u32 s12, s12, 8
	v_bfe_u32 v20, v20, 0, s12
	s_add_i32 s12, s2, 24
	s_cmp_le_u32 s3, s12
	v_lshl_or_b32 v20, v20, 4, v2
	ds_add_u32 v20, v19 offset:8192
	s_cbranch_scc1 .LBB989_272
; %bb.271:
	v_lshrrev_b32_e32 v18, s12, v18
	s_sub_i32 s12, s3, s12
	v_mov_b32_e32 v20, 1
	s_min_u32 s12, s12, 8
	v_bfe_u32 v18, v18, 0, s12
	v_lshl_or_b32 v18, v18, 4, v2
	ds_add_u32 v18, v20 offset:12288
.LBB989_272:
	v_lshrrev_b32_e32 v18, s1, v16
	v_lshl_or_b32 v17, v17, 4, v2
	s_andn2_b32 vcc_lo, exec_lo, s9
	v_and_b32_e32 v18, s8, v18
	v_lshl_or_b32 v18, v18, 4, v2
	ds_add_u32 v17, v19
	ds_add_u32 v18, v19 offset:4096
	s_cbranch_vccnz .LBB989_275
; %bb.273:
	v_lshrrev_b32_e32 v17, s7, v16
	s_sub_i32 s7, s3, s7
	v_mov_b32_e32 v18, 1
	s_min_u32 s7, s7, 8
                                        ; implicit-def: $vgpr19
	v_bfe_u32 v17, v17, 0, s7
	s_add_i32 s7, s2, 24
	s_cmp_gt_u32 s3, s7
	v_lshl_or_b32 v17, v17, 4, v2
	ds_add_u32 v17, v18 offset:8192
	s_cbranch_scc0 .LBB989_276
; %bb.274:
	v_lshrrev_b32_e32 v16, s7, v16
	s_sub_i32 s6, s3, s7
	s_min_u32 s6, s6, 8
	v_bfe_u32 v16, v16, 0, s6
	s_mov_b32 s6, -1
	v_lshl_add_u32 v19, v16, 4, 0x3000
	s_branch .LBB989_276
.LBB989_275:
                                        ; implicit-def: $vgpr19
.LBB989_276:
	s_and_b32 vcc_lo, exec_lo, s6
	s_cbranch_vccz .LBB989_278
; %bb.277:
	v_lshl_add_u32 v16, v1, 2, v19
	v_mov_b32_e32 v17, 1
	ds_add_u32 v16, v17
.LBB989_278:
	v_xor_b32_e32 v18, 0x7fffffff, v8
	v_mov_b32_e32 v17, 1
	s_and_b32 vcc_lo, exec_lo, s5
	v_lshrrev_b32_e32 v16, s2, v18
	v_and_b32_e32 v16, s4, v16
	v_lshl_or_b32 v16, v16, 4, v2
	ds_add_u32 v16, v17
	v_xor_b32_e32 v16, 0x7fffffff, v9
	v_lshrrev_b32_e32 v17, s2, v16
	v_and_b32_e32 v17, s4, v17
	s_cbranch_vccz .LBB989_280
; %bb.279:
	v_lshlrev_b32_e32 v19, 4, v17
	s_mov_b32 s6, -1
	s_cbranch_execz .LBB989_281
	s_branch .LBB989_288
.LBB989_280:
	s_mov_b32 s6, 0
                                        ; implicit-def: $vgpr19
.LBB989_281:
	s_sub_i32 s7, s3, s1
	v_lshrrev_b32_e32 v19, s1, v18
	s_min_u32 s7, s7, 8
	s_lshl_b32 s7, -1, s7
	s_not_b32 s8, s7
	s_add_i32 s7, s2, 16
	v_and_b32_e32 v19, s8, v19
	s_cmp_gt_u32 s3, s7
	s_cselect_b32 s9, -1, 0
	s_cmp_le_u32 s3, s7
	v_lshl_or_b32 v20, v19, 4, v2
	v_mov_b32_e32 v19, 1
	ds_add_u32 v20, v19 offset:4096
	s_cbranch_scc1 .LBB989_284
; %bb.282:
	v_lshrrev_b32_e32 v20, s7, v18
	s_sub_i32 s12, s3, s7
	s_min_u32 s12, s12, 8
	v_bfe_u32 v20, v20, 0, s12
	s_add_i32 s12, s2, 24
	s_cmp_le_u32 s3, s12
	v_lshl_or_b32 v20, v20, 4, v2
	ds_add_u32 v20, v19 offset:8192
	s_cbranch_scc1 .LBB989_284
; %bb.283:
	v_lshrrev_b32_e32 v18, s12, v18
	s_sub_i32 s12, s3, s12
	v_mov_b32_e32 v20, 1
	s_min_u32 s12, s12, 8
	v_bfe_u32 v18, v18, 0, s12
	v_lshl_or_b32 v18, v18, 4, v2
	ds_add_u32 v18, v20 offset:12288
.LBB989_284:
	v_lshrrev_b32_e32 v18, s1, v16
	v_lshl_or_b32 v17, v17, 4, v2
	s_andn2_b32 vcc_lo, exec_lo, s9
	v_and_b32_e32 v18, s8, v18
	v_lshl_or_b32 v18, v18, 4, v2
	ds_add_u32 v17, v19
	ds_add_u32 v18, v19 offset:4096
	s_cbranch_vccnz .LBB989_287
; %bb.285:
	v_lshrrev_b32_e32 v17, s7, v16
	s_sub_i32 s7, s3, s7
	v_mov_b32_e32 v18, 1
	s_min_u32 s7, s7, 8
                                        ; implicit-def: $vgpr19
	v_bfe_u32 v17, v17, 0, s7
	s_add_i32 s7, s2, 24
	s_cmp_gt_u32 s3, s7
	v_lshl_or_b32 v17, v17, 4, v2
	ds_add_u32 v17, v18 offset:8192
	s_cbranch_scc0 .LBB989_288
; %bb.286:
	v_lshrrev_b32_e32 v16, s7, v16
	s_sub_i32 s6, s3, s7
	s_min_u32 s6, s6, 8
	v_bfe_u32 v16, v16, 0, s6
	s_mov_b32 s6, -1
	v_lshl_add_u32 v19, v16, 4, 0x3000
	s_branch .LBB989_288
.LBB989_287:
                                        ; implicit-def: $vgpr19
.LBB989_288:
	s_and_b32 vcc_lo, exec_lo, s6
	s_cbranch_vccz .LBB989_290
; %bb.289:
	v_lshl_add_u32 v16, v1, 2, v19
	v_mov_b32_e32 v17, 1
	ds_add_u32 v16, v17
.LBB989_290:
	v_xor_b32_e32 v18, 0x7fffffff, v6
	v_mov_b32_e32 v17, 1
	s_and_b32 vcc_lo, exec_lo, s5
	v_lshrrev_b32_e32 v16, s2, v18
	v_and_b32_e32 v16, s4, v16
	v_lshl_or_b32 v16, v16, 4, v2
	ds_add_u32 v16, v17
	v_xor_b32_e32 v16, 0x7fffffff, v5
	v_lshrrev_b32_e32 v17, s2, v16
	v_and_b32_e32 v17, s4, v17
	s_cbranch_vccz .LBB989_292
; %bb.291:
	v_lshlrev_b32_e32 v19, 4, v17
	s_mov_b32 s6, -1
	s_cbranch_execz .LBB989_293
	s_branch .LBB989_300
.LBB989_292:
	s_mov_b32 s6, 0
                                        ; implicit-def: $vgpr19
.LBB989_293:
	s_sub_i32 s7, s3, s1
	v_lshrrev_b32_e32 v19, s1, v18
	s_min_u32 s7, s7, 8
	s_lshl_b32 s7, -1, s7
	s_not_b32 s8, s7
	s_add_i32 s7, s2, 16
	v_and_b32_e32 v19, s8, v19
	s_cmp_gt_u32 s3, s7
	s_cselect_b32 s9, -1, 0
	s_cmp_le_u32 s3, s7
	v_lshl_or_b32 v20, v19, 4, v2
	v_mov_b32_e32 v19, 1
	ds_add_u32 v20, v19 offset:4096
	s_cbranch_scc1 .LBB989_296
; %bb.294:
	v_lshrrev_b32_e32 v20, s7, v18
	s_sub_i32 s12, s3, s7
	s_min_u32 s12, s12, 8
	v_bfe_u32 v20, v20, 0, s12
	s_add_i32 s12, s2, 24
	s_cmp_le_u32 s3, s12
	v_lshl_or_b32 v20, v20, 4, v2
	ds_add_u32 v20, v19 offset:8192
	s_cbranch_scc1 .LBB989_296
; %bb.295:
	v_lshrrev_b32_e32 v18, s12, v18
	s_sub_i32 s12, s3, s12
	v_mov_b32_e32 v20, 1
	s_min_u32 s12, s12, 8
	v_bfe_u32 v18, v18, 0, s12
	v_lshl_or_b32 v18, v18, 4, v2
	ds_add_u32 v18, v20 offset:12288
.LBB989_296:
	v_lshrrev_b32_e32 v18, s1, v16
	v_lshl_or_b32 v17, v17, 4, v2
	s_andn2_b32 vcc_lo, exec_lo, s9
	v_and_b32_e32 v18, s8, v18
	v_lshl_or_b32 v18, v18, 4, v2
	ds_add_u32 v17, v19
	ds_add_u32 v18, v19 offset:4096
	s_cbranch_vccnz .LBB989_299
; %bb.297:
	v_lshrrev_b32_e32 v17, s7, v16
	s_sub_i32 s7, s3, s7
	v_mov_b32_e32 v18, 1
	s_min_u32 s7, s7, 8
                                        ; implicit-def: $vgpr19
	v_bfe_u32 v17, v17, 0, s7
	s_add_i32 s7, s2, 24
	s_cmp_gt_u32 s3, s7
	v_lshl_or_b32 v17, v17, 4, v2
	ds_add_u32 v17, v18 offset:8192
	s_cbranch_scc0 .LBB989_300
; %bb.298:
	v_lshrrev_b32_e32 v16, s7, v16
	s_sub_i32 s6, s3, s7
	s_min_u32 s6, s6, 8
	v_bfe_u32 v16, v16, 0, s6
	s_mov_b32 s6, -1
	v_lshl_add_u32 v19, v16, 4, 0x3000
	s_branch .LBB989_300
.LBB989_299:
                                        ; implicit-def: $vgpr19
.LBB989_300:
	s_and_b32 vcc_lo, exec_lo, s6
	s_cbranch_vccz .LBB989_302
; %bb.301:
	v_lshl_add_u32 v16, v1, 2, v19
	v_mov_b32_e32 v17, 1
	ds_add_u32 v16, v17
.LBB989_302:
	v_xor_b32_e32 v18, 0x7fffffff, v3
	v_mov_b32_e32 v17, 1
	s_and_b32 vcc_lo, exec_lo, s5
	v_lshrrev_b32_e32 v16, s2, v18
	v_and_b32_e32 v16, s4, v16
	v_lshl_or_b32 v16, v16, 4, v2
	ds_add_u32 v16, v17
	v_xor_b32_e32 v16, 0x7fffffff, v4
	v_lshrrev_b32_e32 v17, s2, v16
	v_and_b32_e32 v17, s4, v17
	s_cbranch_vccz .LBB989_304
; %bb.303:
	v_lshlrev_b32_e32 v19, 4, v17
	s_mov_b32 s4, -1
	s_cbranch_execz .LBB989_305
	s_branch .LBB989_312
.LBB989_304:
	s_mov_b32 s4, 0
                                        ; implicit-def: $vgpr19
.LBB989_305:
	s_sub_i32 s5, s3, s1
	v_lshrrev_b32_e32 v19, s1, v18
	s_min_u32 s5, s5, 8
	s_lshl_b32 s5, -1, s5
	s_not_b32 s6, s5
	s_add_i32 s5, s2, 16
	v_and_b32_e32 v19, s6, v19
	s_cmp_gt_u32 s3, s5
	s_cselect_b32 s7, -1, 0
	s_cmp_le_u32 s3, s5
	v_lshl_or_b32 v20, v19, 4, v2
	v_mov_b32_e32 v19, 1
	ds_add_u32 v20, v19 offset:4096
	s_cbranch_scc1 .LBB989_308
; %bb.306:
	v_lshrrev_b32_e32 v20, s5, v18
	s_sub_i32 s8, s3, s5
	s_min_u32 s8, s8, 8
	v_bfe_u32 v20, v20, 0, s8
	s_add_i32 s8, s2, 24
	s_cmp_le_u32 s3, s8
	v_lshl_or_b32 v20, v20, 4, v2
	ds_add_u32 v20, v19 offset:8192
	s_cbranch_scc1 .LBB989_308
; %bb.307:
	v_lshrrev_b32_e32 v18, s8, v18
	s_sub_i32 s8, s3, s8
	v_mov_b32_e32 v20, 1
	s_min_u32 s8, s8, 8
	v_bfe_u32 v18, v18, 0, s8
	v_lshl_or_b32 v18, v18, 4, v2
	ds_add_u32 v18, v20 offset:12288
.LBB989_308:
	v_lshrrev_b32_e32 v18, s1, v16
	v_lshl_or_b32 v17, v17, 4, v2
	s_andn2_b32 vcc_lo, exec_lo, s7
	v_and_b32_e32 v18, s6, v18
	v_lshl_or_b32 v18, v18, 4, v2
	ds_add_u32 v17, v19
	ds_add_u32 v18, v19 offset:4096
	s_cbranch_vccnz .LBB989_311
; %bb.309:
	v_lshrrev_b32_e32 v17, s5, v16
	s_sub_i32 s1, s3, s5
                                        ; implicit-def: $vgpr19
	s_min_u32 s1, s1, 8
	v_bfe_u32 v17, v17, 0, s1
	s_add_i32 s1, s2, 24
	s_cmp_gt_u32 s3, s1
	v_lshl_or_b32 v2, v17, 4, v2
	v_mov_b32_e32 v17, 1
	ds_add_u32 v2, v17 offset:8192
	s_cbranch_scc0 .LBB989_312
; %bb.310:
	v_lshrrev_b32_e32 v2, s1, v16
	s_sub_i32 s1, s3, s1
	s_mov_b32 s4, -1
	s_min_u32 s1, s1, 8
	v_bfe_u32 v2, v2, 0, s1
	v_lshl_add_u32 v19, v2, 4, 0x3000
	s_branch .LBB989_312
.LBB989_311:
                                        ; implicit-def: $vgpr19
.LBB989_312:
	s_and_b32 vcc_lo, exec_lo, s4
	s_cbranch_vccz .LBB989_314
; %bb.313:
	v_lshl_add_u32 v1, v1, 2, v19
	v_mov_b32_e32 v2, 1
	ds_add_u32 v1, v2
.LBB989_314:
	s_and_b32 vcc_lo, exec_lo, s0
	s_waitcnt lgkmcnt(0)
	s_barrier
	buffer_gl0_inv
	s_cbranch_vccz .LBB989_319
; %bb.315:
	v_lshlrev_b32_e32 v16, 4, v0
	v_mov_b32_e32 v2, 0
	v_mov_b32_e32 v1, v0
	v_cmp_gt_u32_e32 vcc_lo, 0x100, v0
	s_inst_prefetch 0x1
	s_branch .LBB989_317
	.p2align	6
.LBB989_316:                            ;   in Loop: Header=BB989_317 Depth=1
	s_or_b32 exec_lo, exec_lo, s1
	v_add_nc_u32_e32 v1, 0x100, v1
	v_add_nc_u32_e32 v16, 0x1000, v16
	s_add_i32 s2, s2, 8
	s_cmp_ge_u32 s2, s3
	s_cbranch_scc1 .LBB989_319
.LBB989_317:                            ; =>This Inner Loop Header: Depth=1
	s_and_saveexec_b32 s1, vcc_lo
	s_cbranch_execz .LBB989_316
; %bb.318:                              ;   in Loop: Header=BB989_317 Depth=1
	ds_read2_b32 v[17:18], v16 offset1:1
	ds_read2_b32 v[19:20], v16 offset0:2 offset1:3
	s_waitcnt lgkmcnt(1)
	v_add_nc_u32_e32 v21, v18, v17
	v_lshlrev_b64 v[17:18], 2, v[1:2]
	s_waitcnt lgkmcnt(0)
	v_add3_u32 v19, v21, v19, v20
	v_add_co_u32 v17, s0, s10, v17
	v_add_co_ci_u32_e64 v18, null, s11, v18, s0
	global_atomic_add v[17:18], v19, off
	s_branch .LBB989_316
.LBB989_319:
	s_inst_prefetch 0x2
	s_mov_b32 s0, 0
.LBB989_320:
	s_and_b32 vcc_lo, exec_lo, s0
	s_cbranch_vccz .LBB989_325
; %bb.321:
	v_lshlrev_b32_e32 v1, 2, v0
	v_mov_b32_e32 v2, 0
	s_mov_b32 s0, 0
.LBB989_322:                            ; =>This Inner Loop Header: Depth=1
	v_add_nc_u32_e32 v15, 0x400, v15
	ds_write_b32 v1, v2
	v_add_nc_u32_e32 v1, 0x1000, v1
	v_cmp_lt_u32_e32 vcc_lo, 0xbff, v15
	s_or_b32 s0, vcc_lo, s0
	s_andn2_b32 exec_lo, exec_lo, s0
	s_cbranch_execnz .LBB989_322
; %bb.323:
	s_or_b32 exec_lo, exec_lo, s0
	s_waitcnt vmcnt(3)
	v_xor_b32_e32 v1, 0x7fffffff, v14
	v_xor_b32_e32 v2, 0x7fffffff, v10
	;; [unrolled: 1-line block ×5, first 2 shown]
	v_and_b32_e32 v13, 3, v0
	v_lshlrev_b32_e32 v14, 4, v1
	v_bfe_u32 v15, v1, 8, 8
	v_bfe_u32 v16, v1, 16, 8
	v_mov_b32_e32 v17, 1
	v_lshlrev_b32_e32 v13, 2, v13
	v_lshrrev_b32_e32 v1, 24, v1
	s_waitcnt vmcnt(0) lgkmcnt(0)
	s_waitcnt_vscnt null, 0x0
	s_barrier
	buffer_gl0_inv
	v_and_or_b32 v14, 0xff0, v14, v13
	v_lshl_or_b32 v15, v15, 4, v13
	v_lshl_or_b32 v16, v16, 4, v13
	ds_add_u32 v14, v17
	ds_add_u32 v15, v17 offset:4096
	ds_add_u32 v16, v17 offset:8192
	v_lshlrev_b32_e32 v14, 4, v2
	v_bfe_u32 v15, v2, 8, 8
	v_bfe_u32 v16, v2, 16, 8
	v_lshrrev_b32_e32 v2, 24, v2
	v_lshl_or_b32 v1, v1, 4, v13
	v_and_or_b32 v14, 0xff0, v14, v13
	v_lshl_or_b32 v15, v15, 4, v13
	v_lshl_or_b32 v16, v16, 4, v13
	;; [unrolled: 1-line block ×3, first 2 shown]
	ds_add_u32 v1, v17 offset:12288
	ds_add_u32 v14, v17
	ds_add_u32 v15, v17 offset:4096
	ds_add_u32 v16, v17 offset:8192
	;; [unrolled: 1-line block ×3, first 2 shown]
	v_lshlrev_b32_e32 v1, 4, v10
	v_bfe_u32 v2, v10, 8, 8
	v_bfe_u32 v14, v10, 16, 8
	v_lshrrev_b32_e32 v10, 24, v10
	v_lshlrev_b32_e32 v15, 4, v11
	v_and_or_b32 v1, 0xff0, v1, v13
	v_lshl_or_b32 v2, v2, 4, v13
	v_lshl_or_b32 v14, v14, 4, v13
	;; [unrolled: 1-line block ×3, first 2 shown]
	v_and_or_b32 v15, 0xff0, v15, v13
	ds_add_u32 v1, v17
	ds_add_u32 v2, v17 offset:4096
	ds_add_u32 v14, v17 offset:8192
	;; [unrolled: 1-line block ×3, first 2 shown]
	ds_add_u32 v15, v17
	v_bfe_u32 v1, v11, 8, 8
	v_bfe_u32 v2, v11, 16, 8
	v_lshrrev_b32_e32 v10, 24, v11
	v_lshlrev_b32_e32 v11, 4, v12
	v_bfe_u32 v14, v12, 8, 8
	v_lshl_or_b32 v1, v1, 4, v13
	v_lshl_or_b32 v2, v2, 4, v13
	v_xor_b32_e32 v7, 0x7fffffff, v7
	v_lshl_or_b32 v10, v10, 4, v13
	v_and_or_b32 v11, 0xff0, v11, v13
	v_lshl_or_b32 v14, v14, 4, v13
	ds_add_u32 v1, v17 offset:4096
	ds_add_u32 v2, v17 offset:8192
	;; [unrolled: 1-line block ×3, first 2 shown]
	ds_add_u32 v11, v17
	ds_add_u32 v14, v17 offset:4096
	v_bfe_u32 v1, v12, 16, 8
	v_lshrrev_b32_e32 v2, 24, v12
	v_lshlrev_b32_e32 v10, 4, v7
	v_bfe_u32 v11, v7, 8, 8
	v_bfe_u32 v12, v7, 16, 8
	v_lshl_or_b32 v1, v1, 4, v13
	v_xor_b32_e32 v8, 0x7fffffff, v8
	v_lshl_or_b32 v2, v2, 4, v13
	v_and_or_b32 v10, 0xff0, v10, v13
	v_lshl_or_b32 v11, v11, 4, v13
	v_lshl_or_b32 v12, v12, 4, v13
	ds_add_u32 v1, v17 offset:8192
	ds_add_u32 v2, v17 offset:12288
	ds_add_u32 v10, v17
	ds_add_u32 v11, v17 offset:4096
	ds_add_u32 v12, v17 offset:8192
	v_lshrrev_b32_e32 v1, 24, v7
	v_lshlrev_b32_e32 v2, 4, v8
	v_bfe_u32 v7, v8, 8, 8
	v_bfe_u32 v10, v8, 16, 8
	v_lshrrev_b32_e32 v8, 24, v8
	v_xor_b32_e32 v9, 0x7fffffff, v9
	v_lshl_or_b32 v1, v1, 4, v13
	v_and_or_b32 v2, 0xff0, v2, v13
	v_lshl_or_b32 v7, v7, 4, v13
	v_lshl_or_b32 v10, v10, 4, v13
	v_xor_b32_e32 v6, 0x7fffffff, v6
	v_lshl_or_b32 v8, v8, 4, v13
	ds_add_u32 v1, v17 offset:12288
	ds_add_u32 v2, v17
	ds_add_u32 v7, v17 offset:4096
	ds_add_u32 v10, v17 offset:8192
	ds_add_u32 v8, v17 offset:12288
	v_lshlrev_b32_e32 v1, 4, v9
	v_bfe_u32 v2, v9, 8, 8
	v_bfe_u32 v7, v9, 16, 8
	v_lshrrev_b32_e32 v8, 24, v9
	v_lshlrev_b32_e32 v9, 4, v6
	v_and_or_b32 v1, 0xff0, v1, v13
	v_lshl_or_b32 v2, v2, 4, v13
	v_lshl_or_b32 v7, v7, 4, v13
	v_xor_b32_e32 v5, 0x7fffffff, v5
	v_lshl_or_b32 v8, v8, 4, v13
	v_and_or_b32 v9, 0xff0, v9, v13
	ds_add_u32 v1, v17
	ds_add_u32 v2, v17 offset:4096
	ds_add_u32 v7, v17 offset:8192
	;; [unrolled: 1-line block ×3, first 2 shown]
	ds_add_u32 v9, v17
	v_bfe_u32 v1, v6, 8, 8
	v_bfe_u32 v2, v6, 16, 8
	v_lshrrev_b32_e32 v6, 24, v6
	v_lshlrev_b32_e32 v7, 4, v5
	v_bfe_u32 v8, v5, 8, 8
	v_lshl_or_b32 v1, v1, 4, v13
	v_lshl_or_b32 v2, v2, 4, v13
	v_xor_b32_e32 v3, 0x7fffffff, v3
	v_lshl_or_b32 v6, v6, 4, v13
	v_and_or_b32 v7, 0xff0, v7, v13
	v_lshl_or_b32 v8, v8, 4, v13
	ds_add_u32 v1, v17 offset:4096
	ds_add_u32 v2, v17 offset:8192
	;; [unrolled: 1-line block ×3, first 2 shown]
	ds_add_u32 v7, v17
	ds_add_u32 v8, v17 offset:4096
	v_bfe_u32 v1, v5, 16, 8
	v_lshrrev_b32_e32 v2, 24, v5
	v_lshlrev_b32_e32 v5, 4, v3
	v_bfe_u32 v6, v3, 8, 8
	v_bfe_u32 v7, v3, 16, 8
	v_lshl_or_b32 v1, v1, 4, v13
	v_xor_b32_e32 v4, 0x7fffffff, v4
	v_lshl_or_b32 v2, v2, 4, v13
	v_and_or_b32 v5, 0xff0, v5, v13
	v_lshl_or_b32 v6, v6, 4, v13
	v_lshl_or_b32 v7, v7, 4, v13
	ds_add_u32 v1, v17 offset:8192
	ds_add_u32 v2, v17 offset:12288
	ds_add_u32 v5, v17
	ds_add_u32 v6, v17 offset:4096
	ds_add_u32 v7, v17 offset:8192
	v_lshrrev_b32_e32 v1, 24, v3
	v_lshlrev_b32_e32 v2, 4, v4
	v_bfe_u32 v3, v4, 8, 8
	v_bfe_u32 v5, v4, 16, 8
	v_lshrrev_b32_e32 v4, 24, v4
	v_lshl_or_b32 v1, v1, 4, v13
	v_and_or_b32 v2, 0xff0, v2, v13
	v_lshl_or_b32 v3, v3, 4, v13
	v_lshl_or_b32 v5, v5, 4, v13
	;; [unrolled: 1-line block ×3, first 2 shown]
	ds_add_u32 v1, v17 offset:12288
	ds_add_u32 v2, v17
	ds_add_u32 v3, v17 offset:4096
	ds_add_u32 v5, v17 offset:8192
	;; [unrolled: 1-line block ×3, first 2 shown]
	s_waitcnt lgkmcnt(0)
	s_barrier
	buffer_gl0_inv
	s_mov_b32 s0, exec_lo
	v_cmpx_gt_u32_e32 0x100, v0
	s_cbranch_execz .LBB989_325
; %bb.324:
	v_lshlrev_b32_e32 v5, 4, v0
	v_lshlrev_b32_e32 v6, 2, v0
	ds_read2_b32 v[1:2], v5 offset1:1
	ds_read2_b32 v[3:4], v5 offset0:2 offset1:3
	s_waitcnt lgkmcnt(1)
	v_add_nc_u32_e32 v1, v2, v1
	v_add_nc_u32_e32 v2, 0x1008, v5
	s_waitcnt lgkmcnt(0)
	v_add3_u32 v0, v1, v3, v4
	v_add_nc_u32_e32 v1, 0x1000, v5
	v_add_co_u32 v4, s0, s10, v6
	global_atomic_add v6, v0, s[10:11]
	ds_read2_b32 v[0:1], v1 offset1:1
	ds_read2_b32 v[2:3], v2 offset1:1
	s_waitcnt lgkmcnt(1)
	v_add_nc_u32_e32 v0, v1, v0
	v_add_nc_u32_e32 v1, 0x2000, v5
	s_waitcnt lgkmcnt(0)
	v_add3_u32 v0, v0, v2, v3
	v_add_nc_u32_e32 v2, 0x2008, v5
	global_atomic_add v6, v0, s[10:11] offset:1024
	ds_read2_b32 v[0:1], v1 offset1:1
	ds_read2_b32 v[2:3], v2 offset1:1
	v_add_co_ci_u32_e64 v6, null, s11, 0, s0
	s_waitcnt lgkmcnt(1)
	v_add_nc_u32_e32 v7, v1, v0
	v_add_co_u32 v0, vcc_lo, 0x800, v4
	v_add_co_ci_u32_e64 v1, null, 0, v6, vcc_lo
	s_waitcnt lgkmcnt(0)
	v_add3_u32 v2, v7, v2, v3
	v_add_nc_u32_e32 v3, 0x3000, v5
	v_add_nc_u32_e32 v4, 0x3008, v5
	global_atomic_add v[0:1], v2, off
	ds_read2_b32 v[2:3], v3 offset1:1
	ds_read2_b32 v[4:5], v4 offset1:1
	s_waitcnt lgkmcnt(1)
	v_add_nc_u32_e32 v2, v3, v2
	s_waitcnt lgkmcnt(0)
	v_add3_u32 v2, v2, v4, v5
	global_atomic_add v[0:1], v2, off offset:1024
.LBB989_325:
	s_endpgm
	.section	.rodata,"a",@progbits
	.p2align	6, 0x0
	.amdhsa_kernel _ZN7rocprim17ROCPRIM_400000_NS6detail17trampoline_kernelINS0_14default_configENS1_35radix_sort_onesweep_config_selectorIiiEEZNS1_34radix_sort_onesweep_global_offsetsIS3_Lb1EN6thrust23THRUST_200600_302600_NS6detail15normal_iteratorINS8_10device_ptrIiEEEESD_jNS0_19identity_decomposerEEE10hipError_tT1_T2_PT3_SI_jT4_jjP12ihipStream_tbEUlT_E_NS1_11comp_targetILNS1_3genE8ELNS1_11target_archE1030ELNS1_3gpuE2ELNS1_3repE0EEENS1_52radix_sort_onesweep_histogram_config_static_selectorELNS0_4arch9wavefront6targetE0EEEvSG_
		.amdhsa_group_segment_fixed_size 16384
		.amdhsa_private_segment_fixed_size 0
		.amdhsa_kernarg_size 40
		.amdhsa_user_sgpr_count 6
		.amdhsa_user_sgpr_private_segment_buffer 1
		.amdhsa_user_sgpr_dispatch_ptr 0
		.amdhsa_user_sgpr_queue_ptr 0
		.amdhsa_user_sgpr_kernarg_segment_ptr 1
		.amdhsa_user_sgpr_dispatch_id 0
		.amdhsa_user_sgpr_flat_scratch_init 0
		.amdhsa_user_sgpr_private_segment_size 0
		.amdhsa_wavefront_size32 1
		.amdhsa_uses_dynamic_stack 0
		.amdhsa_system_sgpr_private_segment_wavefront_offset 0
		.amdhsa_system_sgpr_workgroup_id_x 1
		.amdhsa_system_sgpr_workgroup_id_y 0
		.amdhsa_system_sgpr_workgroup_id_z 0
		.amdhsa_system_sgpr_workgroup_info 0
		.amdhsa_system_vgpr_workitem_id 0
		.amdhsa_next_free_vgpr 28
		.amdhsa_next_free_sgpr 14
		.amdhsa_reserve_vcc 1
		.amdhsa_reserve_flat_scratch 0
		.amdhsa_float_round_mode_32 0
		.amdhsa_float_round_mode_16_64 0
		.amdhsa_float_denorm_mode_32 3
		.amdhsa_float_denorm_mode_16_64 3
		.amdhsa_dx10_clamp 1
		.amdhsa_ieee_mode 1
		.amdhsa_fp16_overflow 0
		.amdhsa_workgroup_processor_mode 1
		.amdhsa_memory_ordered 1
		.amdhsa_forward_progress 1
		.amdhsa_shared_vgpr_count 0
		.amdhsa_exception_fp_ieee_invalid_op 0
		.amdhsa_exception_fp_denorm_src 0
		.amdhsa_exception_fp_ieee_div_zero 0
		.amdhsa_exception_fp_ieee_overflow 0
		.amdhsa_exception_fp_ieee_underflow 0
		.amdhsa_exception_fp_ieee_inexact 0
		.amdhsa_exception_int_div_zero 0
	.end_amdhsa_kernel
	.section	.text._ZN7rocprim17ROCPRIM_400000_NS6detail17trampoline_kernelINS0_14default_configENS1_35radix_sort_onesweep_config_selectorIiiEEZNS1_34radix_sort_onesweep_global_offsetsIS3_Lb1EN6thrust23THRUST_200600_302600_NS6detail15normal_iteratorINS8_10device_ptrIiEEEESD_jNS0_19identity_decomposerEEE10hipError_tT1_T2_PT3_SI_jT4_jjP12ihipStream_tbEUlT_E_NS1_11comp_targetILNS1_3genE8ELNS1_11target_archE1030ELNS1_3gpuE2ELNS1_3repE0EEENS1_52radix_sort_onesweep_histogram_config_static_selectorELNS0_4arch9wavefront6targetE0EEEvSG_,"axG",@progbits,_ZN7rocprim17ROCPRIM_400000_NS6detail17trampoline_kernelINS0_14default_configENS1_35radix_sort_onesweep_config_selectorIiiEEZNS1_34radix_sort_onesweep_global_offsetsIS3_Lb1EN6thrust23THRUST_200600_302600_NS6detail15normal_iteratorINS8_10device_ptrIiEEEESD_jNS0_19identity_decomposerEEE10hipError_tT1_T2_PT3_SI_jT4_jjP12ihipStream_tbEUlT_E_NS1_11comp_targetILNS1_3genE8ELNS1_11target_archE1030ELNS1_3gpuE2ELNS1_3repE0EEENS1_52radix_sort_onesweep_histogram_config_static_selectorELNS0_4arch9wavefront6targetE0EEEvSG_,comdat
.Lfunc_end989:
	.size	_ZN7rocprim17ROCPRIM_400000_NS6detail17trampoline_kernelINS0_14default_configENS1_35radix_sort_onesweep_config_selectorIiiEEZNS1_34radix_sort_onesweep_global_offsetsIS3_Lb1EN6thrust23THRUST_200600_302600_NS6detail15normal_iteratorINS8_10device_ptrIiEEEESD_jNS0_19identity_decomposerEEE10hipError_tT1_T2_PT3_SI_jT4_jjP12ihipStream_tbEUlT_E_NS1_11comp_targetILNS1_3genE8ELNS1_11target_archE1030ELNS1_3gpuE2ELNS1_3repE0EEENS1_52radix_sort_onesweep_histogram_config_static_selectorELNS0_4arch9wavefront6targetE0EEEvSG_, .Lfunc_end989-_ZN7rocprim17ROCPRIM_400000_NS6detail17trampoline_kernelINS0_14default_configENS1_35radix_sort_onesweep_config_selectorIiiEEZNS1_34radix_sort_onesweep_global_offsetsIS3_Lb1EN6thrust23THRUST_200600_302600_NS6detail15normal_iteratorINS8_10device_ptrIiEEEESD_jNS0_19identity_decomposerEEE10hipError_tT1_T2_PT3_SI_jT4_jjP12ihipStream_tbEUlT_E_NS1_11comp_targetILNS1_3genE8ELNS1_11target_archE1030ELNS1_3gpuE2ELNS1_3repE0EEENS1_52radix_sort_onesweep_histogram_config_static_selectorELNS0_4arch9wavefront6targetE0EEEvSG_
                                        ; -- End function
	.set _ZN7rocprim17ROCPRIM_400000_NS6detail17trampoline_kernelINS0_14default_configENS1_35radix_sort_onesweep_config_selectorIiiEEZNS1_34radix_sort_onesweep_global_offsetsIS3_Lb1EN6thrust23THRUST_200600_302600_NS6detail15normal_iteratorINS8_10device_ptrIiEEEESD_jNS0_19identity_decomposerEEE10hipError_tT1_T2_PT3_SI_jT4_jjP12ihipStream_tbEUlT_E_NS1_11comp_targetILNS1_3genE8ELNS1_11target_archE1030ELNS1_3gpuE2ELNS1_3repE0EEENS1_52radix_sort_onesweep_histogram_config_static_selectorELNS0_4arch9wavefront6targetE0EEEvSG_.num_vgpr, 28
	.set _ZN7rocprim17ROCPRIM_400000_NS6detail17trampoline_kernelINS0_14default_configENS1_35radix_sort_onesweep_config_selectorIiiEEZNS1_34radix_sort_onesweep_global_offsetsIS3_Lb1EN6thrust23THRUST_200600_302600_NS6detail15normal_iteratorINS8_10device_ptrIiEEEESD_jNS0_19identity_decomposerEEE10hipError_tT1_T2_PT3_SI_jT4_jjP12ihipStream_tbEUlT_E_NS1_11comp_targetILNS1_3genE8ELNS1_11target_archE1030ELNS1_3gpuE2ELNS1_3repE0EEENS1_52radix_sort_onesweep_histogram_config_static_selectorELNS0_4arch9wavefront6targetE0EEEvSG_.num_agpr, 0
	.set _ZN7rocprim17ROCPRIM_400000_NS6detail17trampoline_kernelINS0_14default_configENS1_35radix_sort_onesweep_config_selectorIiiEEZNS1_34radix_sort_onesweep_global_offsetsIS3_Lb1EN6thrust23THRUST_200600_302600_NS6detail15normal_iteratorINS8_10device_ptrIiEEEESD_jNS0_19identity_decomposerEEE10hipError_tT1_T2_PT3_SI_jT4_jjP12ihipStream_tbEUlT_E_NS1_11comp_targetILNS1_3genE8ELNS1_11target_archE1030ELNS1_3gpuE2ELNS1_3repE0EEENS1_52radix_sort_onesweep_histogram_config_static_selectorELNS0_4arch9wavefront6targetE0EEEvSG_.numbered_sgpr, 14
	.set _ZN7rocprim17ROCPRIM_400000_NS6detail17trampoline_kernelINS0_14default_configENS1_35radix_sort_onesweep_config_selectorIiiEEZNS1_34radix_sort_onesweep_global_offsetsIS3_Lb1EN6thrust23THRUST_200600_302600_NS6detail15normal_iteratorINS8_10device_ptrIiEEEESD_jNS0_19identity_decomposerEEE10hipError_tT1_T2_PT3_SI_jT4_jjP12ihipStream_tbEUlT_E_NS1_11comp_targetILNS1_3genE8ELNS1_11target_archE1030ELNS1_3gpuE2ELNS1_3repE0EEENS1_52radix_sort_onesweep_histogram_config_static_selectorELNS0_4arch9wavefront6targetE0EEEvSG_.num_named_barrier, 0
	.set _ZN7rocprim17ROCPRIM_400000_NS6detail17trampoline_kernelINS0_14default_configENS1_35radix_sort_onesweep_config_selectorIiiEEZNS1_34radix_sort_onesweep_global_offsetsIS3_Lb1EN6thrust23THRUST_200600_302600_NS6detail15normal_iteratorINS8_10device_ptrIiEEEESD_jNS0_19identity_decomposerEEE10hipError_tT1_T2_PT3_SI_jT4_jjP12ihipStream_tbEUlT_E_NS1_11comp_targetILNS1_3genE8ELNS1_11target_archE1030ELNS1_3gpuE2ELNS1_3repE0EEENS1_52radix_sort_onesweep_histogram_config_static_selectorELNS0_4arch9wavefront6targetE0EEEvSG_.private_seg_size, 0
	.set _ZN7rocprim17ROCPRIM_400000_NS6detail17trampoline_kernelINS0_14default_configENS1_35radix_sort_onesweep_config_selectorIiiEEZNS1_34radix_sort_onesweep_global_offsetsIS3_Lb1EN6thrust23THRUST_200600_302600_NS6detail15normal_iteratorINS8_10device_ptrIiEEEESD_jNS0_19identity_decomposerEEE10hipError_tT1_T2_PT3_SI_jT4_jjP12ihipStream_tbEUlT_E_NS1_11comp_targetILNS1_3genE8ELNS1_11target_archE1030ELNS1_3gpuE2ELNS1_3repE0EEENS1_52radix_sort_onesweep_histogram_config_static_selectorELNS0_4arch9wavefront6targetE0EEEvSG_.uses_vcc, 1
	.set _ZN7rocprim17ROCPRIM_400000_NS6detail17trampoline_kernelINS0_14default_configENS1_35radix_sort_onesweep_config_selectorIiiEEZNS1_34radix_sort_onesweep_global_offsetsIS3_Lb1EN6thrust23THRUST_200600_302600_NS6detail15normal_iteratorINS8_10device_ptrIiEEEESD_jNS0_19identity_decomposerEEE10hipError_tT1_T2_PT3_SI_jT4_jjP12ihipStream_tbEUlT_E_NS1_11comp_targetILNS1_3genE8ELNS1_11target_archE1030ELNS1_3gpuE2ELNS1_3repE0EEENS1_52radix_sort_onesweep_histogram_config_static_selectorELNS0_4arch9wavefront6targetE0EEEvSG_.uses_flat_scratch, 0
	.set _ZN7rocprim17ROCPRIM_400000_NS6detail17trampoline_kernelINS0_14default_configENS1_35radix_sort_onesweep_config_selectorIiiEEZNS1_34radix_sort_onesweep_global_offsetsIS3_Lb1EN6thrust23THRUST_200600_302600_NS6detail15normal_iteratorINS8_10device_ptrIiEEEESD_jNS0_19identity_decomposerEEE10hipError_tT1_T2_PT3_SI_jT4_jjP12ihipStream_tbEUlT_E_NS1_11comp_targetILNS1_3genE8ELNS1_11target_archE1030ELNS1_3gpuE2ELNS1_3repE0EEENS1_52radix_sort_onesweep_histogram_config_static_selectorELNS0_4arch9wavefront6targetE0EEEvSG_.has_dyn_sized_stack, 0
	.set _ZN7rocprim17ROCPRIM_400000_NS6detail17trampoline_kernelINS0_14default_configENS1_35radix_sort_onesweep_config_selectorIiiEEZNS1_34radix_sort_onesweep_global_offsetsIS3_Lb1EN6thrust23THRUST_200600_302600_NS6detail15normal_iteratorINS8_10device_ptrIiEEEESD_jNS0_19identity_decomposerEEE10hipError_tT1_T2_PT3_SI_jT4_jjP12ihipStream_tbEUlT_E_NS1_11comp_targetILNS1_3genE8ELNS1_11target_archE1030ELNS1_3gpuE2ELNS1_3repE0EEENS1_52radix_sort_onesweep_histogram_config_static_selectorELNS0_4arch9wavefront6targetE0EEEvSG_.has_recursion, 0
	.set _ZN7rocprim17ROCPRIM_400000_NS6detail17trampoline_kernelINS0_14default_configENS1_35radix_sort_onesweep_config_selectorIiiEEZNS1_34radix_sort_onesweep_global_offsetsIS3_Lb1EN6thrust23THRUST_200600_302600_NS6detail15normal_iteratorINS8_10device_ptrIiEEEESD_jNS0_19identity_decomposerEEE10hipError_tT1_T2_PT3_SI_jT4_jjP12ihipStream_tbEUlT_E_NS1_11comp_targetILNS1_3genE8ELNS1_11target_archE1030ELNS1_3gpuE2ELNS1_3repE0EEENS1_52radix_sort_onesweep_histogram_config_static_selectorELNS0_4arch9wavefront6targetE0EEEvSG_.has_indirect_call, 0
	.section	.AMDGPU.csdata,"",@progbits
; Kernel info:
; codeLenInByte = 10944
; TotalNumSgprs: 16
; NumVgprs: 28
; ScratchSize: 0
; MemoryBound: 0
; FloatMode: 240
; IeeeMode: 1
; LDSByteSize: 16384 bytes/workgroup (compile time only)
; SGPRBlocks: 0
; VGPRBlocks: 3
; NumSGPRsForWavesPerEU: 16
; NumVGPRsForWavesPerEU: 28
; Occupancy: 16
; WaveLimiterHint : 1
; COMPUTE_PGM_RSRC2:SCRATCH_EN: 0
; COMPUTE_PGM_RSRC2:USER_SGPR: 6
; COMPUTE_PGM_RSRC2:TRAP_HANDLER: 0
; COMPUTE_PGM_RSRC2:TGID_X_EN: 1
; COMPUTE_PGM_RSRC2:TGID_Y_EN: 0
; COMPUTE_PGM_RSRC2:TGID_Z_EN: 0
; COMPUTE_PGM_RSRC2:TIDIG_COMP_CNT: 0
	.section	.text._ZN7rocprim17ROCPRIM_400000_NS6detail17trampoline_kernelINS0_14default_configENS1_35radix_sort_onesweep_config_selectorIiiEEZNS1_34radix_sort_onesweep_global_offsetsIS3_Lb1EN6thrust23THRUST_200600_302600_NS6detail15normal_iteratorINS8_10device_ptrIiEEEESD_jNS0_19identity_decomposerEEE10hipError_tT1_T2_PT3_SI_jT4_jjP12ihipStream_tbEUlT_E0_NS1_11comp_targetILNS1_3genE0ELNS1_11target_archE4294967295ELNS1_3gpuE0ELNS1_3repE0EEENS1_52radix_sort_onesweep_histogram_config_static_selectorELNS0_4arch9wavefront6targetE0EEEvSG_,"axG",@progbits,_ZN7rocprim17ROCPRIM_400000_NS6detail17trampoline_kernelINS0_14default_configENS1_35radix_sort_onesweep_config_selectorIiiEEZNS1_34radix_sort_onesweep_global_offsetsIS3_Lb1EN6thrust23THRUST_200600_302600_NS6detail15normal_iteratorINS8_10device_ptrIiEEEESD_jNS0_19identity_decomposerEEE10hipError_tT1_T2_PT3_SI_jT4_jjP12ihipStream_tbEUlT_E0_NS1_11comp_targetILNS1_3genE0ELNS1_11target_archE4294967295ELNS1_3gpuE0ELNS1_3repE0EEENS1_52radix_sort_onesweep_histogram_config_static_selectorELNS0_4arch9wavefront6targetE0EEEvSG_,comdat
	.protected	_ZN7rocprim17ROCPRIM_400000_NS6detail17trampoline_kernelINS0_14default_configENS1_35radix_sort_onesweep_config_selectorIiiEEZNS1_34radix_sort_onesweep_global_offsetsIS3_Lb1EN6thrust23THRUST_200600_302600_NS6detail15normal_iteratorINS8_10device_ptrIiEEEESD_jNS0_19identity_decomposerEEE10hipError_tT1_T2_PT3_SI_jT4_jjP12ihipStream_tbEUlT_E0_NS1_11comp_targetILNS1_3genE0ELNS1_11target_archE4294967295ELNS1_3gpuE0ELNS1_3repE0EEENS1_52radix_sort_onesweep_histogram_config_static_selectorELNS0_4arch9wavefront6targetE0EEEvSG_ ; -- Begin function _ZN7rocprim17ROCPRIM_400000_NS6detail17trampoline_kernelINS0_14default_configENS1_35radix_sort_onesweep_config_selectorIiiEEZNS1_34radix_sort_onesweep_global_offsetsIS3_Lb1EN6thrust23THRUST_200600_302600_NS6detail15normal_iteratorINS8_10device_ptrIiEEEESD_jNS0_19identity_decomposerEEE10hipError_tT1_T2_PT3_SI_jT4_jjP12ihipStream_tbEUlT_E0_NS1_11comp_targetILNS1_3genE0ELNS1_11target_archE4294967295ELNS1_3gpuE0ELNS1_3repE0EEENS1_52radix_sort_onesweep_histogram_config_static_selectorELNS0_4arch9wavefront6targetE0EEEvSG_
	.globl	_ZN7rocprim17ROCPRIM_400000_NS6detail17trampoline_kernelINS0_14default_configENS1_35radix_sort_onesweep_config_selectorIiiEEZNS1_34radix_sort_onesweep_global_offsetsIS3_Lb1EN6thrust23THRUST_200600_302600_NS6detail15normal_iteratorINS8_10device_ptrIiEEEESD_jNS0_19identity_decomposerEEE10hipError_tT1_T2_PT3_SI_jT4_jjP12ihipStream_tbEUlT_E0_NS1_11comp_targetILNS1_3genE0ELNS1_11target_archE4294967295ELNS1_3gpuE0ELNS1_3repE0EEENS1_52radix_sort_onesweep_histogram_config_static_selectorELNS0_4arch9wavefront6targetE0EEEvSG_
	.p2align	8
	.type	_ZN7rocprim17ROCPRIM_400000_NS6detail17trampoline_kernelINS0_14default_configENS1_35radix_sort_onesweep_config_selectorIiiEEZNS1_34radix_sort_onesweep_global_offsetsIS3_Lb1EN6thrust23THRUST_200600_302600_NS6detail15normal_iteratorINS8_10device_ptrIiEEEESD_jNS0_19identity_decomposerEEE10hipError_tT1_T2_PT3_SI_jT4_jjP12ihipStream_tbEUlT_E0_NS1_11comp_targetILNS1_3genE0ELNS1_11target_archE4294967295ELNS1_3gpuE0ELNS1_3repE0EEENS1_52radix_sort_onesweep_histogram_config_static_selectorELNS0_4arch9wavefront6targetE0EEEvSG_,@function
_ZN7rocprim17ROCPRIM_400000_NS6detail17trampoline_kernelINS0_14default_configENS1_35radix_sort_onesweep_config_selectorIiiEEZNS1_34radix_sort_onesweep_global_offsetsIS3_Lb1EN6thrust23THRUST_200600_302600_NS6detail15normal_iteratorINS8_10device_ptrIiEEEESD_jNS0_19identity_decomposerEEE10hipError_tT1_T2_PT3_SI_jT4_jjP12ihipStream_tbEUlT_E0_NS1_11comp_targetILNS1_3genE0ELNS1_11target_archE4294967295ELNS1_3gpuE0ELNS1_3repE0EEENS1_52radix_sort_onesweep_histogram_config_static_selectorELNS0_4arch9wavefront6targetE0EEEvSG_: ; @_ZN7rocprim17ROCPRIM_400000_NS6detail17trampoline_kernelINS0_14default_configENS1_35radix_sort_onesweep_config_selectorIiiEEZNS1_34radix_sort_onesweep_global_offsetsIS3_Lb1EN6thrust23THRUST_200600_302600_NS6detail15normal_iteratorINS8_10device_ptrIiEEEESD_jNS0_19identity_decomposerEEE10hipError_tT1_T2_PT3_SI_jT4_jjP12ihipStream_tbEUlT_E0_NS1_11comp_targetILNS1_3genE0ELNS1_11target_archE4294967295ELNS1_3gpuE0ELNS1_3repE0EEENS1_52radix_sort_onesweep_histogram_config_static_selectorELNS0_4arch9wavefront6targetE0EEEvSG_
; %bb.0:
	.section	.rodata,"a",@progbits
	.p2align	6, 0x0
	.amdhsa_kernel _ZN7rocprim17ROCPRIM_400000_NS6detail17trampoline_kernelINS0_14default_configENS1_35radix_sort_onesweep_config_selectorIiiEEZNS1_34radix_sort_onesweep_global_offsetsIS3_Lb1EN6thrust23THRUST_200600_302600_NS6detail15normal_iteratorINS8_10device_ptrIiEEEESD_jNS0_19identity_decomposerEEE10hipError_tT1_T2_PT3_SI_jT4_jjP12ihipStream_tbEUlT_E0_NS1_11comp_targetILNS1_3genE0ELNS1_11target_archE4294967295ELNS1_3gpuE0ELNS1_3repE0EEENS1_52radix_sort_onesweep_histogram_config_static_selectorELNS0_4arch9wavefront6targetE0EEEvSG_
		.amdhsa_group_segment_fixed_size 0
		.amdhsa_private_segment_fixed_size 0
		.amdhsa_kernarg_size 8
		.amdhsa_user_sgpr_count 6
		.amdhsa_user_sgpr_private_segment_buffer 1
		.amdhsa_user_sgpr_dispatch_ptr 0
		.amdhsa_user_sgpr_queue_ptr 0
		.amdhsa_user_sgpr_kernarg_segment_ptr 1
		.amdhsa_user_sgpr_dispatch_id 0
		.amdhsa_user_sgpr_flat_scratch_init 0
		.amdhsa_user_sgpr_private_segment_size 0
		.amdhsa_wavefront_size32 1
		.amdhsa_uses_dynamic_stack 0
		.amdhsa_system_sgpr_private_segment_wavefront_offset 0
		.amdhsa_system_sgpr_workgroup_id_x 1
		.amdhsa_system_sgpr_workgroup_id_y 0
		.amdhsa_system_sgpr_workgroup_id_z 0
		.amdhsa_system_sgpr_workgroup_info 0
		.amdhsa_system_vgpr_workitem_id 0
		.amdhsa_next_free_vgpr 1
		.amdhsa_next_free_sgpr 1
		.amdhsa_reserve_vcc 0
		.amdhsa_reserve_flat_scratch 0
		.amdhsa_float_round_mode_32 0
		.amdhsa_float_round_mode_16_64 0
		.amdhsa_float_denorm_mode_32 3
		.amdhsa_float_denorm_mode_16_64 3
		.amdhsa_dx10_clamp 1
		.amdhsa_ieee_mode 1
		.amdhsa_fp16_overflow 0
		.amdhsa_workgroup_processor_mode 1
		.amdhsa_memory_ordered 1
		.amdhsa_forward_progress 1
		.amdhsa_shared_vgpr_count 0
		.amdhsa_exception_fp_ieee_invalid_op 0
		.amdhsa_exception_fp_denorm_src 0
		.amdhsa_exception_fp_ieee_div_zero 0
		.amdhsa_exception_fp_ieee_overflow 0
		.amdhsa_exception_fp_ieee_underflow 0
		.amdhsa_exception_fp_ieee_inexact 0
		.amdhsa_exception_int_div_zero 0
	.end_amdhsa_kernel
	.section	.text._ZN7rocprim17ROCPRIM_400000_NS6detail17trampoline_kernelINS0_14default_configENS1_35radix_sort_onesweep_config_selectorIiiEEZNS1_34radix_sort_onesweep_global_offsetsIS3_Lb1EN6thrust23THRUST_200600_302600_NS6detail15normal_iteratorINS8_10device_ptrIiEEEESD_jNS0_19identity_decomposerEEE10hipError_tT1_T2_PT3_SI_jT4_jjP12ihipStream_tbEUlT_E0_NS1_11comp_targetILNS1_3genE0ELNS1_11target_archE4294967295ELNS1_3gpuE0ELNS1_3repE0EEENS1_52radix_sort_onesweep_histogram_config_static_selectorELNS0_4arch9wavefront6targetE0EEEvSG_,"axG",@progbits,_ZN7rocprim17ROCPRIM_400000_NS6detail17trampoline_kernelINS0_14default_configENS1_35radix_sort_onesweep_config_selectorIiiEEZNS1_34radix_sort_onesweep_global_offsetsIS3_Lb1EN6thrust23THRUST_200600_302600_NS6detail15normal_iteratorINS8_10device_ptrIiEEEESD_jNS0_19identity_decomposerEEE10hipError_tT1_T2_PT3_SI_jT4_jjP12ihipStream_tbEUlT_E0_NS1_11comp_targetILNS1_3genE0ELNS1_11target_archE4294967295ELNS1_3gpuE0ELNS1_3repE0EEENS1_52radix_sort_onesweep_histogram_config_static_selectorELNS0_4arch9wavefront6targetE0EEEvSG_,comdat
.Lfunc_end990:
	.size	_ZN7rocprim17ROCPRIM_400000_NS6detail17trampoline_kernelINS0_14default_configENS1_35radix_sort_onesweep_config_selectorIiiEEZNS1_34radix_sort_onesweep_global_offsetsIS3_Lb1EN6thrust23THRUST_200600_302600_NS6detail15normal_iteratorINS8_10device_ptrIiEEEESD_jNS0_19identity_decomposerEEE10hipError_tT1_T2_PT3_SI_jT4_jjP12ihipStream_tbEUlT_E0_NS1_11comp_targetILNS1_3genE0ELNS1_11target_archE4294967295ELNS1_3gpuE0ELNS1_3repE0EEENS1_52radix_sort_onesweep_histogram_config_static_selectorELNS0_4arch9wavefront6targetE0EEEvSG_, .Lfunc_end990-_ZN7rocprim17ROCPRIM_400000_NS6detail17trampoline_kernelINS0_14default_configENS1_35radix_sort_onesweep_config_selectorIiiEEZNS1_34radix_sort_onesweep_global_offsetsIS3_Lb1EN6thrust23THRUST_200600_302600_NS6detail15normal_iteratorINS8_10device_ptrIiEEEESD_jNS0_19identity_decomposerEEE10hipError_tT1_T2_PT3_SI_jT4_jjP12ihipStream_tbEUlT_E0_NS1_11comp_targetILNS1_3genE0ELNS1_11target_archE4294967295ELNS1_3gpuE0ELNS1_3repE0EEENS1_52radix_sort_onesweep_histogram_config_static_selectorELNS0_4arch9wavefront6targetE0EEEvSG_
                                        ; -- End function
	.set _ZN7rocprim17ROCPRIM_400000_NS6detail17trampoline_kernelINS0_14default_configENS1_35radix_sort_onesweep_config_selectorIiiEEZNS1_34radix_sort_onesweep_global_offsetsIS3_Lb1EN6thrust23THRUST_200600_302600_NS6detail15normal_iteratorINS8_10device_ptrIiEEEESD_jNS0_19identity_decomposerEEE10hipError_tT1_T2_PT3_SI_jT4_jjP12ihipStream_tbEUlT_E0_NS1_11comp_targetILNS1_3genE0ELNS1_11target_archE4294967295ELNS1_3gpuE0ELNS1_3repE0EEENS1_52radix_sort_onesweep_histogram_config_static_selectorELNS0_4arch9wavefront6targetE0EEEvSG_.num_vgpr, 0
	.set _ZN7rocprim17ROCPRIM_400000_NS6detail17trampoline_kernelINS0_14default_configENS1_35radix_sort_onesweep_config_selectorIiiEEZNS1_34radix_sort_onesweep_global_offsetsIS3_Lb1EN6thrust23THRUST_200600_302600_NS6detail15normal_iteratorINS8_10device_ptrIiEEEESD_jNS0_19identity_decomposerEEE10hipError_tT1_T2_PT3_SI_jT4_jjP12ihipStream_tbEUlT_E0_NS1_11comp_targetILNS1_3genE0ELNS1_11target_archE4294967295ELNS1_3gpuE0ELNS1_3repE0EEENS1_52radix_sort_onesweep_histogram_config_static_selectorELNS0_4arch9wavefront6targetE0EEEvSG_.num_agpr, 0
	.set _ZN7rocprim17ROCPRIM_400000_NS6detail17trampoline_kernelINS0_14default_configENS1_35radix_sort_onesweep_config_selectorIiiEEZNS1_34radix_sort_onesweep_global_offsetsIS3_Lb1EN6thrust23THRUST_200600_302600_NS6detail15normal_iteratorINS8_10device_ptrIiEEEESD_jNS0_19identity_decomposerEEE10hipError_tT1_T2_PT3_SI_jT4_jjP12ihipStream_tbEUlT_E0_NS1_11comp_targetILNS1_3genE0ELNS1_11target_archE4294967295ELNS1_3gpuE0ELNS1_3repE0EEENS1_52radix_sort_onesweep_histogram_config_static_selectorELNS0_4arch9wavefront6targetE0EEEvSG_.numbered_sgpr, 0
	.set _ZN7rocprim17ROCPRIM_400000_NS6detail17trampoline_kernelINS0_14default_configENS1_35radix_sort_onesweep_config_selectorIiiEEZNS1_34radix_sort_onesweep_global_offsetsIS3_Lb1EN6thrust23THRUST_200600_302600_NS6detail15normal_iteratorINS8_10device_ptrIiEEEESD_jNS0_19identity_decomposerEEE10hipError_tT1_T2_PT3_SI_jT4_jjP12ihipStream_tbEUlT_E0_NS1_11comp_targetILNS1_3genE0ELNS1_11target_archE4294967295ELNS1_3gpuE0ELNS1_3repE0EEENS1_52radix_sort_onesweep_histogram_config_static_selectorELNS0_4arch9wavefront6targetE0EEEvSG_.num_named_barrier, 0
	.set _ZN7rocprim17ROCPRIM_400000_NS6detail17trampoline_kernelINS0_14default_configENS1_35radix_sort_onesweep_config_selectorIiiEEZNS1_34radix_sort_onesweep_global_offsetsIS3_Lb1EN6thrust23THRUST_200600_302600_NS6detail15normal_iteratorINS8_10device_ptrIiEEEESD_jNS0_19identity_decomposerEEE10hipError_tT1_T2_PT3_SI_jT4_jjP12ihipStream_tbEUlT_E0_NS1_11comp_targetILNS1_3genE0ELNS1_11target_archE4294967295ELNS1_3gpuE0ELNS1_3repE0EEENS1_52radix_sort_onesweep_histogram_config_static_selectorELNS0_4arch9wavefront6targetE0EEEvSG_.private_seg_size, 0
	.set _ZN7rocprim17ROCPRIM_400000_NS6detail17trampoline_kernelINS0_14default_configENS1_35radix_sort_onesweep_config_selectorIiiEEZNS1_34radix_sort_onesweep_global_offsetsIS3_Lb1EN6thrust23THRUST_200600_302600_NS6detail15normal_iteratorINS8_10device_ptrIiEEEESD_jNS0_19identity_decomposerEEE10hipError_tT1_T2_PT3_SI_jT4_jjP12ihipStream_tbEUlT_E0_NS1_11comp_targetILNS1_3genE0ELNS1_11target_archE4294967295ELNS1_3gpuE0ELNS1_3repE0EEENS1_52radix_sort_onesweep_histogram_config_static_selectorELNS0_4arch9wavefront6targetE0EEEvSG_.uses_vcc, 0
	.set _ZN7rocprim17ROCPRIM_400000_NS6detail17trampoline_kernelINS0_14default_configENS1_35radix_sort_onesweep_config_selectorIiiEEZNS1_34radix_sort_onesweep_global_offsetsIS3_Lb1EN6thrust23THRUST_200600_302600_NS6detail15normal_iteratorINS8_10device_ptrIiEEEESD_jNS0_19identity_decomposerEEE10hipError_tT1_T2_PT3_SI_jT4_jjP12ihipStream_tbEUlT_E0_NS1_11comp_targetILNS1_3genE0ELNS1_11target_archE4294967295ELNS1_3gpuE0ELNS1_3repE0EEENS1_52radix_sort_onesweep_histogram_config_static_selectorELNS0_4arch9wavefront6targetE0EEEvSG_.uses_flat_scratch, 0
	.set _ZN7rocprim17ROCPRIM_400000_NS6detail17trampoline_kernelINS0_14default_configENS1_35radix_sort_onesweep_config_selectorIiiEEZNS1_34radix_sort_onesweep_global_offsetsIS3_Lb1EN6thrust23THRUST_200600_302600_NS6detail15normal_iteratorINS8_10device_ptrIiEEEESD_jNS0_19identity_decomposerEEE10hipError_tT1_T2_PT3_SI_jT4_jjP12ihipStream_tbEUlT_E0_NS1_11comp_targetILNS1_3genE0ELNS1_11target_archE4294967295ELNS1_3gpuE0ELNS1_3repE0EEENS1_52radix_sort_onesweep_histogram_config_static_selectorELNS0_4arch9wavefront6targetE0EEEvSG_.has_dyn_sized_stack, 0
	.set _ZN7rocprim17ROCPRIM_400000_NS6detail17trampoline_kernelINS0_14default_configENS1_35radix_sort_onesweep_config_selectorIiiEEZNS1_34radix_sort_onesweep_global_offsetsIS3_Lb1EN6thrust23THRUST_200600_302600_NS6detail15normal_iteratorINS8_10device_ptrIiEEEESD_jNS0_19identity_decomposerEEE10hipError_tT1_T2_PT3_SI_jT4_jjP12ihipStream_tbEUlT_E0_NS1_11comp_targetILNS1_3genE0ELNS1_11target_archE4294967295ELNS1_3gpuE0ELNS1_3repE0EEENS1_52radix_sort_onesweep_histogram_config_static_selectorELNS0_4arch9wavefront6targetE0EEEvSG_.has_recursion, 0
	.set _ZN7rocprim17ROCPRIM_400000_NS6detail17trampoline_kernelINS0_14default_configENS1_35radix_sort_onesweep_config_selectorIiiEEZNS1_34radix_sort_onesweep_global_offsetsIS3_Lb1EN6thrust23THRUST_200600_302600_NS6detail15normal_iteratorINS8_10device_ptrIiEEEESD_jNS0_19identity_decomposerEEE10hipError_tT1_T2_PT3_SI_jT4_jjP12ihipStream_tbEUlT_E0_NS1_11comp_targetILNS1_3genE0ELNS1_11target_archE4294967295ELNS1_3gpuE0ELNS1_3repE0EEENS1_52radix_sort_onesweep_histogram_config_static_selectorELNS0_4arch9wavefront6targetE0EEEvSG_.has_indirect_call, 0
	.section	.AMDGPU.csdata,"",@progbits
; Kernel info:
; codeLenInByte = 0
; TotalNumSgprs: 0
; NumVgprs: 0
; ScratchSize: 0
; MemoryBound: 0
; FloatMode: 240
; IeeeMode: 1
; LDSByteSize: 0 bytes/workgroup (compile time only)
; SGPRBlocks: 0
; VGPRBlocks: 0
; NumSGPRsForWavesPerEU: 1
; NumVGPRsForWavesPerEU: 1
; Occupancy: 16
; WaveLimiterHint : 0
; COMPUTE_PGM_RSRC2:SCRATCH_EN: 0
; COMPUTE_PGM_RSRC2:USER_SGPR: 6
; COMPUTE_PGM_RSRC2:TRAP_HANDLER: 0
; COMPUTE_PGM_RSRC2:TGID_X_EN: 1
; COMPUTE_PGM_RSRC2:TGID_Y_EN: 0
; COMPUTE_PGM_RSRC2:TGID_Z_EN: 0
; COMPUTE_PGM_RSRC2:TIDIG_COMP_CNT: 0
	.section	.text._ZN7rocprim17ROCPRIM_400000_NS6detail17trampoline_kernelINS0_14default_configENS1_35radix_sort_onesweep_config_selectorIiiEEZNS1_34radix_sort_onesweep_global_offsetsIS3_Lb1EN6thrust23THRUST_200600_302600_NS6detail15normal_iteratorINS8_10device_ptrIiEEEESD_jNS0_19identity_decomposerEEE10hipError_tT1_T2_PT3_SI_jT4_jjP12ihipStream_tbEUlT_E0_NS1_11comp_targetILNS1_3genE6ELNS1_11target_archE950ELNS1_3gpuE13ELNS1_3repE0EEENS1_52radix_sort_onesweep_histogram_config_static_selectorELNS0_4arch9wavefront6targetE0EEEvSG_,"axG",@progbits,_ZN7rocprim17ROCPRIM_400000_NS6detail17trampoline_kernelINS0_14default_configENS1_35radix_sort_onesweep_config_selectorIiiEEZNS1_34radix_sort_onesweep_global_offsetsIS3_Lb1EN6thrust23THRUST_200600_302600_NS6detail15normal_iteratorINS8_10device_ptrIiEEEESD_jNS0_19identity_decomposerEEE10hipError_tT1_T2_PT3_SI_jT4_jjP12ihipStream_tbEUlT_E0_NS1_11comp_targetILNS1_3genE6ELNS1_11target_archE950ELNS1_3gpuE13ELNS1_3repE0EEENS1_52radix_sort_onesweep_histogram_config_static_selectorELNS0_4arch9wavefront6targetE0EEEvSG_,comdat
	.protected	_ZN7rocprim17ROCPRIM_400000_NS6detail17trampoline_kernelINS0_14default_configENS1_35radix_sort_onesweep_config_selectorIiiEEZNS1_34radix_sort_onesweep_global_offsetsIS3_Lb1EN6thrust23THRUST_200600_302600_NS6detail15normal_iteratorINS8_10device_ptrIiEEEESD_jNS0_19identity_decomposerEEE10hipError_tT1_T2_PT3_SI_jT4_jjP12ihipStream_tbEUlT_E0_NS1_11comp_targetILNS1_3genE6ELNS1_11target_archE950ELNS1_3gpuE13ELNS1_3repE0EEENS1_52radix_sort_onesweep_histogram_config_static_selectorELNS0_4arch9wavefront6targetE0EEEvSG_ ; -- Begin function _ZN7rocprim17ROCPRIM_400000_NS6detail17trampoline_kernelINS0_14default_configENS1_35radix_sort_onesweep_config_selectorIiiEEZNS1_34radix_sort_onesweep_global_offsetsIS3_Lb1EN6thrust23THRUST_200600_302600_NS6detail15normal_iteratorINS8_10device_ptrIiEEEESD_jNS0_19identity_decomposerEEE10hipError_tT1_T2_PT3_SI_jT4_jjP12ihipStream_tbEUlT_E0_NS1_11comp_targetILNS1_3genE6ELNS1_11target_archE950ELNS1_3gpuE13ELNS1_3repE0EEENS1_52radix_sort_onesweep_histogram_config_static_selectorELNS0_4arch9wavefront6targetE0EEEvSG_
	.globl	_ZN7rocprim17ROCPRIM_400000_NS6detail17trampoline_kernelINS0_14default_configENS1_35radix_sort_onesweep_config_selectorIiiEEZNS1_34radix_sort_onesweep_global_offsetsIS3_Lb1EN6thrust23THRUST_200600_302600_NS6detail15normal_iteratorINS8_10device_ptrIiEEEESD_jNS0_19identity_decomposerEEE10hipError_tT1_T2_PT3_SI_jT4_jjP12ihipStream_tbEUlT_E0_NS1_11comp_targetILNS1_3genE6ELNS1_11target_archE950ELNS1_3gpuE13ELNS1_3repE0EEENS1_52radix_sort_onesweep_histogram_config_static_selectorELNS0_4arch9wavefront6targetE0EEEvSG_
	.p2align	8
	.type	_ZN7rocprim17ROCPRIM_400000_NS6detail17trampoline_kernelINS0_14default_configENS1_35radix_sort_onesweep_config_selectorIiiEEZNS1_34radix_sort_onesweep_global_offsetsIS3_Lb1EN6thrust23THRUST_200600_302600_NS6detail15normal_iteratorINS8_10device_ptrIiEEEESD_jNS0_19identity_decomposerEEE10hipError_tT1_T2_PT3_SI_jT4_jjP12ihipStream_tbEUlT_E0_NS1_11comp_targetILNS1_3genE6ELNS1_11target_archE950ELNS1_3gpuE13ELNS1_3repE0EEENS1_52radix_sort_onesweep_histogram_config_static_selectorELNS0_4arch9wavefront6targetE0EEEvSG_,@function
_ZN7rocprim17ROCPRIM_400000_NS6detail17trampoline_kernelINS0_14default_configENS1_35radix_sort_onesweep_config_selectorIiiEEZNS1_34radix_sort_onesweep_global_offsetsIS3_Lb1EN6thrust23THRUST_200600_302600_NS6detail15normal_iteratorINS8_10device_ptrIiEEEESD_jNS0_19identity_decomposerEEE10hipError_tT1_T2_PT3_SI_jT4_jjP12ihipStream_tbEUlT_E0_NS1_11comp_targetILNS1_3genE6ELNS1_11target_archE950ELNS1_3gpuE13ELNS1_3repE0EEENS1_52radix_sort_onesweep_histogram_config_static_selectorELNS0_4arch9wavefront6targetE0EEEvSG_: ; @_ZN7rocprim17ROCPRIM_400000_NS6detail17trampoline_kernelINS0_14default_configENS1_35radix_sort_onesweep_config_selectorIiiEEZNS1_34radix_sort_onesweep_global_offsetsIS3_Lb1EN6thrust23THRUST_200600_302600_NS6detail15normal_iteratorINS8_10device_ptrIiEEEESD_jNS0_19identity_decomposerEEE10hipError_tT1_T2_PT3_SI_jT4_jjP12ihipStream_tbEUlT_E0_NS1_11comp_targetILNS1_3genE6ELNS1_11target_archE950ELNS1_3gpuE13ELNS1_3repE0EEENS1_52radix_sort_onesweep_histogram_config_static_selectorELNS0_4arch9wavefront6targetE0EEEvSG_
; %bb.0:
	.section	.rodata,"a",@progbits
	.p2align	6, 0x0
	.amdhsa_kernel _ZN7rocprim17ROCPRIM_400000_NS6detail17trampoline_kernelINS0_14default_configENS1_35radix_sort_onesweep_config_selectorIiiEEZNS1_34radix_sort_onesweep_global_offsetsIS3_Lb1EN6thrust23THRUST_200600_302600_NS6detail15normal_iteratorINS8_10device_ptrIiEEEESD_jNS0_19identity_decomposerEEE10hipError_tT1_T2_PT3_SI_jT4_jjP12ihipStream_tbEUlT_E0_NS1_11comp_targetILNS1_3genE6ELNS1_11target_archE950ELNS1_3gpuE13ELNS1_3repE0EEENS1_52radix_sort_onesweep_histogram_config_static_selectorELNS0_4arch9wavefront6targetE0EEEvSG_
		.amdhsa_group_segment_fixed_size 0
		.amdhsa_private_segment_fixed_size 0
		.amdhsa_kernarg_size 8
		.amdhsa_user_sgpr_count 6
		.amdhsa_user_sgpr_private_segment_buffer 1
		.amdhsa_user_sgpr_dispatch_ptr 0
		.amdhsa_user_sgpr_queue_ptr 0
		.amdhsa_user_sgpr_kernarg_segment_ptr 1
		.amdhsa_user_sgpr_dispatch_id 0
		.amdhsa_user_sgpr_flat_scratch_init 0
		.amdhsa_user_sgpr_private_segment_size 0
		.amdhsa_wavefront_size32 1
		.amdhsa_uses_dynamic_stack 0
		.amdhsa_system_sgpr_private_segment_wavefront_offset 0
		.amdhsa_system_sgpr_workgroup_id_x 1
		.amdhsa_system_sgpr_workgroup_id_y 0
		.amdhsa_system_sgpr_workgroup_id_z 0
		.amdhsa_system_sgpr_workgroup_info 0
		.amdhsa_system_vgpr_workitem_id 0
		.amdhsa_next_free_vgpr 1
		.amdhsa_next_free_sgpr 1
		.amdhsa_reserve_vcc 0
		.amdhsa_reserve_flat_scratch 0
		.amdhsa_float_round_mode_32 0
		.amdhsa_float_round_mode_16_64 0
		.amdhsa_float_denorm_mode_32 3
		.amdhsa_float_denorm_mode_16_64 3
		.amdhsa_dx10_clamp 1
		.amdhsa_ieee_mode 1
		.amdhsa_fp16_overflow 0
		.amdhsa_workgroup_processor_mode 1
		.amdhsa_memory_ordered 1
		.amdhsa_forward_progress 1
		.amdhsa_shared_vgpr_count 0
		.amdhsa_exception_fp_ieee_invalid_op 0
		.amdhsa_exception_fp_denorm_src 0
		.amdhsa_exception_fp_ieee_div_zero 0
		.amdhsa_exception_fp_ieee_overflow 0
		.amdhsa_exception_fp_ieee_underflow 0
		.amdhsa_exception_fp_ieee_inexact 0
		.amdhsa_exception_int_div_zero 0
	.end_amdhsa_kernel
	.section	.text._ZN7rocprim17ROCPRIM_400000_NS6detail17trampoline_kernelINS0_14default_configENS1_35radix_sort_onesweep_config_selectorIiiEEZNS1_34radix_sort_onesweep_global_offsetsIS3_Lb1EN6thrust23THRUST_200600_302600_NS6detail15normal_iteratorINS8_10device_ptrIiEEEESD_jNS0_19identity_decomposerEEE10hipError_tT1_T2_PT3_SI_jT4_jjP12ihipStream_tbEUlT_E0_NS1_11comp_targetILNS1_3genE6ELNS1_11target_archE950ELNS1_3gpuE13ELNS1_3repE0EEENS1_52radix_sort_onesweep_histogram_config_static_selectorELNS0_4arch9wavefront6targetE0EEEvSG_,"axG",@progbits,_ZN7rocprim17ROCPRIM_400000_NS6detail17trampoline_kernelINS0_14default_configENS1_35radix_sort_onesweep_config_selectorIiiEEZNS1_34radix_sort_onesweep_global_offsetsIS3_Lb1EN6thrust23THRUST_200600_302600_NS6detail15normal_iteratorINS8_10device_ptrIiEEEESD_jNS0_19identity_decomposerEEE10hipError_tT1_T2_PT3_SI_jT4_jjP12ihipStream_tbEUlT_E0_NS1_11comp_targetILNS1_3genE6ELNS1_11target_archE950ELNS1_3gpuE13ELNS1_3repE0EEENS1_52radix_sort_onesweep_histogram_config_static_selectorELNS0_4arch9wavefront6targetE0EEEvSG_,comdat
.Lfunc_end991:
	.size	_ZN7rocprim17ROCPRIM_400000_NS6detail17trampoline_kernelINS0_14default_configENS1_35radix_sort_onesweep_config_selectorIiiEEZNS1_34radix_sort_onesweep_global_offsetsIS3_Lb1EN6thrust23THRUST_200600_302600_NS6detail15normal_iteratorINS8_10device_ptrIiEEEESD_jNS0_19identity_decomposerEEE10hipError_tT1_T2_PT3_SI_jT4_jjP12ihipStream_tbEUlT_E0_NS1_11comp_targetILNS1_3genE6ELNS1_11target_archE950ELNS1_3gpuE13ELNS1_3repE0EEENS1_52radix_sort_onesweep_histogram_config_static_selectorELNS0_4arch9wavefront6targetE0EEEvSG_, .Lfunc_end991-_ZN7rocprim17ROCPRIM_400000_NS6detail17trampoline_kernelINS0_14default_configENS1_35radix_sort_onesweep_config_selectorIiiEEZNS1_34radix_sort_onesweep_global_offsetsIS3_Lb1EN6thrust23THRUST_200600_302600_NS6detail15normal_iteratorINS8_10device_ptrIiEEEESD_jNS0_19identity_decomposerEEE10hipError_tT1_T2_PT3_SI_jT4_jjP12ihipStream_tbEUlT_E0_NS1_11comp_targetILNS1_3genE6ELNS1_11target_archE950ELNS1_3gpuE13ELNS1_3repE0EEENS1_52radix_sort_onesweep_histogram_config_static_selectorELNS0_4arch9wavefront6targetE0EEEvSG_
                                        ; -- End function
	.set _ZN7rocprim17ROCPRIM_400000_NS6detail17trampoline_kernelINS0_14default_configENS1_35radix_sort_onesweep_config_selectorIiiEEZNS1_34radix_sort_onesweep_global_offsetsIS3_Lb1EN6thrust23THRUST_200600_302600_NS6detail15normal_iteratorINS8_10device_ptrIiEEEESD_jNS0_19identity_decomposerEEE10hipError_tT1_T2_PT3_SI_jT4_jjP12ihipStream_tbEUlT_E0_NS1_11comp_targetILNS1_3genE6ELNS1_11target_archE950ELNS1_3gpuE13ELNS1_3repE0EEENS1_52radix_sort_onesweep_histogram_config_static_selectorELNS0_4arch9wavefront6targetE0EEEvSG_.num_vgpr, 0
	.set _ZN7rocprim17ROCPRIM_400000_NS6detail17trampoline_kernelINS0_14default_configENS1_35radix_sort_onesweep_config_selectorIiiEEZNS1_34radix_sort_onesweep_global_offsetsIS3_Lb1EN6thrust23THRUST_200600_302600_NS6detail15normal_iteratorINS8_10device_ptrIiEEEESD_jNS0_19identity_decomposerEEE10hipError_tT1_T2_PT3_SI_jT4_jjP12ihipStream_tbEUlT_E0_NS1_11comp_targetILNS1_3genE6ELNS1_11target_archE950ELNS1_3gpuE13ELNS1_3repE0EEENS1_52radix_sort_onesweep_histogram_config_static_selectorELNS0_4arch9wavefront6targetE0EEEvSG_.num_agpr, 0
	.set _ZN7rocprim17ROCPRIM_400000_NS6detail17trampoline_kernelINS0_14default_configENS1_35radix_sort_onesweep_config_selectorIiiEEZNS1_34radix_sort_onesweep_global_offsetsIS3_Lb1EN6thrust23THRUST_200600_302600_NS6detail15normal_iteratorINS8_10device_ptrIiEEEESD_jNS0_19identity_decomposerEEE10hipError_tT1_T2_PT3_SI_jT4_jjP12ihipStream_tbEUlT_E0_NS1_11comp_targetILNS1_3genE6ELNS1_11target_archE950ELNS1_3gpuE13ELNS1_3repE0EEENS1_52radix_sort_onesweep_histogram_config_static_selectorELNS0_4arch9wavefront6targetE0EEEvSG_.numbered_sgpr, 0
	.set _ZN7rocprim17ROCPRIM_400000_NS6detail17trampoline_kernelINS0_14default_configENS1_35radix_sort_onesweep_config_selectorIiiEEZNS1_34radix_sort_onesweep_global_offsetsIS3_Lb1EN6thrust23THRUST_200600_302600_NS6detail15normal_iteratorINS8_10device_ptrIiEEEESD_jNS0_19identity_decomposerEEE10hipError_tT1_T2_PT3_SI_jT4_jjP12ihipStream_tbEUlT_E0_NS1_11comp_targetILNS1_3genE6ELNS1_11target_archE950ELNS1_3gpuE13ELNS1_3repE0EEENS1_52radix_sort_onesweep_histogram_config_static_selectorELNS0_4arch9wavefront6targetE0EEEvSG_.num_named_barrier, 0
	.set _ZN7rocprim17ROCPRIM_400000_NS6detail17trampoline_kernelINS0_14default_configENS1_35radix_sort_onesweep_config_selectorIiiEEZNS1_34radix_sort_onesweep_global_offsetsIS3_Lb1EN6thrust23THRUST_200600_302600_NS6detail15normal_iteratorINS8_10device_ptrIiEEEESD_jNS0_19identity_decomposerEEE10hipError_tT1_T2_PT3_SI_jT4_jjP12ihipStream_tbEUlT_E0_NS1_11comp_targetILNS1_3genE6ELNS1_11target_archE950ELNS1_3gpuE13ELNS1_3repE0EEENS1_52radix_sort_onesweep_histogram_config_static_selectorELNS0_4arch9wavefront6targetE0EEEvSG_.private_seg_size, 0
	.set _ZN7rocprim17ROCPRIM_400000_NS6detail17trampoline_kernelINS0_14default_configENS1_35radix_sort_onesweep_config_selectorIiiEEZNS1_34radix_sort_onesweep_global_offsetsIS3_Lb1EN6thrust23THRUST_200600_302600_NS6detail15normal_iteratorINS8_10device_ptrIiEEEESD_jNS0_19identity_decomposerEEE10hipError_tT1_T2_PT3_SI_jT4_jjP12ihipStream_tbEUlT_E0_NS1_11comp_targetILNS1_3genE6ELNS1_11target_archE950ELNS1_3gpuE13ELNS1_3repE0EEENS1_52radix_sort_onesweep_histogram_config_static_selectorELNS0_4arch9wavefront6targetE0EEEvSG_.uses_vcc, 0
	.set _ZN7rocprim17ROCPRIM_400000_NS6detail17trampoline_kernelINS0_14default_configENS1_35radix_sort_onesweep_config_selectorIiiEEZNS1_34radix_sort_onesweep_global_offsetsIS3_Lb1EN6thrust23THRUST_200600_302600_NS6detail15normal_iteratorINS8_10device_ptrIiEEEESD_jNS0_19identity_decomposerEEE10hipError_tT1_T2_PT3_SI_jT4_jjP12ihipStream_tbEUlT_E0_NS1_11comp_targetILNS1_3genE6ELNS1_11target_archE950ELNS1_3gpuE13ELNS1_3repE0EEENS1_52radix_sort_onesweep_histogram_config_static_selectorELNS0_4arch9wavefront6targetE0EEEvSG_.uses_flat_scratch, 0
	.set _ZN7rocprim17ROCPRIM_400000_NS6detail17trampoline_kernelINS0_14default_configENS1_35radix_sort_onesweep_config_selectorIiiEEZNS1_34radix_sort_onesweep_global_offsetsIS3_Lb1EN6thrust23THRUST_200600_302600_NS6detail15normal_iteratorINS8_10device_ptrIiEEEESD_jNS0_19identity_decomposerEEE10hipError_tT1_T2_PT3_SI_jT4_jjP12ihipStream_tbEUlT_E0_NS1_11comp_targetILNS1_3genE6ELNS1_11target_archE950ELNS1_3gpuE13ELNS1_3repE0EEENS1_52radix_sort_onesweep_histogram_config_static_selectorELNS0_4arch9wavefront6targetE0EEEvSG_.has_dyn_sized_stack, 0
	.set _ZN7rocprim17ROCPRIM_400000_NS6detail17trampoline_kernelINS0_14default_configENS1_35radix_sort_onesweep_config_selectorIiiEEZNS1_34radix_sort_onesweep_global_offsetsIS3_Lb1EN6thrust23THRUST_200600_302600_NS6detail15normal_iteratorINS8_10device_ptrIiEEEESD_jNS0_19identity_decomposerEEE10hipError_tT1_T2_PT3_SI_jT4_jjP12ihipStream_tbEUlT_E0_NS1_11comp_targetILNS1_3genE6ELNS1_11target_archE950ELNS1_3gpuE13ELNS1_3repE0EEENS1_52radix_sort_onesweep_histogram_config_static_selectorELNS0_4arch9wavefront6targetE0EEEvSG_.has_recursion, 0
	.set _ZN7rocprim17ROCPRIM_400000_NS6detail17trampoline_kernelINS0_14default_configENS1_35radix_sort_onesweep_config_selectorIiiEEZNS1_34radix_sort_onesweep_global_offsetsIS3_Lb1EN6thrust23THRUST_200600_302600_NS6detail15normal_iteratorINS8_10device_ptrIiEEEESD_jNS0_19identity_decomposerEEE10hipError_tT1_T2_PT3_SI_jT4_jjP12ihipStream_tbEUlT_E0_NS1_11comp_targetILNS1_3genE6ELNS1_11target_archE950ELNS1_3gpuE13ELNS1_3repE0EEENS1_52radix_sort_onesweep_histogram_config_static_selectorELNS0_4arch9wavefront6targetE0EEEvSG_.has_indirect_call, 0
	.section	.AMDGPU.csdata,"",@progbits
; Kernel info:
; codeLenInByte = 0
; TotalNumSgprs: 0
; NumVgprs: 0
; ScratchSize: 0
; MemoryBound: 0
; FloatMode: 240
; IeeeMode: 1
; LDSByteSize: 0 bytes/workgroup (compile time only)
; SGPRBlocks: 0
; VGPRBlocks: 0
; NumSGPRsForWavesPerEU: 1
; NumVGPRsForWavesPerEU: 1
; Occupancy: 16
; WaveLimiterHint : 0
; COMPUTE_PGM_RSRC2:SCRATCH_EN: 0
; COMPUTE_PGM_RSRC2:USER_SGPR: 6
; COMPUTE_PGM_RSRC2:TRAP_HANDLER: 0
; COMPUTE_PGM_RSRC2:TGID_X_EN: 1
; COMPUTE_PGM_RSRC2:TGID_Y_EN: 0
; COMPUTE_PGM_RSRC2:TGID_Z_EN: 0
; COMPUTE_PGM_RSRC2:TIDIG_COMP_CNT: 0
	.section	.text._ZN7rocprim17ROCPRIM_400000_NS6detail17trampoline_kernelINS0_14default_configENS1_35radix_sort_onesweep_config_selectorIiiEEZNS1_34radix_sort_onesweep_global_offsetsIS3_Lb1EN6thrust23THRUST_200600_302600_NS6detail15normal_iteratorINS8_10device_ptrIiEEEESD_jNS0_19identity_decomposerEEE10hipError_tT1_T2_PT3_SI_jT4_jjP12ihipStream_tbEUlT_E0_NS1_11comp_targetILNS1_3genE5ELNS1_11target_archE942ELNS1_3gpuE9ELNS1_3repE0EEENS1_52radix_sort_onesweep_histogram_config_static_selectorELNS0_4arch9wavefront6targetE0EEEvSG_,"axG",@progbits,_ZN7rocprim17ROCPRIM_400000_NS6detail17trampoline_kernelINS0_14default_configENS1_35radix_sort_onesweep_config_selectorIiiEEZNS1_34radix_sort_onesweep_global_offsetsIS3_Lb1EN6thrust23THRUST_200600_302600_NS6detail15normal_iteratorINS8_10device_ptrIiEEEESD_jNS0_19identity_decomposerEEE10hipError_tT1_T2_PT3_SI_jT4_jjP12ihipStream_tbEUlT_E0_NS1_11comp_targetILNS1_3genE5ELNS1_11target_archE942ELNS1_3gpuE9ELNS1_3repE0EEENS1_52radix_sort_onesweep_histogram_config_static_selectorELNS0_4arch9wavefront6targetE0EEEvSG_,comdat
	.protected	_ZN7rocprim17ROCPRIM_400000_NS6detail17trampoline_kernelINS0_14default_configENS1_35radix_sort_onesweep_config_selectorIiiEEZNS1_34radix_sort_onesweep_global_offsetsIS3_Lb1EN6thrust23THRUST_200600_302600_NS6detail15normal_iteratorINS8_10device_ptrIiEEEESD_jNS0_19identity_decomposerEEE10hipError_tT1_T2_PT3_SI_jT4_jjP12ihipStream_tbEUlT_E0_NS1_11comp_targetILNS1_3genE5ELNS1_11target_archE942ELNS1_3gpuE9ELNS1_3repE0EEENS1_52radix_sort_onesweep_histogram_config_static_selectorELNS0_4arch9wavefront6targetE0EEEvSG_ ; -- Begin function _ZN7rocprim17ROCPRIM_400000_NS6detail17trampoline_kernelINS0_14default_configENS1_35radix_sort_onesweep_config_selectorIiiEEZNS1_34radix_sort_onesweep_global_offsetsIS3_Lb1EN6thrust23THRUST_200600_302600_NS6detail15normal_iteratorINS8_10device_ptrIiEEEESD_jNS0_19identity_decomposerEEE10hipError_tT1_T2_PT3_SI_jT4_jjP12ihipStream_tbEUlT_E0_NS1_11comp_targetILNS1_3genE5ELNS1_11target_archE942ELNS1_3gpuE9ELNS1_3repE0EEENS1_52radix_sort_onesweep_histogram_config_static_selectorELNS0_4arch9wavefront6targetE0EEEvSG_
	.globl	_ZN7rocprim17ROCPRIM_400000_NS6detail17trampoline_kernelINS0_14default_configENS1_35radix_sort_onesweep_config_selectorIiiEEZNS1_34radix_sort_onesweep_global_offsetsIS3_Lb1EN6thrust23THRUST_200600_302600_NS6detail15normal_iteratorINS8_10device_ptrIiEEEESD_jNS0_19identity_decomposerEEE10hipError_tT1_T2_PT3_SI_jT4_jjP12ihipStream_tbEUlT_E0_NS1_11comp_targetILNS1_3genE5ELNS1_11target_archE942ELNS1_3gpuE9ELNS1_3repE0EEENS1_52radix_sort_onesweep_histogram_config_static_selectorELNS0_4arch9wavefront6targetE0EEEvSG_
	.p2align	8
	.type	_ZN7rocprim17ROCPRIM_400000_NS6detail17trampoline_kernelINS0_14default_configENS1_35radix_sort_onesweep_config_selectorIiiEEZNS1_34radix_sort_onesweep_global_offsetsIS3_Lb1EN6thrust23THRUST_200600_302600_NS6detail15normal_iteratorINS8_10device_ptrIiEEEESD_jNS0_19identity_decomposerEEE10hipError_tT1_T2_PT3_SI_jT4_jjP12ihipStream_tbEUlT_E0_NS1_11comp_targetILNS1_3genE5ELNS1_11target_archE942ELNS1_3gpuE9ELNS1_3repE0EEENS1_52radix_sort_onesweep_histogram_config_static_selectorELNS0_4arch9wavefront6targetE0EEEvSG_,@function
_ZN7rocprim17ROCPRIM_400000_NS6detail17trampoline_kernelINS0_14default_configENS1_35radix_sort_onesweep_config_selectorIiiEEZNS1_34radix_sort_onesweep_global_offsetsIS3_Lb1EN6thrust23THRUST_200600_302600_NS6detail15normal_iteratorINS8_10device_ptrIiEEEESD_jNS0_19identity_decomposerEEE10hipError_tT1_T2_PT3_SI_jT4_jjP12ihipStream_tbEUlT_E0_NS1_11comp_targetILNS1_3genE5ELNS1_11target_archE942ELNS1_3gpuE9ELNS1_3repE0EEENS1_52radix_sort_onesweep_histogram_config_static_selectorELNS0_4arch9wavefront6targetE0EEEvSG_: ; @_ZN7rocprim17ROCPRIM_400000_NS6detail17trampoline_kernelINS0_14default_configENS1_35radix_sort_onesweep_config_selectorIiiEEZNS1_34radix_sort_onesweep_global_offsetsIS3_Lb1EN6thrust23THRUST_200600_302600_NS6detail15normal_iteratorINS8_10device_ptrIiEEEESD_jNS0_19identity_decomposerEEE10hipError_tT1_T2_PT3_SI_jT4_jjP12ihipStream_tbEUlT_E0_NS1_11comp_targetILNS1_3genE5ELNS1_11target_archE942ELNS1_3gpuE9ELNS1_3repE0EEENS1_52radix_sort_onesweep_histogram_config_static_selectorELNS0_4arch9wavefront6targetE0EEEvSG_
; %bb.0:
	.section	.rodata,"a",@progbits
	.p2align	6, 0x0
	.amdhsa_kernel _ZN7rocprim17ROCPRIM_400000_NS6detail17trampoline_kernelINS0_14default_configENS1_35radix_sort_onesweep_config_selectorIiiEEZNS1_34radix_sort_onesweep_global_offsetsIS3_Lb1EN6thrust23THRUST_200600_302600_NS6detail15normal_iteratorINS8_10device_ptrIiEEEESD_jNS0_19identity_decomposerEEE10hipError_tT1_T2_PT3_SI_jT4_jjP12ihipStream_tbEUlT_E0_NS1_11comp_targetILNS1_3genE5ELNS1_11target_archE942ELNS1_3gpuE9ELNS1_3repE0EEENS1_52radix_sort_onesweep_histogram_config_static_selectorELNS0_4arch9wavefront6targetE0EEEvSG_
		.amdhsa_group_segment_fixed_size 0
		.amdhsa_private_segment_fixed_size 0
		.amdhsa_kernarg_size 8
		.amdhsa_user_sgpr_count 6
		.amdhsa_user_sgpr_private_segment_buffer 1
		.amdhsa_user_sgpr_dispatch_ptr 0
		.amdhsa_user_sgpr_queue_ptr 0
		.amdhsa_user_sgpr_kernarg_segment_ptr 1
		.amdhsa_user_sgpr_dispatch_id 0
		.amdhsa_user_sgpr_flat_scratch_init 0
		.amdhsa_user_sgpr_private_segment_size 0
		.amdhsa_wavefront_size32 1
		.amdhsa_uses_dynamic_stack 0
		.amdhsa_system_sgpr_private_segment_wavefront_offset 0
		.amdhsa_system_sgpr_workgroup_id_x 1
		.amdhsa_system_sgpr_workgroup_id_y 0
		.amdhsa_system_sgpr_workgroup_id_z 0
		.amdhsa_system_sgpr_workgroup_info 0
		.amdhsa_system_vgpr_workitem_id 0
		.amdhsa_next_free_vgpr 1
		.amdhsa_next_free_sgpr 1
		.amdhsa_reserve_vcc 0
		.amdhsa_reserve_flat_scratch 0
		.amdhsa_float_round_mode_32 0
		.amdhsa_float_round_mode_16_64 0
		.amdhsa_float_denorm_mode_32 3
		.amdhsa_float_denorm_mode_16_64 3
		.amdhsa_dx10_clamp 1
		.amdhsa_ieee_mode 1
		.amdhsa_fp16_overflow 0
		.amdhsa_workgroup_processor_mode 1
		.amdhsa_memory_ordered 1
		.amdhsa_forward_progress 1
		.amdhsa_shared_vgpr_count 0
		.amdhsa_exception_fp_ieee_invalid_op 0
		.amdhsa_exception_fp_denorm_src 0
		.amdhsa_exception_fp_ieee_div_zero 0
		.amdhsa_exception_fp_ieee_overflow 0
		.amdhsa_exception_fp_ieee_underflow 0
		.amdhsa_exception_fp_ieee_inexact 0
		.amdhsa_exception_int_div_zero 0
	.end_amdhsa_kernel
	.section	.text._ZN7rocprim17ROCPRIM_400000_NS6detail17trampoline_kernelINS0_14default_configENS1_35radix_sort_onesweep_config_selectorIiiEEZNS1_34radix_sort_onesweep_global_offsetsIS3_Lb1EN6thrust23THRUST_200600_302600_NS6detail15normal_iteratorINS8_10device_ptrIiEEEESD_jNS0_19identity_decomposerEEE10hipError_tT1_T2_PT3_SI_jT4_jjP12ihipStream_tbEUlT_E0_NS1_11comp_targetILNS1_3genE5ELNS1_11target_archE942ELNS1_3gpuE9ELNS1_3repE0EEENS1_52radix_sort_onesweep_histogram_config_static_selectorELNS0_4arch9wavefront6targetE0EEEvSG_,"axG",@progbits,_ZN7rocprim17ROCPRIM_400000_NS6detail17trampoline_kernelINS0_14default_configENS1_35radix_sort_onesweep_config_selectorIiiEEZNS1_34radix_sort_onesweep_global_offsetsIS3_Lb1EN6thrust23THRUST_200600_302600_NS6detail15normal_iteratorINS8_10device_ptrIiEEEESD_jNS0_19identity_decomposerEEE10hipError_tT1_T2_PT3_SI_jT4_jjP12ihipStream_tbEUlT_E0_NS1_11comp_targetILNS1_3genE5ELNS1_11target_archE942ELNS1_3gpuE9ELNS1_3repE0EEENS1_52radix_sort_onesweep_histogram_config_static_selectorELNS0_4arch9wavefront6targetE0EEEvSG_,comdat
.Lfunc_end992:
	.size	_ZN7rocprim17ROCPRIM_400000_NS6detail17trampoline_kernelINS0_14default_configENS1_35radix_sort_onesweep_config_selectorIiiEEZNS1_34radix_sort_onesweep_global_offsetsIS3_Lb1EN6thrust23THRUST_200600_302600_NS6detail15normal_iteratorINS8_10device_ptrIiEEEESD_jNS0_19identity_decomposerEEE10hipError_tT1_T2_PT3_SI_jT4_jjP12ihipStream_tbEUlT_E0_NS1_11comp_targetILNS1_3genE5ELNS1_11target_archE942ELNS1_3gpuE9ELNS1_3repE0EEENS1_52radix_sort_onesweep_histogram_config_static_selectorELNS0_4arch9wavefront6targetE0EEEvSG_, .Lfunc_end992-_ZN7rocprim17ROCPRIM_400000_NS6detail17trampoline_kernelINS0_14default_configENS1_35radix_sort_onesweep_config_selectorIiiEEZNS1_34radix_sort_onesweep_global_offsetsIS3_Lb1EN6thrust23THRUST_200600_302600_NS6detail15normal_iteratorINS8_10device_ptrIiEEEESD_jNS0_19identity_decomposerEEE10hipError_tT1_T2_PT3_SI_jT4_jjP12ihipStream_tbEUlT_E0_NS1_11comp_targetILNS1_3genE5ELNS1_11target_archE942ELNS1_3gpuE9ELNS1_3repE0EEENS1_52radix_sort_onesweep_histogram_config_static_selectorELNS0_4arch9wavefront6targetE0EEEvSG_
                                        ; -- End function
	.set _ZN7rocprim17ROCPRIM_400000_NS6detail17trampoline_kernelINS0_14default_configENS1_35radix_sort_onesweep_config_selectorIiiEEZNS1_34radix_sort_onesweep_global_offsetsIS3_Lb1EN6thrust23THRUST_200600_302600_NS6detail15normal_iteratorINS8_10device_ptrIiEEEESD_jNS0_19identity_decomposerEEE10hipError_tT1_T2_PT3_SI_jT4_jjP12ihipStream_tbEUlT_E0_NS1_11comp_targetILNS1_3genE5ELNS1_11target_archE942ELNS1_3gpuE9ELNS1_3repE0EEENS1_52radix_sort_onesweep_histogram_config_static_selectorELNS0_4arch9wavefront6targetE0EEEvSG_.num_vgpr, 0
	.set _ZN7rocprim17ROCPRIM_400000_NS6detail17trampoline_kernelINS0_14default_configENS1_35radix_sort_onesweep_config_selectorIiiEEZNS1_34radix_sort_onesweep_global_offsetsIS3_Lb1EN6thrust23THRUST_200600_302600_NS6detail15normal_iteratorINS8_10device_ptrIiEEEESD_jNS0_19identity_decomposerEEE10hipError_tT1_T2_PT3_SI_jT4_jjP12ihipStream_tbEUlT_E0_NS1_11comp_targetILNS1_3genE5ELNS1_11target_archE942ELNS1_3gpuE9ELNS1_3repE0EEENS1_52radix_sort_onesweep_histogram_config_static_selectorELNS0_4arch9wavefront6targetE0EEEvSG_.num_agpr, 0
	.set _ZN7rocprim17ROCPRIM_400000_NS6detail17trampoline_kernelINS0_14default_configENS1_35radix_sort_onesweep_config_selectorIiiEEZNS1_34radix_sort_onesweep_global_offsetsIS3_Lb1EN6thrust23THRUST_200600_302600_NS6detail15normal_iteratorINS8_10device_ptrIiEEEESD_jNS0_19identity_decomposerEEE10hipError_tT1_T2_PT3_SI_jT4_jjP12ihipStream_tbEUlT_E0_NS1_11comp_targetILNS1_3genE5ELNS1_11target_archE942ELNS1_3gpuE9ELNS1_3repE0EEENS1_52radix_sort_onesweep_histogram_config_static_selectorELNS0_4arch9wavefront6targetE0EEEvSG_.numbered_sgpr, 0
	.set _ZN7rocprim17ROCPRIM_400000_NS6detail17trampoline_kernelINS0_14default_configENS1_35radix_sort_onesweep_config_selectorIiiEEZNS1_34radix_sort_onesweep_global_offsetsIS3_Lb1EN6thrust23THRUST_200600_302600_NS6detail15normal_iteratorINS8_10device_ptrIiEEEESD_jNS0_19identity_decomposerEEE10hipError_tT1_T2_PT3_SI_jT4_jjP12ihipStream_tbEUlT_E0_NS1_11comp_targetILNS1_3genE5ELNS1_11target_archE942ELNS1_3gpuE9ELNS1_3repE0EEENS1_52radix_sort_onesweep_histogram_config_static_selectorELNS0_4arch9wavefront6targetE0EEEvSG_.num_named_barrier, 0
	.set _ZN7rocprim17ROCPRIM_400000_NS6detail17trampoline_kernelINS0_14default_configENS1_35radix_sort_onesweep_config_selectorIiiEEZNS1_34radix_sort_onesweep_global_offsetsIS3_Lb1EN6thrust23THRUST_200600_302600_NS6detail15normal_iteratorINS8_10device_ptrIiEEEESD_jNS0_19identity_decomposerEEE10hipError_tT1_T2_PT3_SI_jT4_jjP12ihipStream_tbEUlT_E0_NS1_11comp_targetILNS1_3genE5ELNS1_11target_archE942ELNS1_3gpuE9ELNS1_3repE0EEENS1_52radix_sort_onesweep_histogram_config_static_selectorELNS0_4arch9wavefront6targetE0EEEvSG_.private_seg_size, 0
	.set _ZN7rocprim17ROCPRIM_400000_NS6detail17trampoline_kernelINS0_14default_configENS1_35radix_sort_onesweep_config_selectorIiiEEZNS1_34radix_sort_onesweep_global_offsetsIS3_Lb1EN6thrust23THRUST_200600_302600_NS6detail15normal_iteratorINS8_10device_ptrIiEEEESD_jNS0_19identity_decomposerEEE10hipError_tT1_T2_PT3_SI_jT4_jjP12ihipStream_tbEUlT_E0_NS1_11comp_targetILNS1_3genE5ELNS1_11target_archE942ELNS1_3gpuE9ELNS1_3repE0EEENS1_52radix_sort_onesweep_histogram_config_static_selectorELNS0_4arch9wavefront6targetE0EEEvSG_.uses_vcc, 0
	.set _ZN7rocprim17ROCPRIM_400000_NS6detail17trampoline_kernelINS0_14default_configENS1_35radix_sort_onesweep_config_selectorIiiEEZNS1_34radix_sort_onesweep_global_offsetsIS3_Lb1EN6thrust23THRUST_200600_302600_NS6detail15normal_iteratorINS8_10device_ptrIiEEEESD_jNS0_19identity_decomposerEEE10hipError_tT1_T2_PT3_SI_jT4_jjP12ihipStream_tbEUlT_E0_NS1_11comp_targetILNS1_3genE5ELNS1_11target_archE942ELNS1_3gpuE9ELNS1_3repE0EEENS1_52radix_sort_onesweep_histogram_config_static_selectorELNS0_4arch9wavefront6targetE0EEEvSG_.uses_flat_scratch, 0
	.set _ZN7rocprim17ROCPRIM_400000_NS6detail17trampoline_kernelINS0_14default_configENS1_35radix_sort_onesweep_config_selectorIiiEEZNS1_34radix_sort_onesweep_global_offsetsIS3_Lb1EN6thrust23THRUST_200600_302600_NS6detail15normal_iteratorINS8_10device_ptrIiEEEESD_jNS0_19identity_decomposerEEE10hipError_tT1_T2_PT3_SI_jT4_jjP12ihipStream_tbEUlT_E0_NS1_11comp_targetILNS1_3genE5ELNS1_11target_archE942ELNS1_3gpuE9ELNS1_3repE0EEENS1_52radix_sort_onesweep_histogram_config_static_selectorELNS0_4arch9wavefront6targetE0EEEvSG_.has_dyn_sized_stack, 0
	.set _ZN7rocprim17ROCPRIM_400000_NS6detail17trampoline_kernelINS0_14default_configENS1_35radix_sort_onesweep_config_selectorIiiEEZNS1_34radix_sort_onesweep_global_offsetsIS3_Lb1EN6thrust23THRUST_200600_302600_NS6detail15normal_iteratorINS8_10device_ptrIiEEEESD_jNS0_19identity_decomposerEEE10hipError_tT1_T2_PT3_SI_jT4_jjP12ihipStream_tbEUlT_E0_NS1_11comp_targetILNS1_3genE5ELNS1_11target_archE942ELNS1_3gpuE9ELNS1_3repE0EEENS1_52radix_sort_onesweep_histogram_config_static_selectorELNS0_4arch9wavefront6targetE0EEEvSG_.has_recursion, 0
	.set _ZN7rocprim17ROCPRIM_400000_NS6detail17trampoline_kernelINS0_14default_configENS1_35radix_sort_onesweep_config_selectorIiiEEZNS1_34radix_sort_onesweep_global_offsetsIS3_Lb1EN6thrust23THRUST_200600_302600_NS6detail15normal_iteratorINS8_10device_ptrIiEEEESD_jNS0_19identity_decomposerEEE10hipError_tT1_T2_PT3_SI_jT4_jjP12ihipStream_tbEUlT_E0_NS1_11comp_targetILNS1_3genE5ELNS1_11target_archE942ELNS1_3gpuE9ELNS1_3repE0EEENS1_52radix_sort_onesweep_histogram_config_static_selectorELNS0_4arch9wavefront6targetE0EEEvSG_.has_indirect_call, 0
	.section	.AMDGPU.csdata,"",@progbits
; Kernel info:
; codeLenInByte = 0
; TotalNumSgprs: 0
; NumVgprs: 0
; ScratchSize: 0
; MemoryBound: 0
; FloatMode: 240
; IeeeMode: 1
; LDSByteSize: 0 bytes/workgroup (compile time only)
; SGPRBlocks: 0
; VGPRBlocks: 0
; NumSGPRsForWavesPerEU: 1
; NumVGPRsForWavesPerEU: 1
; Occupancy: 16
; WaveLimiterHint : 0
; COMPUTE_PGM_RSRC2:SCRATCH_EN: 0
; COMPUTE_PGM_RSRC2:USER_SGPR: 6
; COMPUTE_PGM_RSRC2:TRAP_HANDLER: 0
; COMPUTE_PGM_RSRC2:TGID_X_EN: 1
; COMPUTE_PGM_RSRC2:TGID_Y_EN: 0
; COMPUTE_PGM_RSRC2:TGID_Z_EN: 0
; COMPUTE_PGM_RSRC2:TIDIG_COMP_CNT: 0
	.section	.text._ZN7rocprim17ROCPRIM_400000_NS6detail17trampoline_kernelINS0_14default_configENS1_35radix_sort_onesweep_config_selectorIiiEEZNS1_34radix_sort_onesweep_global_offsetsIS3_Lb1EN6thrust23THRUST_200600_302600_NS6detail15normal_iteratorINS8_10device_ptrIiEEEESD_jNS0_19identity_decomposerEEE10hipError_tT1_T2_PT3_SI_jT4_jjP12ihipStream_tbEUlT_E0_NS1_11comp_targetILNS1_3genE2ELNS1_11target_archE906ELNS1_3gpuE6ELNS1_3repE0EEENS1_52radix_sort_onesweep_histogram_config_static_selectorELNS0_4arch9wavefront6targetE0EEEvSG_,"axG",@progbits,_ZN7rocprim17ROCPRIM_400000_NS6detail17trampoline_kernelINS0_14default_configENS1_35radix_sort_onesweep_config_selectorIiiEEZNS1_34radix_sort_onesweep_global_offsetsIS3_Lb1EN6thrust23THRUST_200600_302600_NS6detail15normal_iteratorINS8_10device_ptrIiEEEESD_jNS0_19identity_decomposerEEE10hipError_tT1_T2_PT3_SI_jT4_jjP12ihipStream_tbEUlT_E0_NS1_11comp_targetILNS1_3genE2ELNS1_11target_archE906ELNS1_3gpuE6ELNS1_3repE0EEENS1_52radix_sort_onesweep_histogram_config_static_selectorELNS0_4arch9wavefront6targetE0EEEvSG_,comdat
	.protected	_ZN7rocprim17ROCPRIM_400000_NS6detail17trampoline_kernelINS0_14default_configENS1_35radix_sort_onesweep_config_selectorIiiEEZNS1_34radix_sort_onesweep_global_offsetsIS3_Lb1EN6thrust23THRUST_200600_302600_NS6detail15normal_iteratorINS8_10device_ptrIiEEEESD_jNS0_19identity_decomposerEEE10hipError_tT1_T2_PT3_SI_jT4_jjP12ihipStream_tbEUlT_E0_NS1_11comp_targetILNS1_3genE2ELNS1_11target_archE906ELNS1_3gpuE6ELNS1_3repE0EEENS1_52radix_sort_onesweep_histogram_config_static_selectorELNS0_4arch9wavefront6targetE0EEEvSG_ ; -- Begin function _ZN7rocprim17ROCPRIM_400000_NS6detail17trampoline_kernelINS0_14default_configENS1_35radix_sort_onesweep_config_selectorIiiEEZNS1_34radix_sort_onesweep_global_offsetsIS3_Lb1EN6thrust23THRUST_200600_302600_NS6detail15normal_iteratorINS8_10device_ptrIiEEEESD_jNS0_19identity_decomposerEEE10hipError_tT1_T2_PT3_SI_jT4_jjP12ihipStream_tbEUlT_E0_NS1_11comp_targetILNS1_3genE2ELNS1_11target_archE906ELNS1_3gpuE6ELNS1_3repE0EEENS1_52radix_sort_onesweep_histogram_config_static_selectorELNS0_4arch9wavefront6targetE0EEEvSG_
	.globl	_ZN7rocprim17ROCPRIM_400000_NS6detail17trampoline_kernelINS0_14default_configENS1_35radix_sort_onesweep_config_selectorIiiEEZNS1_34radix_sort_onesweep_global_offsetsIS3_Lb1EN6thrust23THRUST_200600_302600_NS6detail15normal_iteratorINS8_10device_ptrIiEEEESD_jNS0_19identity_decomposerEEE10hipError_tT1_T2_PT3_SI_jT4_jjP12ihipStream_tbEUlT_E0_NS1_11comp_targetILNS1_3genE2ELNS1_11target_archE906ELNS1_3gpuE6ELNS1_3repE0EEENS1_52radix_sort_onesweep_histogram_config_static_selectorELNS0_4arch9wavefront6targetE0EEEvSG_
	.p2align	8
	.type	_ZN7rocprim17ROCPRIM_400000_NS6detail17trampoline_kernelINS0_14default_configENS1_35radix_sort_onesweep_config_selectorIiiEEZNS1_34radix_sort_onesweep_global_offsetsIS3_Lb1EN6thrust23THRUST_200600_302600_NS6detail15normal_iteratorINS8_10device_ptrIiEEEESD_jNS0_19identity_decomposerEEE10hipError_tT1_T2_PT3_SI_jT4_jjP12ihipStream_tbEUlT_E0_NS1_11comp_targetILNS1_3genE2ELNS1_11target_archE906ELNS1_3gpuE6ELNS1_3repE0EEENS1_52radix_sort_onesweep_histogram_config_static_selectorELNS0_4arch9wavefront6targetE0EEEvSG_,@function
_ZN7rocprim17ROCPRIM_400000_NS6detail17trampoline_kernelINS0_14default_configENS1_35radix_sort_onesweep_config_selectorIiiEEZNS1_34radix_sort_onesweep_global_offsetsIS3_Lb1EN6thrust23THRUST_200600_302600_NS6detail15normal_iteratorINS8_10device_ptrIiEEEESD_jNS0_19identity_decomposerEEE10hipError_tT1_T2_PT3_SI_jT4_jjP12ihipStream_tbEUlT_E0_NS1_11comp_targetILNS1_3genE2ELNS1_11target_archE906ELNS1_3gpuE6ELNS1_3repE0EEENS1_52radix_sort_onesweep_histogram_config_static_selectorELNS0_4arch9wavefront6targetE0EEEvSG_: ; @_ZN7rocprim17ROCPRIM_400000_NS6detail17trampoline_kernelINS0_14default_configENS1_35radix_sort_onesweep_config_selectorIiiEEZNS1_34radix_sort_onesweep_global_offsetsIS3_Lb1EN6thrust23THRUST_200600_302600_NS6detail15normal_iteratorINS8_10device_ptrIiEEEESD_jNS0_19identity_decomposerEEE10hipError_tT1_T2_PT3_SI_jT4_jjP12ihipStream_tbEUlT_E0_NS1_11comp_targetILNS1_3genE2ELNS1_11target_archE906ELNS1_3gpuE6ELNS1_3repE0EEENS1_52radix_sort_onesweep_histogram_config_static_selectorELNS0_4arch9wavefront6targetE0EEEvSG_
; %bb.0:
	.section	.rodata,"a",@progbits
	.p2align	6, 0x0
	.amdhsa_kernel _ZN7rocprim17ROCPRIM_400000_NS6detail17trampoline_kernelINS0_14default_configENS1_35radix_sort_onesweep_config_selectorIiiEEZNS1_34radix_sort_onesweep_global_offsetsIS3_Lb1EN6thrust23THRUST_200600_302600_NS6detail15normal_iteratorINS8_10device_ptrIiEEEESD_jNS0_19identity_decomposerEEE10hipError_tT1_T2_PT3_SI_jT4_jjP12ihipStream_tbEUlT_E0_NS1_11comp_targetILNS1_3genE2ELNS1_11target_archE906ELNS1_3gpuE6ELNS1_3repE0EEENS1_52radix_sort_onesweep_histogram_config_static_selectorELNS0_4arch9wavefront6targetE0EEEvSG_
		.amdhsa_group_segment_fixed_size 0
		.amdhsa_private_segment_fixed_size 0
		.amdhsa_kernarg_size 8
		.amdhsa_user_sgpr_count 6
		.amdhsa_user_sgpr_private_segment_buffer 1
		.amdhsa_user_sgpr_dispatch_ptr 0
		.amdhsa_user_sgpr_queue_ptr 0
		.amdhsa_user_sgpr_kernarg_segment_ptr 1
		.amdhsa_user_sgpr_dispatch_id 0
		.amdhsa_user_sgpr_flat_scratch_init 0
		.amdhsa_user_sgpr_private_segment_size 0
		.amdhsa_wavefront_size32 1
		.amdhsa_uses_dynamic_stack 0
		.amdhsa_system_sgpr_private_segment_wavefront_offset 0
		.amdhsa_system_sgpr_workgroup_id_x 1
		.amdhsa_system_sgpr_workgroup_id_y 0
		.amdhsa_system_sgpr_workgroup_id_z 0
		.amdhsa_system_sgpr_workgroup_info 0
		.amdhsa_system_vgpr_workitem_id 0
		.amdhsa_next_free_vgpr 1
		.amdhsa_next_free_sgpr 1
		.amdhsa_reserve_vcc 0
		.amdhsa_reserve_flat_scratch 0
		.amdhsa_float_round_mode_32 0
		.amdhsa_float_round_mode_16_64 0
		.amdhsa_float_denorm_mode_32 3
		.amdhsa_float_denorm_mode_16_64 3
		.amdhsa_dx10_clamp 1
		.amdhsa_ieee_mode 1
		.amdhsa_fp16_overflow 0
		.amdhsa_workgroup_processor_mode 1
		.amdhsa_memory_ordered 1
		.amdhsa_forward_progress 1
		.amdhsa_shared_vgpr_count 0
		.amdhsa_exception_fp_ieee_invalid_op 0
		.amdhsa_exception_fp_denorm_src 0
		.amdhsa_exception_fp_ieee_div_zero 0
		.amdhsa_exception_fp_ieee_overflow 0
		.amdhsa_exception_fp_ieee_underflow 0
		.amdhsa_exception_fp_ieee_inexact 0
		.amdhsa_exception_int_div_zero 0
	.end_amdhsa_kernel
	.section	.text._ZN7rocprim17ROCPRIM_400000_NS6detail17trampoline_kernelINS0_14default_configENS1_35radix_sort_onesweep_config_selectorIiiEEZNS1_34radix_sort_onesweep_global_offsetsIS3_Lb1EN6thrust23THRUST_200600_302600_NS6detail15normal_iteratorINS8_10device_ptrIiEEEESD_jNS0_19identity_decomposerEEE10hipError_tT1_T2_PT3_SI_jT4_jjP12ihipStream_tbEUlT_E0_NS1_11comp_targetILNS1_3genE2ELNS1_11target_archE906ELNS1_3gpuE6ELNS1_3repE0EEENS1_52radix_sort_onesweep_histogram_config_static_selectorELNS0_4arch9wavefront6targetE0EEEvSG_,"axG",@progbits,_ZN7rocprim17ROCPRIM_400000_NS6detail17trampoline_kernelINS0_14default_configENS1_35radix_sort_onesweep_config_selectorIiiEEZNS1_34radix_sort_onesweep_global_offsetsIS3_Lb1EN6thrust23THRUST_200600_302600_NS6detail15normal_iteratorINS8_10device_ptrIiEEEESD_jNS0_19identity_decomposerEEE10hipError_tT1_T2_PT3_SI_jT4_jjP12ihipStream_tbEUlT_E0_NS1_11comp_targetILNS1_3genE2ELNS1_11target_archE906ELNS1_3gpuE6ELNS1_3repE0EEENS1_52radix_sort_onesweep_histogram_config_static_selectorELNS0_4arch9wavefront6targetE0EEEvSG_,comdat
.Lfunc_end993:
	.size	_ZN7rocprim17ROCPRIM_400000_NS6detail17trampoline_kernelINS0_14default_configENS1_35radix_sort_onesweep_config_selectorIiiEEZNS1_34radix_sort_onesweep_global_offsetsIS3_Lb1EN6thrust23THRUST_200600_302600_NS6detail15normal_iteratorINS8_10device_ptrIiEEEESD_jNS0_19identity_decomposerEEE10hipError_tT1_T2_PT3_SI_jT4_jjP12ihipStream_tbEUlT_E0_NS1_11comp_targetILNS1_3genE2ELNS1_11target_archE906ELNS1_3gpuE6ELNS1_3repE0EEENS1_52radix_sort_onesweep_histogram_config_static_selectorELNS0_4arch9wavefront6targetE0EEEvSG_, .Lfunc_end993-_ZN7rocprim17ROCPRIM_400000_NS6detail17trampoline_kernelINS0_14default_configENS1_35radix_sort_onesweep_config_selectorIiiEEZNS1_34radix_sort_onesweep_global_offsetsIS3_Lb1EN6thrust23THRUST_200600_302600_NS6detail15normal_iteratorINS8_10device_ptrIiEEEESD_jNS0_19identity_decomposerEEE10hipError_tT1_T2_PT3_SI_jT4_jjP12ihipStream_tbEUlT_E0_NS1_11comp_targetILNS1_3genE2ELNS1_11target_archE906ELNS1_3gpuE6ELNS1_3repE0EEENS1_52radix_sort_onesweep_histogram_config_static_selectorELNS0_4arch9wavefront6targetE0EEEvSG_
                                        ; -- End function
	.set _ZN7rocprim17ROCPRIM_400000_NS6detail17trampoline_kernelINS0_14default_configENS1_35radix_sort_onesweep_config_selectorIiiEEZNS1_34radix_sort_onesweep_global_offsetsIS3_Lb1EN6thrust23THRUST_200600_302600_NS6detail15normal_iteratorINS8_10device_ptrIiEEEESD_jNS0_19identity_decomposerEEE10hipError_tT1_T2_PT3_SI_jT4_jjP12ihipStream_tbEUlT_E0_NS1_11comp_targetILNS1_3genE2ELNS1_11target_archE906ELNS1_3gpuE6ELNS1_3repE0EEENS1_52radix_sort_onesweep_histogram_config_static_selectorELNS0_4arch9wavefront6targetE0EEEvSG_.num_vgpr, 0
	.set _ZN7rocprim17ROCPRIM_400000_NS6detail17trampoline_kernelINS0_14default_configENS1_35radix_sort_onesweep_config_selectorIiiEEZNS1_34radix_sort_onesweep_global_offsetsIS3_Lb1EN6thrust23THRUST_200600_302600_NS6detail15normal_iteratorINS8_10device_ptrIiEEEESD_jNS0_19identity_decomposerEEE10hipError_tT1_T2_PT3_SI_jT4_jjP12ihipStream_tbEUlT_E0_NS1_11comp_targetILNS1_3genE2ELNS1_11target_archE906ELNS1_3gpuE6ELNS1_3repE0EEENS1_52radix_sort_onesweep_histogram_config_static_selectorELNS0_4arch9wavefront6targetE0EEEvSG_.num_agpr, 0
	.set _ZN7rocprim17ROCPRIM_400000_NS6detail17trampoline_kernelINS0_14default_configENS1_35radix_sort_onesweep_config_selectorIiiEEZNS1_34radix_sort_onesweep_global_offsetsIS3_Lb1EN6thrust23THRUST_200600_302600_NS6detail15normal_iteratorINS8_10device_ptrIiEEEESD_jNS0_19identity_decomposerEEE10hipError_tT1_T2_PT3_SI_jT4_jjP12ihipStream_tbEUlT_E0_NS1_11comp_targetILNS1_3genE2ELNS1_11target_archE906ELNS1_3gpuE6ELNS1_3repE0EEENS1_52radix_sort_onesweep_histogram_config_static_selectorELNS0_4arch9wavefront6targetE0EEEvSG_.numbered_sgpr, 0
	.set _ZN7rocprim17ROCPRIM_400000_NS6detail17trampoline_kernelINS0_14default_configENS1_35radix_sort_onesweep_config_selectorIiiEEZNS1_34radix_sort_onesweep_global_offsetsIS3_Lb1EN6thrust23THRUST_200600_302600_NS6detail15normal_iteratorINS8_10device_ptrIiEEEESD_jNS0_19identity_decomposerEEE10hipError_tT1_T2_PT3_SI_jT4_jjP12ihipStream_tbEUlT_E0_NS1_11comp_targetILNS1_3genE2ELNS1_11target_archE906ELNS1_3gpuE6ELNS1_3repE0EEENS1_52radix_sort_onesweep_histogram_config_static_selectorELNS0_4arch9wavefront6targetE0EEEvSG_.num_named_barrier, 0
	.set _ZN7rocprim17ROCPRIM_400000_NS6detail17trampoline_kernelINS0_14default_configENS1_35radix_sort_onesweep_config_selectorIiiEEZNS1_34radix_sort_onesweep_global_offsetsIS3_Lb1EN6thrust23THRUST_200600_302600_NS6detail15normal_iteratorINS8_10device_ptrIiEEEESD_jNS0_19identity_decomposerEEE10hipError_tT1_T2_PT3_SI_jT4_jjP12ihipStream_tbEUlT_E0_NS1_11comp_targetILNS1_3genE2ELNS1_11target_archE906ELNS1_3gpuE6ELNS1_3repE0EEENS1_52radix_sort_onesweep_histogram_config_static_selectorELNS0_4arch9wavefront6targetE0EEEvSG_.private_seg_size, 0
	.set _ZN7rocprim17ROCPRIM_400000_NS6detail17trampoline_kernelINS0_14default_configENS1_35radix_sort_onesweep_config_selectorIiiEEZNS1_34radix_sort_onesweep_global_offsetsIS3_Lb1EN6thrust23THRUST_200600_302600_NS6detail15normal_iteratorINS8_10device_ptrIiEEEESD_jNS0_19identity_decomposerEEE10hipError_tT1_T2_PT3_SI_jT4_jjP12ihipStream_tbEUlT_E0_NS1_11comp_targetILNS1_3genE2ELNS1_11target_archE906ELNS1_3gpuE6ELNS1_3repE0EEENS1_52radix_sort_onesweep_histogram_config_static_selectorELNS0_4arch9wavefront6targetE0EEEvSG_.uses_vcc, 0
	.set _ZN7rocprim17ROCPRIM_400000_NS6detail17trampoline_kernelINS0_14default_configENS1_35radix_sort_onesweep_config_selectorIiiEEZNS1_34radix_sort_onesweep_global_offsetsIS3_Lb1EN6thrust23THRUST_200600_302600_NS6detail15normal_iteratorINS8_10device_ptrIiEEEESD_jNS0_19identity_decomposerEEE10hipError_tT1_T2_PT3_SI_jT4_jjP12ihipStream_tbEUlT_E0_NS1_11comp_targetILNS1_3genE2ELNS1_11target_archE906ELNS1_3gpuE6ELNS1_3repE0EEENS1_52radix_sort_onesweep_histogram_config_static_selectorELNS0_4arch9wavefront6targetE0EEEvSG_.uses_flat_scratch, 0
	.set _ZN7rocprim17ROCPRIM_400000_NS6detail17trampoline_kernelINS0_14default_configENS1_35radix_sort_onesweep_config_selectorIiiEEZNS1_34radix_sort_onesweep_global_offsetsIS3_Lb1EN6thrust23THRUST_200600_302600_NS6detail15normal_iteratorINS8_10device_ptrIiEEEESD_jNS0_19identity_decomposerEEE10hipError_tT1_T2_PT3_SI_jT4_jjP12ihipStream_tbEUlT_E0_NS1_11comp_targetILNS1_3genE2ELNS1_11target_archE906ELNS1_3gpuE6ELNS1_3repE0EEENS1_52radix_sort_onesweep_histogram_config_static_selectorELNS0_4arch9wavefront6targetE0EEEvSG_.has_dyn_sized_stack, 0
	.set _ZN7rocprim17ROCPRIM_400000_NS6detail17trampoline_kernelINS0_14default_configENS1_35radix_sort_onesweep_config_selectorIiiEEZNS1_34radix_sort_onesweep_global_offsetsIS3_Lb1EN6thrust23THRUST_200600_302600_NS6detail15normal_iteratorINS8_10device_ptrIiEEEESD_jNS0_19identity_decomposerEEE10hipError_tT1_T2_PT3_SI_jT4_jjP12ihipStream_tbEUlT_E0_NS1_11comp_targetILNS1_3genE2ELNS1_11target_archE906ELNS1_3gpuE6ELNS1_3repE0EEENS1_52radix_sort_onesweep_histogram_config_static_selectorELNS0_4arch9wavefront6targetE0EEEvSG_.has_recursion, 0
	.set _ZN7rocprim17ROCPRIM_400000_NS6detail17trampoline_kernelINS0_14default_configENS1_35radix_sort_onesweep_config_selectorIiiEEZNS1_34radix_sort_onesweep_global_offsetsIS3_Lb1EN6thrust23THRUST_200600_302600_NS6detail15normal_iteratorINS8_10device_ptrIiEEEESD_jNS0_19identity_decomposerEEE10hipError_tT1_T2_PT3_SI_jT4_jjP12ihipStream_tbEUlT_E0_NS1_11comp_targetILNS1_3genE2ELNS1_11target_archE906ELNS1_3gpuE6ELNS1_3repE0EEENS1_52radix_sort_onesweep_histogram_config_static_selectorELNS0_4arch9wavefront6targetE0EEEvSG_.has_indirect_call, 0
	.section	.AMDGPU.csdata,"",@progbits
; Kernel info:
; codeLenInByte = 0
; TotalNumSgprs: 0
; NumVgprs: 0
; ScratchSize: 0
; MemoryBound: 0
; FloatMode: 240
; IeeeMode: 1
; LDSByteSize: 0 bytes/workgroup (compile time only)
; SGPRBlocks: 0
; VGPRBlocks: 0
; NumSGPRsForWavesPerEU: 1
; NumVGPRsForWavesPerEU: 1
; Occupancy: 16
; WaveLimiterHint : 0
; COMPUTE_PGM_RSRC2:SCRATCH_EN: 0
; COMPUTE_PGM_RSRC2:USER_SGPR: 6
; COMPUTE_PGM_RSRC2:TRAP_HANDLER: 0
; COMPUTE_PGM_RSRC2:TGID_X_EN: 1
; COMPUTE_PGM_RSRC2:TGID_Y_EN: 0
; COMPUTE_PGM_RSRC2:TGID_Z_EN: 0
; COMPUTE_PGM_RSRC2:TIDIG_COMP_CNT: 0
	.section	.text._ZN7rocprim17ROCPRIM_400000_NS6detail17trampoline_kernelINS0_14default_configENS1_35radix_sort_onesweep_config_selectorIiiEEZNS1_34radix_sort_onesweep_global_offsetsIS3_Lb1EN6thrust23THRUST_200600_302600_NS6detail15normal_iteratorINS8_10device_ptrIiEEEESD_jNS0_19identity_decomposerEEE10hipError_tT1_T2_PT3_SI_jT4_jjP12ihipStream_tbEUlT_E0_NS1_11comp_targetILNS1_3genE4ELNS1_11target_archE910ELNS1_3gpuE8ELNS1_3repE0EEENS1_52radix_sort_onesweep_histogram_config_static_selectorELNS0_4arch9wavefront6targetE0EEEvSG_,"axG",@progbits,_ZN7rocprim17ROCPRIM_400000_NS6detail17trampoline_kernelINS0_14default_configENS1_35radix_sort_onesweep_config_selectorIiiEEZNS1_34radix_sort_onesweep_global_offsetsIS3_Lb1EN6thrust23THRUST_200600_302600_NS6detail15normal_iteratorINS8_10device_ptrIiEEEESD_jNS0_19identity_decomposerEEE10hipError_tT1_T2_PT3_SI_jT4_jjP12ihipStream_tbEUlT_E0_NS1_11comp_targetILNS1_3genE4ELNS1_11target_archE910ELNS1_3gpuE8ELNS1_3repE0EEENS1_52radix_sort_onesweep_histogram_config_static_selectorELNS0_4arch9wavefront6targetE0EEEvSG_,comdat
	.protected	_ZN7rocprim17ROCPRIM_400000_NS6detail17trampoline_kernelINS0_14default_configENS1_35radix_sort_onesweep_config_selectorIiiEEZNS1_34radix_sort_onesweep_global_offsetsIS3_Lb1EN6thrust23THRUST_200600_302600_NS6detail15normal_iteratorINS8_10device_ptrIiEEEESD_jNS0_19identity_decomposerEEE10hipError_tT1_T2_PT3_SI_jT4_jjP12ihipStream_tbEUlT_E0_NS1_11comp_targetILNS1_3genE4ELNS1_11target_archE910ELNS1_3gpuE8ELNS1_3repE0EEENS1_52radix_sort_onesweep_histogram_config_static_selectorELNS0_4arch9wavefront6targetE0EEEvSG_ ; -- Begin function _ZN7rocprim17ROCPRIM_400000_NS6detail17trampoline_kernelINS0_14default_configENS1_35radix_sort_onesweep_config_selectorIiiEEZNS1_34radix_sort_onesweep_global_offsetsIS3_Lb1EN6thrust23THRUST_200600_302600_NS6detail15normal_iteratorINS8_10device_ptrIiEEEESD_jNS0_19identity_decomposerEEE10hipError_tT1_T2_PT3_SI_jT4_jjP12ihipStream_tbEUlT_E0_NS1_11comp_targetILNS1_3genE4ELNS1_11target_archE910ELNS1_3gpuE8ELNS1_3repE0EEENS1_52radix_sort_onesweep_histogram_config_static_selectorELNS0_4arch9wavefront6targetE0EEEvSG_
	.globl	_ZN7rocprim17ROCPRIM_400000_NS6detail17trampoline_kernelINS0_14default_configENS1_35radix_sort_onesweep_config_selectorIiiEEZNS1_34radix_sort_onesweep_global_offsetsIS3_Lb1EN6thrust23THRUST_200600_302600_NS6detail15normal_iteratorINS8_10device_ptrIiEEEESD_jNS0_19identity_decomposerEEE10hipError_tT1_T2_PT3_SI_jT4_jjP12ihipStream_tbEUlT_E0_NS1_11comp_targetILNS1_3genE4ELNS1_11target_archE910ELNS1_3gpuE8ELNS1_3repE0EEENS1_52radix_sort_onesweep_histogram_config_static_selectorELNS0_4arch9wavefront6targetE0EEEvSG_
	.p2align	8
	.type	_ZN7rocprim17ROCPRIM_400000_NS6detail17trampoline_kernelINS0_14default_configENS1_35radix_sort_onesweep_config_selectorIiiEEZNS1_34radix_sort_onesweep_global_offsetsIS3_Lb1EN6thrust23THRUST_200600_302600_NS6detail15normal_iteratorINS8_10device_ptrIiEEEESD_jNS0_19identity_decomposerEEE10hipError_tT1_T2_PT3_SI_jT4_jjP12ihipStream_tbEUlT_E0_NS1_11comp_targetILNS1_3genE4ELNS1_11target_archE910ELNS1_3gpuE8ELNS1_3repE0EEENS1_52radix_sort_onesweep_histogram_config_static_selectorELNS0_4arch9wavefront6targetE0EEEvSG_,@function
_ZN7rocprim17ROCPRIM_400000_NS6detail17trampoline_kernelINS0_14default_configENS1_35radix_sort_onesweep_config_selectorIiiEEZNS1_34radix_sort_onesweep_global_offsetsIS3_Lb1EN6thrust23THRUST_200600_302600_NS6detail15normal_iteratorINS8_10device_ptrIiEEEESD_jNS0_19identity_decomposerEEE10hipError_tT1_T2_PT3_SI_jT4_jjP12ihipStream_tbEUlT_E0_NS1_11comp_targetILNS1_3genE4ELNS1_11target_archE910ELNS1_3gpuE8ELNS1_3repE0EEENS1_52radix_sort_onesweep_histogram_config_static_selectorELNS0_4arch9wavefront6targetE0EEEvSG_: ; @_ZN7rocprim17ROCPRIM_400000_NS6detail17trampoline_kernelINS0_14default_configENS1_35radix_sort_onesweep_config_selectorIiiEEZNS1_34radix_sort_onesweep_global_offsetsIS3_Lb1EN6thrust23THRUST_200600_302600_NS6detail15normal_iteratorINS8_10device_ptrIiEEEESD_jNS0_19identity_decomposerEEE10hipError_tT1_T2_PT3_SI_jT4_jjP12ihipStream_tbEUlT_E0_NS1_11comp_targetILNS1_3genE4ELNS1_11target_archE910ELNS1_3gpuE8ELNS1_3repE0EEENS1_52radix_sort_onesweep_histogram_config_static_selectorELNS0_4arch9wavefront6targetE0EEEvSG_
; %bb.0:
	.section	.rodata,"a",@progbits
	.p2align	6, 0x0
	.amdhsa_kernel _ZN7rocprim17ROCPRIM_400000_NS6detail17trampoline_kernelINS0_14default_configENS1_35radix_sort_onesweep_config_selectorIiiEEZNS1_34radix_sort_onesweep_global_offsetsIS3_Lb1EN6thrust23THRUST_200600_302600_NS6detail15normal_iteratorINS8_10device_ptrIiEEEESD_jNS0_19identity_decomposerEEE10hipError_tT1_T2_PT3_SI_jT4_jjP12ihipStream_tbEUlT_E0_NS1_11comp_targetILNS1_3genE4ELNS1_11target_archE910ELNS1_3gpuE8ELNS1_3repE0EEENS1_52radix_sort_onesweep_histogram_config_static_selectorELNS0_4arch9wavefront6targetE0EEEvSG_
		.amdhsa_group_segment_fixed_size 0
		.amdhsa_private_segment_fixed_size 0
		.amdhsa_kernarg_size 8
		.amdhsa_user_sgpr_count 6
		.amdhsa_user_sgpr_private_segment_buffer 1
		.amdhsa_user_sgpr_dispatch_ptr 0
		.amdhsa_user_sgpr_queue_ptr 0
		.amdhsa_user_sgpr_kernarg_segment_ptr 1
		.amdhsa_user_sgpr_dispatch_id 0
		.amdhsa_user_sgpr_flat_scratch_init 0
		.amdhsa_user_sgpr_private_segment_size 0
		.amdhsa_wavefront_size32 1
		.amdhsa_uses_dynamic_stack 0
		.amdhsa_system_sgpr_private_segment_wavefront_offset 0
		.amdhsa_system_sgpr_workgroup_id_x 1
		.amdhsa_system_sgpr_workgroup_id_y 0
		.amdhsa_system_sgpr_workgroup_id_z 0
		.amdhsa_system_sgpr_workgroup_info 0
		.amdhsa_system_vgpr_workitem_id 0
		.amdhsa_next_free_vgpr 1
		.amdhsa_next_free_sgpr 1
		.amdhsa_reserve_vcc 0
		.amdhsa_reserve_flat_scratch 0
		.amdhsa_float_round_mode_32 0
		.amdhsa_float_round_mode_16_64 0
		.amdhsa_float_denorm_mode_32 3
		.amdhsa_float_denorm_mode_16_64 3
		.amdhsa_dx10_clamp 1
		.amdhsa_ieee_mode 1
		.amdhsa_fp16_overflow 0
		.amdhsa_workgroup_processor_mode 1
		.amdhsa_memory_ordered 1
		.amdhsa_forward_progress 1
		.amdhsa_shared_vgpr_count 0
		.amdhsa_exception_fp_ieee_invalid_op 0
		.amdhsa_exception_fp_denorm_src 0
		.amdhsa_exception_fp_ieee_div_zero 0
		.amdhsa_exception_fp_ieee_overflow 0
		.amdhsa_exception_fp_ieee_underflow 0
		.amdhsa_exception_fp_ieee_inexact 0
		.amdhsa_exception_int_div_zero 0
	.end_amdhsa_kernel
	.section	.text._ZN7rocprim17ROCPRIM_400000_NS6detail17trampoline_kernelINS0_14default_configENS1_35radix_sort_onesweep_config_selectorIiiEEZNS1_34radix_sort_onesweep_global_offsetsIS3_Lb1EN6thrust23THRUST_200600_302600_NS6detail15normal_iteratorINS8_10device_ptrIiEEEESD_jNS0_19identity_decomposerEEE10hipError_tT1_T2_PT3_SI_jT4_jjP12ihipStream_tbEUlT_E0_NS1_11comp_targetILNS1_3genE4ELNS1_11target_archE910ELNS1_3gpuE8ELNS1_3repE0EEENS1_52radix_sort_onesweep_histogram_config_static_selectorELNS0_4arch9wavefront6targetE0EEEvSG_,"axG",@progbits,_ZN7rocprim17ROCPRIM_400000_NS6detail17trampoline_kernelINS0_14default_configENS1_35radix_sort_onesweep_config_selectorIiiEEZNS1_34radix_sort_onesweep_global_offsetsIS3_Lb1EN6thrust23THRUST_200600_302600_NS6detail15normal_iteratorINS8_10device_ptrIiEEEESD_jNS0_19identity_decomposerEEE10hipError_tT1_T2_PT3_SI_jT4_jjP12ihipStream_tbEUlT_E0_NS1_11comp_targetILNS1_3genE4ELNS1_11target_archE910ELNS1_3gpuE8ELNS1_3repE0EEENS1_52radix_sort_onesweep_histogram_config_static_selectorELNS0_4arch9wavefront6targetE0EEEvSG_,comdat
.Lfunc_end994:
	.size	_ZN7rocprim17ROCPRIM_400000_NS6detail17trampoline_kernelINS0_14default_configENS1_35radix_sort_onesweep_config_selectorIiiEEZNS1_34radix_sort_onesweep_global_offsetsIS3_Lb1EN6thrust23THRUST_200600_302600_NS6detail15normal_iteratorINS8_10device_ptrIiEEEESD_jNS0_19identity_decomposerEEE10hipError_tT1_T2_PT3_SI_jT4_jjP12ihipStream_tbEUlT_E0_NS1_11comp_targetILNS1_3genE4ELNS1_11target_archE910ELNS1_3gpuE8ELNS1_3repE0EEENS1_52radix_sort_onesweep_histogram_config_static_selectorELNS0_4arch9wavefront6targetE0EEEvSG_, .Lfunc_end994-_ZN7rocprim17ROCPRIM_400000_NS6detail17trampoline_kernelINS0_14default_configENS1_35radix_sort_onesweep_config_selectorIiiEEZNS1_34radix_sort_onesweep_global_offsetsIS3_Lb1EN6thrust23THRUST_200600_302600_NS6detail15normal_iteratorINS8_10device_ptrIiEEEESD_jNS0_19identity_decomposerEEE10hipError_tT1_T2_PT3_SI_jT4_jjP12ihipStream_tbEUlT_E0_NS1_11comp_targetILNS1_3genE4ELNS1_11target_archE910ELNS1_3gpuE8ELNS1_3repE0EEENS1_52radix_sort_onesweep_histogram_config_static_selectorELNS0_4arch9wavefront6targetE0EEEvSG_
                                        ; -- End function
	.set _ZN7rocprim17ROCPRIM_400000_NS6detail17trampoline_kernelINS0_14default_configENS1_35radix_sort_onesweep_config_selectorIiiEEZNS1_34radix_sort_onesweep_global_offsetsIS3_Lb1EN6thrust23THRUST_200600_302600_NS6detail15normal_iteratorINS8_10device_ptrIiEEEESD_jNS0_19identity_decomposerEEE10hipError_tT1_T2_PT3_SI_jT4_jjP12ihipStream_tbEUlT_E0_NS1_11comp_targetILNS1_3genE4ELNS1_11target_archE910ELNS1_3gpuE8ELNS1_3repE0EEENS1_52radix_sort_onesweep_histogram_config_static_selectorELNS0_4arch9wavefront6targetE0EEEvSG_.num_vgpr, 0
	.set _ZN7rocprim17ROCPRIM_400000_NS6detail17trampoline_kernelINS0_14default_configENS1_35radix_sort_onesweep_config_selectorIiiEEZNS1_34radix_sort_onesweep_global_offsetsIS3_Lb1EN6thrust23THRUST_200600_302600_NS6detail15normal_iteratorINS8_10device_ptrIiEEEESD_jNS0_19identity_decomposerEEE10hipError_tT1_T2_PT3_SI_jT4_jjP12ihipStream_tbEUlT_E0_NS1_11comp_targetILNS1_3genE4ELNS1_11target_archE910ELNS1_3gpuE8ELNS1_3repE0EEENS1_52radix_sort_onesweep_histogram_config_static_selectorELNS0_4arch9wavefront6targetE0EEEvSG_.num_agpr, 0
	.set _ZN7rocprim17ROCPRIM_400000_NS6detail17trampoline_kernelINS0_14default_configENS1_35radix_sort_onesweep_config_selectorIiiEEZNS1_34radix_sort_onesweep_global_offsetsIS3_Lb1EN6thrust23THRUST_200600_302600_NS6detail15normal_iteratorINS8_10device_ptrIiEEEESD_jNS0_19identity_decomposerEEE10hipError_tT1_T2_PT3_SI_jT4_jjP12ihipStream_tbEUlT_E0_NS1_11comp_targetILNS1_3genE4ELNS1_11target_archE910ELNS1_3gpuE8ELNS1_3repE0EEENS1_52radix_sort_onesweep_histogram_config_static_selectorELNS0_4arch9wavefront6targetE0EEEvSG_.numbered_sgpr, 0
	.set _ZN7rocprim17ROCPRIM_400000_NS6detail17trampoline_kernelINS0_14default_configENS1_35radix_sort_onesweep_config_selectorIiiEEZNS1_34radix_sort_onesweep_global_offsetsIS3_Lb1EN6thrust23THRUST_200600_302600_NS6detail15normal_iteratorINS8_10device_ptrIiEEEESD_jNS0_19identity_decomposerEEE10hipError_tT1_T2_PT3_SI_jT4_jjP12ihipStream_tbEUlT_E0_NS1_11comp_targetILNS1_3genE4ELNS1_11target_archE910ELNS1_3gpuE8ELNS1_3repE0EEENS1_52radix_sort_onesweep_histogram_config_static_selectorELNS0_4arch9wavefront6targetE0EEEvSG_.num_named_barrier, 0
	.set _ZN7rocprim17ROCPRIM_400000_NS6detail17trampoline_kernelINS0_14default_configENS1_35radix_sort_onesweep_config_selectorIiiEEZNS1_34radix_sort_onesweep_global_offsetsIS3_Lb1EN6thrust23THRUST_200600_302600_NS6detail15normal_iteratorINS8_10device_ptrIiEEEESD_jNS0_19identity_decomposerEEE10hipError_tT1_T2_PT3_SI_jT4_jjP12ihipStream_tbEUlT_E0_NS1_11comp_targetILNS1_3genE4ELNS1_11target_archE910ELNS1_3gpuE8ELNS1_3repE0EEENS1_52radix_sort_onesweep_histogram_config_static_selectorELNS0_4arch9wavefront6targetE0EEEvSG_.private_seg_size, 0
	.set _ZN7rocprim17ROCPRIM_400000_NS6detail17trampoline_kernelINS0_14default_configENS1_35radix_sort_onesweep_config_selectorIiiEEZNS1_34radix_sort_onesweep_global_offsetsIS3_Lb1EN6thrust23THRUST_200600_302600_NS6detail15normal_iteratorINS8_10device_ptrIiEEEESD_jNS0_19identity_decomposerEEE10hipError_tT1_T2_PT3_SI_jT4_jjP12ihipStream_tbEUlT_E0_NS1_11comp_targetILNS1_3genE4ELNS1_11target_archE910ELNS1_3gpuE8ELNS1_3repE0EEENS1_52radix_sort_onesweep_histogram_config_static_selectorELNS0_4arch9wavefront6targetE0EEEvSG_.uses_vcc, 0
	.set _ZN7rocprim17ROCPRIM_400000_NS6detail17trampoline_kernelINS0_14default_configENS1_35radix_sort_onesweep_config_selectorIiiEEZNS1_34radix_sort_onesweep_global_offsetsIS3_Lb1EN6thrust23THRUST_200600_302600_NS6detail15normal_iteratorINS8_10device_ptrIiEEEESD_jNS0_19identity_decomposerEEE10hipError_tT1_T2_PT3_SI_jT4_jjP12ihipStream_tbEUlT_E0_NS1_11comp_targetILNS1_3genE4ELNS1_11target_archE910ELNS1_3gpuE8ELNS1_3repE0EEENS1_52radix_sort_onesweep_histogram_config_static_selectorELNS0_4arch9wavefront6targetE0EEEvSG_.uses_flat_scratch, 0
	.set _ZN7rocprim17ROCPRIM_400000_NS6detail17trampoline_kernelINS0_14default_configENS1_35radix_sort_onesweep_config_selectorIiiEEZNS1_34radix_sort_onesweep_global_offsetsIS3_Lb1EN6thrust23THRUST_200600_302600_NS6detail15normal_iteratorINS8_10device_ptrIiEEEESD_jNS0_19identity_decomposerEEE10hipError_tT1_T2_PT3_SI_jT4_jjP12ihipStream_tbEUlT_E0_NS1_11comp_targetILNS1_3genE4ELNS1_11target_archE910ELNS1_3gpuE8ELNS1_3repE0EEENS1_52radix_sort_onesweep_histogram_config_static_selectorELNS0_4arch9wavefront6targetE0EEEvSG_.has_dyn_sized_stack, 0
	.set _ZN7rocprim17ROCPRIM_400000_NS6detail17trampoline_kernelINS0_14default_configENS1_35radix_sort_onesweep_config_selectorIiiEEZNS1_34radix_sort_onesweep_global_offsetsIS3_Lb1EN6thrust23THRUST_200600_302600_NS6detail15normal_iteratorINS8_10device_ptrIiEEEESD_jNS0_19identity_decomposerEEE10hipError_tT1_T2_PT3_SI_jT4_jjP12ihipStream_tbEUlT_E0_NS1_11comp_targetILNS1_3genE4ELNS1_11target_archE910ELNS1_3gpuE8ELNS1_3repE0EEENS1_52radix_sort_onesweep_histogram_config_static_selectorELNS0_4arch9wavefront6targetE0EEEvSG_.has_recursion, 0
	.set _ZN7rocprim17ROCPRIM_400000_NS6detail17trampoline_kernelINS0_14default_configENS1_35radix_sort_onesweep_config_selectorIiiEEZNS1_34radix_sort_onesweep_global_offsetsIS3_Lb1EN6thrust23THRUST_200600_302600_NS6detail15normal_iteratorINS8_10device_ptrIiEEEESD_jNS0_19identity_decomposerEEE10hipError_tT1_T2_PT3_SI_jT4_jjP12ihipStream_tbEUlT_E0_NS1_11comp_targetILNS1_3genE4ELNS1_11target_archE910ELNS1_3gpuE8ELNS1_3repE0EEENS1_52radix_sort_onesweep_histogram_config_static_selectorELNS0_4arch9wavefront6targetE0EEEvSG_.has_indirect_call, 0
	.section	.AMDGPU.csdata,"",@progbits
; Kernel info:
; codeLenInByte = 0
; TotalNumSgprs: 0
; NumVgprs: 0
; ScratchSize: 0
; MemoryBound: 0
; FloatMode: 240
; IeeeMode: 1
; LDSByteSize: 0 bytes/workgroup (compile time only)
; SGPRBlocks: 0
; VGPRBlocks: 0
; NumSGPRsForWavesPerEU: 1
; NumVGPRsForWavesPerEU: 1
; Occupancy: 16
; WaveLimiterHint : 0
; COMPUTE_PGM_RSRC2:SCRATCH_EN: 0
; COMPUTE_PGM_RSRC2:USER_SGPR: 6
; COMPUTE_PGM_RSRC2:TRAP_HANDLER: 0
; COMPUTE_PGM_RSRC2:TGID_X_EN: 1
; COMPUTE_PGM_RSRC2:TGID_Y_EN: 0
; COMPUTE_PGM_RSRC2:TGID_Z_EN: 0
; COMPUTE_PGM_RSRC2:TIDIG_COMP_CNT: 0
	.section	.text._ZN7rocprim17ROCPRIM_400000_NS6detail17trampoline_kernelINS0_14default_configENS1_35radix_sort_onesweep_config_selectorIiiEEZNS1_34radix_sort_onesweep_global_offsetsIS3_Lb1EN6thrust23THRUST_200600_302600_NS6detail15normal_iteratorINS8_10device_ptrIiEEEESD_jNS0_19identity_decomposerEEE10hipError_tT1_T2_PT3_SI_jT4_jjP12ihipStream_tbEUlT_E0_NS1_11comp_targetILNS1_3genE3ELNS1_11target_archE908ELNS1_3gpuE7ELNS1_3repE0EEENS1_52radix_sort_onesweep_histogram_config_static_selectorELNS0_4arch9wavefront6targetE0EEEvSG_,"axG",@progbits,_ZN7rocprim17ROCPRIM_400000_NS6detail17trampoline_kernelINS0_14default_configENS1_35radix_sort_onesweep_config_selectorIiiEEZNS1_34radix_sort_onesweep_global_offsetsIS3_Lb1EN6thrust23THRUST_200600_302600_NS6detail15normal_iteratorINS8_10device_ptrIiEEEESD_jNS0_19identity_decomposerEEE10hipError_tT1_T2_PT3_SI_jT4_jjP12ihipStream_tbEUlT_E0_NS1_11comp_targetILNS1_3genE3ELNS1_11target_archE908ELNS1_3gpuE7ELNS1_3repE0EEENS1_52radix_sort_onesweep_histogram_config_static_selectorELNS0_4arch9wavefront6targetE0EEEvSG_,comdat
	.protected	_ZN7rocprim17ROCPRIM_400000_NS6detail17trampoline_kernelINS0_14default_configENS1_35radix_sort_onesweep_config_selectorIiiEEZNS1_34radix_sort_onesweep_global_offsetsIS3_Lb1EN6thrust23THRUST_200600_302600_NS6detail15normal_iteratorINS8_10device_ptrIiEEEESD_jNS0_19identity_decomposerEEE10hipError_tT1_T2_PT3_SI_jT4_jjP12ihipStream_tbEUlT_E0_NS1_11comp_targetILNS1_3genE3ELNS1_11target_archE908ELNS1_3gpuE7ELNS1_3repE0EEENS1_52radix_sort_onesweep_histogram_config_static_selectorELNS0_4arch9wavefront6targetE0EEEvSG_ ; -- Begin function _ZN7rocprim17ROCPRIM_400000_NS6detail17trampoline_kernelINS0_14default_configENS1_35radix_sort_onesweep_config_selectorIiiEEZNS1_34radix_sort_onesweep_global_offsetsIS3_Lb1EN6thrust23THRUST_200600_302600_NS6detail15normal_iteratorINS8_10device_ptrIiEEEESD_jNS0_19identity_decomposerEEE10hipError_tT1_T2_PT3_SI_jT4_jjP12ihipStream_tbEUlT_E0_NS1_11comp_targetILNS1_3genE3ELNS1_11target_archE908ELNS1_3gpuE7ELNS1_3repE0EEENS1_52radix_sort_onesweep_histogram_config_static_selectorELNS0_4arch9wavefront6targetE0EEEvSG_
	.globl	_ZN7rocprim17ROCPRIM_400000_NS6detail17trampoline_kernelINS0_14default_configENS1_35radix_sort_onesweep_config_selectorIiiEEZNS1_34radix_sort_onesweep_global_offsetsIS3_Lb1EN6thrust23THRUST_200600_302600_NS6detail15normal_iteratorINS8_10device_ptrIiEEEESD_jNS0_19identity_decomposerEEE10hipError_tT1_T2_PT3_SI_jT4_jjP12ihipStream_tbEUlT_E0_NS1_11comp_targetILNS1_3genE3ELNS1_11target_archE908ELNS1_3gpuE7ELNS1_3repE0EEENS1_52radix_sort_onesweep_histogram_config_static_selectorELNS0_4arch9wavefront6targetE0EEEvSG_
	.p2align	8
	.type	_ZN7rocprim17ROCPRIM_400000_NS6detail17trampoline_kernelINS0_14default_configENS1_35radix_sort_onesweep_config_selectorIiiEEZNS1_34radix_sort_onesweep_global_offsetsIS3_Lb1EN6thrust23THRUST_200600_302600_NS6detail15normal_iteratorINS8_10device_ptrIiEEEESD_jNS0_19identity_decomposerEEE10hipError_tT1_T2_PT3_SI_jT4_jjP12ihipStream_tbEUlT_E0_NS1_11comp_targetILNS1_3genE3ELNS1_11target_archE908ELNS1_3gpuE7ELNS1_3repE0EEENS1_52radix_sort_onesweep_histogram_config_static_selectorELNS0_4arch9wavefront6targetE0EEEvSG_,@function
_ZN7rocprim17ROCPRIM_400000_NS6detail17trampoline_kernelINS0_14default_configENS1_35radix_sort_onesweep_config_selectorIiiEEZNS1_34radix_sort_onesweep_global_offsetsIS3_Lb1EN6thrust23THRUST_200600_302600_NS6detail15normal_iteratorINS8_10device_ptrIiEEEESD_jNS0_19identity_decomposerEEE10hipError_tT1_T2_PT3_SI_jT4_jjP12ihipStream_tbEUlT_E0_NS1_11comp_targetILNS1_3genE3ELNS1_11target_archE908ELNS1_3gpuE7ELNS1_3repE0EEENS1_52radix_sort_onesweep_histogram_config_static_selectorELNS0_4arch9wavefront6targetE0EEEvSG_: ; @_ZN7rocprim17ROCPRIM_400000_NS6detail17trampoline_kernelINS0_14default_configENS1_35radix_sort_onesweep_config_selectorIiiEEZNS1_34radix_sort_onesweep_global_offsetsIS3_Lb1EN6thrust23THRUST_200600_302600_NS6detail15normal_iteratorINS8_10device_ptrIiEEEESD_jNS0_19identity_decomposerEEE10hipError_tT1_T2_PT3_SI_jT4_jjP12ihipStream_tbEUlT_E0_NS1_11comp_targetILNS1_3genE3ELNS1_11target_archE908ELNS1_3gpuE7ELNS1_3repE0EEENS1_52radix_sort_onesweep_histogram_config_static_selectorELNS0_4arch9wavefront6targetE0EEEvSG_
; %bb.0:
	.section	.rodata,"a",@progbits
	.p2align	6, 0x0
	.amdhsa_kernel _ZN7rocprim17ROCPRIM_400000_NS6detail17trampoline_kernelINS0_14default_configENS1_35radix_sort_onesweep_config_selectorIiiEEZNS1_34radix_sort_onesweep_global_offsetsIS3_Lb1EN6thrust23THRUST_200600_302600_NS6detail15normal_iteratorINS8_10device_ptrIiEEEESD_jNS0_19identity_decomposerEEE10hipError_tT1_T2_PT3_SI_jT4_jjP12ihipStream_tbEUlT_E0_NS1_11comp_targetILNS1_3genE3ELNS1_11target_archE908ELNS1_3gpuE7ELNS1_3repE0EEENS1_52radix_sort_onesweep_histogram_config_static_selectorELNS0_4arch9wavefront6targetE0EEEvSG_
		.amdhsa_group_segment_fixed_size 0
		.amdhsa_private_segment_fixed_size 0
		.amdhsa_kernarg_size 8
		.amdhsa_user_sgpr_count 6
		.amdhsa_user_sgpr_private_segment_buffer 1
		.amdhsa_user_sgpr_dispatch_ptr 0
		.amdhsa_user_sgpr_queue_ptr 0
		.amdhsa_user_sgpr_kernarg_segment_ptr 1
		.amdhsa_user_sgpr_dispatch_id 0
		.amdhsa_user_sgpr_flat_scratch_init 0
		.amdhsa_user_sgpr_private_segment_size 0
		.amdhsa_wavefront_size32 1
		.amdhsa_uses_dynamic_stack 0
		.amdhsa_system_sgpr_private_segment_wavefront_offset 0
		.amdhsa_system_sgpr_workgroup_id_x 1
		.amdhsa_system_sgpr_workgroup_id_y 0
		.amdhsa_system_sgpr_workgroup_id_z 0
		.amdhsa_system_sgpr_workgroup_info 0
		.amdhsa_system_vgpr_workitem_id 0
		.amdhsa_next_free_vgpr 1
		.amdhsa_next_free_sgpr 1
		.amdhsa_reserve_vcc 0
		.amdhsa_reserve_flat_scratch 0
		.amdhsa_float_round_mode_32 0
		.amdhsa_float_round_mode_16_64 0
		.amdhsa_float_denorm_mode_32 3
		.amdhsa_float_denorm_mode_16_64 3
		.amdhsa_dx10_clamp 1
		.amdhsa_ieee_mode 1
		.amdhsa_fp16_overflow 0
		.amdhsa_workgroup_processor_mode 1
		.amdhsa_memory_ordered 1
		.amdhsa_forward_progress 1
		.amdhsa_shared_vgpr_count 0
		.amdhsa_exception_fp_ieee_invalid_op 0
		.amdhsa_exception_fp_denorm_src 0
		.amdhsa_exception_fp_ieee_div_zero 0
		.amdhsa_exception_fp_ieee_overflow 0
		.amdhsa_exception_fp_ieee_underflow 0
		.amdhsa_exception_fp_ieee_inexact 0
		.amdhsa_exception_int_div_zero 0
	.end_amdhsa_kernel
	.section	.text._ZN7rocprim17ROCPRIM_400000_NS6detail17trampoline_kernelINS0_14default_configENS1_35radix_sort_onesweep_config_selectorIiiEEZNS1_34radix_sort_onesweep_global_offsetsIS3_Lb1EN6thrust23THRUST_200600_302600_NS6detail15normal_iteratorINS8_10device_ptrIiEEEESD_jNS0_19identity_decomposerEEE10hipError_tT1_T2_PT3_SI_jT4_jjP12ihipStream_tbEUlT_E0_NS1_11comp_targetILNS1_3genE3ELNS1_11target_archE908ELNS1_3gpuE7ELNS1_3repE0EEENS1_52radix_sort_onesweep_histogram_config_static_selectorELNS0_4arch9wavefront6targetE0EEEvSG_,"axG",@progbits,_ZN7rocprim17ROCPRIM_400000_NS6detail17trampoline_kernelINS0_14default_configENS1_35radix_sort_onesweep_config_selectorIiiEEZNS1_34radix_sort_onesweep_global_offsetsIS3_Lb1EN6thrust23THRUST_200600_302600_NS6detail15normal_iteratorINS8_10device_ptrIiEEEESD_jNS0_19identity_decomposerEEE10hipError_tT1_T2_PT3_SI_jT4_jjP12ihipStream_tbEUlT_E0_NS1_11comp_targetILNS1_3genE3ELNS1_11target_archE908ELNS1_3gpuE7ELNS1_3repE0EEENS1_52radix_sort_onesweep_histogram_config_static_selectorELNS0_4arch9wavefront6targetE0EEEvSG_,comdat
.Lfunc_end995:
	.size	_ZN7rocprim17ROCPRIM_400000_NS6detail17trampoline_kernelINS0_14default_configENS1_35radix_sort_onesweep_config_selectorIiiEEZNS1_34radix_sort_onesweep_global_offsetsIS3_Lb1EN6thrust23THRUST_200600_302600_NS6detail15normal_iteratorINS8_10device_ptrIiEEEESD_jNS0_19identity_decomposerEEE10hipError_tT1_T2_PT3_SI_jT4_jjP12ihipStream_tbEUlT_E0_NS1_11comp_targetILNS1_3genE3ELNS1_11target_archE908ELNS1_3gpuE7ELNS1_3repE0EEENS1_52radix_sort_onesweep_histogram_config_static_selectorELNS0_4arch9wavefront6targetE0EEEvSG_, .Lfunc_end995-_ZN7rocprim17ROCPRIM_400000_NS6detail17trampoline_kernelINS0_14default_configENS1_35radix_sort_onesweep_config_selectorIiiEEZNS1_34radix_sort_onesweep_global_offsetsIS3_Lb1EN6thrust23THRUST_200600_302600_NS6detail15normal_iteratorINS8_10device_ptrIiEEEESD_jNS0_19identity_decomposerEEE10hipError_tT1_T2_PT3_SI_jT4_jjP12ihipStream_tbEUlT_E0_NS1_11comp_targetILNS1_3genE3ELNS1_11target_archE908ELNS1_3gpuE7ELNS1_3repE0EEENS1_52radix_sort_onesweep_histogram_config_static_selectorELNS0_4arch9wavefront6targetE0EEEvSG_
                                        ; -- End function
	.set _ZN7rocprim17ROCPRIM_400000_NS6detail17trampoline_kernelINS0_14default_configENS1_35radix_sort_onesweep_config_selectorIiiEEZNS1_34radix_sort_onesweep_global_offsetsIS3_Lb1EN6thrust23THRUST_200600_302600_NS6detail15normal_iteratorINS8_10device_ptrIiEEEESD_jNS0_19identity_decomposerEEE10hipError_tT1_T2_PT3_SI_jT4_jjP12ihipStream_tbEUlT_E0_NS1_11comp_targetILNS1_3genE3ELNS1_11target_archE908ELNS1_3gpuE7ELNS1_3repE0EEENS1_52radix_sort_onesweep_histogram_config_static_selectorELNS0_4arch9wavefront6targetE0EEEvSG_.num_vgpr, 0
	.set _ZN7rocprim17ROCPRIM_400000_NS6detail17trampoline_kernelINS0_14default_configENS1_35radix_sort_onesweep_config_selectorIiiEEZNS1_34radix_sort_onesweep_global_offsetsIS3_Lb1EN6thrust23THRUST_200600_302600_NS6detail15normal_iteratorINS8_10device_ptrIiEEEESD_jNS0_19identity_decomposerEEE10hipError_tT1_T2_PT3_SI_jT4_jjP12ihipStream_tbEUlT_E0_NS1_11comp_targetILNS1_3genE3ELNS1_11target_archE908ELNS1_3gpuE7ELNS1_3repE0EEENS1_52radix_sort_onesweep_histogram_config_static_selectorELNS0_4arch9wavefront6targetE0EEEvSG_.num_agpr, 0
	.set _ZN7rocprim17ROCPRIM_400000_NS6detail17trampoline_kernelINS0_14default_configENS1_35radix_sort_onesweep_config_selectorIiiEEZNS1_34radix_sort_onesweep_global_offsetsIS3_Lb1EN6thrust23THRUST_200600_302600_NS6detail15normal_iteratorINS8_10device_ptrIiEEEESD_jNS0_19identity_decomposerEEE10hipError_tT1_T2_PT3_SI_jT4_jjP12ihipStream_tbEUlT_E0_NS1_11comp_targetILNS1_3genE3ELNS1_11target_archE908ELNS1_3gpuE7ELNS1_3repE0EEENS1_52radix_sort_onesweep_histogram_config_static_selectorELNS0_4arch9wavefront6targetE0EEEvSG_.numbered_sgpr, 0
	.set _ZN7rocprim17ROCPRIM_400000_NS6detail17trampoline_kernelINS0_14default_configENS1_35radix_sort_onesweep_config_selectorIiiEEZNS1_34radix_sort_onesweep_global_offsetsIS3_Lb1EN6thrust23THRUST_200600_302600_NS6detail15normal_iteratorINS8_10device_ptrIiEEEESD_jNS0_19identity_decomposerEEE10hipError_tT1_T2_PT3_SI_jT4_jjP12ihipStream_tbEUlT_E0_NS1_11comp_targetILNS1_3genE3ELNS1_11target_archE908ELNS1_3gpuE7ELNS1_3repE0EEENS1_52radix_sort_onesweep_histogram_config_static_selectorELNS0_4arch9wavefront6targetE0EEEvSG_.num_named_barrier, 0
	.set _ZN7rocprim17ROCPRIM_400000_NS6detail17trampoline_kernelINS0_14default_configENS1_35radix_sort_onesweep_config_selectorIiiEEZNS1_34radix_sort_onesweep_global_offsetsIS3_Lb1EN6thrust23THRUST_200600_302600_NS6detail15normal_iteratorINS8_10device_ptrIiEEEESD_jNS0_19identity_decomposerEEE10hipError_tT1_T2_PT3_SI_jT4_jjP12ihipStream_tbEUlT_E0_NS1_11comp_targetILNS1_3genE3ELNS1_11target_archE908ELNS1_3gpuE7ELNS1_3repE0EEENS1_52radix_sort_onesweep_histogram_config_static_selectorELNS0_4arch9wavefront6targetE0EEEvSG_.private_seg_size, 0
	.set _ZN7rocprim17ROCPRIM_400000_NS6detail17trampoline_kernelINS0_14default_configENS1_35radix_sort_onesweep_config_selectorIiiEEZNS1_34radix_sort_onesweep_global_offsetsIS3_Lb1EN6thrust23THRUST_200600_302600_NS6detail15normal_iteratorINS8_10device_ptrIiEEEESD_jNS0_19identity_decomposerEEE10hipError_tT1_T2_PT3_SI_jT4_jjP12ihipStream_tbEUlT_E0_NS1_11comp_targetILNS1_3genE3ELNS1_11target_archE908ELNS1_3gpuE7ELNS1_3repE0EEENS1_52radix_sort_onesweep_histogram_config_static_selectorELNS0_4arch9wavefront6targetE0EEEvSG_.uses_vcc, 0
	.set _ZN7rocprim17ROCPRIM_400000_NS6detail17trampoline_kernelINS0_14default_configENS1_35radix_sort_onesweep_config_selectorIiiEEZNS1_34radix_sort_onesweep_global_offsetsIS3_Lb1EN6thrust23THRUST_200600_302600_NS6detail15normal_iteratorINS8_10device_ptrIiEEEESD_jNS0_19identity_decomposerEEE10hipError_tT1_T2_PT3_SI_jT4_jjP12ihipStream_tbEUlT_E0_NS1_11comp_targetILNS1_3genE3ELNS1_11target_archE908ELNS1_3gpuE7ELNS1_3repE0EEENS1_52radix_sort_onesweep_histogram_config_static_selectorELNS0_4arch9wavefront6targetE0EEEvSG_.uses_flat_scratch, 0
	.set _ZN7rocprim17ROCPRIM_400000_NS6detail17trampoline_kernelINS0_14default_configENS1_35radix_sort_onesweep_config_selectorIiiEEZNS1_34radix_sort_onesweep_global_offsetsIS3_Lb1EN6thrust23THRUST_200600_302600_NS6detail15normal_iteratorINS8_10device_ptrIiEEEESD_jNS0_19identity_decomposerEEE10hipError_tT1_T2_PT3_SI_jT4_jjP12ihipStream_tbEUlT_E0_NS1_11comp_targetILNS1_3genE3ELNS1_11target_archE908ELNS1_3gpuE7ELNS1_3repE0EEENS1_52radix_sort_onesweep_histogram_config_static_selectorELNS0_4arch9wavefront6targetE0EEEvSG_.has_dyn_sized_stack, 0
	.set _ZN7rocprim17ROCPRIM_400000_NS6detail17trampoline_kernelINS0_14default_configENS1_35radix_sort_onesweep_config_selectorIiiEEZNS1_34radix_sort_onesweep_global_offsetsIS3_Lb1EN6thrust23THRUST_200600_302600_NS6detail15normal_iteratorINS8_10device_ptrIiEEEESD_jNS0_19identity_decomposerEEE10hipError_tT1_T2_PT3_SI_jT4_jjP12ihipStream_tbEUlT_E0_NS1_11comp_targetILNS1_3genE3ELNS1_11target_archE908ELNS1_3gpuE7ELNS1_3repE0EEENS1_52radix_sort_onesweep_histogram_config_static_selectorELNS0_4arch9wavefront6targetE0EEEvSG_.has_recursion, 0
	.set _ZN7rocprim17ROCPRIM_400000_NS6detail17trampoline_kernelINS0_14default_configENS1_35radix_sort_onesweep_config_selectorIiiEEZNS1_34radix_sort_onesweep_global_offsetsIS3_Lb1EN6thrust23THRUST_200600_302600_NS6detail15normal_iteratorINS8_10device_ptrIiEEEESD_jNS0_19identity_decomposerEEE10hipError_tT1_T2_PT3_SI_jT4_jjP12ihipStream_tbEUlT_E0_NS1_11comp_targetILNS1_3genE3ELNS1_11target_archE908ELNS1_3gpuE7ELNS1_3repE0EEENS1_52radix_sort_onesweep_histogram_config_static_selectorELNS0_4arch9wavefront6targetE0EEEvSG_.has_indirect_call, 0
	.section	.AMDGPU.csdata,"",@progbits
; Kernel info:
; codeLenInByte = 0
; TotalNumSgprs: 0
; NumVgprs: 0
; ScratchSize: 0
; MemoryBound: 0
; FloatMode: 240
; IeeeMode: 1
; LDSByteSize: 0 bytes/workgroup (compile time only)
; SGPRBlocks: 0
; VGPRBlocks: 0
; NumSGPRsForWavesPerEU: 1
; NumVGPRsForWavesPerEU: 1
; Occupancy: 16
; WaveLimiterHint : 0
; COMPUTE_PGM_RSRC2:SCRATCH_EN: 0
; COMPUTE_PGM_RSRC2:USER_SGPR: 6
; COMPUTE_PGM_RSRC2:TRAP_HANDLER: 0
; COMPUTE_PGM_RSRC2:TGID_X_EN: 1
; COMPUTE_PGM_RSRC2:TGID_Y_EN: 0
; COMPUTE_PGM_RSRC2:TGID_Z_EN: 0
; COMPUTE_PGM_RSRC2:TIDIG_COMP_CNT: 0
	.section	.text._ZN7rocprim17ROCPRIM_400000_NS6detail17trampoline_kernelINS0_14default_configENS1_35radix_sort_onesweep_config_selectorIiiEEZNS1_34radix_sort_onesweep_global_offsetsIS3_Lb1EN6thrust23THRUST_200600_302600_NS6detail15normal_iteratorINS8_10device_ptrIiEEEESD_jNS0_19identity_decomposerEEE10hipError_tT1_T2_PT3_SI_jT4_jjP12ihipStream_tbEUlT_E0_NS1_11comp_targetILNS1_3genE10ELNS1_11target_archE1201ELNS1_3gpuE5ELNS1_3repE0EEENS1_52radix_sort_onesweep_histogram_config_static_selectorELNS0_4arch9wavefront6targetE0EEEvSG_,"axG",@progbits,_ZN7rocprim17ROCPRIM_400000_NS6detail17trampoline_kernelINS0_14default_configENS1_35radix_sort_onesweep_config_selectorIiiEEZNS1_34radix_sort_onesweep_global_offsetsIS3_Lb1EN6thrust23THRUST_200600_302600_NS6detail15normal_iteratorINS8_10device_ptrIiEEEESD_jNS0_19identity_decomposerEEE10hipError_tT1_T2_PT3_SI_jT4_jjP12ihipStream_tbEUlT_E0_NS1_11comp_targetILNS1_3genE10ELNS1_11target_archE1201ELNS1_3gpuE5ELNS1_3repE0EEENS1_52radix_sort_onesweep_histogram_config_static_selectorELNS0_4arch9wavefront6targetE0EEEvSG_,comdat
	.protected	_ZN7rocprim17ROCPRIM_400000_NS6detail17trampoline_kernelINS0_14default_configENS1_35radix_sort_onesweep_config_selectorIiiEEZNS1_34radix_sort_onesweep_global_offsetsIS3_Lb1EN6thrust23THRUST_200600_302600_NS6detail15normal_iteratorINS8_10device_ptrIiEEEESD_jNS0_19identity_decomposerEEE10hipError_tT1_T2_PT3_SI_jT4_jjP12ihipStream_tbEUlT_E0_NS1_11comp_targetILNS1_3genE10ELNS1_11target_archE1201ELNS1_3gpuE5ELNS1_3repE0EEENS1_52radix_sort_onesweep_histogram_config_static_selectorELNS0_4arch9wavefront6targetE0EEEvSG_ ; -- Begin function _ZN7rocprim17ROCPRIM_400000_NS6detail17trampoline_kernelINS0_14default_configENS1_35radix_sort_onesweep_config_selectorIiiEEZNS1_34radix_sort_onesweep_global_offsetsIS3_Lb1EN6thrust23THRUST_200600_302600_NS6detail15normal_iteratorINS8_10device_ptrIiEEEESD_jNS0_19identity_decomposerEEE10hipError_tT1_T2_PT3_SI_jT4_jjP12ihipStream_tbEUlT_E0_NS1_11comp_targetILNS1_3genE10ELNS1_11target_archE1201ELNS1_3gpuE5ELNS1_3repE0EEENS1_52radix_sort_onesweep_histogram_config_static_selectorELNS0_4arch9wavefront6targetE0EEEvSG_
	.globl	_ZN7rocprim17ROCPRIM_400000_NS6detail17trampoline_kernelINS0_14default_configENS1_35radix_sort_onesweep_config_selectorIiiEEZNS1_34radix_sort_onesweep_global_offsetsIS3_Lb1EN6thrust23THRUST_200600_302600_NS6detail15normal_iteratorINS8_10device_ptrIiEEEESD_jNS0_19identity_decomposerEEE10hipError_tT1_T2_PT3_SI_jT4_jjP12ihipStream_tbEUlT_E0_NS1_11comp_targetILNS1_3genE10ELNS1_11target_archE1201ELNS1_3gpuE5ELNS1_3repE0EEENS1_52radix_sort_onesweep_histogram_config_static_selectorELNS0_4arch9wavefront6targetE0EEEvSG_
	.p2align	8
	.type	_ZN7rocprim17ROCPRIM_400000_NS6detail17trampoline_kernelINS0_14default_configENS1_35radix_sort_onesweep_config_selectorIiiEEZNS1_34radix_sort_onesweep_global_offsetsIS3_Lb1EN6thrust23THRUST_200600_302600_NS6detail15normal_iteratorINS8_10device_ptrIiEEEESD_jNS0_19identity_decomposerEEE10hipError_tT1_T2_PT3_SI_jT4_jjP12ihipStream_tbEUlT_E0_NS1_11comp_targetILNS1_3genE10ELNS1_11target_archE1201ELNS1_3gpuE5ELNS1_3repE0EEENS1_52radix_sort_onesweep_histogram_config_static_selectorELNS0_4arch9wavefront6targetE0EEEvSG_,@function
_ZN7rocprim17ROCPRIM_400000_NS6detail17trampoline_kernelINS0_14default_configENS1_35radix_sort_onesweep_config_selectorIiiEEZNS1_34radix_sort_onesweep_global_offsetsIS3_Lb1EN6thrust23THRUST_200600_302600_NS6detail15normal_iteratorINS8_10device_ptrIiEEEESD_jNS0_19identity_decomposerEEE10hipError_tT1_T2_PT3_SI_jT4_jjP12ihipStream_tbEUlT_E0_NS1_11comp_targetILNS1_3genE10ELNS1_11target_archE1201ELNS1_3gpuE5ELNS1_3repE0EEENS1_52radix_sort_onesweep_histogram_config_static_selectorELNS0_4arch9wavefront6targetE0EEEvSG_: ; @_ZN7rocprim17ROCPRIM_400000_NS6detail17trampoline_kernelINS0_14default_configENS1_35radix_sort_onesweep_config_selectorIiiEEZNS1_34radix_sort_onesweep_global_offsetsIS3_Lb1EN6thrust23THRUST_200600_302600_NS6detail15normal_iteratorINS8_10device_ptrIiEEEESD_jNS0_19identity_decomposerEEE10hipError_tT1_T2_PT3_SI_jT4_jjP12ihipStream_tbEUlT_E0_NS1_11comp_targetILNS1_3genE10ELNS1_11target_archE1201ELNS1_3gpuE5ELNS1_3repE0EEENS1_52radix_sort_onesweep_histogram_config_static_selectorELNS0_4arch9wavefront6targetE0EEEvSG_
; %bb.0:
	.section	.rodata,"a",@progbits
	.p2align	6, 0x0
	.amdhsa_kernel _ZN7rocprim17ROCPRIM_400000_NS6detail17trampoline_kernelINS0_14default_configENS1_35radix_sort_onesweep_config_selectorIiiEEZNS1_34radix_sort_onesweep_global_offsetsIS3_Lb1EN6thrust23THRUST_200600_302600_NS6detail15normal_iteratorINS8_10device_ptrIiEEEESD_jNS0_19identity_decomposerEEE10hipError_tT1_T2_PT3_SI_jT4_jjP12ihipStream_tbEUlT_E0_NS1_11comp_targetILNS1_3genE10ELNS1_11target_archE1201ELNS1_3gpuE5ELNS1_3repE0EEENS1_52radix_sort_onesweep_histogram_config_static_selectorELNS0_4arch9wavefront6targetE0EEEvSG_
		.amdhsa_group_segment_fixed_size 0
		.amdhsa_private_segment_fixed_size 0
		.amdhsa_kernarg_size 8
		.amdhsa_user_sgpr_count 6
		.amdhsa_user_sgpr_private_segment_buffer 1
		.amdhsa_user_sgpr_dispatch_ptr 0
		.amdhsa_user_sgpr_queue_ptr 0
		.amdhsa_user_sgpr_kernarg_segment_ptr 1
		.amdhsa_user_sgpr_dispatch_id 0
		.amdhsa_user_sgpr_flat_scratch_init 0
		.amdhsa_user_sgpr_private_segment_size 0
		.amdhsa_wavefront_size32 1
		.amdhsa_uses_dynamic_stack 0
		.amdhsa_system_sgpr_private_segment_wavefront_offset 0
		.amdhsa_system_sgpr_workgroup_id_x 1
		.amdhsa_system_sgpr_workgroup_id_y 0
		.amdhsa_system_sgpr_workgroup_id_z 0
		.amdhsa_system_sgpr_workgroup_info 0
		.amdhsa_system_vgpr_workitem_id 0
		.amdhsa_next_free_vgpr 1
		.amdhsa_next_free_sgpr 1
		.amdhsa_reserve_vcc 0
		.amdhsa_reserve_flat_scratch 0
		.amdhsa_float_round_mode_32 0
		.amdhsa_float_round_mode_16_64 0
		.amdhsa_float_denorm_mode_32 3
		.amdhsa_float_denorm_mode_16_64 3
		.amdhsa_dx10_clamp 1
		.amdhsa_ieee_mode 1
		.amdhsa_fp16_overflow 0
		.amdhsa_workgroup_processor_mode 1
		.amdhsa_memory_ordered 1
		.amdhsa_forward_progress 1
		.amdhsa_shared_vgpr_count 0
		.amdhsa_exception_fp_ieee_invalid_op 0
		.amdhsa_exception_fp_denorm_src 0
		.amdhsa_exception_fp_ieee_div_zero 0
		.amdhsa_exception_fp_ieee_overflow 0
		.amdhsa_exception_fp_ieee_underflow 0
		.amdhsa_exception_fp_ieee_inexact 0
		.amdhsa_exception_int_div_zero 0
	.end_amdhsa_kernel
	.section	.text._ZN7rocprim17ROCPRIM_400000_NS6detail17trampoline_kernelINS0_14default_configENS1_35radix_sort_onesweep_config_selectorIiiEEZNS1_34radix_sort_onesweep_global_offsetsIS3_Lb1EN6thrust23THRUST_200600_302600_NS6detail15normal_iteratorINS8_10device_ptrIiEEEESD_jNS0_19identity_decomposerEEE10hipError_tT1_T2_PT3_SI_jT4_jjP12ihipStream_tbEUlT_E0_NS1_11comp_targetILNS1_3genE10ELNS1_11target_archE1201ELNS1_3gpuE5ELNS1_3repE0EEENS1_52radix_sort_onesweep_histogram_config_static_selectorELNS0_4arch9wavefront6targetE0EEEvSG_,"axG",@progbits,_ZN7rocprim17ROCPRIM_400000_NS6detail17trampoline_kernelINS0_14default_configENS1_35radix_sort_onesweep_config_selectorIiiEEZNS1_34radix_sort_onesweep_global_offsetsIS3_Lb1EN6thrust23THRUST_200600_302600_NS6detail15normal_iteratorINS8_10device_ptrIiEEEESD_jNS0_19identity_decomposerEEE10hipError_tT1_T2_PT3_SI_jT4_jjP12ihipStream_tbEUlT_E0_NS1_11comp_targetILNS1_3genE10ELNS1_11target_archE1201ELNS1_3gpuE5ELNS1_3repE0EEENS1_52radix_sort_onesweep_histogram_config_static_selectorELNS0_4arch9wavefront6targetE0EEEvSG_,comdat
.Lfunc_end996:
	.size	_ZN7rocprim17ROCPRIM_400000_NS6detail17trampoline_kernelINS0_14default_configENS1_35radix_sort_onesweep_config_selectorIiiEEZNS1_34radix_sort_onesweep_global_offsetsIS3_Lb1EN6thrust23THRUST_200600_302600_NS6detail15normal_iteratorINS8_10device_ptrIiEEEESD_jNS0_19identity_decomposerEEE10hipError_tT1_T2_PT3_SI_jT4_jjP12ihipStream_tbEUlT_E0_NS1_11comp_targetILNS1_3genE10ELNS1_11target_archE1201ELNS1_3gpuE5ELNS1_3repE0EEENS1_52radix_sort_onesweep_histogram_config_static_selectorELNS0_4arch9wavefront6targetE0EEEvSG_, .Lfunc_end996-_ZN7rocprim17ROCPRIM_400000_NS6detail17trampoline_kernelINS0_14default_configENS1_35radix_sort_onesweep_config_selectorIiiEEZNS1_34radix_sort_onesweep_global_offsetsIS3_Lb1EN6thrust23THRUST_200600_302600_NS6detail15normal_iteratorINS8_10device_ptrIiEEEESD_jNS0_19identity_decomposerEEE10hipError_tT1_T2_PT3_SI_jT4_jjP12ihipStream_tbEUlT_E0_NS1_11comp_targetILNS1_3genE10ELNS1_11target_archE1201ELNS1_3gpuE5ELNS1_3repE0EEENS1_52radix_sort_onesweep_histogram_config_static_selectorELNS0_4arch9wavefront6targetE0EEEvSG_
                                        ; -- End function
	.set _ZN7rocprim17ROCPRIM_400000_NS6detail17trampoline_kernelINS0_14default_configENS1_35radix_sort_onesweep_config_selectorIiiEEZNS1_34radix_sort_onesweep_global_offsetsIS3_Lb1EN6thrust23THRUST_200600_302600_NS6detail15normal_iteratorINS8_10device_ptrIiEEEESD_jNS0_19identity_decomposerEEE10hipError_tT1_T2_PT3_SI_jT4_jjP12ihipStream_tbEUlT_E0_NS1_11comp_targetILNS1_3genE10ELNS1_11target_archE1201ELNS1_3gpuE5ELNS1_3repE0EEENS1_52radix_sort_onesweep_histogram_config_static_selectorELNS0_4arch9wavefront6targetE0EEEvSG_.num_vgpr, 0
	.set _ZN7rocprim17ROCPRIM_400000_NS6detail17trampoline_kernelINS0_14default_configENS1_35radix_sort_onesweep_config_selectorIiiEEZNS1_34radix_sort_onesweep_global_offsetsIS3_Lb1EN6thrust23THRUST_200600_302600_NS6detail15normal_iteratorINS8_10device_ptrIiEEEESD_jNS0_19identity_decomposerEEE10hipError_tT1_T2_PT3_SI_jT4_jjP12ihipStream_tbEUlT_E0_NS1_11comp_targetILNS1_3genE10ELNS1_11target_archE1201ELNS1_3gpuE5ELNS1_3repE0EEENS1_52radix_sort_onesweep_histogram_config_static_selectorELNS0_4arch9wavefront6targetE0EEEvSG_.num_agpr, 0
	.set _ZN7rocprim17ROCPRIM_400000_NS6detail17trampoline_kernelINS0_14default_configENS1_35radix_sort_onesweep_config_selectorIiiEEZNS1_34radix_sort_onesweep_global_offsetsIS3_Lb1EN6thrust23THRUST_200600_302600_NS6detail15normal_iteratorINS8_10device_ptrIiEEEESD_jNS0_19identity_decomposerEEE10hipError_tT1_T2_PT3_SI_jT4_jjP12ihipStream_tbEUlT_E0_NS1_11comp_targetILNS1_3genE10ELNS1_11target_archE1201ELNS1_3gpuE5ELNS1_3repE0EEENS1_52radix_sort_onesweep_histogram_config_static_selectorELNS0_4arch9wavefront6targetE0EEEvSG_.numbered_sgpr, 0
	.set _ZN7rocprim17ROCPRIM_400000_NS6detail17trampoline_kernelINS0_14default_configENS1_35radix_sort_onesweep_config_selectorIiiEEZNS1_34radix_sort_onesweep_global_offsetsIS3_Lb1EN6thrust23THRUST_200600_302600_NS6detail15normal_iteratorINS8_10device_ptrIiEEEESD_jNS0_19identity_decomposerEEE10hipError_tT1_T2_PT3_SI_jT4_jjP12ihipStream_tbEUlT_E0_NS1_11comp_targetILNS1_3genE10ELNS1_11target_archE1201ELNS1_3gpuE5ELNS1_3repE0EEENS1_52radix_sort_onesweep_histogram_config_static_selectorELNS0_4arch9wavefront6targetE0EEEvSG_.num_named_barrier, 0
	.set _ZN7rocprim17ROCPRIM_400000_NS6detail17trampoline_kernelINS0_14default_configENS1_35radix_sort_onesweep_config_selectorIiiEEZNS1_34radix_sort_onesweep_global_offsetsIS3_Lb1EN6thrust23THRUST_200600_302600_NS6detail15normal_iteratorINS8_10device_ptrIiEEEESD_jNS0_19identity_decomposerEEE10hipError_tT1_T2_PT3_SI_jT4_jjP12ihipStream_tbEUlT_E0_NS1_11comp_targetILNS1_3genE10ELNS1_11target_archE1201ELNS1_3gpuE5ELNS1_3repE0EEENS1_52radix_sort_onesweep_histogram_config_static_selectorELNS0_4arch9wavefront6targetE0EEEvSG_.private_seg_size, 0
	.set _ZN7rocprim17ROCPRIM_400000_NS6detail17trampoline_kernelINS0_14default_configENS1_35radix_sort_onesweep_config_selectorIiiEEZNS1_34radix_sort_onesweep_global_offsetsIS3_Lb1EN6thrust23THRUST_200600_302600_NS6detail15normal_iteratorINS8_10device_ptrIiEEEESD_jNS0_19identity_decomposerEEE10hipError_tT1_T2_PT3_SI_jT4_jjP12ihipStream_tbEUlT_E0_NS1_11comp_targetILNS1_3genE10ELNS1_11target_archE1201ELNS1_3gpuE5ELNS1_3repE0EEENS1_52radix_sort_onesweep_histogram_config_static_selectorELNS0_4arch9wavefront6targetE0EEEvSG_.uses_vcc, 0
	.set _ZN7rocprim17ROCPRIM_400000_NS6detail17trampoline_kernelINS0_14default_configENS1_35radix_sort_onesweep_config_selectorIiiEEZNS1_34radix_sort_onesweep_global_offsetsIS3_Lb1EN6thrust23THRUST_200600_302600_NS6detail15normal_iteratorINS8_10device_ptrIiEEEESD_jNS0_19identity_decomposerEEE10hipError_tT1_T2_PT3_SI_jT4_jjP12ihipStream_tbEUlT_E0_NS1_11comp_targetILNS1_3genE10ELNS1_11target_archE1201ELNS1_3gpuE5ELNS1_3repE0EEENS1_52radix_sort_onesweep_histogram_config_static_selectorELNS0_4arch9wavefront6targetE0EEEvSG_.uses_flat_scratch, 0
	.set _ZN7rocprim17ROCPRIM_400000_NS6detail17trampoline_kernelINS0_14default_configENS1_35radix_sort_onesweep_config_selectorIiiEEZNS1_34radix_sort_onesweep_global_offsetsIS3_Lb1EN6thrust23THRUST_200600_302600_NS6detail15normal_iteratorINS8_10device_ptrIiEEEESD_jNS0_19identity_decomposerEEE10hipError_tT1_T2_PT3_SI_jT4_jjP12ihipStream_tbEUlT_E0_NS1_11comp_targetILNS1_3genE10ELNS1_11target_archE1201ELNS1_3gpuE5ELNS1_3repE0EEENS1_52radix_sort_onesweep_histogram_config_static_selectorELNS0_4arch9wavefront6targetE0EEEvSG_.has_dyn_sized_stack, 0
	.set _ZN7rocprim17ROCPRIM_400000_NS6detail17trampoline_kernelINS0_14default_configENS1_35radix_sort_onesweep_config_selectorIiiEEZNS1_34radix_sort_onesweep_global_offsetsIS3_Lb1EN6thrust23THRUST_200600_302600_NS6detail15normal_iteratorINS8_10device_ptrIiEEEESD_jNS0_19identity_decomposerEEE10hipError_tT1_T2_PT3_SI_jT4_jjP12ihipStream_tbEUlT_E0_NS1_11comp_targetILNS1_3genE10ELNS1_11target_archE1201ELNS1_3gpuE5ELNS1_3repE0EEENS1_52radix_sort_onesweep_histogram_config_static_selectorELNS0_4arch9wavefront6targetE0EEEvSG_.has_recursion, 0
	.set _ZN7rocprim17ROCPRIM_400000_NS6detail17trampoline_kernelINS0_14default_configENS1_35radix_sort_onesweep_config_selectorIiiEEZNS1_34radix_sort_onesweep_global_offsetsIS3_Lb1EN6thrust23THRUST_200600_302600_NS6detail15normal_iteratorINS8_10device_ptrIiEEEESD_jNS0_19identity_decomposerEEE10hipError_tT1_T2_PT3_SI_jT4_jjP12ihipStream_tbEUlT_E0_NS1_11comp_targetILNS1_3genE10ELNS1_11target_archE1201ELNS1_3gpuE5ELNS1_3repE0EEENS1_52radix_sort_onesweep_histogram_config_static_selectorELNS0_4arch9wavefront6targetE0EEEvSG_.has_indirect_call, 0
	.section	.AMDGPU.csdata,"",@progbits
; Kernel info:
; codeLenInByte = 0
; TotalNumSgprs: 0
; NumVgprs: 0
; ScratchSize: 0
; MemoryBound: 0
; FloatMode: 240
; IeeeMode: 1
; LDSByteSize: 0 bytes/workgroup (compile time only)
; SGPRBlocks: 0
; VGPRBlocks: 0
; NumSGPRsForWavesPerEU: 1
; NumVGPRsForWavesPerEU: 1
; Occupancy: 16
; WaveLimiterHint : 0
; COMPUTE_PGM_RSRC2:SCRATCH_EN: 0
; COMPUTE_PGM_RSRC2:USER_SGPR: 6
; COMPUTE_PGM_RSRC2:TRAP_HANDLER: 0
; COMPUTE_PGM_RSRC2:TGID_X_EN: 1
; COMPUTE_PGM_RSRC2:TGID_Y_EN: 0
; COMPUTE_PGM_RSRC2:TGID_Z_EN: 0
; COMPUTE_PGM_RSRC2:TIDIG_COMP_CNT: 0
	.section	.text._ZN7rocprim17ROCPRIM_400000_NS6detail17trampoline_kernelINS0_14default_configENS1_35radix_sort_onesweep_config_selectorIiiEEZNS1_34radix_sort_onesweep_global_offsetsIS3_Lb1EN6thrust23THRUST_200600_302600_NS6detail15normal_iteratorINS8_10device_ptrIiEEEESD_jNS0_19identity_decomposerEEE10hipError_tT1_T2_PT3_SI_jT4_jjP12ihipStream_tbEUlT_E0_NS1_11comp_targetILNS1_3genE9ELNS1_11target_archE1100ELNS1_3gpuE3ELNS1_3repE0EEENS1_52radix_sort_onesweep_histogram_config_static_selectorELNS0_4arch9wavefront6targetE0EEEvSG_,"axG",@progbits,_ZN7rocprim17ROCPRIM_400000_NS6detail17trampoline_kernelINS0_14default_configENS1_35radix_sort_onesweep_config_selectorIiiEEZNS1_34radix_sort_onesweep_global_offsetsIS3_Lb1EN6thrust23THRUST_200600_302600_NS6detail15normal_iteratorINS8_10device_ptrIiEEEESD_jNS0_19identity_decomposerEEE10hipError_tT1_T2_PT3_SI_jT4_jjP12ihipStream_tbEUlT_E0_NS1_11comp_targetILNS1_3genE9ELNS1_11target_archE1100ELNS1_3gpuE3ELNS1_3repE0EEENS1_52radix_sort_onesweep_histogram_config_static_selectorELNS0_4arch9wavefront6targetE0EEEvSG_,comdat
	.protected	_ZN7rocprim17ROCPRIM_400000_NS6detail17trampoline_kernelINS0_14default_configENS1_35radix_sort_onesweep_config_selectorIiiEEZNS1_34radix_sort_onesweep_global_offsetsIS3_Lb1EN6thrust23THRUST_200600_302600_NS6detail15normal_iteratorINS8_10device_ptrIiEEEESD_jNS0_19identity_decomposerEEE10hipError_tT1_T2_PT3_SI_jT4_jjP12ihipStream_tbEUlT_E0_NS1_11comp_targetILNS1_3genE9ELNS1_11target_archE1100ELNS1_3gpuE3ELNS1_3repE0EEENS1_52radix_sort_onesweep_histogram_config_static_selectorELNS0_4arch9wavefront6targetE0EEEvSG_ ; -- Begin function _ZN7rocprim17ROCPRIM_400000_NS6detail17trampoline_kernelINS0_14default_configENS1_35radix_sort_onesweep_config_selectorIiiEEZNS1_34radix_sort_onesweep_global_offsetsIS3_Lb1EN6thrust23THRUST_200600_302600_NS6detail15normal_iteratorINS8_10device_ptrIiEEEESD_jNS0_19identity_decomposerEEE10hipError_tT1_T2_PT3_SI_jT4_jjP12ihipStream_tbEUlT_E0_NS1_11comp_targetILNS1_3genE9ELNS1_11target_archE1100ELNS1_3gpuE3ELNS1_3repE0EEENS1_52radix_sort_onesweep_histogram_config_static_selectorELNS0_4arch9wavefront6targetE0EEEvSG_
	.globl	_ZN7rocprim17ROCPRIM_400000_NS6detail17trampoline_kernelINS0_14default_configENS1_35radix_sort_onesweep_config_selectorIiiEEZNS1_34radix_sort_onesweep_global_offsetsIS3_Lb1EN6thrust23THRUST_200600_302600_NS6detail15normal_iteratorINS8_10device_ptrIiEEEESD_jNS0_19identity_decomposerEEE10hipError_tT1_T2_PT3_SI_jT4_jjP12ihipStream_tbEUlT_E0_NS1_11comp_targetILNS1_3genE9ELNS1_11target_archE1100ELNS1_3gpuE3ELNS1_3repE0EEENS1_52radix_sort_onesweep_histogram_config_static_selectorELNS0_4arch9wavefront6targetE0EEEvSG_
	.p2align	8
	.type	_ZN7rocprim17ROCPRIM_400000_NS6detail17trampoline_kernelINS0_14default_configENS1_35radix_sort_onesweep_config_selectorIiiEEZNS1_34radix_sort_onesweep_global_offsetsIS3_Lb1EN6thrust23THRUST_200600_302600_NS6detail15normal_iteratorINS8_10device_ptrIiEEEESD_jNS0_19identity_decomposerEEE10hipError_tT1_T2_PT3_SI_jT4_jjP12ihipStream_tbEUlT_E0_NS1_11comp_targetILNS1_3genE9ELNS1_11target_archE1100ELNS1_3gpuE3ELNS1_3repE0EEENS1_52radix_sort_onesweep_histogram_config_static_selectorELNS0_4arch9wavefront6targetE0EEEvSG_,@function
_ZN7rocprim17ROCPRIM_400000_NS6detail17trampoline_kernelINS0_14default_configENS1_35radix_sort_onesweep_config_selectorIiiEEZNS1_34radix_sort_onesweep_global_offsetsIS3_Lb1EN6thrust23THRUST_200600_302600_NS6detail15normal_iteratorINS8_10device_ptrIiEEEESD_jNS0_19identity_decomposerEEE10hipError_tT1_T2_PT3_SI_jT4_jjP12ihipStream_tbEUlT_E0_NS1_11comp_targetILNS1_3genE9ELNS1_11target_archE1100ELNS1_3gpuE3ELNS1_3repE0EEENS1_52radix_sort_onesweep_histogram_config_static_selectorELNS0_4arch9wavefront6targetE0EEEvSG_: ; @_ZN7rocprim17ROCPRIM_400000_NS6detail17trampoline_kernelINS0_14default_configENS1_35radix_sort_onesweep_config_selectorIiiEEZNS1_34radix_sort_onesweep_global_offsetsIS3_Lb1EN6thrust23THRUST_200600_302600_NS6detail15normal_iteratorINS8_10device_ptrIiEEEESD_jNS0_19identity_decomposerEEE10hipError_tT1_T2_PT3_SI_jT4_jjP12ihipStream_tbEUlT_E0_NS1_11comp_targetILNS1_3genE9ELNS1_11target_archE1100ELNS1_3gpuE3ELNS1_3repE0EEENS1_52radix_sort_onesweep_histogram_config_static_selectorELNS0_4arch9wavefront6targetE0EEEvSG_
; %bb.0:
	.section	.rodata,"a",@progbits
	.p2align	6, 0x0
	.amdhsa_kernel _ZN7rocprim17ROCPRIM_400000_NS6detail17trampoline_kernelINS0_14default_configENS1_35radix_sort_onesweep_config_selectorIiiEEZNS1_34radix_sort_onesweep_global_offsetsIS3_Lb1EN6thrust23THRUST_200600_302600_NS6detail15normal_iteratorINS8_10device_ptrIiEEEESD_jNS0_19identity_decomposerEEE10hipError_tT1_T2_PT3_SI_jT4_jjP12ihipStream_tbEUlT_E0_NS1_11comp_targetILNS1_3genE9ELNS1_11target_archE1100ELNS1_3gpuE3ELNS1_3repE0EEENS1_52radix_sort_onesweep_histogram_config_static_selectorELNS0_4arch9wavefront6targetE0EEEvSG_
		.amdhsa_group_segment_fixed_size 0
		.amdhsa_private_segment_fixed_size 0
		.amdhsa_kernarg_size 8
		.amdhsa_user_sgpr_count 6
		.amdhsa_user_sgpr_private_segment_buffer 1
		.amdhsa_user_sgpr_dispatch_ptr 0
		.amdhsa_user_sgpr_queue_ptr 0
		.amdhsa_user_sgpr_kernarg_segment_ptr 1
		.amdhsa_user_sgpr_dispatch_id 0
		.amdhsa_user_sgpr_flat_scratch_init 0
		.amdhsa_user_sgpr_private_segment_size 0
		.amdhsa_wavefront_size32 1
		.amdhsa_uses_dynamic_stack 0
		.amdhsa_system_sgpr_private_segment_wavefront_offset 0
		.amdhsa_system_sgpr_workgroup_id_x 1
		.amdhsa_system_sgpr_workgroup_id_y 0
		.amdhsa_system_sgpr_workgroup_id_z 0
		.amdhsa_system_sgpr_workgroup_info 0
		.amdhsa_system_vgpr_workitem_id 0
		.amdhsa_next_free_vgpr 1
		.amdhsa_next_free_sgpr 1
		.amdhsa_reserve_vcc 0
		.amdhsa_reserve_flat_scratch 0
		.amdhsa_float_round_mode_32 0
		.amdhsa_float_round_mode_16_64 0
		.amdhsa_float_denorm_mode_32 3
		.amdhsa_float_denorm_mode_16_64 3
		.amdhsa_dx10_clamp 1
		.amdhsa_ieee_mode 1
		.amdhsa_fp16_overflow 0
		.amdhsa_workgroup_processor_mode 1
		.amdhsa_memory_ordered 1
		.amdhsa_forward_progress 1
		.amdhsa_shared_vgpr_count 0
		.amdhsa_exception_fp_ieee_invalid_op 0
		.amdhsa_exception_fp_denorm_src 0
		.amdhsa_exception_fp_ieee_div_zero 0
		.amdhsa_exception_fp_ieee_overflow 0
		.amdhsa_exception_fp_ieee_underflow 0
		.amdhsa_exception_fp_ieee_inexact 0
		.amdhsa_exception_int_div_zero 0
	.end_amdhsa_kernel
	.section	.text._ZN7rocprim17ROCPRIM_400000_NS6detail17trampoline_kernelINS0_14default_configENS1_35radix_sort_onesweep_config_selectorIiiEEZNS1_34radix_sort_onesweep_global_offsetsIS3_Lb1EN6thrust23THRUST_200600_302600_NS6detail15normal_iteratorINS8_10device_ptrIiEEEESD_jNS0_19identity_decomposerEEE10hipError_tT1_T2_PT3_SI_jT4_jjP12ihipStream_tbEUlT_E0_NS1_11comp_targetILNS1_3genE9ELNS1_11target_archE1100ELNS1_3gpuE3ELNS1_3repE0EEENS1_52radix_sort_onesweep_histogram_config_static_selectorELNS0_4arch9wavefront6targetE0EEEvSG_,"axG",@progbits,_ZN7rocprim17ROCPRIM_400000_NS6detail17trampoline_kernelINS0_14default_configENS1_35radix_sort_onesweep_config_selectorIiiEEZNS1_34radix_sort_onesweep_global_offsetsIS3_Lb1EN6thrust23THRUST_200600_302600_NS6detail15normal_iteratorINS8_10device_ptrIiEEEESD_jNS0_19identity_decomposerEEE10hipError_tT1_T2_PT3_SI_jT4_jjP12ihipStream_tbEUlT_E0_NS1_11comp_targetILNS1_3genE9ELNS1_11target_archE1100ELNS1_3gpuE3ELNS1_3repE0EEENS1_52radix_sort_onesweep_histogram_config_static_selectorELNS0_4arch9wavefront6targetE0EEEvSG_,comdat
.Lfunc_end997:
	.size	_ZN7rocprim17ROCPRIM_400000_NS6detail17trampoline_kernelINS0_14default_configENS1_35radix_sort_onesweep_config_selectorIiiEEZNS1_34radix_sort_onesweep_global_offsetsIS3_Lb1EN6thrust23THRUST_200600_302600_NS6detail15normal_iteratorINS8_10device_ptrIiEEEESD_jNS0_19identity_decomposerEEE10hipError_tT1_T2_PT3_SI_jT4_jjP12ihipStream_tbEUlT_E0_NS1_11comp_targetILNS1_3genE9ELNS1_11target_archE1100ELNS1_3gpuE3ELNS1_3repE0EEENS1_52radix_sort_onesweep_histogram_config_static_selectorELNS0_4arch9wavefront6targetE0EEEvSG_, .Lfunc_end997-_ZN7rocprim17ROCPRIM_400000_NS6detail17trampoline_kernelINS0_14default_configENS1_35radix_sort_onesweep_config_selectorIiiEEZNS1_34radix_sort_onesweep_global_offsetsIS3_Lb1EN6thrust23THRUST_200600_302600_NS6detail15normal_iteratorINS8_10device_ptrIiEEEESD_jNS0_19identity_decomposerEEE10hipError_tT1_T2_PT3_SI_jT4_jjP12ihipStream_tbEUlT_E0_NS1_11comp_targetILNS1_3genE9ELNS1_11target_archE1100ELNS1_3gpuE3ELNS1_3repE0EEENS1_52radix_sort_onesweep_histogram_config_static_selectorELNS0_4arch9wavefront6targetE0EEEvSG_
                                        ; -- End function
	.set _ZN7rocprim17ROCPRIM_400000_NS6detail17trampoline_kernelINS0_14default_configENS1_35radix_sort_onesweep_config_selectorIiiEEZNS1_34radix_sort_onesweep_global_offsetsIS3_Lb1EN6thrust23THRUST_200600_302600_NS6detail15normal_iteratorINS8_10device_ptrIiEEEESD_jNS0_19identity_decomposerEEE10hipError_tT1_T2_PT3_SI_jT4_jjP12ihipStream_tbEUlT_E0_NS1_11comp_targetILNS1_3genE9ELNS1_11target_archE1100ELNS1_3gpuE3ELNS1_3repE0EEENS1_52radix_sort_onesweep_histogram_config_static_selectorELNS0_4arch9wavefront6targetE0EEEvSG_.num_vgpr, 0
	.set _ZN7rocprim17ROCPRIM_400000_NS6detail17trampoline_kernelINS0_14default_configENS1_35radix_sort_onesweep_config_selectorIiiEEZNS1_34radix_sort_onesweep_global_offsetsIS3_Lb1EN6thrust23THRUST_200600_302600_NS6detail15normal_iteratorINS8_10device_ptrIiEEEESD_jNS0_19identity_decomposerEEE10hipError_tT1_T2_PT3_SI_jT4_jjP12ihipStream_tbEUlT_E0_NS1_11comp_targetILNS1_3genE9ELNS1_11target_archE1100ELNS1_3gpuE3ELNS1_3repE0EEENS1_52radix_sort_onesweep_histogram_config_static_selectorELNS0_4arch9wavefront6targetE0EEEvSG_.num_agpr, 0
	.set _ZN7rocprim17ROCPRIM_400000_NS6detail17trampoline_kernelINS0_14default_configENS1_35radix_sort_onesweep_config_selectorIiiEEZNS1_34radix_sort_onesweep_global_offsetsIS3_Lb1EN6thrust23THRUST_200600_302600_NS6detail15normal_iteratorINS8_10device_ptrIiEEEESD_jNS0_19identity_decomposerEEE10hipError_tT1_T2_PT3_SI_jT4_jjP12ihipStream_tbEUlT_E0_NS1_11comp_targetILNS1_3genE9ELNS1_11target_archE1100ELNS1_3gpuE3ELNS1_3repE0EEENS1_52radix_sort_onesweep_histogram_config_static_selectorELNS0_4arch9wavefront6targetE0EEEvSG_.numbered_sgpr, 0
	.set _ZN7rocprim17ROCPRIM_400000_NS6detail17trampoline_kernelINS0_14default_configENS1_35radix_sort_onesweep_config_selectorIiiEEZNS1_34radix_sort_onesweep_global_offsetsIS3_Lb1EN6thrust23THRUST_200600_302600_NS6detail15normal_iteratorINS8_10device_ptrIiEEEESD_jNS0_19identity_decomposerEEE10hipError_tT1_T2_PT3_SI_jT4_jjP12ihipStream_tbEUlT_E0_NS1_11comp_targetILNS1_3genE9ELNS1_11target_archE1100ELNS1_3gpuE3ELNS1_3repE0EEENS1_52radix_sort_onesweep_histogram_config_static_selectorELNS0_4arch9wavefront6targetE0EEEvSG_.num_named_barrier, 0
	.set _ZN7rocprim17ROCPRIM_400000_NS6detail17trampoline_kernelINS0_14default_configENS1_35radix_sort_onesweep_config_selectorIiiEEZNS1_34radix_sort_onesweep_global_offsetsIS3_Lb1EN6thrust23THRUST_200600_302600_NS6detail15normal_iteratorINS8_10device_ptrIiEEEESD_jNS0_19identity_decomposerEEE10hipError_tT1_T2_PT3_SI_jT4_jjP12ihipStream_tbEUlT_E0_NS1_11comp_targetILNS1_3genE9ELNS1_11target_archE1100ELNS1_3gpuE3ELNS1_3repE0EEENS1_52radix_sort_onesweep_histogram_config_static_selectorELNS0_4arch9wavefront6targetE0EEEvSG_.private_seg_size, 0
	.set _ZN7rocprim17ROCPRIM_400000_NS6detail17trampoline_kernelINS0_14default_configENS1_35radix_sort_onesweep_config_selectorIiiEEZNS1_34radix_sort_onesweep_global_offsetsIS3_Lb1EN6thrust23THRUST_200600_302600_NS6detail15normal_iteratorINS8_10device_ptrIiEEEESD_jNS0_19identity_decomposerEEE10hipError_tT1_T2_PT3_SI_jT4_jjP12ihipStream_tbEUlT_E0_NS1_11comp_targetILNS1_3genE9ELNS1_11target_archE1100ELNS1_3gpuE3ELNS1_3repE0EEENS1_52radix_sort_onesweep_histogram_config_static_selectorELNS0_4arch9wavefront6targetE0EEEvSG_.uses_vcc, 0
	.set _ZN7rocprim17ROCPRIM_400000_NS6detail17trampoline_kernelINS0_14default_configENS1_35radix_sort_onesweep_config_selectorIiiEEZNS1_34radix_sort_onesweep_global_offsetsIS3_Lb1EN6thrust23THRUST_200600_302600_NS6detail15normal_iteratorINS8_10device_ptrIiEEEESD_jNS0_19identity_decomposerEEE10hipError_tT1_T2_PT3_SI_jT4_jjP12ihipStream_tbEUlT_E0_NS1_11comp_targetILNS1_3genE9ELNS1_11target_archE1100ELNS1_3gpuE3ELNS1_3repE0EEENS1_52radix_sort_onesweep_histogram_config_static_selectorELNS0_4arch9wavefront6targetE0EEEvSG_.uses_flat_scratch, 0
	.set _ZN7rocprim17ROCPRIM_400000_NS6detail17trampoline_kernelINS0_14default_configENS1_35radix_sort_onesweep_config_selectorIiiEEZNS1_34radix_sort_onesweep_global_offsetsIS3_Lb1EN6thrust23THRUST_200600_302600_NS6detail15normal_iteratorINS8_10device_ptrIiEEEESD_jNS0_19identity_decomposerEEE10hipError_tT1_T2_PT3_SI_jT4_jjP12ihipStream_tbEUlT_E0_NS1_11comp_targetILNS1_3genE9ELNS1_11target_archE1100ELNS1_3gpuE3ELNS1_3repE0EEENS1_52radix_sort_onesweep_histogram_config_static_selectorELNS0_4arch9wavefront6targetE0EEEvSG_.has_dyn_sized_stack, 0
	.set _ZN7rocprim17ROCPRIM_400000_NS6detail17trampoline_kernelINS0_14default_configENS1_35radix_sort_onesweep_config_selectorIiiEEZNS1_34radix_sort_onesweep_global_offsetsIS3_Lb1EN6thrust23THRUST_200600_302600_NS6detail15normal_iteratorINS8_10device_ptrIiEEEESD_jNS0_19identity_decomposerEEE10hipError_tT1_T2_PT3_SI_jT4_jjP12ihipStream_tbEUlT_E0_NS1_11comp_targetILNS1_3genE9ELNS1_11target_archE1100ELNS1_3gpuE3ELNS1_3repE0EEENS1_52radix_sort_onesweep_histogram_config_static_selectorELNS0_4arch9wavefront6targetE0EEEvSG_.has_recursion, 0
	.set _ZN7rocprim17ROCPRIM_400000_NS6detail17trampoline_kernelINS0_14default_configENS1_35radix_sort_onesweep_config_selectorIiiEEZNS1_34radix_sort_onesweep_global_offsetsIS3_Lb1EN6thrust23THRUST_200600_302600_NS6detail15normal_iteratorINS8_10device_ptrIiEEEESD_jNS0_19identity_decomposerEEE10hipError_tT1_T2_PT3_SI_jT4_jjP12ihipStream_tbEUlT_E0_NS1_11comp_targetILNS1_3genE9ELNS1_11target_archE1100ELNS1_3gpuE3ELNS1_3repE0EEENS1_52radix_sort_onesweep_histogram_config_static_selectorELNS0_4arch9wavefront6targetE0EEEvSG_.has_indirect_call, 0
	.section	.AMDGPU.csdata,"",@progbits
; Kernel info:
; codeLenInByte = 0
; TotalNumSgprs: 0
; NumVgprs: 0
; ScratchSize: 0
; MemoryBound: 0
; FloatMode: 240
; IeeeMode: 1
; LDSByteSize: 0 bytes/workgroup (compile time only)
; SGPRBlocks: 0
; VGPRBlocks: 0
; NumSGPRsForWavesPerEU: 1
; NumVGPRsForWavesPerEU: 1
; Occupancy: 16
; WaveLimiterHint : 0
; COMPUTE_PGM_RSRC2:SCRATCH_EN: 0
; COMPUTE_PGM_RSRC2:USER_SGPR: 6
; COMPUTE_PGM_RSRC2:TRAP_HANDLER: 0
; COMPUTE_PGM_RSRC2:TGID_X_EN: 1
; COMPUTE_PGM_RSRC2:TGID_Y_EN: 0
; COMPUTE_PGM_RSRC2:TGID_Z_EN: 0
; COMPUTE_PGM_RSRC2:TIDIG_COMP_CNT: 0
	.section	.text._ZN7rocprim17ROCPRIM_400000_NS6detail17trampoline_kernelINS0_14default_configENS1_35radix_sort_onesweep_config_selectorIiiEEZNS1_34radix_sort_onesweep_global_offsetsIS3_Lb1EN6thrust23THRUST_200600_302600_NS6detail15normal_iteratorINS8_10device_ptrIiEEEESD_jNS0_19identity_decomposerEEE10hipError_tT1_T2_PT3_SI_jT4_jjP12ihipStream_tbEUlT_E0_NS1_11comp_targetILNS1_3genE8ELNS1_11target_archE1030ELNS1_3gpuE2ELNS1_3repE0EEENS1_52radix_sort_onesweep_histogram_config_static_selectorELNS0_4arch9wavefront6targetE0EEEvSG_,"axG",@progbits,_ZN7rocprim17ROCPRIM_400000_NS6detail17trampoline_kernelINS0_14default_configENS1_35radix_sort_onesweep_config_selectorIiiEEZNS1_34radix_sort_onesweep_global_offsetsIS3_Lb1EN6thrust23THRUST_200600_302600_NS6detail15normal_iteratorINS8_10device_ptrIiEEEESD_jNS0_19identity_decomposerEEE10hipError_tT1_T2_PT3_SI_jT4_jjP12ihipStream_tbEUlT_E0_NS1_11comp_targetILNS1_3genE8ELNS1_11target_archE1030ELNS1_3gpuE2ELNS1_3repE0EEENS1_52radix_sort_onesweep_histogram_config_static_selectorELNS0_4arch9wavefront6targetE0EEEvSG_,comdat
	.protected	_ZN7rocprim17ROCPRIM_400000_NS6detail17trampoline_kernelINS0_14default_configENS1_35radix_sort_onesweep_config_selectorIiiEEZNS1_34radix_sort_onesweep_global_offsetsIS3_Lb1EN6thrust23THRUST_200600_302600_NS6detail15normal_iteratorINS8_10device_ptrIiEEEESD_jNS0_19identity_decomposerEEE10hipError_tT1_T2_PT3_SI_jT4_jjP12ihipStream_tbEUlT_E0_NS1_11comp_targetILNS1_3genE8ELNS1_11target_archE1030ELNS1_3gpuE2ELNS1_3repE0EEENS1_52radix_sort_onesweep_histogram_config_static_selectorELNS0_4arch9wavefront6targetE0EEEvSG_ ; -- Begin function _ZN7rocprim17ROCPRIM_400000_NS6detail17trampoline_kernelINS0_14default_configENS1_35radix_sort_onesweep_config_selectorIiiEEZNS1_34radix_sort_onesweep_global_offsetsIS3_Lb1EN6thrust23THRUST_200600_302600_NS6detail15normal_iteratorINS8_10device_ptrIiEEEESD_jNS0_19identity_decomposerEEE10hipError_tT1_T2_PT3_SI_jT4_jjP12ihipStream_tbEUlT_E0_NS1_11comp_targetILNS1_3genE8ELNS1_11target_archE1030ELNS1_3gpuE2ELNS1_3repE0EEENS1_52radix_sort_onesweep_histogram_config_static_selectorELNS0_4arch9wavefront6targetE0EEEvSG_
	.globl	_ZN7rocprim17ROCPRIM_400000_NS6detail17trampoline_kernelINS0_14default_configENS1_35radix_sort_onesweep_config_selectorIiiEEZNS1_34radix_sort_onesweep_global_offsetsIS3_Lb1EN6thrust23THRUST_200600_302600_NS6detail15normal_iteratorINS8_10device_ptrIiEEEESD_jNS0_19identity_decomposerEEE10hipError_tT1_T2_PT3_SI_jT4_jjP12ihipStream_tbEUlT_E0_NS1_11comp_targetILNS1_3genE8ELNS1_11target_archE1030ELNS1_3gpuE2ELNS1_3repE0EEENS1_52radix_sort_onesweep_histogram_config_static_selectorELNS0_4arch9wavefront6targetE0EEEvSG_
	.p2align	8
	.type	_ZN7rocprim17ROCPRIM_400000_NS6detail17trampoline_kernelINS0_14default_configENS1_35radix_sort_onesweep_config_selectorIiiEEZNS1_34radix_sort_onesweep_global_offsetsIS3_Lb1EN6thrust23THRUST_200600_302600_NS6detail15normal_iteratorINS8_10device_ptrIiEEEESD_jNS0_19identity_decomposerEEE10hipError_tT1_T2_PT3_SI_jT4_jjP12ihipStream_tbEUlT_E0_NS1_11comp_targetILNS1_3genE8ELNS1_11target_archE1030ELNS1_3gpuE2ELNS1_3repE0EEENS1_52radix_sort_onesweep_histogram_config_static_selectorELNS0_4arch9wavefront6targetE0EEEvSG_,@function
_ZN7rocprim17ROCPRIM_400000_NS6detail17trampoline_kernelINS0_14default_configENS1_35radix_sort_onesweep_config_selectorIiiEEZNS1_34radix_sort_onesweep_global_offsetsIS3_Lb1EN6thrust23THRUST_200600_302600_NS6detail15normal_iteratorINS8_10device_ptrIiEEEESD_jNS0_19identity_decomposerEEE10hipError_tT1_T2_PT3_SI_jT4_jjP12ihipStream_tbEUlT_E0_NS1_11comp_targetILNS1_3genE8ELNS1_11target_archE1030ELNS1_3gpuE2ELNS1_3repE0EEENS1_52radix_sort_onesweep_histogram_config_static_selectorELNS0_4arch9wavefront6targetE0EEEvSG_: ; @_ZN7rocprim17ROCPRIM_400000_NS6detail17trampoline_kernelINS0_14default_configENS1_35radix_sort_onesweep_config_selectorIiiEEZNS1_34radix_sort_onesweep_global_offsetsIS3_Lb1EN6thrust23THRUST_200600_302600_NS6detail15normal_iteratorINS8_10device_ptrIiEEEESD_jNS0_19identity_decomposerEEE10hipError_tT1_T2_PT3_SI_jT4_jjP12ihipStream_tbEUlT_E0_NS1_11comp_targetILNS1_3genE8ELNS1_11target_archE1030ELNS1_3gpuE2ELNS1_3repE0EEENS1_52radix_sort_onesweep_histogram_config_static_selectorELNS0_4arch9wavefront6targetE0EEEvSG_
; %bb.0:
	s_load_dwordx2 s[0:1], s[4:5], 0x0
	s_lshl_b32 s2, s6, 8
	s_mov_b32 s3, 0
	v_cmp_gt_u32_e32 vcc_lo, 0x100, v0
	s_lshl_b64 s[2:3], s[2:3], 2
	v_lshlrev_b32_e32 v1, 2, v0
                                        ; implicit-def: $vgpr3
	s_waitcnt lgkmcnt(0)
	s_add_u32 s8, s0, s2
	s_addc_u32 s9, s1, s3
	s_and_saveexec_b32 s0, vcc_lo
	s_cbranch_execz .LBB998_2
; %bb.1:
	global_load_dword v3, v1, s[8:9]
.LBB998_2:
	s_or_b32 exec_lo, exec_lo, s0
	v_mbcnt_lo_u32_b32 v2, -1, 0
	s_waitcnt vmcnt(0)
	v_mov_b32_dpp v5, v3 row_shr:1 row_mask:0xf bank_mask:0xf
	v_and_b32_e32 v7, 31, v0
	s_mov_b32 s6, exec_lo
	v_and_b32_e32 v4, 15, v2
	v_and_b32_e32 v6, 16, v2
	v_cmp_eq_u32_e64 s0, 0, v4
	v_cmp_lt_u32_e64 s1, 1, v4
	v_cmp_lt_u32_e64 s2, 3, v4
	;; [unrolled: 1-line block ×3, first 2 shown]
	v_cmp_eq_u32_e64 s4, 0, v6
	v_cndmask_b32_e64 v5, v5, 0, s0
	v_add_nc_u32_e32 v3, v5, v3
	v_mov_b32_dpp v5, v3 row_shr:2 row_mask:0xf bank_mask:0xf
	v_cndmask_b32_e64 v5, 0, v5, s1
	v_add_nc_u32_e32 v3, v3, v5
	v_mov_b32_dpp v5, v3 row_shr:4 row_mask:0xf bank_mask:0xf
	;; [unrolled: 3-line block ×3, first 2 shown]
	v_cndmask_b32_e64 v4, 0, v5, s3
	v_bfe_i32 v5, v2, 4, 1
	v_add_nc_u32_e32 v3, v3, v4
	ds_swizzle_b32 v4, v3 offset:swizzle(BROADCAST,32,15)
	s_waitcnt lgkmcnt(0)
	v_and_b32_e32 v5, v5, v4
	v_lshrrev_b32_e32 v4, 5, v0
	v_add_nc_u32_e32 v3, v3, v5
	v_cmpx_eq_u32_e32 31, v7
; %bb.3:
	v_lshlrev_b32_e32 v5, 2, v4
	ds_write_b32 v5, v3
; %bb.4:
	s_or_b32 exec_lo, exec_lo, s6
	v_cmp_lt_u32_e64 s5, 31, v0
	s_mov_b32 s7, exec_lo
	s_waitcnt lgkmcnt(0)
	s_barrier
	buffer_gl0_inv
	v_cmpx_gt_u32_e32 32, v0
	s_cbranch_execz .LBB998_6
; %bb.5:
	ds_read_b32 v0, v1
	s_waitcnt lgkmcnt(0)
	v_mov_b32_dpp v5, v0 row_shr:1 row_mask:0xf bank_mask:0xf
	v_cndmask_b32_e64 v5, v5, 0, s0
	v_add_nc_u32_e32 v0, v5, v0
	v_mov_b32_dpp v5, v0 row_shr:2 row_mask:0xf bank_mask:0xf
	v_cndmask_b32_e64 v5, 0, v5, s1
	v_add_nc_u32_e32 v0, v0, v5
	;; [unrolled: 3-line block ×4, first 2 shown]
	ds_swizzle_b32 v5, v0 offset:swizzle(BROADCAST,32,15)
	s_waitcnt lgkmcnt(0)
	v_cndmask_b32_e64 v5, v5, 0, s4
	v_add_nc_u32_e32 v0, v0, v5
	ds_write_b32 v1, v0
.LBB998_6:
	s_or_b32 exec_lo, exec_lo, s7
	v_mov_b32_e32 v0, 0
	s_waitcnt lgkmcnt(0)
	s_barrier
	buffer_gl0_inv
	s_and_saveexec_b32 s0, s5
; %bb.7:
	v_lshl_add_u32 v0, v4, 2, -4
	ds_read_b32 v0, v0
; %bb.8:
	s_or_b32 exec_lo, exec_lo, s0
	v_add_nc_u32_e32 v4, -1, v2
	s_waitcnt lgkmcnt(0)
	v_add_nc_u32_e32 v3, v0, v3
	v_cmp_gt_i32_e64 s0, 0, v4
	v_cndmask_b32_e64 v4, v4, v2, s0
	v_lshlrev_b32_e32 v4, 2, v4
	ds_bpermute_b32 v3, v4, v3
	s_and_saveexec_b32 s0, vcc_lo
	s_cbranch_execz .LBB998_10
; %bb.9:
	v_cmp_eq_u32_e32 vcc_lo, 0, v2
	s_waitcnt lgkmcnt(0)
	v_cndmask_b32_e32 v0, v3, v0, vcc_lo
	global_store_dword v1, v0, s[8:9]
.LBB998_10:
	s_endpgm
	.section	.rodata,"a",@progbits
	.p2align	6, 0x0
	.amdhsa_kernel _ZN7rocprim17ROCPRIM_400000_NS6detail17trampoline_kernelINS0_14default_configENS1_35radix_sort_onesweep_config_selectorIiiEEZNS1_34radix_sort_onesweep_global_offsetsIS3_Lb1EN6thrust23THRUST_200600_302600_NS6detail15normal_iteratorINS8_10device_ptrIiEEEESD_jNS0_19identity_decomposerEEE10hipError_tT1_T2_PT3_SI_jT4_jjP12ihipStream_tbEUlT_E0_NS1_11comp_targetILNS1_3genE8ELNS1_11target_archE1030ELNS1_3gpuE2ELNS1_3repE0EEENS1_52radix_sort_onesweep_histogram_config_static_selectorELNS0_4arch9wavefront6targetE0EEEvSG_
		.amdhsa_group_segment_fixed_size 128
		.amdhsa_private_segment_fixed_size 0
		.amdhsa_kernarg_size 8
		.amdhsa_user_sgpr_count 6
		.amdhsa_user_sgpr_private_segment_buffer 1
		.amdhsa_user_sgpr_dispatch_ptr 0
		.amdhsa_user_sgpr_queue_ptr 0
		.amdhsa_user_sgpr_kernarg_segment_ptr 1
		.amdhsa_user_sgpr_dispatch_id 0
		.amdhsa_user_sgpr_flat_scratch_init 0
		.amdhsa_user_sgpr_private_segment_size 0
		.amdhsa_wavefront_size32 1
		.amdhsa_uses_dynamic_stack 0
		.amdhsa_system_sgpr_private_segment_wavefront_offset 0
		.amdhsa_system_sgpr_workgroup_id_x 1
		.amdhsa_system_sgpr_workgroup_id_y 0
		.amdhsa_system_sgpr_workgroup_id_z 0
		.amdhsa_system_sgpr_workgroup_info 0
		.amdhsa_system_vgpr_workitem_id 0
		.amdhsa_next_free_vgpr 8
		.amdhsa_next_free_sgpr 10
		.amdhsa_reserve_vcc 1
		.amdhsa_reserve_flat_scratch 0
		.amdhsa_float_round_mode_32 0
		.amdhsa_float_round_mode_16_64 0
		.amdhsa_float_denorm_mode_32 3
		.amdhsa_float_denorm_mode_16_64 3
		.amdhsa_dx10_clamp 1
		.amdhsa_ieee_mode 1
		.amdhsa_fp16_overflow 0
		.amdhsa_workgroup_processor_mode 1
		.amdhsa_memory_ordered 1
		.amdhsa_forward_progress 1
		.amdhsa_shared_vgpr_count 0
		.amdhsa_exception_fp_ieee_invalid_op 0
		.amdhsa_exception_fp_denorm_src 0
		.amdhsa_exception_fp_ieee_div_zero 0
		.amdhsa_exception_fp_ieee_overflow 0
		.amdhsa_exception_fp_ieee_underflow 0
		.amdhsa_exception_fp_ieee_inexact 0
		.amdhsa_exception_int_div_zero 0
	.end_amdhsa_kernel
	.section	.text._ZN7rocprim17ROCPRIM_400000_NS6detail17trampoline_kernelINS0_14default_configENS1_35radix_sort_onesweep_config_selectorIiiEEZNS1_34radix_sort_onesweep_global_offsetsIS3_Lb1EN6thrust23THRUST_200600_302600_NS6detail15normal_iteratorINS8_10device_ptrIiEEEESD_jNS0_19identity_decomposerEEE10hipError_tT1_T2_PT3_SI_jT4_jjP12ihipStream_tbEUlT_E0_NS1_11comp_targetILNS1_3genE8ELNS1_11target_archE1030ELNS1_3gpuE2ELNS1_3repE0EEENS1_52radix_sort_onesweep_histogram_config_static_selectorELNS0_4arch9wavefront6targetE0EEEvSG_,"axG",@progbits,_ZN7rocprim17ROCPRIM_400000_NS6detail17trampoline_kernelINS0_14default_configENS1_35radix_sort_onesweep_config_selectorIiiEEZNS1_34radix_sort_onesweep_global_offsetsIS3_Lb1EN6thrust23THRUST_200600_302600_NS6detail15normal_iteratorINS8_10device_ptrIiEEEESD_jNS0_19identity_decomposerEEE10hipError_tT1_T2_PT3_SI_jT4_jjP12ihipStream_tbEUlT_E0_NS1_11comp_targetILNS1_3genE8ELNS1_11target_archE1030ELNS1_3gpuE2ELNS1_3repE0EEENS1_52radix_sort_onesweep_histogram_config_static_selectorELNS0_4arch9wavefront6targetE0EEEvSG_,comdat
.Lfunc_end998:
	.size	_ZN7rocprim17ROCPRIM_400000_NS6detail17trampoline_kernelINS0_14default_configENS1_35radix_sort_onesweep_config_selectorIiiEEZNS1_34radix_sort_onesweep_global_offsetsIS3_Lb1EN6thrust23THRUST_200600_302600_NS6detail15normal_iteratorINS8_10device_ptrIiEEEESD_jNS0_19identity_decomposerEEE10hipError_tT1_T2_PT3_SI_jT4_jjP12ihipStream_tbEUlT_E0_NS1_11comp_targetILNS1_3genE8ELNS1_11target_archE1030ELNS1_3gpuE2ELNS1_3repE0EEENS1_52radix_sort_onesweep_histogram_config_static_selectorELNS0_4arch9wavefront6targetE0EEEvSG_, .Lfunc_end998-_ZN7rocprim17ROCPRIM_400000_NS6detail17trampoline_kernelINS0_14default_configENS1_35radix_sort_onesweep_config_selectorIiiEEZNS1_34radix_sort_onesweep_global_offsetsIS3_Lb1EN6thrust23THRUST_200600_302600_NS6detail15normal_iteratorINS8_10device_ptrIiEEEESD_jNS0_19identity_decomposerEEE10hipError_tT1_T2_PT3_SI_jT4_jjP12ihipStream_tbEUlT_E0_NS1_11comp_targetILNS1_3genE8ELNS1_11target_archE1030ELNS1_3gpuE2ELNS1_3repE0EEENS1_52radix_sort_onesweep_histogram_config_static_selectorELNS0_4arch9wavefront6targetE0EEEvSG_
                                        ; -- End function
	.set _ZN7rocprim17ROCPRIM_400000_NS6detail17trampoline_kernelINS0_14default_configENS1_35radix_sort_onesweep_config_selectorIiiEEZNS1_34radix_sort_onesweep_global_offsetsIS3_Lb1EN6thrust23THRUST_200600_302600_NS6detail15normal_iteratorINS8_10device_ptrIiEEEESD_jNS0_19identity_decomposerEEE10hipError_tT1_T2_PT3_SI_jT4_jjP12ihipStream_tbEUlT_E0_NS1_11comp_targetILNS1_3genE8ELNS1_11target_archE1030ELNS1_3gpuE2ELNS1_3repE0EEENS1_52radix_sort_onesweep_histogram_config_static_selectorELNS0_4arch9wavefront6targetE0EEEvSG_.num_vgpr, 8
	.set _ZN7rocprim17ROCPRIM_400000_NS6detail17trampoline_kernelINS0_14default_configENS1_35radix_sort_onesweep_config_selectorIiiEEZNS1_34radix_sort_onesweep_global_offsetsIS3_Lb1EN6thrust23THRUST_200600_302600_NS6detail15normal_iteratorINS8_10device_ptrIiEEEESD_jNS0_19identity_decomposerEEE10hipError_tT1_T2_PT3_SI_jT4_jjP12ihipStream_tbEUlT_E0_NS1_11comp_targetILNS1_3genE8ELNS1_11target_archE1030ELNS1_3gpuE2ELNS1_3repE0EEENS1_52radix_sort_onesweep_histogram_config_static_selectorELNS0_4arch9wavefront6targetE0EEEvSG_.num_agpr, 0
	.set _ZN7rocprim17ROCPRIM_400000_NS6detail17trampoline_kernelINS0_14default_configENS1_35radix_sort_onesweep_config_selectorIiiEEZNS1_34radix_sort_onesweep_global_offsetsIS3_Lb1EN6thrust23THRUST_200600_302600_NS6detail15normal_iteratorINS8_10device_ptrIiEEEESD_jNS0_19identity_decomposerEEE10hipError_tT1_T2_PT3_SI_jT4_jjP12ihipStream_tbEUlT_E0_NS1_11comp_targetILNS1_3genE8ELNS1_11target_archE1030ELNS1_3gpuE2ELNS1_3repE0EEENS1_52radix_sort_onesweep_histogram_config_static_selectorELNS0_4arch9wavefront6targetE0EEEvSG_.numbered_sgpr, 10
	.set _ZN7rocprim17ROCPRIM_400000_NS6detail17trampoline_kernelINS0_14default_configENS1_35radix_sort_onesweep_config_selectorIiiEEZNS1_34radix_sort_onesweep_global_offsetsIS3_Lb1EN6thrust23THRUST_200600_302600_NS6detail15normal_iteratorINS8_10device_ptrIiEEEESD_jNS0_19identity_decomposerEEE10hipError_tT1_T2_PT3_SI_jT4_jjP12ihipStream_tbEUlT_E0_NS1_11comp_targetILNS1_3genE8ELNS1_11target_archE1030ELNS1_3gpuE2ELNS1_3repE0EEENS1_52radix_sort_onesweep_histogram_config_static_selectorELNS0_4arch9wavefront6targetE0EEEvSG_.num_named_barrier, 0
	.set _ZN7rocprim17ROCPRIM_400000_NS6detail17trampoline_kernelINS0_14default_configENS1_35radix_sort_onesweep_config_selectorIiiEEZNS1_34radix_sort_onesweep_global_offsetsIS3_Lb1EN6thrust23THRUST_200600_302600_NS6detail15normal_iteratorINS8_10device_ptrIiEEEESD_jNS0_19identity_decomposerEEE10hipError_tT1_T2_PT3_SI_jT4_jjP12ihipStream_tbEUlT_E0_NS1_11comp_targetILNS1_3genE8ELNS1_11target_archE1030ELNS1_3gpuE2ELNS1_3repE0EEENS1_52radix_sort_onesweep_histogram_config_static_selectorELNS0_4arch9wavefront6targetE0EEEvSG_.private_seg_size, 0
	.set _ZN7rocprim17ROCPRIM_400000_NS6detail17trampoline_kernelINS0_14default_configENS1_35radix_sort_onesweep_config_selectorIiiEEZNS1_34radix_sort_onesweep_global_offsetsIS3_Lb1EN6thrust23THRUST_200600_302600_NS6detail15normal_iteratorINS8_10device_ptrIiEEEESD_jNS0_19identity_decomposerEEE10hipError_tT1_T2_PT3_SI_jT4_jjP12ihipStream_tbEUlT_E0_NS1_11comp_targetILNS1_3genE8ELNS1_11target_archE1030ELNS1_3gpuE2ELNS1_3repE0EEENS1_52radix_sort_onesweep_histogram_config_static_selectorELNS0_4arch9wavefront6targetE0EEEvSG_.uses_vcc, 1
	.set _ZN7rocprim17ROCPRIM_400000_NS6detail17trampoline_kernelINS0_14default_configENS1_35radix_sort_onesweep_config_selectorIiiEEZNS1_34radix_sort_onesweep_global_offsetsIS3_Lb1EN6thrust23THRUST_200600_302600_NS6detail15normal_iteratorINS8_10device_ptrIiEEEESD_jNS0_19identity_decomposerEEE10hipError_tT1_T2_PT3_SI_jT4_jjP12ihipStream_tbEUlT_E0_NS1_11comp_targetILNS1_3genE8ELNS1_11target_archE1030ELNS1_3gpuE2ELNS1_3repE0EEENS1_52radix_sort_onesweep_histogram_config_static_selectorELNS0_4arch9wavefront6targetE0EEEvSG_.uses_flat_scratch, 0
	.set _ZN7rocprim17ROCPRIM_400000_NS6detail17trampoline_kernelINS0_14default_configENS1_35radix_sort_onesweep_config_selectorIiiEEZNS1_34radix_sort_onesweep_global_offsetsIS3_Lb1EN6thrust23THRUST_200600_302600_NS6detail15normal_iteratorINS8_10device_ptrIiEEEESD_jNS0_19identity_decomposerEEE10hipError_tT1_T2_PT3_SI_jT4_jjP12ihipStream_tbEUlT_E0_NS1_11comp_targetILNS1_3genE8ELNS1_11target_archE1030ELNS1_3gpuE2ELNS1_3repE0EEENS1_52radix_sort_onesweep_histogram_config_static_selectorELNS0_4arch9wavefront6targetE0EEEvSG_.has_dyn_sized_stack, 0
	.set _ZN7rocprim17ROCPRIM_400000_NS6detail17trampoline_kernelINS0_14default_configENS1_35radix_sort_onesweep_config_selectorIiiEEZNS1_34radix_sort_onesweep_global_offsetsIS3_Lb1EN6thrust23THRUST_200600_302600_NS6detail15normal_iteratorINS8_10device_ptrIiEEEESD_jNS0_19identity_decomposerEEE10hipError_tT1_T2_PT3_SI_jT4_jjP12ihipStream_tbEUlT_E0_NS1_11comp_targetILNS1_3genE8ELNS1_11target_archE1030ELNS1_3gpuE2ELNS1_3repE0EEENS1_52radix_sort_onesweep_histogram_config_static_selectorELNS0_4arch9wavefront6targetE0EEEvSG_.has_recursion, 0
	.set _ZN7rocprim17ROCPRIM_400000_NS6detail17trampoline_kernelINS0_14default_configENS1_35radix_sort_onesweep_config_selectorIiiEEZNS1_34radix_sort_onesweep_global_offsetsIS3_Lb1EN6thrust23THRUST_200600_302600_NS6detail15normal_iteratorINS8_10device_ptrIiEEEESD_jNS0_19identity_decomposerEEE10hipError_tT1_T2_PT3_SI_jT4_jjP12ihipStream_tbEUlT_E0_NS1_11comp_targetILNS1_3genE8ELNS1_11target_archE1030ELNS1_3gpuE2ELNS1_3repE0EEENS1_52radix_sort_onesweep_histogram_config_static_selectorELNS0_4arch9wavefront6targetE0EEEvSG_.has_indirect_call, 0
	.section	.AMDGPU.csdata,"",@progbits
; Kernel info:
; codeLenInByte = 544
; TotalNumSgprs: 12
; NumVgprs: 8
; ScratchSize: 0
; MemoryBound: 0
; FloatMode: 240
; IeeeMode: 1
; LDSByteSize: 128 bytes/workgroup (compile time only)
; SGPRBlocks: 0
; VGPRBlocks: 0
; NumSGPRsForWavesPerEU: 12
; NumVGPRsForWavesPerEU: 8
; Occupancy: 16
; WaveLimiterHint : 0
; COMPUTE_PGM_RSRC2:SCRATCH_EN: 0
; COMPUTE_PGM_RSRC2:USER_SGPR: 6
; COMPUTE_PGM_RSRC2:TRAP_HANDLER: 0
; COMPUTE_PGM_RSRC2:TGID_X_EN: 1
; COMPUTE_PGM_RSRC2:TGID_Y_EN: 0
; COMPUTE_PGM_RSRC2:TGID_Z_EN: 0
; COMPUTE_PGM_RSRC2:TIDIG_COMP_CNT: 0
	.section	.text._ZN7rocprim17ROCPRIM_400000_NS6detail17trampoline_kernelINS0_14default_configENS1_35radix_sort_onesweep_config_selectorIiiEEZZNS1_29radix_sort_onesweep_iterationIS3_Lb1EN6thrust23THRUST_200600_302600_NS6detail15normal_iteratorINS8_10device_ptrIiEEEESD_SD_SD_jNS0_19identity_decomposerENS1_16block_id_wrapperIjLb1EEEEE10hipError_tT1_PNSt15iterator_traitsISI_E10value_typeET2_T3_PNSJ_ISO_E10value_typeET4_T5_PST_SU_PNS1_23onesweep_lookback_stateEbbT6_jjT7_P12ihipStream_tbENKUlT_T0_SI_SN_E_clISD_SD_SD_SD_EEDaS11_S12_SI_SN_EUlS11_E_NS1_11comp_targetILNS1_3genE0ELNS1_11target_archE4294967295ELNS1_3gpuE0ELNS1_3repE0EEENS1_47radix_sort_onesweep_sort_config_static_selectorELNS0_4arch9wavefront6targetE0EEEvSI_,"axG",@progbits,_ZN7rocprim17ROCPRIM_400000_NS6detail17trampoline_kernelINS0_14default_configENS1_35radix_sort_onesweep_config_selectorIiiEEZZNS1_29radix_sort_onesweep_iterationIS3_Lb1EN6thrust23THRUST_200600_302600_NS6detail15normal_iteratorINS8_10device_ptrIiEEEESD_SD_SD_jNS0_19identity_decomposerENS1_16block_id_wrapperIjLb1EEEEE10hipError_tT1_PNSt15iterator_traitsISI_E10value_typeET2_T3_PNSJ_ISO_E10value_typeET4_T5_PST_SU_PNS1_23onesweep_lookback_stateEbbT6_jjT7_P12ihipStream_tbENKUlT_T0_SI_SN_E_clISD_SD_SD_SD_EEDaS11_S12_SI_SN_EUlS11_E_NS1_11comp_targetILNS1_3genE0ELNS1_11target_archE4294967295ELNS1_3gpuE0ELNS1_3repE0EEENS1_47radix_sort_onesweep_sort_config_static_selectorELNS0_4arch9wavefront6targetE0EEEvSI_,comdat
	.protected	_ZN7rocprim17ROCPRIM_400000_NS6detail17trampoline_kernelINS0_14default_configENS1_35radix_sort_onesweep_config_selectorIiiEEZZNS1_29radix_sort_onesweep_iterationIS3_Lb1EN6thrust23THRUST_200600_302600_NS6detail15normal_iteratorINS8_10device_ptrIiEEEESD_SD_SD_jNS0_19identity_decomposerENS1_16block_id_wrapperIjLb1EEEEE10hipError_tT1_PNSt15iterator_traitsISI_E10value_typeET2_T3_PNSJ_ISO_E10value_typeET4_T5_PST_SU_PNS1_23onesweep_lookback_stateEbbT6_jjT7_P12ihipStream_tbENKUlT_T0_SI_SN_E_clISD_SD_SD_SD_EEDaS11_S12_SI_SN_EUlS11_E_NS1_11comp_targetILNS1_3genE0ELNS1_11target_archE4294967295ELNS1_3gpuE0ELNS1_3repE0EEENS1_47radix_sort_onesweep_sort_config_static_selectorELNS0_4arch9wavefront6targetE0EEEvSI_ ; -- Begin function _ZN7rocprim17ROCPRIM_400000_NS6detail17trampoline_kernelINS0_14default_configENS1_35radix_sort_onesweep_config_selectorIiiEEZZNS1_29radix_sort_onesweep_iterationIS3_Lb1EN6thrust23THRUST_200600_302600_NS6detail15normal_iteratorINS8_10device_ptrIiEEEESD_SD_SD_jNS0_19identity_decomposerENS1_16block_id_wrapperIjLb1EEEEE10hipError_tT1_PNSt15iterator_traitsISI_E10value_typeET2_T3_PNSJ_ISO_E10value_typeET4_T5_PST_SU_PNS1_23onesweep_lookback_stateEbbT6_jjT7_P12ihipStream_tbENKUlT_T0_SI_SN_E_clISD_SD_SD_SD_EEDaS11_S12_SI_SN_EUlS11_E_NS1_11comp_targetILNS1_3genE0ELNS1_11target_archE4294967295ELNS1_3gpuE0ELNS1_3repE0EEENS1_47radix_sort_onesweep_sort_config_static_selectorELNS0_4arch9wavefront6targetE0EEEvSI_
	.globl	_ZN7rocprim17ROCPRIM_400000_NS6detail17trampoline_kernelINS0_14default_configENS1_35radix_sort_onesweep_config_selectorIiiEEZZNS1_29radix_sort_onesweep_iterationIS3_Lb1EN6thrust23THRUST_200600_302600_NS6detail15normal_iteratorINS8_10device_ptrIiEEEESD_SD_SD_jNS0_19identity_decomposerENS1_16block_id_wrapperIjLb1EEEEE10hipError_tT1_PNSt15iterator_traitsISI_E10value_typeET2_T3_PNSJ_ISO_E10value_typeET4_T5_PST_SU_PNS1_23onesweep_lookback_stateEbbT6_jjT7_P12ihipStream_tbENKUlT_T0_SI_SN_E_clISD_SD_SD_SD_EEDaS11_S12_SI_SN_EUlS11_E_NS1_11comp_targetILNS1_3genE0ELNS1_11target_archE4294967295ELNS1_3gpuE0ELNS1_3repE0EEENS1_47radix_sort_onesweep_sort_config_static_selectorELNS0_4arch9wavefront6targetE0EEEvSI_
	.p2align	8
	.type	_ZN7rocprim17ROCPRIM_400000_NS6detail17trampoline_kernelINS0_14default_configENS1_35radix_sort_onesweep_config_selectorIiiEEZZNS1_29radix_sort_onesweep_iterationIS3_Lb1EN6thrust23THRUST_200600_302600_NS6detail15normal_iteratorINS8_10device_ptrIiEEEESD_SD_SD_jNS0_19identity_decomposerENS1_16block_id_wrapperIjLb1EEEEE10hipError_tT1_PNSt15iterator_traitsISI_E10value_typeET2_T3_PNSJ_ISO_E10value_typeET4_T5_PST_SU_PNS1_23onesweep_lookback_stateEbbT6_jjT7_P12ihipStream_tbENKUlT_T0_SI_SN_E_clISD_SD_SD_SD_EEDaS11_S12_SI_SN_EUlS11_E_NS1_11comp_targetILNS1_3genE0ELNS1_11target_archE4294967295ELNS1_3gpuE0ELNS1_3repE0EEENS1_47radix_sort_onesweep_sort_config_static_selectorELNS0_4arch9wavefront6targetE0EEEvSI_,@function
_ZN7rocprim17ROCPRIM_400000_NS6detail17trampoline_kernelINS0_14default_configENS1_35radix_sort_onesweep_config_selectorIiiEEZZNS1_29radix_sort_onesweep_iterationIS3_Lb1EN6thrust23THRUST_200600_302600_NS6detail15normal_iteratorINS8_10device_ptrIiEEEESD_SD_SD_jNS0_19identity_decomposerENS1_16block_id_wrapperIjLb1EEEEE10hipError_tT1_PNSt15iterator_traitsISI_E10value_typeET2_T3_PNSJ_ISO_E10value_typeET4_T5_PST_SU_PNS1_23onesweep_lookback_stateEbbT6_jjT7_P12ihipStream_tbENKUlT_T0_SI_SN_E_clISD_SD_SD_SD_EEDaS11_S12_SI_SN_EUlS11_E_NS1_11comp_targetILNS1_3genE0ELNS1_11target_archE4294967295ELNS1_3gpuE0ELNS1_3repE0EEENS1_47radix_sort_onesweep_sort_config_static_selectorELNS0_4arch9wavefront6targetE0EEEvSI_: ; @_ZN7rocprim17ROCPRIM_400000_NS6detail17trampoline_kernelINS0_14default_configENS1_35radix_sort_onesweep_config_selectorIiiEEZZNS1_29radix_sort_onesweep_iterationIS3_Lb1EN6thrust23THRUST_200600_302600_NS6detail15normal_iteratorINS8_10device_ptrIiEEEESD_SD_SD_jNS0_19identity_decomposerENS1_16block_id_wrapperIjLb1EEEEE10hipError_tT1_PNSt15iterator_traitsISI_E10value_typeET2_T3_PNSJ_ISO_E10value_typeET4_T5_PST_SU_PNS1_23onesweep_lookback_stateEbbT6_jjT7_P12ihipStream_tbENKUlT_T0_SI_SN_E_clISD_SD_SD_SD_EEDaS11_S12_SI_SN_EUlS11_E_NS1_11comp_targetILNS1_3genE0ELNS1_11target_archE4294967295ELNS1_3gpuE0ELNS1_3repE0EEENS1_47radix_sort_onesweep_sort_config_static_selectorELNS0_4arch9wavefront6targetE0EEEvSI_
; %bb.0:
	.section	.rodata,"a",@progbits
	.p2align	6, 0x0
	.amdhsa_kernel _ZN7rocprim17ROCPRIM_400000_NS6detail17trampoline_kernelINS0_14default_configENS1_35radix_sort_onesweep_config_selectorIiiEEZZNS1_29radix_sort_onesweep_iterationIS3_Lb1EN6thrust23THRUST_200600_302600_NS6detail15normal_iteratorINS8_10device_ptrIiEEEESD_SD_SD_jNS0_19identity_decomposerENS1_16block_id_wrapperIjLb1EEEEE10hipError_tT1_PNSt15iterator_traitsISI_E10value_typeET2_T3_PNSJ_ISO_E10value_typeET4_T5_PST_SU_PNS1_23onesweep_lookback_stateEbbT6_jjT7_P12ihipStream_tbENKUlT_T0_SI_SN_E_clISD_SD_SD_SD_EEDaS11_S12_SI_SN_EUlS11_E_NS1_11comp_targetILNS1_3genE0ELNS1_11target_archE4294967295ELNS1_3gpuE0ELNS1_3repE0EEENS1_47radix_sort_onesweep_sort_config_static_selectorELNS0_4arch9wavefront6targetE0EEEvSI_
		.amdhsa_group_segment_fixed_size 0
		.amdhsa_private_segment_fixed_size 0
		.amdhsa_kernarg_size 88
		.amdhsa_user_sgpr_count 6
		.amdhsa_user_sgpr_private_segment_buffer 1
		.amdhsa_user_sgpr_dispatch_ptr 0
		.amdhsa_user_sgpr_queue_ptr 0
		.amdhsa_user_sgpr_kernarg_segment_ptr 1
		.amdhsa_user_sgpr_dispatch_id 0
		.amdhsa_user_sgpr_flat_scratch_init 0
		.amdhsa_user_sgpr_private_segment_size 0
		.amdhsa_wavefront_size32 1
		.amdhsa_uses_dynamic_stack 0
		.amdhsa_system_sgpr_private_segment_wavefront_offset 0
		.amdhsa_system_sgpr_workgroup_id_x 1
		.amdhsa_system_sgpr_workgroup_id_y 0
		.amdhsa_system_sgpr_workgroup_id_z 0
		.amdhsa_system_sgpr_workgroup_info 0
		.amdhsa_system_vgpr_workitem_id 0
		.amdhsa_next_free_vgpr 1
		.amdhsa_next_free_sgpr 1
		.amdhsa_reserve_vcc 0
		.amdhsa_reserve_flat_scratch 0
		.amdhsa_float_round_mode_32 0
		.amdhsa_float_round_mode_16_64 0
		.amdhsa_float_denorm_mode_32 3
		.amdhsa_float_denorm_mode_16_64 3
		.amdhsa_dx10_clamp 1
		.amdhsa_ieee_mode 1
		.amdhsa_fp16_overflow 0
		.amdhsa_workgroup_processor_mode 1
		.amdhsa_memory_ordered 1
		.amdhsa_forward_progress 1
		.amdhsa_shared_vgpr_count 0
		.amdhsa_exception_fp_ieee_invalid_op 0
		.amdhsa_exception_fp_denorm_src 0
		.amdhsa_exception_fp_ieee_div_zero 0
		.amdhsa_exception_fp_ieee_overflow 0
		.amdhsa_exception_fp_ieee_underflow 0
		.amdhsa_exception_fp_ieee_inexact 0
		.amdhsa_exception_int_div_zero 0
	.end_amdhsa_kernel
	.section	.text._ZN7rocprim17ROCPRIM_400000_NS6detail17trampoline_kernelINS0_14default_configENS1_35radix_sort_onesweep_config_selectorIiiEEZZNS1_29radix_sort_onesweep_iterationIS3_Lb1EN6thrust23THRUST_200600_302600_NS6detail15normal_iteratorINS8_10device_ptrIiEEEESD_SD_SD_jNS0_19identity_decomposerENS1_16block_id_wrapperIjLb1EEEEE10hipError_tT1_PNSt15iterator_traitsISI_E10value_typeET2_T3_PNSJ_ISO_E10value_typeET4_T5_PST_SU_PNS1_23onesweep_lookback_stateEbbT6_jjT7_P12ihipStream_tbENKUlT_T0_SI_SN_E_clISD_SD_SD_SD_EEDaS11_S12_SI_SN_EUlS11_E_NS1_11comp_targetILNS1_3genE0ELNS1_11target_archE4294967295ELNS1_3gpuE0ELNS1_3repE0EEENS1_47radix_sort_onesweep_sort_config_static_selectorELNS0_4arch9wavefront6targetE0EEEvSI_,"axG",@progbits,_ZN7rocprim17ROCPRIM_400000_NS6detail17trampoline_kernelINS0_14default_configENS1_35radix_sort_onesweep_config_selectorIiiEEZZNS1_29radix_sort_onesweep_iterationIS3_Lb1EN6thrust23THRUST_200600_302600_NS6detail15normal_iteratorINS8_10device_ptrIiEEEESD_SD_SD_jNS0_19identity_decomposerENS1_16block_id_wrapperIjLb1EEEEE10hipError_tT1_PNSt15iterator_traitsISI_E10value_typeET2_T3_PNSJ_ISO_E10value_typeET4_T5_PST_SU_PNS1_23onesweep_lookback_stateEbbT6_jjT7_P12ihipStream_tbENKUlT_T0_SI_SN_E_clISD_SD_SD_SD_EEDaS11_S12_SI_SN_EUlS11_E_NS1_11comp_targetILNS1_3genE0ELNS1_11target_archE4294967295ELNS1_3gpuE0ELNS1_3repE0EEENS1_47radix_sort_onesweep_sort_config_static_selectorELNS0_4arch9wavefront6targetE0EEEvSI_,comdat
.Lfunc_end999:
	.size	_ZN7rocprim17ROCPRIM_400000_NS6detail17trampoline_kernelINS0_14default_configENS1_35radix_sort_onesweep_config_selectorIiiEEZZNS1_29radix_sort_onesweep_iterationIS3_Lb1EN6thrust23THRUST_200600_302600_NS6detail15normal_iteratorINS8_10device_ptrIiEEEESD_SD_SD_jNS0_19identity_decomposerENS1_16block_id_wrapperIjLb1EEEEE10hipError_tT1_PNSt15iterator_traitsISI_E10value_typeET2_T3_PNSJ_ISO_E10value_typeET4_T5_PST_SU_PNS1_23onesweep_lookback_stateEbbT6_jjT7_P12ihipStream_tbENKUlT_T0_SI_SN_E_clISD_SD_SD_SD_EEDaS11_S12_SI_SN_EUlS11_E_NS1_11comp_targetILNS1_3genE0ELNS1_11target_archE4294967295ELNS1_3gpuE0ELNS1_3repE0EEENS1_47radix_sort_onesweep_sort_config_static_selectorELNS0_4arch9wavefront6targetE0EEEvSI_, .Lfunc_end999-_ZN7rocprim17ROCPRIM_400000_NS6detail17trampoline_kernelINS0_14default_configENS1_35radix_sort_onesweep_config_selectorIiiEEZZNS1_29radix_sort_onesweep_iterationIS3_Lb1EN6thrust23THRUST_200600_302600_NS6detail15normal_iteratorINS8_10device_ptrIiEEEESD_SD_SD_jNS0_19identity_decomposerENS1_16block_id_wrapperIjLb1EEEEE10hipError_tT1_PNSt15iterator_traitsISI_E10value_typeET2_T3_PNSJ_ISO_E10value_typeET4_T5_PST_SU_PNS1_23onesweep_lookback_stateEbbT6_jjT7_P12ihipStream_tbENKUlT_T0_SI_SN_E_clISD_SD_SD_SD_EEDaS11_S12_SI_SN_EUlS11_E_NS1_11comp_targetILNS1_3genE0ELNS1_11target_archE4294967295ELNS1_3gpuE0ELNS1_3repE0EEENS1_47radix_sort_onesweep_sort_config_static_selectorELNS0_4arch9wavefront6targetE0EEEvSI_
                                        ; -- End function
	.set _ZN7rocprim17ROCPRIM_400000_NS6detail17trampoline_kernelINS0_14default_configENS1_35radix_sort_onesweep_config_selectorIiiEEZZNS1_29radix_sort_onesweep_iterationIS3_Lb1EN6thrust23THRUST_200600_302600_NS6detail15normal_iteratorINS8_10device_ptrIiEEEESD_SD_SD_jNS0_19identity_decomposerENS1_16block_id_wrapperIjLb1EEEEE10hipError_tT1_PNSt15iterator_traitsISI_E10value_typeET2_T3_PNSJ_ISO_E10value_typeET4_T5_PST_SU_PNS1_23onesweep_lookback_stateEbbT6_jjT7_P12ihipStream_tbENKUlT_T0_SI_SN_E_clISD_SD_SD_SD_EEDaS11_S12_SI_SN_EUlS11_E_NS1_11comp_targetILNS1_3genE0ELNS1_11target_archE4294967295ELNS1_3gpuE0ELNS1_3repE0EEENS1_47radix_sort_onesweep_sort_config_static_selectorELNS0_4arch9wavefront6targetE0EEEvSI_.num_vgpr, 0
	.set _ZN7rocprim17ROCPRIM_400000_NS6detail17trampoline_kernelINS0_14default_configENS1_35radix_sort_onesweep_config_selectorIiiEEZZNS1_29radix_sort_onesweep_iterationIS3_Lb1EN6thrust23THRUST_200600_302600_NS6detail15normal_iteratorINS8_10device_ptrIiEEEESD_SD_SD_jNS0_19identity_decomposerENS1_16block_id_wrapperIjLb1EEEEE10hipError_tT1_PNSt15iterator_traitsISI_E10value_typeET2_T3_PNSJ_ISO_E10value_typeET4_T5_PST_SU_PNS1_23onesweep_lookback_stateEbbT6_jjT7_P12ihipStream_tbENKUlT_T0_SI_SN_E_clISD_SD_SD_SD_EEDaS11_S12_SI_SN_EUlS11_E_NS1_11comp_targetILNS1_3genE0ELNS1_11target_archE4294967295ELNS1_3gpuE0ELNS1_3repE0EEENS1_47radix_sort_onesweep_sort_config_static_selectorELNS0_4arch9wavefront6targetE0EEEvSI_.num_agpr, 0
	.set _ZN7rocprim17ROCPRIM_400000_NS6detail17trampoline_kernelINS0_14default_configENS1_35radix_sort_onesweep_config_selectorIiiEEZZNS1_29radix_sort_onesweep_iterationIS3_Lb1EN6thrust23THRUST_200600_302600_NS6detail15normal_iteratorINS8_10device_ptrIiEEEESD_SD_SD_jNS0_19identity_decomposerENS1_16block_id_wrapperIjLb1EEEEE10hipError_tT1_PNSt15iterator_traitsISI_E10value_typeET2_T3_PNSJ_ISO_E10value_typeET4_T5_PST_SU_PNS1_23onesweep_lookback_stateEbbT6_jjT7_P12ihipStream_tbENKUlT_T0_SI_SN_E_clISD_SD_SD_SD_EEDaS11_S12_SI_SN_EUlS11_E_NS1_11comp_targetILNS1_3genE0ELNS1_11target_archE4294967295ELNS1_3gpuE0ELNS1_3repE0EEENS1_47radix_sort_onesweep_sort_config_static_selectorELNS0_4arch9wavefront6targetE0EEEvSI_.numbered_sgpr, 0
	.set _ZN7rocprim17ROCPRIM_400000_NS6detail17trampoline_kernelINS0_14default_configENS1_35radix_sort_onesweep_config_selectorIiiEEZZNS1_29radix_sort_onesweep_iterationIS3_Lb1EN6thrust23THRUST_200600_302600_NS6detail15normal_iteratorINS8_10device_ptrIiEEEESD_SD_SD_jNS0_19identity_decomposerENS1_16block_id_wrapperIjLb1EEEEE10hipError_tT1_PNSt15iterator_traitsISI_E10value_typeET2_T3_PNSJ_ISO_E10value_typeET4_T5_PST_SU_PNS1_23onesweep_lookback_stateEbbT6_jjT7_P12ihipStream_tbENKUlT_T0_SI_SN_E_clISD_SD_SD_SD_EEDaS11_S12_SI_SN_EUlS11_E_NS1_11comp_targetILNS1_3genE0ELNS1_11target_archE4294967295ELNS1_3gpuE0ELNS1_3repE0EEENS1_47radix_sort_onesweep_sort_config_static_selectorELNS0_4arch9wavefront6targetE0EEEvSI_.num_named_barrier, 0
	.set _ZN7rocprim17ROCPRIM_400000_NS6detail17trampoline_kernelINS0_14default_configENS1_35radix_sort_onesweep_config_selectorIiiEEZZNS1_29radix_sort_onesweep_iterationIS3_Lb1EN6thrust23THRUST_200600_302600_NS6detail15normal_iteratorINS8_10device_ptrIiEEEESD_SD_SD_jNS0_19identity_decomposerENS1_16block_id_wrapperIjLb1EEEEE10hipError_tT1_PNSt15iterator_traitsISI_E10value_typeET2_T3_PNSJ_ISO_E10value_typeET4_T5_PST_SU_PNS1_23onesweep_lookback_stateEbbT6_jjT7_P12ihipStream_tbENKUlT_T0_SI_SN_E_clISD_SD_SD_SD_EEDaS11_S12_SI_SN_EUlS11_E_NS1_11comp_targetILNS1_3genE0ELNS1_11target_archE4294967295ELNS1_3gpuE0ELNS1_3repE0EEENS1_47radix_sort_onesweep_sort_config_static_selectorELNS0_4arch9wavefront6targetE0EEEvSI_.private_seg_size, 0
	.set _ZN7rocprim17ROCPRIM_400000_NS6detail17trampoline_kernelINS0_14default_configENS1_35radix_sort_onesweep_config_selectorIiiEEZZNS1_29radix_sort_onesweep_iterationIS3_Lb1EN6thrust23THRUST_200600_302600_NS6detail15normal_iteratorINS8_10device_ptrIiEEEESD_SD_SD_jNS0_19identity_decomposerENS1_16block_id_wrapperIjLb1EEEEE10hipError_tT1_PNSt15iterator_traitsISI_E10value_typeET2_T3_PNSJ_ISO_E10value_typeET4_T5_PST_SU_PNS1_23onesweep_lookback_stateEbbT6_jjT7_P12ihipStream_tbENKUlT_T0_SI_SN_E_clISD_SD_SD_SD_EEDaS11_S12_SI_SN_EUlS11_E_NS1_11comp_targetILNS1_3genE0ELNS1_11target_archE4294967295ELNS1_3gpuE0ELNS1_3repE0EEENS1_47radix_sort_onesweep_sort_config_static_selectorELNS0_4arch9wavefront6targetE0EEEvSI_.uses_vcc, 0
	.set _ZN7rocprim17ROCPRIM_400000_NS6detail17trampoline_kernelINS0_14default_configENS1_35radix_sort_onesweep_config_selectorIiiEEZZNS1_29radix_sort_onesweep_iterationIS3_Lb1EN6thrust23THRUST_200600_302600_NS6detail15normal_iteratorINS8_10device_ptrIiEEEESD_SD_SD_jNS0_19identity_decomposerENS1_16block_id_wrapperIjLb1EEEEE10hipError_tT1_PNSt15iterator_traitsISI_E10value_typeET2_T3_PNSJ_ISO_E10value_typeET4_T5_PST_SU_PNS1_23onesweep_lookback_stateEbbT6_jjT7_P12ihipStream_tbENKUlT_T0_SI_SN_E_clISD_SD_SD_SD_EEDaS11_S12_SI_SN_EUlS11_E_NS1_11comp_targetILNS1_3genE0ELNS1_11target_archE4294967295ELNS1_3gpuE0ELNS1_3repE0EEENS1_47radix_sort_onesweep_sort_config_static_selectorELNS0_4arch9wavefront6targetE0EEEvSI_.uses_flat_scratch, 0
	.set _ZN7rocprim17ROCPRIM_400000_NS6detail17trampoline_kernelINS0_14default_configENS1_35radix_sort_onesweep_config_selectorIiiEEZZNS1_29radix_sort_onesweep_iterationIS3_Lb1EN6thrust23THRUST_200600_302600_NS6detail15normal_iteratorINS8_10device_ptrIiEEEESD_SD_SD_jNS0_19identity_decomposerENS1_16block_id_wrapperIjLb1EEEEE10hipError_tT1_PNSt15iterator_traitsISI_E10value_typeET2_T3_PNSJ_ISO_E10value_typeET4_T5_PST_SU_PNS1_23onesweep_lookback_stateEbbT6_jjT7_P12ihipStream_tbENKUlT_T0_SI_SN_E_clISD_SD_SD_SD_EEDaS11_S12_SI_SN_EUlS11_E_NS1_11comp_targetILNS1_3genE0ELNS1_11target_archE4294967295ELNS1_3gpuE0ELNS1_3repE0EEENS1_47radix_sort_onesweep_sort_config_static_selectorELNS0_4arch9wavefront6targetE0EEEvSI_.has_dyn_sized_stack, 0
	.set _ZN7rocprim17ROCPRIM_400000_NS6detail17trampoline_kernelINS0_14default_configENS1_35radix_sort_onesweep_config_selectorIiiEEZZNS1_29radix_sort_onesweep_iterationIS3_Lb1EN6thrust23THRUST_200600_302600_NS6detail15normal_iteratorINS8_10device_ptrIiEEEESD_SD_SD_jNS0_19identity_decomposerENS1_16block_id_wrapperIjLb1EEEEE10hipError_tT1_PNSt15iterator_traitsISI_E10value_typeET2_T3_PNSJ_ISO_E10value_typeET4_T5_PST_SU_PNS1_23onesweep_lookback_stateEbbT6_jjT7_P12ihipStream_tbENKUlT_T0_SI_SN_E_clISD_SD_SD_SD_EEDaS11_S12_SI_SN_EUlS11_E_NS1_11comp_targetILNS1_3genE0ELNS1_11target_archE4294967295ELNS1_3gpuE0ELNS1_3repE0EEENS1_47radix_sort_onesweep_sort_config_static_selectorELNS0_4arch9wavefront6targetE0EEEvSI_.has_recursion, 0
	.set _ZN7rocprim17ROCPRIM_400000_NS6detail17trampoline_kernelINS0_14default_configENS1_35radix_sort_onesweep_config_selectorIiiEEZZNS1_29radix_sort_onesweep_iterationIS3_Lb1EN6thrust23THRUST_200600_302600_NS6detail15normal_iteratorINS8_10device_ptrIiEEEESD_SD_SD_jNS0_19identity_decomposerENS1_16block_id_wrapperIjLb1EEEEE10hipError_tT1_PNSt15iterator_traitsISI_E10value_typeET2_T3_PNSJ_ISO_E10value_typeET4_T5_PST_SU_PNS1_23onesweep_lookback_stateEbbT6_jjT7_P12ihipStream_tbENKUlT_T0_SI_SN_E_clISD_SD_SD_SD_EEDaS11_S12_SI_SN_EUlS11_E_NS1_11comp_targetILNS1_3genE0ELNS1_11target_archE4294967295ELNS1_3gpuE0ELNS1_3repE0EEENS1_47radix_sort_onesweep_sort_config_static_selectorELNS0_4arch9wavefront6targetE0EEEvSI_.has_indirect_call, 0
	.section	.AMDGPU.csdata,"",@progbits
; Kernel info:
; codeLenInByte = 0
; TotalNumSgprs: 0
; NumVgprs: 0
; ScratchSize: 0
; MemoryBound: 0
; FloatMode: 240
; IeeeMode: 1
; LDSByteSize: 0 bytes/workgroup (compile time only)
; SGPRBlocks: 0
; VGPRBlocks: 0
; NumSGPRsForWavesPerEU: 1
; NumVGPRsForWavesPerEU: 1
; Occupancy: 16
; WaveLimiterHint : 0
; COMPUTE_PGM_RSRC2:SCRATCH_EN: 0
; COMPUTE_PGM_RSRC2:USER_SGPR: 6
; COMPUTE_PGM_RSRC2:TRAP_HANDLER: 0
; COMPUTE_PGM_RSRC2:TGID_X_EN: 1
; COMPUTE_PGM_RSRC2:TGID_Y_EN: 0
; COMPUTE_PGM_RSRC2:TGID_Z_EN: 0
; COMPUTE_PGM_RSRC2:TIDIG_COMP_CNT: 0
	.section	.text._ZN7rocprim17ROCPRIM_400000_NS6detail17trampoline_kernelINS0_14default_configENS1_35radix_sort_onesweep_config_selectorIiiEEZZNS1_29radix_sort_onesweep_iterationIS3_Lb1EN6thrust23THRUST_200600_302600_NS6detail15normal_iteratorINS8_10device_ptrIiEEEESD_SD_SD_jNS0_19identity_decomposerENS1_16block_id_wrapperIjLb1EEEEE10hipError_tT1_PNSt15iterator_traitsISI_E10value_typeET2_T3_PNSJ_ISO_E10value_typeET4_T5_PST_SU_PNS1_23onesweep_lookback_stateEbbT6_jjT7_P12ihipStream_tbENKUlT_T0_SI_SN_E_clISD_SD_SD_SD_EEDaS11_S12_SI_SN_EUlS11_E_NS1_11comp_targetILNS1_3genE6ELNS1_11target_archE950ELNS1_3gpuE13ELNS1_3repE0EEENS1_47radix_sort_onesweep_sort_config_static_selectorELNS0_4arch9wavefront6targetE0EEEvSI_,"axG",@progbits,_ZN7rocprim17ROCPRIM_400000_NS6detail17trampoline_kernelINS0_14default_configENS1_35radix_sort_onesweep_config_selectorIiiEEZZNS1_29radix_sort_onesweep_iterationIS3_Lb1EN6thrust23THRUST_200600_302600_NS6detail15normal_iteratorINS8_10device_ptrIiEEEESD_SD_SD_jNS0_19identity_decomposerENS1_16block_id_wrapperIjLb1EEEEE10hipError_tT1_PNSt15iterator_traitsISI_E10value_typeET2_T3_PNSJ_ISO_E10value_typeET4_T5_PST_SU_PNS1_23onesweep_lookback_stateEbbT6_jjT7_P12ihipStream_tbENKUlT_T0_SI_SN_E_clISD_SD_SD_SD_EEDaS11_S12_SI_SN_EUlS11_E_NS1_11comp_targetILNS1_3genE6ELNS1_11target_archE950ELNS1_3gpuE13ELNS1_3repE0EEENS1_47radix_sort_onesweep_sort_config_static_selectorELNS0_4arch9wavefront6targetE0EEEvSI_,comdat
	.protected	_ZN7rocprim17ROCPRIM_400000_NS6detail17trampoline_kernelINS0_14default_configENS1_35radix_sort_onesweep_config_selectorIiiEEZZNS1_29radix_sort_onesweep_iterationIS3_Lb1EN6thrust23THRUST_200600_302600_NS6detail15normal_iteratorINS8_10device_ptrIiEEEESD_SD_SD_jNS0_19identity_decomposerENS1_16block_id_wrapperIjLb1EEEEE10hipError_tT1_PNSt15iterator_traitsISI_E10value_typeET2_T3_PNSJ_ISO_E10value_typeET4_T5_PST_SU_PNS1_23onesweep_lookback_stateEbbT6_jjT7_P12ihipStream_tbENKUlT_T0_SI_SN_E_clISD_SD_SD_SD_EEDaS11_S12_SI_SN_EUlS11_E_NS1_11comp_targetILNS1_3genE6ELNS1_11target_archE950ELNS1_3gpuE13ELNS1_3repE0EEENS1_47radix_sort_onesweep_sort_config_static_selectorELNS0_4arch9wavefront6targetE0EEEvSI_ ; -- Begin function _ZN7rocprim17ROCPRIM_400000_NS6detail17trampoline_kernelINS0_14default_configENS1_35radix_sort_onesweep_config_selectorIiiEEZZNS1_29radix_sort_onesweep_iterationIS3_Lb1EN6thrust23THRUST_200600_302600_NS6detail15normal_iteratorINS8_10device_ptrIiEEEESD_SD_SD_jNS0_19identity_decomposerENS1_16block_id_wrapperIjLb1EEEEE10hipError_tT1_PNSt15iterator_traitsISI_E10value_typeET2_T3_PNSJ_ISO_E10value_typeET4_T5_PST_SU_PNS1_23onesweep_lookback_stateEbbT6_jjT7_P12ihipStream_tbENKUlT_T0_SI_SN_E_clISD_SD_SD_SD_EEDaS11_S12_SI_SN_EUlS11_E_NS1_11comp_targetILNS1_3genE6ELNS1_11target_archE950ELNS1_3gpuE13ELNS1_3repE0EEENS1_47radix_sort_onesweep_sort_config_static_selectorELNS0_4arch9wavefront6targetE0EEEvSI_
	.globl	_ZN7rocprim17ROCPRIM_400000_NS6detail17trampoline_kernelINS0_14default_configENS1_35radix_sort_onesweep_config_selectorIiiEEZZNS1_29radix_sort_onesweep_iterationIS3_Lb1EN6thrust23THRUST_200600_302600_NS6detail15normal_iteratorINS8_10device_ptrIiEEEESD_SD_SD_jNS0_19identity_decomposerENS1_16block_id_wrapperIjLb1EEEEE10hipError_tT1_PNSt15iterator_traitsISI_E10value_typeET2_T3_PNSJ_ISO_E10value_typeET4_T5_PST_SU_PNS1_23onesweep_lookback_stateEbbT6_jjT7_P12ihipStream_tbENKUlT_T0_SI_SN_E_clISD_SD_SD_SD_EEDaS11_S12_SI_SN_EUlS11_E_NS1_11comp_targetILNS1_3genE6ELNS1_11target_archE950ELNS1_3gpuE13ELNS1_3repE0EEENS1_47radix_sort_onesweep_sort_config_static_selectorELNS0_4arch9wavefront6targetE0EEEvSI_
	.p2align	8
	.type	_ZN7rocprim17ROCPRIM_400000_NS6detail17trampoline_kernelINS0_14default_configENS1_35radix_sort_onesweep_config_selectorIiiEEZZNS1_29radix_sort_onesweep_iterationIS3_Lb1EN6thrust23THRUST_200600_302600_NS6detail15normal_iteratorINS8_10device_ptrIiEEEESD_SD_SD_jNS0_19identity_decomposerENS1_16block_id_wrapperIjLb1EEEEE10hipError_tT1_PNSt15iterator_traitsISI_E10value_typeET2_T3_PNSJ_ISO_E10value_typeET4_T5_PST_SU_PNS1_23onesweep_lookback_stateEbbT6_jjT7_P12ihipStream_tbENKUlT_T0_SI_SN_E_clISD_SD_SD_SD_EEDaS11_S12_SI_SN_EUlS11_E_NS1_11comp_targetILNS1_3genE6ELNS1_11target_archE950ELNS1_3gpuE13ELNS1_3repE0EEENS1_47radix_sort_onesweep_sort_config_static_selectorELNS0_4arch9wavefront6targetE0EEEvSI_,@function
_ZN7rocprim17ROCPRIM_400000_NS6detail17trampoline_kernelINS0_14default_configENS1_35radix_sort_onesweep_config_selectorIiiEEZZNS1_29radix_sort_onesweep_iterationIS3_Lb1EN6thrust23THRUST_200600_302600_NS6detail15normal_iteratorINS8_10device_ptrIiEEEESD_SD_SD_jNS0_19identity_decomposerENS1_16block_id_wrapperIjLb1EEEEE10hipError_tT1_PNSt15iterator_traitsISI_E10value_typeET2_T3_PNSJ_ISO_E10value_typeET4_T5_PST_SU_PNS1_23onesweep_lookback_stateEbbT6_jjT7_P12ihipStream_tbENKUlT_T0_SI_SN_E_clISD_SD_SD_SD_EEDaS11_S12_SI_SN_EUlS11_E_NS1_11comp_targetILNS1_3genE6ELNS1_11target_archE950ELNS1_3gpuE13ELNS1_3repE0EEENS1_47radix_sort_onesweep_sort_config_static_selectorELNS0_4arch9wavefront6targetE0EEEvSI_: ; @_ZN7rocprim17ROCPRIM_400000_NS6detail17trampoline_kernelINS0_14default_configENS1_35radix_sort_onesweep_config_selectorIiiEEZZNS1_29radix_sort_onesweep_iterationIS3_Lb1EN6thrust23THRUST_200600_302600_NS6detail15normal_iteratorINS8_10device_ptrIiEEEESD_SD_SD_jNS0_19identity_decomposerENS1_16block_id_wrapperIjLb1EEEEE10hipError_tT1_PNSt15iterator_traitsISI_E10value_typeET2_T3_PNSJ_ISO_E10value_typeET4_T5_PST_SU_PNS1_23onesweep_lookback_stateEbbT6_jjT7_P12ihipStream_tbENKUlT_T0_SI_SN_E_clISD_SD_SD_SD_EEDaS11_S12_SI_SN_EUlS11_E_NS1_11comp_targetILNS1_3genE6ELNS1_11target_archE950ELNS1_3gpuE13ELNS1_3repE0EEENS1_47radix_sort_onesweep_sort_config_static_selectorELNS0_4arch9wavefront6targetE0EEEvSI_
; %bb.0:
	.section	.rodata,"a",@progbits
	.p2align	6, 0x0
	.amdhsa_kernel _ZN7rocprim17ROCPRIM_400000_NS6detail17trampoline_kernelINS0_14default_configENS1_35radix_sort_onesweep_config_selectorIiiEEZZNS1_29radix_sort_onesweep_iterationIS3_Lb1EN6thrust23THRUST_200600_302600_NS6detail15normal_iteratorINS8_10device_ptrIiEEEESD_SD_SD_jNS0_19identity_decomposerENS1_16block_id_wrapperIjLb1EEEEE10hipError_tT1_PNSt15iterator_traitsISI_E10value_typeET2_T3_PNSJ_ISO_E10value_typeET4_T5_PST_SU_PNS1_23onesweep_lookback_stateEbbT6_jjT7_P12ihipStream_tbENKUlT_T0_SI_SN_E_clISD_SD_SD_SD_EEDaS11_S12_SI_SN_EUlS11_E_NS1_11comp_targetILNS1_3genE6ELNS1_11target_archE950ELNS1_3gpuE13ELNS1_3repE0EEENS1_47radix_sort_onesweep_sort_config_static_selectorELNS0_4arch9wavefront6targetE0EEEvSI_
		.amdhsa_group_segment_fixed_size 0
		.amdhsa_private_segment_fixed_size 0
		.amdhsa_kernarg_size 88
		.amdhsa_user_sgpr_count 6
		.amdhsa_user_sgpr_private_segment_buffer 1
		.amdhsa_user_sgpr_dispatch_ptr 0
		.amdhsa_user_sgpr_queue_ptr 0
		.amdhsa_user_sgpr_kernarg_segment_ptr 1
		.amdhsa_user_sgpr_dispatch_id 0
		.amdhsa_user_sgpr_flat_scratch_init 0
		.amdhsa_user_sgpr_private_segment_size 0
		.amdhsa_wavefront_size32 1
		.amdhsa_uses_dynamic_stack 0
		.amdhsa_system_sgpr_private_segment_wavefront_offset 0
		.amdhsa_system_sgpr_workgroup_id_x 1
		.amdhsa_system_sgpr_workgroup_id_y 0
		.amdhsa_system_sgpr_workgroup_id_z 0
		.amdhsa_system_sgpr_workgroup_info 0
		.amdhsa_system_vgpr_workitem_id 0
		.amdhsa_next_free_vgpr 1
		.amdhsa_next_free_sgpr 1
		.amdhsa_reserve_vcc 0
		.amdhsa_reserve_flat_scratch 0
		.amdhsa_float_round_mode_32 0
		.amdhsa_float_round_mode_16_64 0
		.amdhsa_float_denorm_mode_32 3
		.amdhsa_float_denorm_mode_16_64 3
		.amdhsa_dx10_clamp 1
		.amdhsa_ieee_mode 1
		.amdhsa_fp16_overflow 0
		.amdhsa_workgroup_processor_mode 1
		.amdhsa_memory_ordered 1
		.amdhsa_forward_progress 1
		.amdhsa_shared_vgpr_count 0
		.amdhsa_exception_fp_ieee_invalid_op 0
		.amdhsa_exception_fp_denorm_src 0
		.amdhsa_exception_fp_ieee_div_zero 0
		.amdhsa_exception_fp_ieee_overflow 0
		.amdhsa_exception_fp_ieee_underflow 0
		.amdhsa_exception_fp_ieee_inexact 0
		.amdhsa_exception_int_div_zero 0
	.end_amdhsa_kernel
	.section	.text._ZN7rocprim17ROCPRIM_400000_NS6detail17trampoline_kernelINS0_14default_configENS1_35radix_sort_onesweep_config_selectorIiiEEZZNS1_29radix_sort_onesweep_iterationIS3_Lb1EN6thrust23THRUST_200600_302600_NS6detail15normal_iteratorINS8_10device_ptrIiEEEESD_SD_SD_jNS0_19identity_decomposerENS1_16block_id_wrapperIjLb1EEEEE10hipError_tT1_PNSt15iterator_traitsISI_E10value_typeET2_T3_PNSJ_ISO_E10value_typeET4_T5_PST_SU_PNS1_23onesweep_lookback_stateEbbT6_jjT7_P12ihipStream_tbENKUlT_T0_SI_SN_E_clISD_SD_SD_SD_EEDaS11_S12_SI_SN_EUlS11_E_NS1_11comp_targetILNS1_3genE6ELNS1_11target_archE950ELNS1_3gpuE13ELNS1_3repE0EEENS1_47radix_sort_onesweep_sort_config_static_selectorELNS0_4arch9wavefront6targetE0EEEvSI_,"axG",@progbits,_ZN7rocprim17ROCPRIM_400000_NS6detail17trampoline_kernelINS0_14default_configENS1_35radix_sort_onesweep_config_selectorIiiEEZZNS1_29radix_sort_onesweep_iterationIS3_Lb1EN6thrust23THRUST_200600_302600_NS6detail15normal_iteratorINS8_10device_ptrIiEEEESD_SD_SD_jNS0_19identity_decomposerENS1_16block_id_wrapperIjLb1EEEEE10hipError_tT1_PNSt15iterator_traitsISI_E10value_typeET2_T3_PNSJ_ISO_E10value_typeET4_T5_PST_SU_PNS1_23onesweep_lookback_stateEbbT6_jjT7_P12ihipStream_tbENKUlT_T0_SI_SN_E_clISD_SD_SD_SD_EEDaS11_S12_SI_SN_EUlS11_E_NS1_11comp_targetILNS1_3genE6ELNS1_11target_archE950ELNS1_3gpuE13ELNS1_3repE0EEENS1_47radix_sort_onesweep_sort_config_static_selectorELNS0_4arch9wavefront6targetE0EEEvSI_,comdat
.Lfunc_end1000:
	.size	_ZN7rocprim17ROCPRIM_400000_NS6detail17trampoline_kernelINS0_14default_configENS1_35radix_sort_onesweep_config_selectorIiiEEZZNS1_29radix_sort_onesweep_iterationIS3_Lb1EN6thrust23THRUST_200600_302600_NS6detail15normal_iteratorINS8_10device_ptrIiEEEESD_SD_SD_jNS0_19identity_decomposerENS1_16block_id_wrapperIjLb1EEEEE10hipError_tT1_PNSt15iterator_traitsISI_E10value_typeET2_T3_PNSJ_ISO_E10value_typeET4_T5_PST_SU_PNS1_23onesweep_lookback_stateEbbT6_jjT7_P12ihipStream_tbENKUlT_T0_SI_SN_E_clISD_SD_SD_SD_EEDaS11_S12_SI_SN_EUlS11_E_NS1_11comp_targetILNS1_3genE6ELNS1_11target_archE950ELNS1_3gpuE13ELNS1_3repE0EEENS1_47radix_sort_onesweep_sort_config_static_selectorELNS0_4arch9wavefront6targetE0EEEvSI_, .Lfunc_end1000-_ZN7rocprim17ROCPRIM_400000_NS6detail17trampoline_kernelINS0_14default_configENS1_35radix_sort_onesweep_config_selectorIiiEEZZNS1_29radix_sort_onesweep_iterationIS3_Lb1EN6thrust23THRUST_200600_302600_NS6detail15normal_iteratorINS8_10device_ptrIiEEEESD_SD_SD_jNS0_19identity_decomposerENS1_16block_id_wrapperIjLb1EEEEE10hipError_tT1_PNSt15iterator_traitsISI_E10value_typeET2_T3_PNSJ_ISO_E10value_typeET4_T5_PST_SU_PNS1_23onesweep_lookback_stateEbbT6_jjT7_P12ihipStream_tbENKUlT_T0_SI_SN_E_clISD_SD_SD_SD_EEDaS11_S12_SI_SN_EUlS11_E_NS1_11comp_targetILNS1_3genE6ELNS1_11target_archE950ELNS1_3gpuE13ELNS1_3repE0EEENS1_47radix_sort_onesweep_sort_config_static_selectorELNS0_4arch9wavefront6targetE0EEEvSI_
                                        ; -- End function
	.set _ZN7rocprim17ROCPRIM_400000_NS6detail17trampoline_kernelINS0_14default_configENS1_35radix_sort_onesweep_config_selectorIiiEEZZNS1_29radix_sort_onesweep_iterationIS3_Lb1EN6thrust23THRUST_200600_302600_NS6detail15normal_iteratorINS8_10device_ptrIiEEEESD_SD_SD_jNS0_19identity_decomposerENS1_16block_id_wrapperIjLb1EEEEE10hipError_tT1_PNSt15iterator_traitsISI_E10value_typeET2_T3_PNSJ_ISO_E10value_typeET4_T5_PST_SU_PNS1_23onesweep_lookback_stateEbbT6_jjT7_P12ihipStream_tbENKUlT_T0_SI_SN_E_clISD_SD_SD_SD_EEDaS11_S12_SI_SN_EUlS11_E_NS1_11comp_targetILNS1_3genE6ELNS1_11target_archE950ELNS1_3gpuE13ELNS1_3repE0EEENS1_47radix_sort_onesweep_sort_config_static_selectorELNS0_4arch9wavefront6targetE0EEEvSI_.num_vgpr, 0
	.set _ZN7rocprim17ROCPRIM_400000_NS6detail17trampoline_kernelINS0_14default_configENS1_35radix_sort_onesweep_config_selectorIiiEEZZNS1_29radix_sort_onesweep_iterationIS3_Lb1EN6thrust23THRUST_200600_302600_NS6detail15normal_iteratorINS8_10device_ptrIiEEEESD_SD_SD_jNS0_19identity_decomposerENS1_16block_id_wrapperIjLb1EEEEE10hipError_tT1_PNSt15iterator_traitsISI_E10value_typeET2_T3_PNSJ_ISO_E10value_typeET4_T5_PST_SU_PNS1_23onesweep_lookback_stateEbbT6_jjT7_P12ihipStream_tbENKUlT_T0_SI_SN_E_clISD_SD_SD_SD_EEDaS11_S12_SI_SN_EUlS11_E_NS1_11comp_targetILNS1_3genE6ELNS1_11target_archE950ELNS1_3gpuE13ELNS1_3repE0EEENS1_47radix_sort_onesweep_sort_config_static_selectorELNS0_4arch9wavefront6targetE0EEEvSI_.num_agpr, 0
	.set _ZN7rocprim17ROCPRIM_400000_NS6detail17trampoline_kernelINS0_14default_configENS1_35radix_sort_onesweep_config_selectorIiiEEZZNS1_29radix_sort_onesweep_iterationIS3_Lb1EN6thrust23THRUST_200600_302600_NS6detail15normal_iteratorINS8_10device_ptrIiEEEESD_SD_SD_jNS0_19identity_decomposerENS1_16block_id_wrapperIjLb1EEEEE10hipError_tT1_PNSt15iterator_traitsISI_E10value_typeET2_T3_PNSJ_ISO_E10value_typeET4_T5_PST_SU_PNS1_23onesweep_lookback_stateEbbT6_jjT7_P12ihipStream_tbENKUlT_T0_SI_SN_E_clISD_SD_SD_SD_EEDaS11_S12_SI_SN_EUlS11_E_NS1_11comp_targetILNS1_3genE6ELNS1_11target_archE950ELNS1_3gpuE13ELNS1_3repE0EEENS1_47radix_sort_onesweep_sort_config_static_selectorELNS0_4arch9wavefront6targetE0EEEvSI_.numbered_sgpr, 0
	.set _ZN7rocprim17ROCPRIM_400000_NS6detail17trampoline_kernelINS0_14default_configENS1_35radix_sort_onesweep_config_selectorIiiEEZZNS1_29radix_sort_onesweep_iterationIS3_Lb1EN6thrust23THRUST_200600_302600_NS6detail15normal_iteratorINS8_10device_ptrIiEEEESD_SD_SD_jNS0_19identity_decomposerENS1_16block_id_wrapperIjLb1EEEEE10hipError_tT1_PNSt15iterator_traitsISI_E10value_typeET2_T3_PNSJ_ISO_E10value_typeET4_T5_PST_SU_PNS1_23onesweep_lookback_stateEbbT6_jjT7_P12ihipStream_tbENKUlT_T0_SI_SN_E_clISD_SD_SD_SD_EEDaS11_S12_SI_SN_EUlS11_E_NS1_11comp_targetILNS1_3genE6ELNS1_11target_archE950ELNS1_3gpuE13ELNS1_3repE0EEENS1_47radix_sort_onesweep_sort_config_static_selectorELNS0_4arch9wavefront6targetE0EEEvSI_.num_named_barrier, 0
	.set _ZN7rocprim17ROCPRIM_400000_NS6detail17trampoline_kernelINS0_14default_configENS1_35radix_sort_onesweep_config_selectorIiiEEZZNS1_29radix_sort_onesweep_iterationIS3_Lb1EN6thrust23THRUST_200600_302600_NS6detail15normal_iteratorINS8_10device_ptrIiEEEESD_SD_SD_jNS0_19identity_decomposerENS1_16block_id_wrapperIjLb1EEEEE10hipError_tT1_PNSt15iterator_traitsISI_E10value_typeET2_T3_PNSJ_ISO_E10value_typeET4_T5_PST_SU_PNS1_23onesweep_lookback_stateEbbT6_jjT7_P12ihipStream_tbENKUlT_T0_SI_SN_E_clISD_SD_SD_SD_EEDaS11_S12_SI_SN_EUlS11_E_NS1_11comp_targetILNS1_3genE6ELNS1_11target_archE950ELNS1_3gpuE13ELNS1_3repE0EEENS1_47radix_sort_onesweep_sort_config_static_selectorELNS0_4arch9wavefront6targetE0EEEvSI_.private_seg_size, 0
	.set _ZN7rocprim17ROCPRIM_400000_NS6detail17trampoline_kernelINS0_14default_configENS1_35radix_sort_onesweep_config_selectorIiiEEZZNS1_29radix_sort_onesweep_iterationIS3_Lb1EN6thrust23THRUST_200600_302600_NS6detail15normal_iteratorINS8_10device_ptrIiEEEESD_SD_SD_jNS0_19identity_decomposerENS1_16block_id_wrapperIjLb1EEEEE10hipError_tT1_PNSt15iterator_traitsISI_E10value_typeET2_T3_PNSJ_ISO_E10value_typeET4_T5_PST_SU_PNS1_23onesweep_lookback_stateEbbT6_jjT7_P12ihipStream_tbENKUlT_T0_SI_SN_E_clISD_SD_SD_SD_EEDaS11_S12_SI_SN_EUlS11_E_NS1_11comp_targetILNS1_3genE6ELNS1_11target_archE950ELNS1_3gpuE13ELNS1_3repE0EEENS1_47radix_sort_onesweep_sort_config_static_selectorELNS0_4arch9wavefront6targetE0EEEvSI_.uses_vcc, 0
	.set _ZN7rocprim17ROCPRIM_400000_NS6detail17trampoline_kernelINS0_14default_configENS1_35radix_sort_onesweep_config_selectorIiiEEZZNS1_29radix_sort_onesweep_iterationIS3_Lb1EN6thrust23THRUST_200600_302600_NS6detail15normal_iteratorINS8_10device_ptrIiEEEESD_SD_SD_jNS0_19identity_decomposerENS1_16block_id_wrapperIjLb1EEEEE10hipError_tT1_PNSt15iterator_traitsISI_E10value_typeET2_T3_PNSJ_ISO_E10value_typeET4_T5_PST_SU_PNS1_23onesweep_lookback_stateEbbT6_jjT7_P12ihipStream_tbENKUlT_T0_SI_SN_E_clISD_SD_SD_SD_EEDaS11_S12_SI_SN_EUlS11_E_NS1_11comp_targetILNS1_3genE6ELNS1_11target_archE950ELNS1_3gpuE13ELNS1_3repE0EEENS1_47radix_sort_onesweep_sort_config_static_selectorELNS0_4arch9wavefront6targetE0EEEvSI_.uses_flat_scratch, 0
	.set _ZN7rocprim17ROCPRIM_400000_NS6detail17trampoline_kernelINS0_14default_configENS1_35radix_sort_onesweep_config_selectorIiiEEZZNS1_29radix_sort_onesweep_iterationIS3_Lb1EN6thrust23THRUST_200600_302600_NS6detail15normal_iteratorINS8_10device_ptrIiEEEESD_SD_SD_jNS0_19identity_decomposerENS1_16block_id_wrapperIjLb1EEEEE10hipError_tT1_PNSt15iterator_traitsISI_E10value_typeET2_T3_PNSJ_ISO_E10value_typeET4_T5_PST_SU_PNS1_23onesweep_lookback_stateEbbT6_jjT7_P12ihipStream_tbENKUlT_T0_SI_SN_E_clISD_SD_SD_SD_EEDaS11_S12_SI_SN_EUlS11_E_NS1_11comp_targetILNS1_3genE6ELNS1_11target_archE950ELNS1_3gpuE13ELNS1_3repE0EEENS1_47radix_sort_onesweep_sort_config_static_selectorELNS0_4arch9wavefront6targetE0EEEvSI_.has_dyn_sized_stack, 0
	.set _ZN7rocprim17ROCPRIM_400000_NS6detail17trampoline_kernelINS0_14default_configENS1_35radix_sort_onesweep_config_selectorIiiEEZZNS1_29radix_sort_onesweep_iterationIS3_Lb1EN6thrust23THRUST_200600_302600_NS6detail15normal_iteratorINS8_10device_ptrIiEEEESD_SD_SD_jNS0_19identity_decomposerENS1_16block_id_wrapperIjLb1EEEEE10hipError_tT1_PNSt15iterator_traitsISI_E10value_typeET2_T3_PNSJ_ISO_E10value_typeET4_T5_PST_SU_PNS1_23onesweep_lookback_stateEbbT6_jjT7_P12ihipStream_tbENKUlT_T0_SI_SN_E_clISD_SD_SD_SD_EEDaS11_S12_SI_SN_EUlS11_E_NS1_11comp_targetILNS1_3genE6ELNS1_11target_archE950ELNS1_3gpuE13ELNS1_3repE0EEENS1_47radix_sort_onesweep_sort_config_static_selectorELNS0_4arch9wavefront6targetE0EEEvSI_.has_recursion, 0
	.set _ZN7rocprim17ROCPRIM_400000_NS6detail17trampoline_kernelINS0_14default_configENS1_35radix_sort_onesweep_config_selectorIiiEEZZNS1_29radix_sort_onesweep_iterationIS3_Lb1EN6thrust23THRUST_200600_302600_NS6detail15normal_iteratorINS8_10device_ptrIiEEEESD_SD_SD_jNS0_19identity_decomposerENS1_16block_id_wrapperIjLb1EEEEE10hipError_tT1_PNSt15iterator_traitsISI_E10value_typeET2_T3_PNSJ_ISO_E10value_typeET4_T5_PST_SU_PNS1_23onesweep_lookback_stateEbbT6_jjT7_P12ihipStream_tbENKUlT_T0_SI_SN_E_clISD_SD_SD_SD_EEDaS11_S12_SI_SN_EUlS11_E_NS1_11comp_targetILNS1_3genE6ELNS1_11target_archE950ELNS1_3gpuE13ELNS1_3repE0EEENS1_47radix_sort_onesweep_sort_config_static_selectorELNS0_4arch9wavefront6targetE0EEEvSI_.has_indirect_call, 0
	.section	.AMDGPU.csdata,"",@progbits
; Kernel info:
; codeLenInByte = 0
; TotalNumSgprs: 0
; NumVgprs: 0
; ScratchSize: 0
; MemoryBound: 0
; FloatMode: 240
; IeeeMode: 1
; LDSByteSize: 0 bytes/workgroup (compile time only)
; SGPRBlocks: 0
; VGPRBlocks: 0
; NumSGPRsForWavesPerEU: 1
; NumVGPRsForWavesPerEU: 1
; Occupancy: 16
; WaveLimiterHint : 0
; COMPUTE_PGM_RSRC2:SCRATCH_EN: 0
; COMPUTE_PGM_RSRC2:USER_SGPR: 6
; COMPUTE_PGM_RSRC2:TRAP_HANDLER: 0
; COMPUTE_PGM_RSRC2:TGID_X_EN: 1
; COMPUTE_PGM_RSRC2:TGID_Y_EN: 0
; COMPUTE_PGM_RSRC2:TGID_Z_EN: 0
; COMPUTE_PGM_RSRC2:TIDIG_COMP_CNT: 0
	.section	.text._ZN7rocprim17ROCPRIM_400000_NS6detail17trampoline_kernelINS0_14default_configENS1_35radix_sort_onesweep_config_selectorIiiEEZZNS1_29radix_sort_onesweep_iterationIS3_Lb1EN6thrust23THRUST_200600_302600_NS6detail15normal_iteratorINS8_10device_ptrIiEEEESD_SD_SD_jNS0_19identity_decomposerENS1_16block_id_wrapperIjLb1EEEEE10hipError_tT1_PNSt15iterator_traitsISI_E10value_typeET2_T3_PNSJ_ISO_E10value_typeET4_T5_PST_SU_PNS1_23onesweep_lookback_stateEbbT6_jjT7_P12ihipStream_tbENKUlT_T0_SI_SN_E_clISD_SD_SD_SD_EEDaS11_S12_SI_SN_EUlS11_E_NS1_11comp_targetILNS1_3genE5ELNS1_11target_archE942ELNS1_3gpuE9ELNS1_3repE0EEENS1_47radix_sort_onesweep_sort_config_static_selectorELNS0_4arch9wavefront6targetE0EEEvSI_,"axG",@progbits,_ZN7rocprim17ROCPRIM_400000_NS6detail17trampoline_kernelINS0_14default_configENS1_35radix_sort_onesweep_config_selectorIiiEEZZNS1_29radix_sort_onesweep_iterationIS3_Lb1EN6thrust23THRUST_200600_302600_NS6detail15normal_iteratorINS8_10device_ptrIiEEEESD_SD_SD_jNS0_19identity_decomposerENS1_16block_id_wrapperIjLb1EEEEE10hipError_tT1_PNSt15iterator_traitsISI_E10value_typeET2_T3_PNSJ_ISO_E10value_typeET4_T5_PST_SU_PNS1_23onesweep_lookback_stateEbbT6_jjT7_P12ihipStream_tbENKUlT_T0_SI_SN_E_clISD_SD_SD_SD_EEDaS11_S12_SI_SN_EUlS11_E_NS1_11comp_targetILNS1_3genE5ELNS1_11target_archE942ELNS1_3gpuE9ELNS1_3repE0EEENS1_47radix_sort_onesweep_sort_config_static_selectorELNS0_4arch9wavefront6targetE0EEEvSI_,comdat
	.protected	_ZN7rocprim17ROCPRIM_400000_NS6detail17trampoline_kernelINS0_14default_configENS1_35radix_sort_onesweep_config_selectorIiiEEZZNS1_29radix_sort_onesweep_iterationIS3_Lb1EN6thrust23THRUST_200600_302600_NS6detail15normal_iteratorINS8_10device_ptrIiEEEESD_SD_SD_jNS0_19identity_decomposerENS1_16block_id_wrapperIjLb1EEEEE10hipError_tT1_PNSt15iterator_traitsISI_E10value_typeET2_T3_PNSJ_ISO_E10value_typeET4_T5_PST_SU_PNS1_23onesweep_lookback_stateEbbT6_jjT7_P12ihipStream_tbENKUlT_T0_SI_SN_E_clISD_SD_SD_SD_EEDaS11_S12_SI_SN_EUlS11_E_NS1_11comp_targetILNS1_3genE5ELNS1_11target_archE942ELNS1_3gpuE9ELNS1_3repE0EEENS1_47radix_sort_onesweep_sort_config_static_selectorELNS0_4arch9wavefront6targetE0EEEvSI_ ; -- Begin function _ZN7rocprim17ROCPRIM_400000_NS6detail17trampoline_kernelINS0_14default_configENS1_35radix_sort_onesweep_config_selectorIiiEEZZNS1_29radix_sort_onesweep_iterationIS3_Lb1EN6thrust23THRUST_200600_302600_NS6detail15normal_iteratorINS8_10device_ptrIiEEEESD_SD_SD_jNS0_19identity_decomposerENS1_16block_id_wrapperIjLb1EEEEE10hipError_tT1_PNSt15iterator_traitsISI_E10value_typeET2_T3_PNSJ_ISO_E10value_typeET4_T5_PST_SU_PNS1_23onesweep_lookback_stateEbbT6_jjT7_P12ihipStream_tbENKUlT_T0_SI_SN_E_clISD_SD_SD_SD_EEDaS11_S12_SI_SN_EUlS11_E_NS1_11comp_targetILNS1_3genE5ELNS1_11target_archE942ELNS1_3gpuE9ELNS1_3repE0EEENS1_47radix_sort_onesweep_sort_config_static_selectorELNS0_4arch9wavefront6targetE0EEEvSI_
	.globl	_ZN7rocprim17ROCPRIM_400000_NS6detail17trampoline_kernelINS0_14default_configENS1_35radix_sort_onesweep_config_selectorIiiEEZZNS1_29radix_sort_onesweep_iterationIS3_Lb1EN6thrust23THRUST_200600_302600_NS6detail15normal_iteratorINS8_10device_ptrIiEEEESD_SD_SD_jNS0_19identity_decomposerENS1_16block_id_wrapperIjLb1EEEEE10hipError_tT1_PNSt15iterator_traitsISI_E10value_typeET2_T3_PNSJ_ISO_E10value_typeET4_T5_PST_SU_PNS1_23onesweep_lookback_stateEbbT6_jjT7_P12ihipStream_tbENKUlT_T0_SI_SN_E_clISD_SD_SD_SD_EEDaS11_S12_SI_SN_EUlS11_E_NS1_11comp_targetILNS1_3genE5ELNS1_11target_archE942ELNS1_3gpuE9ELNS1_3repE0EEENS1_47radix_sort_onesweep_sort_config_static_selectorELNS0_4arch9wavefront6targetE0EEEvSI_
	.p2align	8
	.type	_ZN7rocprim17ROCPRIM_400000_NS6detail17trampoline_kernelINS0_14default_configENS1_35radix_sort_onesweep_config_selectorIiiEEZZNS1_29radix_sort_onesweep_iterationIS3_Lb1EN6thrust23THRUST_200600_302600_NS6detail15normal_iteratorINS8_10device_ptrIiEEEESD_SD_SD_jNS0_19identity_decomposerENS1_16block_id_wrapperIjLb1EEEEE10hipError_tT1_PNSt15iterator_traitsISI_E10value_typeET2_T3_PNSJ_ISO_E10value_typeET4_T5_PST_SU_PNS1_23onesweep_lookback_stateEbbT6_jjT7_P12ihipStream_tbENKUlT_T0_SI_SN_E_clISD_SD_SD_SD_EEDaS11_S12_SI_SN_EUlS11_E_NS1_11comp_targetILNS1_3genE5ELNS1_11target_archE942ELNS1_3gpuE9ELNS1_3repE0EEENS1_47radix_sort_onesweep_sort_config_static_selectorELNS0_4arch9wavefront6targetE0EEEvSI_,@function
_ZN7rocprim17ROCPRIM_400000_NS6detail17trampoline_kernelINS0_14default_configENS1_35radix_sort_onesweep_config_selectorIiiEEZZNS1_29radix_sort_onesweep_iterationIS3_Lb1EN6thrust23THRUST_200600_302600_NS6detail15normal_iteratorINS8_10device_ptrIiEEEESD_SD_SD_jNS0_19identity_decomposerENS1_16block_id_wrapperIjLb1EEEEE10hipError_tT1_PNSt15iterator_traitsISI_E10value_typeET2_T3_PNSJ_ISO_E10value_typeET4_T5_PST_SU_PNS1_23onesweep_lookback_stateEbbT6_jjT7_P12ihipStream_tbENKUlT_T0_SI_SN_E_clISD_SD_SD_SD_EEDaS11_S12_SI_SN_EUlS11_E_NS1_11comp_targetILNS1_3genE5ELNS1_11target_archE942ELNS1_3gpuE9ELNS1_3repE0EEENS1_47radix_sort_onesweep_sort_config_static_selectorELNS0_4arch9wavefront6targetE0EEEvSI_: ; @_ZN7rocprim17ROCPRIM_400000_NS6detail17trampoline_kernelINS0_14default_configENS1_35radix_sort_onesweep_config_selectorIiiEEZZNS1_29radix_sort_onesweep_iterationIS3_Lb1EN6thrust23THRUST_200600_302600_NS6detail15normal_iteratorINS8_10device_ptrIiEEEESD_SD_SD_jNS0_19identity_decomposerENS1_16block_id_wrapperIjLb1EEEEE10hipError_tT1_PNSt15iterator_traitsISI_E10value_typeET2_T3_PNSJ_ISO_E10value_typeET4_T5_PST_SU_PNS1_23onesweep_lookback_stateEbbT6_jjT7_P12ihipStream_tbENKUlT_T0_SI_SN_E_clISD_SD_SD_SD_EEDaS11_S12_SI_SN_EUlS11_E_NS1_11comp_targetILNS1_3genE5ELNS1_11target_archE942ELNS1_3gpuE9ELNS1_3repE0EEENS1_47radix_sort_onesweep_sort_config_static_selectorELNS0_4arch9wavefront6targetE0EEEvSI_
; %bb.0:
	.section	.rodata,"a",@progbits
	.p2align	6, 0x0
	.amdhsa_kernel _ZN7rocprim17ROCPRIM_400000_NS6detail17trampoline_kernelINS0_14default_configENS1_35radix_sort_onesweep_config_selectorIiiEEZZNS1_29radix_sort_onesweep_iterationIS3_Lb1EN6thrust23THRUST_200600_302600_NS6detail15normal_iteratorINS8_10device_ptrIiEEEESD_SD_SD_jNS0_19identity_decomposerENS1_16block_id_wrapperIjLb1EEEEE10hipError_tT1_PNSt15iterator_traitsISI_E10value_typeET2_T3_PNSJ_ISO_E10value_typeET4_T5_PST_SU_PNS1_23onesweep_lookback_stateEbbT6_jjT7_P12ihipStream_tbENKUlT_T0_SI_SN_E_clISD_SD_SD_SD_EEDaS11_S12_SI_SN_EUlS11_E_NS1_11comp_targetILNS1_3genE5ELNS1_11target_archE942ELNS1_3gpuE9ELNS1_3repE0EEENS1_47radix_sort_onesweep_sort_config_static_selectorELNS0_4arch9wavefront6targetE0EEEvSI_
		.amdhsa_group_segment_fixed_size 0
		.amdhsa_private_segment_fixed_size 0
		.amdhsa_kernarg_size 88
		.amdhsa_user_sgpr_count 6
		.amdhsa_user_sgpr_private_segment_buffer 1
		.amdhsa_user_sgpr_dispatch_ptr 0
		.amdhsa_user_sgpr_queue_ptr 0
		.amdhsa_user_sgpr_kernarg_segment_ptr 1
		.amdhsa_user_sgpr_dispatch_id 0
		.amdhsa_user_sgpr_flat_scratch_init 0
		.amdhsa_user_sgpr_private_segment_size 0
		.amdhsa_wavefront_size32 1
		.amdhsa_uses_dynamic_stack 0
		.amdhsa_system_sgpr_private_segment_wavefront_offset 0
		.amdhsa_system_sgpr_workgroup_id_x 1
		.amdhsa_system_sgpr_workgroup_id_y 0
		.amdhsa_system_sgpr_workgroup_id_z 0
		.amdhsa_system_sgpr_workgroup_info 0
		.amdhsa_system_vgpr_workitem_id 0
		.amdhsa_next_free_vgpr 1
		.amdhsa_next_free_sgpr 1
		.amdhsa_reserve_vcc 0
		.amdhsa_reserve_flat_scratch 0
		.amdhsa_float_round_mode_32 0
		.amdhsa_float_round_mode_16_64 0
		.amdhsa_float_denorm_mode_32 3
		.amdhsa_float_denorm_mode_16_64 3
		.amdhsa_dx10_clamp 1
		.amdhsa_ieee_mode 1
		.amdhsa_fp16_overflow 0
		.amdhsa_workgroup_processor_mode 1
		.amdhsa_memory_ordered 1
		.amdhsa_forward_progress 1
		.amdhsa_shared_vgpr_count 0
		.amdhsa_exception_fp_ieee_invalid_op 0
		.amdhsa_exception_fp_denorm_src 0
		.amdhsa_exception_fp_ieee_div_zero 0
		.amdhsa_exception_fp_ieee_overflow 0
		.amdhsa_exception_fp_ieee_underflow 0
		.amdhsa_exception_fp_ieee_inexact 0
		.amdhsa_exception_int_div_zero 0
	.end_amdhsa_kernel
	.section	.text._ZN7rocprim17ROCPRIM_400000_NS6detail17trampoline_kernelINS0_14default_configENS1_35radix_sort_onesweep_config_selectorIiiEEZZNS1_29radix_sort_onesweep_iterationIS3_Lb1EN6thrust23THRUST_200600_302600_NS6detail15normal_iteratorINS8_10device_ptrIiEEEESD_SD_SD_jNS0_19identity_decomposerENS1_16block_id_wrapperIjLb1EEEEE10hipError_tT1_PNSt15iterator_traitsISI_E10value_typeET2_T3_PNSJ_ISO_E10value_typeET4_T5_PST_SU_PNS1_23onesweep_lookback_stateEbbT6_jjT7_P12ihipStream_tbENKUlT_T0_SI_SN_E_clISD_SD_SD_SD_EEDaS11_S12_SI_SN_EUlS11_E_NS1_11comp_targetILNS1_3genE5ELNS1_11target_archE942ELNS1_3gpuE9ELNS1_3repE0EEENS1_47radix_sort_onesweep_sort_config_static_selectorELNS0_4arch9wavefront6targetE0EEEvSI_,"axG",@progbits,_ZN7rocprim17ROCPRIM_400000_NS6detail17trampoline_kernelINS0_14default_configENS1_35radix_sort_onesweep_config_selectorIiiEEZZNS1_29radix_sort_onesweep_iterationIS3_Lb1EN6thrust23THRUST_200600_302600_NS6detail15normal_iteratorINS8_10device_ptrIiEEEESD_SD_SD_jNS0_19identity_decomposerENS1_16block_id_wrapperIjLb1EEEEE10hipError_tT1_PNSt15iterator_traitsISI_E10value_typeET2_T3_PNSJ_ISO_E10value_typeET4_T5_PST_SU_PNS1_23onesweep_lookback_stateEbbT6_jjT7_P12ihipStream_tbENKUlT_T0_SI_SN_E_clISD_SD_SD_SD_EEDaS11_S12_SI_SN_EUlS11_E_NS1_11comp_targetILNS1_3genE5ELNS1_11target_archE942ELNS1_3gpuE9ELNS1_3repE0EEENS1_47radix_sort_onesweep_sort_config_static_selectorELNS0_4arch9wavefront6targetE0EEEvSI_,comdat
.Lfunc_end1001:
	.size	_ZN7rocprim17ROCPRIM_400000_NS6detail17trampoline_kernelINS0_14default_configENS1_35radix_sort_onesweep_config_selectorIiiEEZZNS1_29radix_sort_onesweep_iterationIS3_Lb1EN6thrust23THRUST_200600_302600_NS6detail15normal_iteratorINS8_10device_ptrIiEEEESD_SD_SD_jNS0_19identity_decomposerENS1_16block_id_wrapperIjLb1EEEEE10hipError_tT1_PNSt15iterator_traitsISI_E10value_typeET2_T3_PNSJ_ISO_E10value_typeET4_T5_PST_SU_PNS1_23onesweep_lookback_stateEbbT6_jjT7_P12ihipStream_tbENKUlT_T0_SI_SN_E_clISD_SD_SD_SD_EEDaS11_S12_SI_SN_EUlS11_E_NS1_11comp_targetILNS1_3genE5ELNS1_11target_archE942ELNS1_3gpuE9ELNS1_3repE0EEENS1_47radix_sort_onesweep_sort_config_static_selectorELNS0_4arch9wavefront6targetE0EEEvSI_, .Lfunc_end1001-_ZN7rocprim17ROCPRIM_400000_NS6detail17trampoline_kernelINS0_14default_configENS1_35radix_sort_onesweep_config_selectorIiiEEZZNS1_29radix_sort_onesweep_iterationIS3_Lb1EN6thrust23THRUST_200600_302600_NS6detail15normal_iteratorINS8_10device_ptrIiEEEESD_SD_SD_jNS0_19identity_decomposerENS1_16block_id_wrapperIjLb1EEEEE10hipError_tT1_PNSt15iterator_traitsISI_E10value_typeET2_T3_PNSJ_ISO_E10value_typeET4_T5_PST_SU_PNS1_23onesweep_lookback_stateEbbT6_jjT7_P12ihipStream_tbENKUlT_T0_SI_SN_E_clISD_SD_SD_SD_EEDaS11_S12_SI_SN_EUlS11_E_NS1_11comp_targetILNS1_3genE5ELNS1_11target_archE942ELNS1_3gpuE9ELNS1_3repE0EEENS1_47radix_sort_onesweep_sort_config_static_selectorELNS0_4arch9wavefront6targetE0EEEvSI_
                                        ; -- End function
	.set _ZN7rocprim17ROCPRIM_400000_NS6detail17trampoline_kernelINS0_14default_configENS1_35radix_sort_onesweep_config_selectorIiiEEZZNS1_29radix_sort_onesweep_iterationIS3_Lb1EN6thrust23THRUST_200600_302600_NS6detail15normal_iteratorINS8_10device_ptrIiEEEESD_SD_SD_jNS0_19identity_decomposerENS1_16block_id_wrapperIjLb1EEEEE10hipError_tT1_PNSt15iterator_traitsISI_E10value_typeET2_T3_PNSJ_ISO_E10value_typeET4_T5_PST_SU_PNS1_23onesweep_lookback_stateEbbT6_jjT7_P12ihipStream_tbENKUlT_T0_SI_SN_E_clISD_SD_SD_SD_EEDaS11_S12_SI_SN_EUlS11_E_NS1_11comp_targetILNS1_3genE5ELNS1_11target_archE942ELNS1_3gpuE9ELNS1_3repE0EEENS1_47radix_sort_onesweep_sort_config_static_selectorELNS0_4arch9wavefront6targetE0EEEvSI_.num_vgpr, 0
	.set _ZN7rocprim17ROCPRIM_400000_NS6detail17trampoline_kernelINS0_14default_configENS1_35radix_sort_onesweep_config_selectorIiiEEZZNS1_29radix_sort_onesweep_iterationIS3_Lb1EN6thrust23THRUST_200600_302600_NS6detail15normal_iteratorINS8_10device_ptrIiEEEESD_SD_SD_jNS0_19identity_decomposerENS1_16block_id_wrapperIjLb1EEEEE10hipError_tT1_PNSt15iterator_traitsISI_E10value_typeET2_T3_PNSJ_ISO_E10value_typeET4_T5_PST_SU_PNS1_23onesweep_lookback_stateEbbT6_jjT7_P12ihipStream_tbENKUlT_T0_SI_SN_E_clISD_SD_SD_SD_EEDaS11_S12_SI_SN_EUlS11_E_NS1_11comp_targetILNS1_3genE5ELNS1_11target_archE942ELNS1_3gpuE9ELNS1_3repE0EEENS1_47radix_sort_onesweep_sort_config_static_selectorELNS0_4arch9wavefront6targetE0EEEvSI_.num_agpr, 0
	.set _ZN7rocprim17ROCPRIM_400000_NS6detail17trampoline_kernelINS0_14default_configENS1_35radix_sort_onesweep_config_selectorIiiEEZZNS1_29radix_sort_onesweep_iterationIS3_Lb1EN6thrust23THRUST_200600_302600_NS6detail15normal_iteratorINS8_10device_ptrIiEEEESD_SD_SD_jNS0_19identity_decomposerENS1_16block_id_wrapperIjLb1EEEEE10hipError_tT1_PNSt15iterator_traitsISI_E10value_typeET2_T3_PNSJ_ISO_E10value_typeET4_T5_PST_SU_PNS1_23onesweep_lookback_stateEbbT6_jjT7_P12ihipStream_tbENKUlT_T0_SI_SN_E_clISD_SD_SD_SD_EEDaS11_S12_SI_SN_EUlS11_E_NS1_11comp_targetILNS1_3genE5ELNS1_11target_archE942ELNS1_3gpuE9ELNS1_3repE0EEENS1_47radix_sort_onesweep_sort_config_static_selectorELNS0_4arch9wavefront6targetE0EEEvSI_.numbered_sgpr, 0
	.set _ZN7rocprim17ROCPRIM_400000_NS6detail17trampoline_kernelINS0_14default_configENS1_35radix_sort_onesweep_config_selectorIiiEEZZNS1_29radix_sort_onesweep_iterationIS3_Lb1EN6thrust23THRUST_200600_302600_NS6detail15normal_iteratorINS8_10device_ptrIiEEEESD_SD_SD_jNS0_19identity_decomposerENS1_16block_id_wrapperIjLb1EEEEE10hipError_tT1_PNSt15iterator_traitsISI_E10value_typeET2_T3_PNSJ_ISO_E10value_typeET4_T5_PST_SU_PNS1_23onesweep_lookback_stateEbbT6_jjT7_P12ihipStream_tbENKUlT_T0_SI_SN_E_clISD_SD_SD_SD_EEDaS11_S12_SI_SN_EUlS11_E_NS1_11comp_targetILNS1_3genE5ELNS1_11target_archE942ELNS1_3gpuE9ELNS1_3repE0EEENS1_47radix_sort_onesweep_sort_config_static_selectorELNS0_4arch9wavefront6targetE0EEEvSI_.num_named_barrier, 0
	.set _ZN7rocprim17ROCPRIM_400000_NS6detail17trampoline_kernelINS0_14default_configENS1_35radix_sort_onesweep_config_selectorIiiEEZZNS1_29radix_sort_onesweep_iterationIS3_Lb1EN6thrust23THRUST_200600_302600_NS6detail15normal_iteratorINS8_10device_ptrIiEEEESD_SD_SD_jNS0_19identity_decomposerENS1_16block_id_wrapperIjLb1EEEEE10hipError_tT1_PNSt15iterator_traitsISI_E10value_typeET2_T3_PNSJ_ISO_E10value_typeET4_T5_PST_SU_PNS1_23onesweep_lookback_stateEbbT6_jjT7_P12ihipStream_tbENKUlT_T0_SI_SN_E_clISD_SD_SD_SD_EEDaS11_S12_SI_SN_EUlS11_E_NS1_11comp_targetILNS1_3genE5ELNS1_11target_archE942ELNS1_3gpuE9ELNS1_3repE0EEENS1_47radix_sort_onesweep_sort_config_static_selectorELNS0_4arch9wavefront6targetE0EEEvSI_.private_seg_size, 0
	.set _ZN7rocprim17ROCPRIM_400000_NS6detail17trampoline_kernelINS0_14default_configENS1_35radix_sort_onesweep_config_selectorIiiEEZZNS1_29radix_sort_onesweep_iterationIS3_Lb1EN6thrust23THRUST_200600_302600_NS6detail15normal_iteratorINS8_10device_ptrIiEEEESD_SD_SD_jNS0_19identity_decomposerENS1_16block_id_wrapperIjLb1EEEEE10hipError_tT1_PNSt15iterator_traitsISI_E10value_typeET2_T3_PNSJ_ISO_E10value_typeET4_T5_PST_SU_PNS1_23onesweep_lookback_stateEbbT6_jjT7_P12ihipStream_tbENKUlT_T0_SI_SN_E_clISD_SD_SD_SD_EEDaS11_S12_SI_SN_EUlS11_E_NS1_11comp_targetILNS1_3genE5ELNS1_11target_archE942ELNS1_3gpuE9ELNS1_3repE0EEENS1_47radix_sort_onesweep_sort_config_static_selectorELNS0_4arch9wavefront6targetE0EEEvSI_.uses_vcc, 0
	.set _ZN7rocprim17ROCPRIM_400000_NS6detail17trampoline_kernelINS0_14default_configENS1_35radix_sort_onesweep_config_selectorIiiEEZZNS1_29radix_sort_onesweep_iterationIS3_Lb1EN6thrust23THRUST_200600_302600_NS6detail15normal_iteratorINS8_10device_ptrIiEEEESD_SD_SD_jNS0_19identity_decomposerENS1_16block_id_wrapperIjLb1EEEEE10hipError_tT1_PNSt15iterator_traitsISI_E10value_typeET2_T3_PNSJ_ISO_E10value_typeET4_T5_PST_SU_PNS1_23onesweep_lookback_stateEbbT6_jjT7_P12ihipStream_tbENKUlT_T0_SI_SN_E_clISD_SD_SD_SD_EEDaS11_S12_SI_SN_EUlS11_E_NS1_11comp_targetILNS1_3genE5ELNS1_11target_archE942ELNS1_3gpuE9ELNS1_3repE0EEENS1_47radix_sort_onesweep_sort_config_static_selectorELNS0_4arch9wavefront6targetE0EEEvSI_.uses_flat_scratch, 0
	.set _ZN7rocprim17ROCPRIM_400000_NS6detail17trampoline_kernelINS0_14default_configENS1_35radix_sort_onesweep_config_selectorIiiEEZZNS1_29radix_sort_onesweep_iterationIS3_Lb1EN6thrust23THRUST_200600_302600_NS6detail15normal_iteratorINS8_10device_ptrIiEEEESD_SD_SD_jNS0_19identity_decomposerENS1_16block_id_wrapperIjLb1EEEEE10hipError_tT1_PNSt15iterator_traitsISI_E10value_typeET2_T3_PNSJ_ISO_E10value_typeET4_T5_PST_SU_PNS1_23onesweep_lookback_stateEbbT6_jjT7_P12ihipStream_tbENKUlT_T0_SI_SN_E_clISD_SD_SD_SD_EEDaS11_S12_SI_SN_EUlS11_E_NS1_11comp_targetILNS1_3genE5ELNS1_11target_archE942ELNS1_3gpuE9ELNS1_3repE0EEENS1_47radix_sort_onesweep_sort_config_static_selectorELNS0_4arch9wavefront6targetE0EEEvSI_.has_dyn_sized_stack, 0
	.set _ZN7rocprim17ROCPRIM_400000_NS6detail17trampoline_kernelINS0_14default_configENS1_35radix_sort_onesweep_config_selectorIiiEEZZNS1_29radix_sort_onesweep_iterationIS3_Lb1EN6thrust23THRUST_200600_302600_NS6detail15normal_iteratorINS8_10device_ptrIiEEEESD_SD_SD_jNS0_19identity_decomposerENS1_16block_id_wrapperIjLb1EEEEE10hipError_tT1_PNSt15iterator_traitsISI_E10value_typeET2_T3_PNSJ_ISO_E10value_typeET4_T5_PST_SU_PNS1_23onesweep_lookback_stateEbbT6_jjT7_P12ihipStream_tbENKUlT_T0_SI_SN_E_clISD_SD_SD_SD_EEDaS11_S12_SI_SN_EUlS11_E_NS1_11comp_targetILNS1_3genE5ELNS1_11target_archE942ELNS1_3gpuE9ELNS1_3repE0EEENS1_47radix_sort_onesweep_sort_config_static_selectorELNS0_4arch9wavefront6targetE0EEEvSI_.has_recursion, 0
	.set _ZN7rocprim17ROCPRIM_400000_NS6detail17trampoline_kernelINS0_14default_configENS1_35radix_sort_onesweep_config_selectorIiiEEZZNS1_29radix_sort_onesweep_iterationIS3_Lb1EN6thrust23THRUST_200600_302600_NS6detail15normal_iteratorINS8_10device_ptrIiEEEESD_SD_SD_jNS0_19identity_decomposerENS1_16block_id_wrapperIjLb1EEEEE10hipError_tT1_PNSt15iterator_traitsISI_E10value_typeET2_T3_PNSJ_ISO_E10value_typeET4_T5_PST_SU_PNS1_23onesweep_lookback_stateEbbT6_jjT7_P12ihipStream_tbENKUlT_T0_SI_SN_E_clISD_SD_SD_SD_EEDaS11_S12_SI_SN_EUlS11_E_NS1_11comp_targetILNS1_3genE5ELNS1_11target_archE942ELNS1_3gpuE9ELNS1_3repE0EEENS1_47radix_sort_onesweep_sort_config_static_selectorELNS0_4arch9wavefront6targetE0EEEvSI_.has_indirect_call, 0
	.section	.AMDGPU.csdata,"",@progbits
; Kernel info:
; codeLenInByte = 0
; TotalNumSgprs: 0
; NumVgprs: 0
; ScratchSize: 0
; MemoryBound: 0
; FloatMode: 240
; IeeeMode: 1
; LDSByteSize: 0 bytes/workgroup (compile time only)
; SGPRBlocks: 0
; VGPRBlocks: 0
; NumSGPRsForWavesPerEU: 1
; NumVGPRsForWavesPerEU: 1
; Occupancy: 16
; WaveLimiterHint : 0
; COMPUTE_PGM_RSRC2:SCRATCH_EN: 0
; COMPUTE_PGM_RSRC2:USER_SGPR: 6
; COMPUTE_PGM_RSRC2:TRAP_HANDLER: 0
; COMPUTE_PGM_RSRC2:TGID_X_EN: 1
; COMPUTE_PGM_RSRC2:TGID_Y_EN: 0
; COMPUTE_PGM_RSRC2:TGID_Z_EN: 0
; COMPUTE_PGM_RSRC2:TIDIG_COMP_CNT: 0
	.section	.text._ZN7rocprim17ROCPRIM_400000_NS6detail17trampoline_kernelINS0_14default_configENS1_35radix_sort_onesweep_config_selectorIiiEEZZNS1_29radix_sort_onesweep_iterationIS3_Lb1EN6thrust23THRUST_200600_302600_NS6detail15normal_iteratorINS8_10device_ptrIiEEEESD_SD_SD_jNS0_19identity_decomposerENS1_16block_id_wrapperIjLb1EEEEE10hipError_tT1_PNSt15iterator_traitsISI_E10value_typeET2_T3_PNSJ_ISO_E10value_typeET4_T5_PST_SU_PNS1_23onesweep_lookback_stateEbbT6_jjT7_P12ihipStream_tbENKUlT_T0_SI_SN_E_clISD_SD_SD_SD_EEDaS11_S12_SI_SN_EUlS11_E_NS1_11comp_targetILNS1_3genE2ELNS1_11target_archE906ELNS1_3gpuE6ELNS1_3repE0EEENS1_47radix_sort_onesweep_sort_config_static_selectorELNS0_4arch9wavefront6targetE0EEEvSI_,"axG",@progbits,_ZN7rocprim17ROCPRIM_400000_NS6detail17trampoline_kernelINS0_14default_configENS1_35radix_sort_onesweep_config_selectorIiiEEZZNS1_29radix_sort_onesweep_iterationIS3_Lb1EN6thrust23THRUST_200600_302600_NS6detail15normal_iteratorINS8_10device_ptrIiEEEESD_SD_SD_jNS0_19identity_decomposerENS1_16block_id_wrapperIjLb1EEEEE10hipError_tT1_PNSt15iterator_traitsISI_E10value_typeET2_T3_PNSJ_ISO_E10value_typeET4_T5_PST_SU_PNS1_23onesweep_lookback_stateEbbT6_jjT7_P12ihipStream_tbENKUlT_T0_SI_SN_E_clISD_SD_SD_SD_EEDaS11_S12_SI_SN_EUlS11_E_NS1_11comp_targetILNS1_3genE2ELNS1_11target_archE906ELNS1_3gpuE6ELNS1_3repE0EEENS1_47radix_sort_onesweep_sort_config_static_selectorELNS0_4arch9wavefront6targetE0EEEvSI_,comdat
	.protected	_ZN7rocprim17ROCPRIM_400000_NS6detail17trampoline_kernelINS0_14default_configENS1_35radix_sort_onesweep_config_selectorIiiEEZZNS1_29radix_sort_onesweep_iterationIS3_Lb1EN6thrust23THRUST_200600_302600_NS6detail15normal_iteratorINS8_10device_ptrIiEEEESD_SD_SD_jNS0_19identity_decomposerENS1_16block_id_wrapperIjLb1EEEEE10hipError_tT1_PNSt15iterator_traitsISI_E10value_typeET2_T3_PNSJ_ISO_E10value_typeET4_T5_PST_SU_PNS1_23onesweep_lookback_stateEbbT6_jjT7_P12ihipStream_tbENKUlT_T0_SI_SN_E_clISD_SD_SD_SD_EEDaS11_S12_SI_SN_EUlS11_E_NS1_11comp_targetILNS1_3genE2ELNS1_11target_archE906ELNS1_3gpuE6ELNS1_3repE0EEENS1_47radix_sort_onesweep_sort_config_static_selectorELNS0_4arch9wavefront6targetE0EEEvSI_ ; -- Begin function _ZN7rocprim17ROCPRIM_400000_NS6detail17trampoline_kernelINS0_14default_configENS1_35radix_sort_onesweep_config_selectorIiiEEZZNS1_29radix_sort_onesweep_iterationIS3_Lb1EN6thrust23THRUST_200600_302600_NS6detail15normal_iteratorINS8_10device_ptrIiEEEESD_SD_SD_jNS0_19identity_decomposerENS1_16block_id_wrapperIjLb1EEEEE10hipError_tT1_PNSt15iterator_traitsISI_E10value_typeET2_T3_PNSJ_ISO_E10value_typeET4_T5_PST_SU_PNS1_23onesweep_lookback_stateEbbT6_jjT7_P12ihipStream_tbENKUlT_T0_SI_SN_E_clISD_SD_SD_SD_EEDaS11_S12_SI_SN_EUlS11_E_NS1_11comp_targetILNS1_3genE2ELNS1_11target_archE906ELNS1_3gpuE6ELNS1_3repE0EEENS1_47radix_sort_onesweep_sort_config_static_selectorELNS0_4arch9wavefront6targetE0EEEvSI_
	.globl	_ZN7rocprim17ROCPRIM_400000_NS6detail17trampoline_kernelINS0_14default_configENS1_35radix_sort_onesweep_config_selectorIiiEEZZNS1_29radix_sort_onesweep_iterationIS3_Lb1EN6thrust23THRUST_200600_302600_NS6detail15normal_iteratorINS8_10device_ptrIiEEEESD_SD_SD_jNS0_19identity_decomposerENS1_16block_id_wrapperIjLb1EEEEE10hipError_tT1_PNSt15iterator_traitsISI_E10value_typeET2_T3_PNSJ_ISO_E10value_typeET4_T5_PST_SU_PNS1_23onesweep_lookback_stateEbbT6_jjT7_P12ihipStream_tbENKUlT_T0_SI_SN_E_clISD_SD_SD_SD_EEDaS11_S12_SI_SN_EUlS11_E_NS1_11comp_targetILNS1_3genE2ELNS1_11target_archE906ELNS1_3gpuE6ELNS1_3repE0EEENS1_47radix_sort_onesweep_sort_config_static_selectorELNS0_4arch9wavefront6targetE0EEEvSI_
	.p2align	8
	.type	_ZN7rocprim17ROCPRIM_400000_NS6detail17trampoline_kernelINS0_14default_configENS1_35radix_sort_onesweep_config_selectorIiiEEZZNS1_29radix_sort_onesweep_iterationIS3_Lb1EN6thrust23THRUST_200600_302600_NS6detail15normal_iteratorINS8_10device_ptrIiEEEESD_SD_SD_jNS0_19identity_decomposerENS1_16block_id_wrapperIjLb1EEEEE10hipError_tT1_PNSt15iterator_traitsISI_E10value_typeET2_T3_PNSJ_ISO_E10value_typeET4_T5_PST_SU_PNS1_23onesweep_lookback_stateEbbT6_jjT7_P12ihipStream_tbENKUlT_T0_SI_SN_E_clISD_SD_SD_SD_EEDaS11_S12_SI_SN_EUlS11_E_NS1_11comp_targetILNS1_3genE2ELNS1_11target_archE906ELNS1_3gpuE6ELNS1_3repE0EEENS1_47radix_sort_onesweep_sort_config_static_selectorELNS0_4arch9wavefront6targetE0EEEvSI_,@function
_ZN7rocprim17ROCPRIM_400000_NS6detail17trampoline_kernelINS0_14default_configENS1_35radix_sort_onesweep_config_selectorIiiEEZZNS1_29radix_sort_onesweep_iterationIS3_Lb1EN6thrust23THRUST_200600_302600_NS6detail15normal_iteratorINS8_10device_ptrIiEEEESD_SD_SD_jNS0_19identity_decomposerENS1_16block_id_wrapperIjLb1EEEEE10hipError_tT1_PNSt15iterator_traitsISI_E10value_typeET2_T3_PNSJ_ISO_E10value_typeET4_T5_PST_SU_PNS1_23onesweep_lookback_stateEbbT6_jjT7_P12ihipStream_tbENKUlT_T0_SI_SN_E_clISD_SD_SD_SD_EEDaS11_S12_SI_SN_EUlS11_E_NS1_11comp_targetILNS1_3genE2ELNS1_11target_archE906ELNS1_3gpuE6ELNS1_3repE0EEENS1_47radix_sort_onesweep_sort_config_static_selectorELNS0_4arch9wavefront6targetE0EEEvSI_: ; @_ZN7rocprim17ROCPRIM_400000_NS6detail17trampoline_kernelINS0_14default_configENS1_35radix_sort_onesweep_config_selectorIiiEEZZNS1_29radix_sort_onesweep_iterationIS3_Lb1EN6thrust23THRUST_200600_302600_NS6detail15normal_iteratorINS8_10device_ptrIiEEEESD_SD_SD_jNS0_19identity_decomposerENS1_16block_id_wrapperIjLb1EEEEE10hipError_tT1_PNSt15iterator_traitsISI_E10value_typeET2_T3_PNSJ_ISO_E10value_typeET4_T5_PST_SU_PNS1_23onesweep_lookback_stateEbbT6_jjT7_P12ihipStream_tbENKUlT_T0_SI_SN_E_clISD_SD_SD_SD_EEDaS11_S12_SI_SN_EUlS11_E_NS1_11comp_targetILNS1_3genE2ELNS1_11target_archE906ELNS1_3gpuE6ELNS1_3repE0EEENS1_47radix_sort_onesweep_sort_config_static_selectorELNS0_4arch9wavefront6targetE0EEEvSI_
; %bb.0:
	.section	.rodata,"a",@progbits
	.p2align	6, 0x0
	.amdhsa_kernel _ZN7rocprim17ROCPRIM_400000_NS6detail17trampoline_kernelINS0_14default_configENS1_35radix_sort_onesweep_config_selectorIiiEEZZNS1_29radix_sort_onesweep_iterationIS3_Lb1EN6thrust23THRUST_200600_302600_NS6detail15normal_iteratorINS8_10device_ptrIiEEEESD_SD_SD_jNS0_19identity_decomposerENS1_16block_id_wrapperIjLb1EEEEE10hipError_tT1_PNSt15iterator_traitsISI_E10value_typeET2_T3_PNSJ_ISO_E10value_typeET4_T5_PST_SU_PNS1_23onesweep_lookback_stateEbbT6_jjT7_P12ihipStream_tbENKUlT_T0_SI_SN_E_clISD_SD_SD_SD_EEDaS11_S12_SI_SN_EUlS11_E_NS1_11comp_targetILNS1_3genE2ELNS1_11target_archE906ELNS1_3gpuE6ELNS1_3repE0EEENS1_47radix_sort_onesweep_sort_config_static_selectorELNS0_4arch9wavefront6targetE0EEEvSI_
		.amdhsa_group_segment_fixed_size 0
		.amdhsa_private_segment_fixed_size 0
		.amdhsa_kernarg_size 88
		.amdhsa_user_sgpr_count 6
		.amdhsa_user_sgpr_private_segment_buffer 1
		.amdhsa_user_sgpr_dispatch_ptr 0
		.amdhsa_user_sgpr_queue_ptr 0
		.amdhsa_user_sgpr_kernarg_segment_ptr 1
		.amdhsa_user_sgpr_dispatch_id 0
		.amdhsa_user_sgpr_flat_scratch_init 0
		.amdhsa_user_sgpr_private_segment_size 0
		.amdhsa_wavefront_size32 1
		.amdhsa_uses_dynamic_stack 0
		.amdhsa_system_sgpr_private_segment_wavefront_offset 0
		.amdhsa_system_sgpr_workgroup_id_x 1
		.amdhsa_system_sgpr_workgroup_id_y 0
		.amdhsa_system_sgpr_workgroup_id_z 0
		.amdhsa_system_sgpr_workgroup_info 0
		.amdhsa_system_vgpr_workitem_id 0
		.amdhsa_next_free_vgpr 1
		.amdhsa_next_free_sgpr 1
		.amdhsa_reserve_vcc 0
		.amdhsa_reserve_flat_scratch 0
		.amdhsa_float_round_mode_32 0
		.amdhsa_float_round_mode_16_64 0
		.amdhsa_float_denorm_mode_32 3
		.amdhsa_float_denorm_mode_16_64 3
		.amdhsa_dx10_clamp 1
		.amdhsa_ieee_mode 1
		.amdhsa_fp16_overflow 0
		.amdhsa_workgroup_processor_mode 1
		.amdhsa_memory_ordered 1
		.amdhsa_forward_progress 1
		.amdhsa_shared_vgpr_count 0
		.amdhsa_exception_fp_ieee_invalid_op 0
		.amdhsa_exception_fp_denorm_src 0
		.amdhsa_exception_fp_ieee_div_zero 0
		.amdhsa_exception_fp_ieee_overflow 0
		.amdhsa_exception_fp_ieee_underflow 0
		.amdhsa_exception_fp_ieee_inexact 0
		.amdhsa_exception_int_div_zero 0
	.end_amdhsa_kernel
	.section	.text._ZN7rocprim17ROCPRIM_400000_NS6detail17trampoline_kernelINS0_14default_configENS1_35radix_sort_onesweep_config_selectorIiiEEZZNS1_29radix_sort_onesweep_iterationIS3_Lb1EN6thrust23THRUST_200600_302600_NS6detail15normal_iteratorINS8_10device_ptrIiEEEESD_SD_SD_jNS0_19identity_decomposerENS1_16block_id_wrapperIjLb1EEEEE10hipError_tT1_PNSt15iterator_traitsISI_E10value_typeET2_T3_PNSJ_ISO_E10value_typeET4_T5_PST_SU_PNS1_23onesweep_lookback_stateEbbT6_jjT7_P12ihipStream_tbENKUlT_T0_SI_SN_E_clISD_SD_SD_SD_EEDaS11_S12_SI_SN_EUlS11_E_NS1_11comp_targetILNS1_3genE2ELNS1_11target_archE906ELNS1_3gpuE6ELNS1_3repE0EEENS1_47radix_sort_onesweep_sort_config_static_selectorELNS0_4arch9wavefront6targetE0EEEvSI_,"axG",@progbits,_ZN7rocprim17ROCPRIM_400000_NS6detail17trampoline_kernelINS0_14default_configENS1_35radix_sort_onesweep_config_selectorIiiEEZZNS1_29radix_sort_onesweep_iterationIS3_Lb1EN6thrust23THRUST_200600_302600_NS6detail15normal_iteratorINS8_10device_ptrIiEEEESD_SD_SD_jNS0_19identity_decomposerENS1_16block_id_wrapperIjLb1EEEEE10hipError_tT1_PNSt15iterator_traitsISI_E10value_typeET2_T3_PNSJ_ISO_E10value_typeET4_T5_PST_SU_PNS1_23onesweep_lookback_stateEbbT6_jjT7_P12ihipStream_tbENKUlT_T0_SI_SN_E_clISD_SD_SD_SD_EEDaS11_S12_SI_SN_EUlS11_E_NS1_11comp_targetILNS1_3genE2ELNS1_11target_archE906ELNS1_3gpuE6ELNS1_3repE0EEENS1_47radix_sort_onesweep_sort_config_static_selectorELNS0_4arch9wavefront6targetE0EEEvSI_,comdat
.Lfunc_end1002:
	.size	_ZN7rocprim17ROCPRIM_400000_NS6detail17trampoline_kernelINS0_14default_configENS1_35radix_sort_onesweep_config_selectorIiiEEZZNS1_29radix_sort_onesweep_iterationIS3_Lb1EN6thrust23THRUST_200600_302600_NS6detail15normal_iteratorINS8_10device_ptrIiEEEESD_SD_SD_jNS0_19identity_decomposerENS1_16block_id_wrapperIjLb1EEEEE10hipError_tT1_PNSt15iterator_traitsISI_E10value_typeET2_T3_PNSJ_ISO_E10value_typeET4_T5_PST_SU_PNS1_23onesweep_lookback_stateEbbT6_jjT7_P12ihipStream_tbENKUlT_T0_SI_SN_E_clISD_SD_SD_SD_EEDaS11_S12_SI_SN_EUlS11_E_NS1_11comp_targetILNS1_3genE2ELNS1_11target_archE906ELNS1_3gpuE6ELNS1_3repE0EEENS1_47radix_sort_onesweep_sort_config_static_selectorELNS0_4arch9wavefront6targetE0EEEvSI_, .Lfunc_end1002-_ZN7rocprim17ROCPRIM_400000_NS6detail17trampoline_kernelINS0_14default_configENS1_35radix_sort_onesweep_config_selectorIiiEEZZNS1_29radix_sort_onesweep_iterationIS3_Lb1EN6thrust23THRUST_200600_302600_NS6detail15normal_iteratorINS8_10device_ptrIiEEEESD_SD_SD_jNS0_19identity_decomposerENS1_16block_id_wrapperIjLb1EEEEE10hipError_tT1_PNSt15iterator_traitsISI_E10value_typeET2_T3_PNSJ_ISO_E10value_typeET4_T5_PST_SU_PNS1_23onesweep_lookback_stateEbbT6_jjT7_P12ihipStream_tbENKUlT_T0_SI_SN_E_clISD_SD_SD_SD_EEDaS11_S12_SI_SN_EUlS11_E_NS1_11comp_targetILNS1_3genE2ELNS1_11target_archE906ELNS1_3gpuE6ELNS1_3repE0EEENS1_47radix_sort_onesweep_sort_config_static_selectorELNS0_4arch9wavefront6targetE0EEEvSI_
                                        ; -- End function
	.set _ZN7rocprim17ROCPRIM_400000_NS6detail17trampoline_kernelINS0_14default_configENS1_35radix_sort_onesweep_config_selectorIiiEEZZNS1_29radix_sort_onesweep_iterationIS3_Lb1EN6thrust23THRUST_200600_302600_NS6detail15normal_iteratorINS8_10device_ptrIiEEEESD_SD_SD_jNS0_19identity_decomposerENS1_16block_id_wrapperIjLb1EEEEE10hipError_tT1_PNSt15iterator_traitsISI_E10value_typeET2_T3_PNSJ_ISO_E10value_typeET4_T5_PST_SU_PNS1_23onesweep_lookback_stateEbbT6_jjT7_P12ihipStream_tbENKUlT_T0_SI_SN_E_clISD_SD_SD_SD_EEDaS11_S12_SI_SN_EUlS11_E_NS1_11comp_targetILNS1_3genE2ELNS1_11target_archE906ELNS1_3gpuE6ELNS1_3repE0EEENS1_47radix_sort_onesweep_sort_config_static_selectorELNS0_4arch9wavefront6targetE0EEEvSI_.num_vgpr, 0
	.set _ZN7rocprim17ROCPRIM_400000_NS6detail17trampoline_kernelINS0_14default_configENS1_35radix_sort_onesweep_config_selectorIiiEEZZNS1_29radix_sort_onesweep_iterationIS3_Lb1EN6thrust23THRUST_200600_302600_NS6detail15normal_iteratorINS8_10device_ptrIiEEEESD_SD_SD_jNS0_19identity_decomposerENS1_16block_id_wrapperIjLb1EEEEE10hipError_tT1_PNSt15iterator_traitsISI_E10value_typeET2_T3_PNSJ_ISO_E10value_typeET4_T5_PST_SU_PNS1_23onesweep_lookback_stateEbbT6_jjT7_P12ihipStream_tbENKUlT_T0_SI_SN_E_clISD_SD_SD_SD_EEDaS11_S12_SI_SN_EUlS11_E_NS1_11comp_targetILNS1_3genE2ELNS1_11target_archE906ELNS1_3gpuE6ELNS1_3repE0EEENS1_47radix_sort_onesweep_sort_config_static_selectorELNS0_4arch9wavefront6targetE0EEEvSI_.num_agpr, 0
	.set _ZN7rocprim17ROCPRIM_400000_NS6detail17trampoline_kernelINS0_14default_configENS1_35radix_sort_onesweep_config_selectorIiiEEZZNS1_29radix_sort_onesweep_iterationIS3_Lb1EN6thrust23THRUST_200600_302600_NS6detail15normal_iteratorINS8_10device_ptrIiEEEESD_SD_SD_jNS0_19identity_decomposerENS1_16block_id_wrapperIjLb1EEEEE10hipError_tT1_PNSt15iterator_traitsISI_E10value_typeET2_T3_PNSJ_ISO_E10value_typeET4_T5_PST_SU_PNS1_23onesweep_lookback_stateEbbT6_jjT7_P12ihipStream_tbENKUlT_T0_SI_SN_E_clISD_SD_SD_SD_EEDaS11_S12_SI_SN_EUlS11_E_NS1_11comp_targetILNS1_3genE2ELNS1_11target_archE906ELNS1_3gpuE6ELNS1_3repE0EEENS1_47radix_sort_onesweep_sort_config_static_selectorELNS0_4arch9wavefront6targetE0EEEvSI_.numbered_sgpr, 0
	.set _ZN7rocprim17ROCPRIM_400000_NS6detail17trampoline_kernelINS0_14default_configENS1_35radix_sort_onesweep_config_selectorIiiEEZZNS1_29radix_sort_onesweep_iterationIS3_Lb1EN6thrust23THRUST_200600_302600_NS6detail15normal_iteratorINS8_10device_ptrIiEEEESD_SD_SD_jNS0_19identity_decomposerENS1_16block_id_wrapperIjLb1EEEEE10hipError_tT1_PNSt15iterator_traitsISI_E10value_typeET2_T3_PNSJ_ISO_E10value_typeET4_T5_PST_SU_PNS1_23onesweep_lookback_stateEbbT6_jjT7_P12ihipStream_tbENKUlT_T0_SI_SN_E_clISD_SD_SD_SD_EEDaS11_S12_SI_SN_EUlS11_E_NS1_11comp_targetILNS1_3genE2ELNS1_11target_archE906ELNS1_3gpuE6ELNS1_3repE0EEENS1_47radix_sort_onesweep_sort_config_static_selectorELNS0_4arch9wavefront6targetE0EEEvSI_.num_named_barrier, 0
	.set _ZN7rocprim17ROCPRIM_400000_NS6detail17trampoline_kernelINS0_14default_configENS1_35radix_sort_onesweep_config_selectorIiiEEZZNS1_29radix_sort_onesweep_iterationIS3_Lb1EN6thrust23THRUST_200600_302600_NS6detail15normal_iteratorINS8_10device_ptrIiEEEESD_SD_SD_jNS0_19identity_decomposerENS1_16block_id_wrapperIjLb1EEEEE10hipError_tT1_PNSt15iterator_traitsISI_E10value_typeET2_T3_PNSJ_ISO_E10value_typeET4_T5_PST_SU_PNS1_23onesweep_lookback_stateEbbT6_jjT7_P12ihipStream_tbENKUlT_T0_SI_SN_E_clISD_SD_SD_SD_EEDaS11_S12_SI_SN_EUlS11_E_NS1_11comp_targetILNS1_3genE2ELNS1_11target_archE906ELNS1_3gpuE6ELNS1_3repE0EEENS1_47radix_sort_onesweep_sort_config_static_selectorELNS0_4arch9wavefront6targetE0EEEvSI_.private_seg_size, 0
	.set _ZN7rocprim17ROCPRIM_400000_NS6detail17trampoline_kernelINS0_14default_configENS1_35radix_sort_onesweep_config_selectorIiiEEZZNS1_29radix_sort_onesweep_iterationIS3_Lb1EN6thrust23THRUST_200600_302600_NS6detail15normal_iteratorINS8_10device_ptrIiEEEESD_SD_SD_jNS0_19identity_decomposerENS1_16block_id_wrapperIjLb1EEEEE10hipError_tT1_PNSt15iterator_traitsISI_E10value_typeET2_T3_PNSJ_ISO_E10value_typeET4_T5_PST_SU_PNS1_23onesweep_lookback_stateEbbT6_jjT7_P12ihipStream_tbENKUlT_T0_SI_SN_E_clISD_SD_SD_SD_EEDaS11_S12_SI_SN_EUlS11_E_NS1_11comp_targetILNS1_3genE2ELNS1_11target_archE906ELNS1_3gpuE6ELNS1_3repE0EEENS1_47radix_sort_onesweep_sort_config_static_selectorELNS0_4arch9wavefront6targetE0EEEvSI_.uses_vcc, 0
	.set _ZN7rocprim17ROCPRIM_400000_NS6detail17trampoline_kernelINS0_14default_configENS1_35radix_sort_onesweep_config_selectorIiiEEZZNS1_29radix_sort_onesweep_iterationIS3_Lb1EN6thrust23THRUST_200600_302600_NS6detail15normal_iteratorINS8_10device_ptrIiEEEESD_SD_SD_jNS0_19identity_decomposerENS1_16block_id_wrapperIjLb1EEEEE10hipError_tT1_PNSt15iterator_traitsISI_E10value_typeET2_T3_PNSJ_ISO_E10value_typeET4_T5_PST_SU_PNS1_23onesweep_lookback_stateEbbT6_jjT7_P12ihipStream_tbENKUlT_T0_SI_SN_E_clISD_SD_SD_SD_EEDaS11_S12_SI_SN_EUlS11_E_NS1_11comp_targetILNS1_3genE2ELNS1_11target_archE906ELNS1_3gpuE6ELNS1_3repE0EEENS1_47radix_sort_onesweep_sort_config_static_selectorELNS0_4arch9wavefront6targetE0EEEvSI_.uses_flat_scratch, 0
	.set _ZN7rocprim17ROCPRIM_400000_NS6detail17trampoline_kernelINS0_14default_configENS1_35radix_sort_onesweep_config_selectorIiiEEZZNS1_29radix_sort_onesweep_iterationIS3_Lb1EN6thrust23THRUST_200600_302600_NS6detail15normal_iteratorINS8_10device_ptrIiEEEESD_SD_SD_jNS0_19identity_decomposerENS1_16block_id_wrapperIjLb1EEEEE10hipError_tT1_PNSt15iterator_traitsISI_E10value_typeET2_T3_PNSJ_ISO_E10value_typeET4_T5_PST_SU_PNS1_23onesweep_lookback_stateEbbT6_jjT7_P12ihipStream_tbENKUlT_T0_SI_SN_E_clISD_SD_SD_SD_EEDaS11_S12_SI_SN_EUlS11_E_NS1_11comp_targetILNS1_3genE2ELNS1_11target_archE906ELNS1_3gpuE6ELNS1_3repE0EEENS1_47radix_sort_onesweep_sort_config_static_selectorELNS0_4arch9wavefront6targetE0EEEvSI_.has_dyn_sized_stack, 0
	.set _ZN7rocprim17ROCPRIM_400000_NS6detail17trampoline_kernelINS0_14default_configENS1_35radix_sort_onesweep_config_selectorIiiEEZZNS1_29radix_sort_onesweep_iterationIS3_Lb1EN6thrust23THRUST_200600_302600_NS6detail15normal_iteratorINS8_10device_ptrIiEEEESD_SD_SD_jNS0_19identity_decomposerENS1_16block_id_wrapperIjLb1EEEEE10hipError_tT1_PNSt15iterator_traitsISI_E10value_typeET2_T3_PNSJ_ISO_E10value_typeET4_T5_PST_SU_PNS1_23onesweep_lookback_stateEbbT6_jjT7_P12ihipStream_tbENKUlT_T0_SI_SN_E_clISD_SD_SD_SD_EEDaS11_S12_SI_SN_EUlS11_E_NS1_11comp_targetILNS1_3genE2ELNS1_11target_archE906ELNS1_3gpuE6ELNS1_3repE0EEENS1_47radix_sort_onesweep_sort_config_static_selectorELNS0_4arch9wavefront6targetE0EEEvSI_.has_recursion, 0
	.set _ZN7rocprim17ROCPRIM_400000_NS6detail17trampoline_kernelINS0_14default_configENS1_35radix_sort_onesweep_config_selectorIiiEEZZNS1_29radix_sort_onesweep_iterationIS3_Lb1EN6thrust23THRUST_200600_302600_NS6detail15normal_iteratorINS8_10device_ptrIiEEEESD_SD_SD_jNS0_19identity_decomposerENS1_16block_id_wrapperIjLb1EEEEE10hipError_tT1_PNSt15iterator_traitsISI_E10value_typeET2_T3_PNSJ_ISO_E10value_typeET4_T5_PST_SU_PNS1_23onesweep_lookback_stateEbbT6_jjT7_P12ihipStream_tbENKUlT_T0_SI_SN_E_clISD_SD_SD_SD_EEDaS11_S12_SI_SN_EUlS11_E_NS1_11comp_targetILNS1_3genE2ELNS1_11target_archE906ELNS1_3gpuE6ELNS1_3repE0EEENS1_47radix_sort_onesweep_sort_config_static_selectorELNS0_4arch9wavefront6targetE0EEEvSI_.has_indirect_call, 0
	.section	.AMDGPU.csdata,"",@progbits
; Kernel info:
; codeLenInByte = 0
; TotalNumSgprs: 0
; NumVgprs: 0
; ScratchSize: 0
; MemoryBound: 0
; FloatMode: 240
; IeeeMode: 1
; LDSByteSize: 0 bytes/workgroup (compile time only)
; SGPRBlocks: 0
; VGPRBlocks: 0
; NumSGPRsForWavesPerEU: 1
; NumVGPRsForWavesPerEU: 1
; Occupancy: 16
; WaveLimiterHint : 0
; COMPUTE_PGM_RSRC2:SCRATCH_EN: 0
; COMPUTE_PGM_RSRC2:USER_SGPR: 6
; COMPUTE_PGM_RSRC2:TRAP_HANDLER: 0
; COMPUTE_PGM_RSRC2:TGID_X_EN: 1
; COMPUTE_PGM_RSRC2:TGID_Y_EN: 0
; COMPUTE_PGM_RSRC2:TGID_Z_EN: 0
; COMPUTE_PGM_RSRC2:TIDIG_COMP_CNT: 0
	.section	.text._ZN7rocprim17ROCPRIM_400000_NS6detail17trampoline_kernelINS0_14default_configENS1_35radix_sort_onesweep_config_selectorIiiEEZZNS1_29radix_sort_onesweep_iterationIS3_Lb1EN6thrust23THRUST_200600_302600_NS6detail15normal_iteratorINS8_10device_ptrIiEEEESD_SD_SD_jNS0_19identity_decomposerENS1_16block_id_wrapperIjLb1EEEEE10hipError_tT1_PNSt15iterator_traitsISI_E10value_typeET2_T3_PNSJ_ISO_E10value_typeET4_T5_PST_SU_PNS1_23onesweep_lookback_stateEbbT6_jjT7_P12ihipStream_tbENKUlT_T0_SI_SN_E_clISD_SD_SD_SD_EEDaS11_S12_SI_SN_EUlS11_E_NS1_11comp_targetILNS1_3genE4ELNS1_11target_archE910ELNS1_3gpuE8ELNS1_3repE0EEENS1_47radix_sort_onesweep_sort_config_static_selectorELNS0_4arch9wavefront6targetE0EEEvSI_,"axG",@progbits,_ZN7rocprim17ROCPRIM_400000_NS6detail17trampoline_kernelINS0_14default_configENS1_35radix_sort_onesweep_config_selectorIiiEEZZNS1_29radix_sort_onesweep_iterationIS3_Lb1EN6thrust23THRUST_200600_302600_NS6detail15normal_iteratorINS8_10device_ptrIiEEEESD_SD_SD_jNS0_19identity_decomposerENS1_16block_id_wrapperIjLb1EEEEE10hipError_tT1_PNSt15iterator_traitsISI_E10value_typeET2_T3_PNSJ_ISO_E10value_typeET4_T5_PST_SU_PNS1_23onesweep_lookback_stateEbbT6_jjT7_P12ihipStream_tbENKUlT_T0_SI_SN_E_clISD_SD_SD_SD_EEDaS11_S12_SI_SN_EUlS11_E_NS1_11comp_targetILNS1_3genE4ELNS1_11target_archE910ELNS1_3gpuE8ELNS1_3repE0EEENS1_47radix_sort_onesweep_sort_config_static_selectorELNS0_4arch9wavefront6targetE0EEEvSI_,comdat
	.protected	_ZN7rocprim17ROCPRIM_400000_NS6detail17trampoline_kernelINS0_14default_configENS1_35radix_sort_onesweep_config_selectorIiiEEZZNS1_29radix_sort_onesweep_iterationIS3_Lb1EN6thrust23THRUST_200600_302600_NS6detail15normal_iteratorINS8_10device_ptrIiEEEESD_SD_SD_jNS0_19identity_decomposerENS1_16block_id_wrapperIjLb1EEEEE10hipError_tT1_PNSt15iterator_traitsISI_E10value_typeET2_T3_PNSJ_ISO_E10value_typeET4_T5_PST_SU_PNS1_23onesweep_lookback_stateEbbT6_jjT7_P12ihipStream_tbENKUlT_T0_SI_SN_E_clISD_SD_SD_SD_EEDaS11_S12_SI_SN_EUlS11_E_NS1_11comp_targetILNS1_3genE4ELNS1_11target_archE910ELNS1_3gpuE8ELNS1_3repE0EEENS1_47radix_sort_onesweep_sort_config_static_selectorELNS0_4arch9wavefront6targetE0EEEvSI_ ; -- Begin function _ZN7rocprim17ROCPRIM_400000_NS6detail17trampoline_kernelINS0_14default_configENS1_35radix_sort_onesweep_config_selectorIiiEEZZNS1_29radix_sort_onesweep_iterationIS3_Lb1EN6thrust23THRUST_200600_302600_NS6detail15normal_iteratorINS8_10device_ptrIiEEEESD_SD_SD_jNS0_19identity_decomposerENS1_16block_id_wrapperIjLb1EEEEE10hipError_tT1_PNSt15iterator_traitsISI_E10value_typeET2_T3_PNSJ_ISO_E10value_typeET4_T5_PST_SU_PNS1_23onesweep_lookback_stateEbbT6_jjT7_P12ihipStream_tbENKUlT_T0_SI_SN_E_clISD_SD_SD_SD_EEDaS11_S12_SI_SN_EUlS11_E_NS1_11comp_targetILNS1_3genE4ELNS1_11target_archE910ELNS1_3gpuE8ELNS1_3repE0EEENS1_47radix_sort_onesweep_sort_config_static_selectorELNS0_4arch9wavefront6targetE0EEEvSI_
	.globl	_ZN7rocprim17ROCPRIM_400000_NS6detail17trampoline_kernelINS0_14default_configENS1_35radix_sort_onesweep_config_selectorIiiEEZZNS1_29radix_sort_onesweep_iterationIS3_Lb1EN6thrust23THRUST_200600_302600_NS6detail15normal_iteratorINS8_10device_ptrIiEEEESD_SD_SD_jNS0_19identity_decomposerENS1_16block_id_wrapperIjLb1EEEEE10hipError_tT1_PNSt15iterator_traitsISI_E10value_typeET2_T3_PNSJ_ISO_E10value_typeET4_T5_PST_SU_PNS1_23onesweep_lookback_stateEbbT6_jjT7_P12ihipStream_tbENKUlT_T0_SI_SN_E_clISD_SD_SD_SD_EEDaS11_S12_SI_SN_EUlS11_E_NS1_11comp_targetILNS1_3genE4ELNS1_11target_archE910ELNS1_3gpuE8ELNS1_3repE0EEENS1_47radix_sort_onesweep_sort_config_static_selectorELNS0_4arch9wavefront6targetE0EEEvSI_
	.p2align	8
	.type	_ZN7rocprim17ROCPRIM_400000_NS6detail17trampoline_kernelINS0_14default_configENS1_35radix_sort_onesweep_config_selectorIiiEEZZNS1_29radix_sort_onesweep_iterationIS3_Lb1EN6thrust23THRUST_200600_302600_NS6detail15normal_iteratorINS8_10device_ptrIiEEEESD_SD_SD_jNS0_19identity_decomposerENS1_16block_id_wrapperIjLb1EEEEE10hipError_tT1_PNSt15iterator_traitsISI_E10value_typeET2_T3_PNSJ_ISO_E10value_typeET4_T5_PST_SU_PNS1_23onesweep_lookback_stateEbbT6_jjT7_P12ihipStream_tbENKUlT_T0_SI_SN_E_clISD_SD_SD_SD_EEDaS11_S12_SI_SN_EUlS11_E_NS1_11comp_targetILNS1_3genE4ELNS1_11target_archE910ELNS1_3gpuE8ELNS1_3repE0EEENS1_47radix_sort_onesweep_sort_config_static_selectorELNS0_4arch9wavefront6targetE0EEEvSI_,@function
_ZN7rocprim17ROCPRIM_400000_NS6detail17trampoline_kernelINS0_14default_configENS1_35radix_sort_onesweep_config_selectorIiiEEZZNS1_29radix_sort_onesweep_iterationIS3_Lb1EN6thrust23THRUST_200600_302600_NS6detail15normal_iteratorINS8_10device_ptrIiEEEESD_SD_SD_jNS0_19identity_decomposerENS1_16block_id_wrapperIjLb1EEEEE10hipError_tT1_PNSt15iterator_traitsISI_E10value_typeET2_T3_PNSJ_ISO_E10value_typeET4_T5_PST_SU_PNS1_23onesweep_lookback_stateEbbT6_jjT7_P12ihipStream_tbENKUlT_T0_SI_SN_E_clISD_SD_SD_SD_EEDaS11_S12_SI_SN_EUlS11_E_NS1_11comp_targetILNS1_3genE4ELNS1_11target_archE910ELNS1_3gpuE8ELNS1_3repE0EEENS1_47radix_sort_onesweep_sort_config_static_selectorELNS0_4arch9wavefront6targetE0EEEvSI_: ; @_ZN7rocprim17ROCPRIM_400000_NS6detail17trampoline_kernelINS0_14default_configENS1_35radix_sort_onesweep_config_selectorIiiEEZZNS1_29radix_sort_onesweep_iterationIS3_Lb1EN6thrust23THRUST_200600_302600_NS6detail15normal_iteratorINS8_10device_ptrIiEEEESD_SD_SD_jNS0_19identity_decomposerENS1_16block_id_wrapperIjLb1EEEEE10hipError_tT1_PNSt15iterator_traitsISI_E10value_typeET2_T3_PNSJ_ISO_E10value_typeET4_T5_PST_SU_PNS1_23onesweep_lookback_stateEbbT6_jjT7_P12ihipStream_tbENKUlT_T0_SI_SN_E_clISD_SD_SD_SD_EEDaS11_S12_SI_SN_EUlS11_E_NS1_11comp_targetILNS1_3genE4ELNS1_11target_archE910ELNS1_3gpuE8ELNS1_3repE0EEENS1_47radix_sort_onesweep_sort_config_static_selectorELNS0_4arch9wavefront6targetE0EEEvSI_
; %bb.0:
	.section	.rodata,"a",@progbits
	.p2align	6, 0x0
	.amdhsa_kernel _ZN7rocprim17ROCPRIM_400000_NS6detail17trampoline_kernelINS0_14default_configENS1_35radix_sort_onesweep_config_selectorIiiEEZZNS1_29radix_sort_onesweep_iterationIS3_Lb1EN6thrust23THRUST_200600_302600_NS6detail15normal_iteratorINS8_10device_ptrIiEEEESD_SD_SD_jNS0_19identity_decomposerENS1_16block_id_wrapperIjLb1EEEEE10hipError_tT1_PNSt15iterator_traitsISI_E10value_typeET2_T3_PNSJ_ISO_E10value_typeET4_T5_PST_SU_PNS1_23onesweep_lookback_stateEbbT6_jjT7_P12ihipStream_tbENKUlT_T0_SI_SN_E_clISD_SD_SD_SD_EEDaS11_S12_SI_SN_EUlS11_E_NS1_11comp_targetILNS1_3genE4ELNS1_11target_archE910ELNS1_3gpuE8ELNS1_3repE0EEENS1_47radix_sort_onesweep_sort_config_static_selectorELNS0_4arch9wavefront6targetE0EEEvSI_
		.amdhsa_group_segment_fixed_size 0
		.amdhsa_private_segment_fixed_size 0
		.amdhsa_kernarg_size 88
		.amdhsa_user_sgpr_count 6
		.amdhsa_user_sgpr_private_segment_buffer 1
		.amdhsa_user_sgpr_dispatch_ptr 0
		.amdhsa_user_sgpr_queue_ptr 0
		.amdhsa_user_sgpr_kernarg_segment_ptr 1
		.amdhsa_user_sgpr_dispatch_id 0
		.amdhsa_user_sgpr_flat_scratch_init 0
		.amdhsa_user_sgpr_private_segment_size 0
		.amdhsa_wavefront_size32 1
		.amdhsa_uses_dynamic_stack 0
		.amdhsa_system_sgpr_private_segment_wavefront_offset 0
		.amdhsa_system_sgpr_workgroup_id_x 1
		.amdhsa_system_sgpr_workgroup_id_y 0
		.amdhsa_system_sgpr_workgroup_id_z 0
		.amdhsa_system_sgpr_workgroup_info 0
		.amdhsa_system_vgpr_workitem_id 0
		.amdhsa_next_free_vgpr 1
		.amdhsa_next_free_sgpr 1
		.amdhsa_reserve_vcc 0
		.amdhsa_reserve_flat_scratch 0
		.amdhsa_float_round_mode_32 0
		.amdhsa_float_round_mode_16_64 0
		.amdhsa_float_denorm_mode_32 3
		.amdhsa_float_denorm_mode_16_64 3
		.amdhsa_dx10_clamp 1
		.amdhsa_ieee_mode 1
		.amdhsa_fp16_overflow 0
		.amdhsa_workgroup_processor_mode 1
		.amdhsa_memory_ordered 1
		.amdhsa_forward_progress 1
		.amdhsa_shared_vgpr_count 0
		.amdhsa_exception_fp_ieee_invalid_op 0
		.amdhsa_exception_fp_denorm_src 0
		.amdhsa_exception_fp_ieee_div_zero 0
		.amdhsa_exception_fp_ieee_overflow 0
		.amdhsa_exception_fp_ieee_underflow 0
		.amdhsa_exception_fp_ieee_inexact 0
		.amdhsa_exception_int_div_zero 0
	.end_amdhsa_kernel
	.section	.text._ZN7rocprim17ROCPRIM_400000_NS6detail17trampoline_kernelINS0_14default_configENS1_35radix_sort_onesweep_config_selectorIiiEEZZNS1_29radix_sort_onesweep_iterationIS3_Lb1EN6thrust23THRUST_200600_302600_NS6detail15normal_iteratorINS8_10device_ptrIiEEEESD_SD_SD_jNS0_19identity_decomposerENS1_16block_id_wrapperIjLb1EEEEE10hipError_tT1_PNSt15iterator_traitsISI_E10value_typeET2_T3_PNSJ_ISO_E10value_typeET4_T5_PST_SU_PNS1_23onesweep_lookback_stateEbbT6_jjT7_P12ihipStream_tbENKUlT_T0_SI_SN_E_clISD_SD_SD_SD_EEDaS11_S12_SI_SN_EUlS11_E_NS1_11comp_targetILNS1_3genE4ELNS1_11target_archE910ELNS1_3gpuE8ELNS1_3repE0EEENS1_47radix_sort_onesweep_sort_config_static_selectorELNS0_4arch9wavefront6targetE0EEEvSI_,"axG",@progbits,_ZN7rocprim17ROCPRIM_400000_NS6detail17trampoline_kernelINS0_14default_configENS1_35radix_sort_onesweep_config_selectorIiiEEZZNS1_29radix_sort_onesweep_iterationIS3_Lb1EN6thrust23THRUST_200600_302600_NS6detail15normal_iteratorINS8_10device_ptrIiEEEESD_SD_SD_jNS0_19identity_decomposerENS1_16block_id_wrapperIjLb1EEEEE10hipError_tT1_PNSt15iterator_traitsISI_E10value_typeET2_T3_PNSJ_ISO_E10value_typeET4_T5_PST_SU_PNS1_23onesweep_lookback_stateEbbT6_jjT7_P12ihipStream_tbENKUlT_T0_SI_SN_E_clISD_SD_SD_SD_EEDaS11_S12_SI_SN_EUlS11_E_NS1_11comp_targetILNS1_3genE4ELNS1_11target_archE910ELNS1_3gpuE8ELNS1_3repE0EEENS1_47radix_sort_onesweep_sort_config_static_selectorELNS0_4arch9wavefront6targetE0EEEvSI_,comdat
.Lfunc_end1003:
	.size	_ZN7rocprim17ROCPRIM_400000_NS6detail17trampoline_kernelINS0_14default_configENS1_35radix_sort_onesweep_config_selectorIiiEEZZNS1_29radix_sort_onesweep_iterationIS3_Lb1EN6thrust23THRUST_200600_302600_NS6detail15normal_iteratorINS8_10device_ptrIiEEEESD_SD_SD_jNS0_19identity_decomposerENS1_16block_id_wrapperIjLb1EEEEE10hipError_tT1_PNSt15iterator_traitsISI_E10value_typeET2_T3_PNSJ_ISO_E10value_typeET4_T5_PST_SU_PNS1_23onesweep_lookback_stateEbbT6_jjT7_P12ihipStream_tbENKUlT_T0_SI_SN_E_clISD_SD_SD_SD_EEDaS11_S12_SI_SN_EUlS11_E_NS1_11comp_targetILNS1_3genE4ELNS1_11target_archE910ELNS1_3gpuE8ELNS1_3repE0EEENS1_47radix_sort_onesweep_sort_config_static_selectorELNS0_4arch9wavefront6targetE0EEEvSI_, .Lfunc_end1003-_ZN7rocprim17ROCPRIM_400000_NS6detail17trampoline_kernelINS0_14default_configENS1_35radix_sort_onesweep_config_selectorIiiEEZZNS1_29radix_sort_onesweep_iterationIS3_Lb1EN6thrust23THRUST_200600_302600_NS6detail15normal_iteratorINS8_10device_ptrIiEEEESD_SD_SD_jNS0_19identity_decomposerENS1_16block_id_wrapperIjLb1EEEEE10hipError_tT1_PNSt15iterator_traitsISI_E10value_typeET2_T3_PNSJ_ISO_E10value_typeET4_T5_PST_SU_PNS1_23onesweep_lookback_stateEbbT6_jjT7_P12ihipStream_tbENKUlT_T0_SI_SN_E_clISD_SD_SD_SD_EEDaS11_S12_SI_SN_EUlS11_E_NS1_11comp_targetILNS1_3genE4ELNS1_11target_archE910ELNS1_3gpuE8ELNS1_3repE0EEENS1_47radix_sort_onesweep_sort_config_static_selectorELNS0_4arch9wavefront6targetE0EEEvSI_
                                        ; -- End function
	.set _ZN7rocprim17ROCPRIM_400000_NS6detail17trampoline_kernelINS0_14default_configENS1_35radix_sort_onesweep_config_selectorIiiEEZZNS1_29radix_sort_onesweep_iterationIS3_Lb1EN6thrust23THRUST_200600_302600_NS6detail15normal_iteratorINS8_10device_ptrIiEEEESD_SD_SD_jNS0_19identity_decomposerENS1_16block_id_wrapperIjLb1EEEEE10hipError_tT1_PNSt15iterator_traitsISI_E10value_typeET2_T3_PNSJ_ISO_E10value_typeET4_T5_PST_SU_PNS1_23onesweep_lookback_stateEbbT6_jjT7_P12ihipStream_tbENKUlT_T0_SI_SN_E_clISD_SD_SD_SD_EEDaS11_S12_SI_SN_EUlS11_E_NS1_11comp_targetILNS1_3genE4ELNS1_11target_archE910ELNS1_3gpuE8ELNS1_3repE0EEENS1_47radix_sort_onesweep_sort_config_static_selectorELNS0_4arch9wavefront6targetE0EEEvSI_.num_vgpr, 0
	.set _ZN7rocprim17ROCPRIM_400000_NS6detail17trampoline_kernelINS0_14default_configENS1_35radix_sort_onesweep_config_selectorIiiEEZZNS1_29radix_sort_onesweep_iterationIS3_Lb1EN6thrust23THRUST_200600_302600_NS6detail15normal_iteratorINS8_10device_ptrIiEEEESD_SD_SD_jNS0_19identity_decomposerENS1_16block_id_wrapperIjLb1EEEEE10hipError_tT1_PNSt15iterator_traitsISI_E10value_typeET2_T3_PNSJ_ISO_E10value_typeET4_T5_PST_SU_PNS1_23onesweep_lookback_stateEbbT6_jjT7_P12ihipStream_tbENKUlT_T0_SI_SN_E_clISD_SD_SD_SD_EEDaS11_S12_SI_SN_EUlS11_E_NS1_11comp_targetILNS1_3genE4ELNS1_11target_archE910ELNS1_3gpuE8ELNS1_3repE0EEENS1_47radix_sort_onesweep_sort_config_static_selectorELNS0_4arch9wavefront6targetE0EEEvSI_.num_agpr, 0
	.set _ZN7rocprim17ROCPRIM_400000_NS6detail17trampoline_kernelINS0_14default_configENS1_35radix_sort_onesweep_config_selectorIiiEEZZNS1_29radix_sort_onesweep_iterationIS3_Lb1EN6thrust23THRUST_200600_302600_NS6detail15normal_iteratorINS8_10device_ptrIiEEEESD_SD_SD_jNS0_19identity_decomposerENS1_16block_id_wrapperIjLb1EEEEE10hipError_tT1_PNSt15iterator_traitsISI_E10value_typeET2_T3_PNSJ_ISO_E10value_typeET4_T5_PST_SU_PNS1_23onesweep_lookback_stateEbbT6_jjT7_P12ihipStream_tbENKUlT_T0_SI_SN_E_clISD_SD_SD_SD_EEDaS11_S12_SI_SN_EUlS11_E_NS1_11comp_targetILNS1_3genE4ELNS1_11target_archE910ELNS1_3gpuE8ELNS1_3repE0EEENS1_47radix_sort_onesweep_sort_config_static_selectorELNS0_4arch9wavefront6targetE0EEEvSI_.numbered_sgpr, 0
	.set _ZN7rocprim17ROCPRIM_400000_NS6detail17trampoline_kernelINS0_14default_configENS1_35radix_sort_onesweep_config_selectorIiiEEZZNS1_29radix_sort_onesweep_iterationIS3_Lb1EN6thrust23THRUST_200600_302600_NS6detail15normal_iteratorINS8_10device_ptrIiEEEESD_SD_SD_jNS0_19identity_decomposerENS1_16block_id_wrapperIjLb1EEEEE10hipError_tT1_PNSt15iterator_traitsISI_E10value_typeET2_T3_PNSJ_ISO_E10value_typeET4_T5_PST_SU_PNS1_23onesweep_lookback_stateEbbT6_jjT7_P12ihipStream_tbENKUlT_T0_SI_SN_E_clISD_SD_SD_SD_EEDaS11_S12_SI_SN_EUlS11_E_NS1_11comp_targetILNS1_3genE4ELNS1_11target_archE910ELNS1_3gpuE8ELNS1_3repE0EEENS1_47radix_sort_onesweep_sort_config_static_selectorELNS0_4arch9wavefront6targetE0EEEvSI_.num_named_barrier, 0
	.set _ZN7rocprim17ROCPRIM_400000_NS6detail17trampoline_kernelINS0_14default_configENS1_35radix_sort_onesweep_config_selectorIiiEEZZNS1_29radix_sort_onesweep_iterationIS3_Lb1EN6thrust23THRUST_200600_302600_NS6detail15normal_iteratorINS8_10device_ptrIiEEEESD_SD_SD_jNS0_19identity_decomposerENS1_16block_id_wrapperIjLb1EEEEE10hipError_tT1_PNSt15iterator_traitsISI_E10value_typeET2_T3_PNSJ_ISO_E10value_typeET4_T5_PST_SU_PNS1_23onesweep_lookback_stateEbbT6_jjT7_P12ihipStream_tbENKUlT_T0_SI_SN_E_clISD_SD_SD_SD_EEDaS11_S12_SI_SN_EUlS11_E_NS1_11comp_targetILNS1_3genE4ELNS1_11target_archE910ELNS1_3gpuE8ELNS1_3repE0EEENS1_47radix_sort_onesweep_sort_config_static_selectorELNS0_4arch9wavefront6targetE0EEEvSI_.private_seg_size, 0
	.set _ZN7rocprim17ROCPRIM_400000_NS6detail17trampoline_kernelINS0_14default_configENS1_35radix_sort_onesweep_config_selectorIiiEEZZNS1_29radix_sort_onesweep_iterationIS3_Lb1EN6thrust23THRUST_200600_302600_NS6detail15normal_iteratorINS8_10device_ptrIiEEEESD_SD_SD_jNS0_19identity_decomposerENS1_16block_id_wrapperIjLb1EEEEE10hipError_tT1_PNSt15iterator_traitsISI_E10value_typeET2_T3_PNSJ_ISO_E10value_typeET4_T5_PST_SU_PNS1_23onesweep_lookback_stateEbbT6_jjT7_P12ihipStream_tbENKUlT_T0_SI_SN_E_clISD_SD_SD_SD_EEDaS11_S12_SI_SN_EUlS11_E_NS1_11comp_targetILNS1_3genE4ELNS1_11target_archE910ELNS1_3gpuE8ELNS1_3repE0EEENS1_47radix_sort_onesweep_sort_config_static_selectorELNS0_4arch9wavefront6targetE0EEEvSI_.uses_vcc, 0
	.set _ZN7rocprim17ROCPRIM_400000_NS6detail17trampoline_kernelINS0_14default_configENS1_35radix_sort_onesweep_config_selectorIiiEEZZNS1_29radix_sort_onesweep_iterationIS3_Lb1EN6thrust23THRUST_200600_302600_NS6detail15normal_iteratorINS8_10device_ptrIiEEEESD_SD_SD_jNS0_19identity_decomposerENS1_16block_id_wrapperIjLb1EEEEE10hipError_tT1_PNSt15iterator_traitsISI_E10value_typeET2_T3_PNSJ_ISO_E10value_typeET4_T5_PST_SU_PNS1_23onesweep_lookback_stateEbbT6_jjT7_P12ihipStream_tbENKUlT_T0_SI_SN_E_clISD_SD_SD_SD_EEDaS11_S12_SI_SN_EUlS11_E_NS1_11comp_targetILNS1_3genE4ELNS1_11target_archE910ELNS1_3gpuE8ELNS1_3repE0EEENS1_47radix_sort_onesweep_sort_config_static_selectorELNS0_4arch9wavefront6targetE0EEEvSI_.uses_flat_scratch, 0
	.set _ZN7rocprim17ROCPRIM_400000_NS6detail17trampoline_kernelINS0_14default_configENS1_35radix_sort_onesweep_config_selectorIiiEEZZNS1_29radix_sort_onesweep_iterationIS3_Lb1EN6thrust23THRUST_200600_302600_NS6detail15normal_iteratorINS8_10device_ptrIiEEEESD_SD_SD_jNS0_19identity_decomposerENS1_16block_id_wrapperIjLb1EEEEE10hipError_tT1_PNSt15iterator_traitsISI_E10value_typeET2_T3_PNSJ_ISO_E10value_typeET4_T5_PST_SU_PNS1_23onesweep_lookback_stateEbbT6_jjT7_P12ihipStream_tbENKUlT_T0_SI_SN_E_clISD_SD_SD_SD_EEDaS11_S12_SI_SN_EUlS11_E_NS1_11comp_targetILNS1_3genE4ELNS1_11target_archE910ELNS1_3gpuE8ELNS1_3repE0EEENS1_47radix_sort_onesweep_sort_config_static_selectorELNS0_4arch9wavefront6targetE0EEEvSI_.has_dyn_sized_stack, 0
	.set _ZN7rocprim17ROCPRIM_400000_NS6detail17trampoline_kernelINS0_14default_configENS1_35radix_sort_onesweep_config_selectorIiiEEZZNS1_29radix_sort_onesweep_iterationIS3_Lb1EN6thrust23THRUST_200600_302600_NS6detail15normal_iteratorINS8_10device_ptrIiEEEESD_SD_SD_jNS0_19identity_decomposerENS1_16block_id_wrapperIjLb1EEEEE10hipError_tT1_PNSt15iterator_traitsISI_E10value_typeET2_T3_PNSJ_ISO_E10value_typeET4_T5_PST_SU_PNS1_23onesweep_lookback_stateEbbT6_jjT7_P12ihipStream_tbENKUlT_T0_SI_SN_E_clISD_SD_SD_SD_EEDaS11_S12_SI_SN_EUlS11_E_NS1_11comp_targetILNS1_3genE4ELNS1_11target_archE910ELNS1_3gpuE8ELNS1_3repE0EEENS1_47radix_sort_onesweep_sort_config_static_selectorELNS0_4arch9wavefront6targetE0EEEvSI_.has_recursion, 0
	.set _ZN7rocprim17ROCPRIM_400000_NS6detail17trampoline_kernelINS0_14default_configENS1_35radix_sort_onesweep_config_selectorIiiEEZZNS1_29radix_sort_onesweep_iterationIS3_Lb1EN6thrust23THRUST_200600_302600_NS6detail15normal_iteratorINS8_10device_ptrIiEEEESD_SD_SD_jNS0_19identity_decomposerENS1_16block_id_wrapperIjLb1EEEEE10hipError_tT1_PNSt15iterator_traitsISI_E10value_typeET2_T3_PNSJ_ISO_E10value_typeET4_T5_PST_SU_PNS1_23onesweep_lookback_stateEbbT6_jjT7_P12ihipStream_tbENKUlT_T0_SI_SN_E_clISD_SD_SD_SD_EEDaS11_S12_SI_SN_EUlS11_E_NS1_11comp_targetILNS1_3genE4ELNS1_11target_archE910ELNS1_3gpuE8ELNS1_3repE0EEENS1_47radix_sort_onesweep_sort_config_static_selectorELNS0_4arch9wavefront6targetE0EEEvSI_.has_indirect_call, 0
	.section	.AMDGPU.csdata,"",@progbits
; Kernel info:
; codeLenInByte = 0
; TotalNumSgprs: 0
; NumVgprs: 0
; ScratchSize: 0
; MemoryBound: 0
; FloatMode: 240
; IeeeMode: 1
; LDSByteSize: 0 bytes/workgroup (compile time only)
; SGPRBlocks: 0
; VGPRBlocks: 0
; NumSGPRsForWavesPerEU: 1
; NumVGPRsForWavesPerEU: 1
; Occupancy: 16
; WaveLimiterHint : 0
; COMPUTE_PGM_RSRC2:SCRATCH_EN: 0
; COMPUTE_PGM_RSRC2:USER_SGPR: 6
; COMPUTE_PGM_RSRC2:TRAP_HANDLER: 0
; COMPUTE_PGM_RSRC2:TGID_X_EN: 1
; COMPUTE_PGM_RSRC2:TGID_Y_EN: 0
; COMPUTE_PGM_RSRC2:TGID_Z_EN: 0
; COMPUTE_PGM_RSRC2:TIDIG_COMP_CNT: 0
	.section	.text._ZN7rocprim17ROCPRIM_400000_NS6detail17trampoline_kernelINS0_14default_configENS1_35radix_sort_onesweep_config_selectorIiiEEZZNS1_29radix_sort_onesweep_iterationIS3_Lb1EN6thrust23THRUST_200600_302600_NS6detail15normal_iteratorINS8_10device_ptrIiEEEESD_SD_SD_jNS0_19identity_decomposerENS1_16block_id_wrapperIjLb1EEEEE10hipError_tT1_PNSt15iterator_traitsISI_E10value_typeET2_T3_PNSJ_ISO_E10value_typeET4_T5_PST_SU_PNS1_23onesweep_lookback_stateEbbT6_jjT7_P12ihipStream_tbENKUlT_T0_SI_SN_E_clISD_SD_SD_SD_EEDaS11_S12_SI_SN_EUlS11_E_NS1_11comp_targetILNS1_3genE3ELNS1_11target_archE908ELNS1_3gpuE7ELNS1_3repE0EEENS1_47radix_sort_onesweep_sort_config_static_selectorELNS0_4arch9wavefront6targetE0EEEvSI_,"axG",@progbits,_ZN7rocprim17ROCPRIM_400000_NS6detail17trampoline_kernelINS0_14default_configENS1_35radix_sort_onesweep_config_selectorIiiEEZZNS1_29radix_sort_onesweep_iterationIS3_Lb1EN6thrust23THRUST_200600_302600_NS6detail15normal_iteratorINS8_10device_ptrIiEEEESD_SD_SD_jNS0_19identity_decomposerENS1_16block_id_wrapperIjLb1EEEEE10hipError_tT1_PNSt15iterator_traitsISI_E10value_typeET2_T3_PNSJ_ISO_E10value_typeET4_T5_PST_SU_PNS1_23onesweep_lookback_stateEbbT6_jjT7_P12ihipStream_tbENKUlT_T0_SI_SN_E_clISD_SD_SD_SD_EEDaS11_S12_SI_SN_EUlS11_E_NS1_11comp_targetILNS1_3genE3ELNS1_11target_archE908ELNS1_3gpuE7ELNS1_3repE0EEENS1_47radix_sort_onesweep_sort_config_static_selectorELNS0_4arch9wavefront6targetE0EEEvSI_,comdat
	.protected	_ZN7rocprim17ROCPRIM_400000_NS6detail17trampoline_kernelINS0_14default_configENS1_35radix_sort_onesweep_config_selectorIiiEEZZNS1_29radix_sort_onesweep_iterationIS3_Lb1EN6thrust23THRUST_200600_302600_NS6detail15normal_iteratorINS8_10device_ptrIiEEEESD_SD_SD_jNS0_19identity_decomposerENS1_16block_id_wrapperIjLb1EEEEE10hipError_tT1_PNSt15iterator_traitsISI_E10value_typeET2_T3_PNSJ_ISO_E10value_typeET4_T5_PST_SU_PNS1_23onesweep_lookback_stateEbbT6_jjT7_P12ihipStream_tbENKUlT_T0_SI_SN_E_clISD_SD_SD_SD_EEDaS11_S12_SI_SN_EUlS11_E_NS1_11comp_targetILNS1_3genE3ELNS1_11target_archE908ELNS1_3gpuE7ELNS1_3repE0EEENS1_47radix_sort_onesweep_sort_config_static_selectorELNS0_4arch9wavefront6targetE0EEEvSI_ ; -- Begin function _ZN7rocprim17ROCPRIM_400000_NS6detail17trampoline_kernelINS0_14default_configENS1_35radix_sort_onesweep_config_selectorIiiEEZZNS1_29radix_sort_onesweep_iterationIS3_Lb1EN6thrust23THRUST_200600_302600_NS6detail15normal_iteratorINS8_10device_ptrIiEEEESD_SD_SD_jNS0_19identity_decomposerENS1_16block_id_wrapperIjLb1EEEEE10hipError_tT1_PNSt15iterator_traitsISI_E10value_typeET2_T3_PNSJ_ISO_E10value_typeET4_T5_PST_SU_PNS1_23onesweep_lookback_stateEbbT6_jjT7_P12ihipStream_tbENKUlT_T0_SI_SN_E_clISD_SD_SD_SD_EEDaS11_S12_SI_SN_EUlS11_E_NS1_11comp_targetILNS1_3genE3ELNS1_11target_archE908ELNS1_3gpuE7ELNS1_3repE0EEENS1_47radix_sort_onesweep_sort_config_static_selectorELNS0_4arch9wavefront6targetE0EEEvSI_
	.globl	_ZN7rocprim17ROCPRIM_400000_NS6detail17trampoline_kernelINS0_14default_configENS1_35radix_sort_onesweep_config_selectorIiiEEZZNS1_29radix_sort_onesweep_iterationIS3_Lb1EN6thrust23THRUST_200600_302600_NS6detail15normal_iteratorINS8_10device_ptrIiEEEESD_SD_SD_jNS0_19identity_decomposerENS1_16block_id_wrapperIjLb1EEEEE10hipError_tT1_PNSt15iterator_traitsISI_E10value_typeET2_T3_PNSJ_ISO_E10value_typeET4_T5_PST_SU_PNS1_23onesweep_lookback_stateEbbT6_jjT7_P12ihipStream_tbENKUlT_T0_SI_SN_E_clISD_SD_SD_SD_EEDaS11_S12_SI_SN_EUlS11_E_NS1_11comp_targetILNS1_3genE3ELNS1_11target_archE908ELNS1_3gpuE7ELNS1_3repE0EEENS1_47radix_sort_onesweep_sort_config_static_selectorELNS0_4arch9wavefront6targetE0EEEvSI_
	.p2align	8
	.type	_ZN7rocprim17ROCPRIM_400000_NS6detail17trampoline_kernelINS0_14default_configENS1_35radix_sort_onesweep_config_selectorIiiEEZZNS1_29radix_sort_onesweep_iterationIS3_Lb1EN6thrust23THRUST_200600_302600_NS6detail15normal_iteratorINS8_10device_ptrIiEEEESD_SD_SD_jNS0_19identity_decomposerENS1_16block_id_wrapperIjLb1EEEEE10hipError_tT1_PNSt15iterator_traitsISI_E10value_typeET2_T3_PNSJ_ISO_E10value_typeET4_T5_PST_SU_PNS1_23onesweep_lookback_stateEbbT6_jjT7_P12ihipStream_tbENKUlT_T0_SI_SN_E_clISD_SD_SD_SD_EEDaS11_S12_SI_SN_EUlS11_E_NS1_11comp_targetILNS1_3genE3ELNS1_11target_archE908ELNS1_3gpuE7ELNS1_3repE0EEENS1_47radix_sort_onesweep_sort_config_static_selectorELNS0_4arch9wavefront6targetE0EEEvSI_,@function
_ZN7rocprim17ROCPRIM_400000_NS6detail17trampoline_kernelINS0_14default_configENS1_35radix_sort_onesweep_config_selectorIiiEEZZNS1_29radix_sort_onesweep_iterationIS3_Lb1EN6thrust23THRUST_200600_302600_NS6detail15normal_iteratorINS8_10device_ptrIiEEEESD_SD_SD_jNS0_19identity_decomposerENS1_16block_id_wrapperIjLb1EEEEE10hipError_tT1_PNSt15iterator_traitsISI_E10value_typeET2_T3_PNSJ_ISO_E10value_typeET4_T5_PST_SU_PNS1_23onesweep_lookback_stateEbbT6_jjT7_P12ihipStream_tbENKUlT_T0_SI_SN_E_clISD_SD_SD_SD_EEDaS11_S12_SI_SN_EUlS11_E_NS1_11comp_targetILNS1_3genE3ELNS1_11target_archE908ELNS1_3gpuE7ELNS1_3repE0EEENS1_47radix_sort_onesweep_sort_config_static_selectorELNS0_4arch9wavefront6targetE0EEEvSI_: ; @_ZN7rocprim17ROCPRIM_400000_NS6detail17trampoline_kernelINS0_14default_configENS1_35radix_sort_onesweep_config_selectorIiiEEZZNS1_29radix_sort_onesweep_iterationIS3_Lb1EN6thrust23THRUST_200600_302600_NS6detail15normal_iteratorINS8_10device_ptrIiEEEESD_SD_SD_jNS0_19identity_decomposerENS1_16block_id_wrapperIjLb1EEEEE10hipError_tT1_PNSt15iterator_traitsISI_E10value_typeET2_T3_PNSJ_ISO_E10value_typeET4_T5_PST_SU_PNS1_23onesweep_lookback_stateEbbT6_jjT7_P12ihipStream_tbENKUlT_T0_SI_SN_E_clISD_SD_SD_SD_EEDaS11_S12_SI_SN_EUlS11_E_NS1_11comp_targetILNS1_3genE3ELNS1_11target_archE908ELNS1_3gpuE7ELNS1_3repE0EEENS1_47radix_sort_onesweep_sort_config_static_selectorELNS0_4arch9wavefront6targetE0EEEvSI_
; %bb.0:
	.section	.rodata,"a",@progbits
	.p2align	6, 0x0
	.amdhsa_kernel _ZN7rocprim17ROCPRIM_400000_NS6detail17trampoline_kernelINS0_14default_configENS1_35radix_sort_onesweep_config_selectorIiiEEZZNS1_29radix_sort_onesweep_iterationIS3_Lb1EN6thrust23THRUST_200600_302600_NS6detail15normal_iteratorINS8_10device_ptrIiEEEESD_SD_SD_jNS0_19identity_decomposerENS1_16block_id_wrapperIjLb1EEEEE10hipError_tT1_PNSt15iterator_traitsISI_E10value_typeET2_T3_PNSJ_ISO_E10value_typeET4_T5_PST_SU_PNS1_23onesweep_lookback_stateEbbT6_jjT7_P12ihipStream_tbENKUlT_T0_SI_SN_E_clISD_SD_SD_SD_EEDaS11_S12_SI_SN_EUlS11_E_NS1_11comp_targetILNS1_3genE3ELNS1_11target_archE908ELNS1_3gpuE7ELNS1_3repE0EEENS1_47radix_sort_onesweep_sort_config_static_selectorELNS0_4arch9wavefront6targetE0EEEvSI_
		.amdhsa_group_segment_fixed_size 0
		.amdhsa_private_segment_fixed_size 0
		.amdhsa_kernarg_size 88
		.amdhsa_user_sgpr_count 6
		.amdhsa_user_sgpr_private_segment_buffer 1
		.amdhsa_user_sgpr_dispatch_ptr 0
		.amdhsa_user_sgpr_queue_ptr 0
		.amdhsa_user_sgpr_kernarg_segment_ptr 1
		.amdhsa_user_sgpr_dispatch_id 0
		.amdhsa_user_sgpr_flat_scratch_init 0
		.amdhsa_user_sgpr_private_segment_size 0
		.amdhsa_wavefront_size32 1
		.amdhsa_uses_dynamic_stack 0
		.amdhsa_system_sgpr_private_segment_wavefront_offset 0
		.amdhsa_system_sgpr_workgroup_id_x 1
		.amdhsa_system_sgpr_workgroup_id_y 0
		.amdhsa_system_sgpr_workgroup_id_z 0
		.amdhsa_system_sgpr_workgroup_info 0
		.amdhsa_system_vgpr_workitem_id 0
		.amdhsa_next_free_vgpr 1
		.amdhsa_next_free_sgpr 1
		.amdhsa_reserve_vcc 0
		.amdhsa_reserve_flat_scratch 0
		.amdhsa_float_round_mode_32 0
		.amdhsa_float_round_mode_16_64 0
		.amdhsa_float_denorm_mode_32 3
		.amdhsa_float_denorm_mode_16_64 3
		.amdhsa_dx10_clamp 1
		.amdhsa_ieee_mode 1
		.amdhsa_fp16_overflow 0
		.amdhsa_workgroup_processor_mode 1
		.amdhsa_memory_ordered 1
		.amdhsa_forward_progress 1
		.amdhsa_shared_vgpr_count 0
		.amdhsa_exception_fp_ieee_invalid_op 0
		.amdhsa_exception_fp_denorm_src 0
		.amdhsa_exception_fp_ieee_div_zero 0
		.amdhsa_exception_fp_ieee_overflow 0
		.amdhsa_exception_fp_ieee_underflow 0
		.amdhsa_exception_fp_ieee_inexact 0
		.amdhsa_exception_int_div_zero 0
	.end_amdhsa_kernel
	.section	.text._ZN7rocprim17ROCPRIM_400000_NS6detail17trampoline_kernelINS0_14default_configENS1_35radix_sort_onesweep_config_selectorIiiEEZZNS1_29radix_sort_onesweep_iterationIS3_Lb1EN6thrust23THRUST_200600_302600_NS6detail15normal_iteratorINS8_10device_ptrIiEEEESD_SD_SD_jNS0_19identity_decomposerENS1_16block_id_wrapperIjLb1EEEEE10hipError_tT1_PNSt15iterator_traitsISI_E10value_typeET2_T3_PNSJ_ISO_E10value_typeET4_T5_PST_SU_PNS1_23onesweep_lookback_stateEbbT6_jjT7_P12ihipStream_tbENKUlT_T0_SI_SN_E_clISD_SD_SD_SD_EEDaS11_S12_SI_SN_EUlS11_E_NS1_11comp_targetILNS1_3genE3ELNS1_11target_archE908ELNS1_3gpuE7ELNS1_3repE0EEENS1_47radix_sort_onesweep_sort_config_static_selectorELNS0_4arch9wavefront6targetE0EEEvSI_,"axG",@progbits,_ZN7rocprim17ROCPRIM_400000_NS6detail17trampoline_kernelINS0_14default_configENS1_35radix_sort_onesweep_config_selectorIiiEEZZNS1_29radix_sort_onesweep_iterationIS3_Lb1EN6thrust23THRUST_200600_302600_NS6detail15normal_iteratorINS8_10device_ptrIiEEEESD_SD_SD_jNS0_19identity_decomposerENS1_16block_id_wrapperIjLb1EEEEE10hipError_tT1_PNSt15iterator_traitsISI_E10value_typeET2_T3_PNSJ_ISO_E10value_typeET4_T5_PST_SU_PNS1_23onesweep_lookback_stateEbbT6_jjT7_P12ihipStream_tbENKUlT_T0_SI_SN_E_clISD_SD_SD_SD_EEDaS11_S12_SI_SN_EUlS11_E_NS1_11comp_targetILNS1_3genE3ELNS1_11target_archE908ELNS1_3gpuE7ELNS1_3repE0EEENS1_47radix_sort_onesweep_sort_config_static_selectorELNS0_4arch9wavefront6targetE0EEEvSI_,comdat
.Lfunc_end1004:
	.size	_ZN7rocprim17ROCPRIM_400000_NS6detail17trampoline_kernelINS0_14default_configENS1_35radix_sort_onesweep_config_selectorIiiEEZZNS1_29radix_sort_onesweep_iterationIS3_Lb1EN6thrust23THRUST_200600_302600_NS6detail15normal_iteratorINS8_10device_ptrIiEEEESD_SD_SD_jNS0_19identity_decomposerENS1_16block_id_wrapperIjLb1EEEEE10hipError_tT1_PNSt15iterator_traitsISI_E10value_typeET2_T3_PNSJ_ISO_E10value_typeET4_T5_PST_SU_PNS1_23onesweep_lookback_stateEbbT6_jjT7_P12ihipStream_tbENKUlT_T0_SI_SN_E_clISD_SD_SD_SD_EEDaS11_S12_SI_SN_EUlS11_E_NS1_11comp_targetILNS1_3genE3ELNS1_11target_archE908ELNS1_3gpuE7ELNS1_3repE0EEENS1_47radix_sort_onesweep_sort_config_static_selectorELNS0_4arch9wavefront6targetE0EEEvSI_, .Lfunc_end1004-_ZN7rocprim17ROCPRIM_400000_NS6detail17trampoline_kernelINS0_14default_configENS1_35radix_sort_onesweep_config_selectorIiiEEZZNS1_29radix_sort_onesweep_iterationIS3_Lb1EN6thrust23THRUST_200600_302600_NS6detail15normal_iteratorINS8_10device_ptrIiEEEESD_SD_SD_jNS0_19identity_decomposerENS1_16block_id_wrapperIjLb1EEEEE10hipError_tT1_PNSt15iterator_traitsISI_E10value_typeET2_T3_PNSJ_ISO_E10value_typeET4_T5_PST_SU_PNS1_23onesweep_lookback_stateEbbT6_jjT7_P12ihipStream_tbENKUlT_T0_SI_SN_E_clISD_SD_SD_SD_EEDaS11_S12_SI_SN_EUlS11_E_NS1_11comp_targetILNS1_3genE3ELNS1_11target_archE908ELNS1_3gpuE7ELNS1_3repE0EEENS1_47radix_sort_onesweep_sort_config_static_selectorELNS0_4arch9wavefront6targetE0EEEvSI_
                                        ; -- End function
	.set _ZN7rocprim17ROCPRIM_400000_NS6detail17trampoline_kernelINS0_14default_configENS1_35radix_sort_onesweep_config_selectorIiiEEZZNS1_29radix_sort_onesweep_iterationIS3_Lb1EN6thrust23THRUST_200600_302600_NS6detail15normal_iteratorINS8_10device_ptrIiEEEESD_SD_SD_jNS0_19identity_decomposerENS1_16block_id_wrapperIjLb1EEEEE10hipError_tT1_PNSt15iterator_traitsISI_E10value_typeET2_T3_PNSJ_ISO_E10value_typeET4_T5_PST_SU_PNS1_23onesweep_lookback_stateEbbT6_jjT7_P12ihipStream_tbENKUlT_T0_SI_SN_E_clISD_SD_SD_SD_EEDaS11_S12_SI_SN_EUlS11_E_NS1_11comp_targetILNS1_3genE3ELNS1_11target_archE908ELNS1_3gpuE7ELNS1_3repE0EEENS1_47radix_sort_onesweep_sort_config_static_selectorELNS0_4arch9wavefront6targetE0EEEvSI_.num_vgpr, 0
	.set _ZN7rocprim17ROCPRIM_400000_NS6detail17trampoline_kernelINS0_14default_configENS1_35radix_sort_onesweep_config_selectorIiiEEZZNS1_29radix_sort_onesweep_iterationIS3_Lb1EN6thrust23THRUST_200600_302600_NS6detail15normal_iteratorINS8_10device_ptrIiEEEESD_SD_SD_jNS0_19identity_decomposerENS1_16block_id_wrapperIjLb1EEEEE10hipError_tT1_PNSt15iterator_traitsISI_E10value_typeET2_T3_PNSJ_ISO_E10value_typeET4_T5_PST_SU_PNS1_23onesweep_lookback_stateEbbT6_jjT7_P12ihipStream_tbENKUlT_T0_SI_SN_E_clISD_SD_SD_SD_EEDaS11_S12_SI_SN_EUlS11_E_NS1_11comp_targetILNS1_3genE3ELNS1_11target_archE908ELNS1_3gpuE7ELNS1_3repE0EEENS1_47radix_sort_onesweep_sort_config_static_selectorELNS0_4arch9wavefront6targetE0EEEvSI_.num_agpr, 0
	.set _ZN7rocprim17ROCPRIM_400000_NS6detail17trampoline_kernelINS0_14default_configENS1_35radix_sort_onesweep_config_selectorIiiEEZZNS1_29radix_sort_onesweep_iterationIS3_Lb1EN6thrust23THRUST_200600_302600_NS6detail15normal_iteratorINS8_10device_ptrIiEEEESD_SD_SD_jNS0_19identity_decomposerENS1_16block_id_wrapperIjLb1EEEEE10hipError_tT1_PNSt15iterator_traitsISI_E10value_typeET2_T3_PNSJ_ISO_E10value_typeET4_T5_PST_SU_PNS1_23onesweep_lookback_stateEbbT6_jjT7_P12ihipStream_tbENKUlT_T0_SI_SN_E_clISD_SD_SD_SD_EEDaS11_S12_SI_SN_EUlS11_E_NS1_11comp_targetILNS1_3genE3ELNS1_11target_archE908ELNS1_3gpuE7ELNS1_3repE0EEENS1_47radix_sort_onesweep_sort_config_static_selectorELNS0_4arch9wavefront6targetE0EEEvSI_.numbered_sgpr, 0
	.set _ZN7rocprim17ROCPRIM_400000_NS6detail17trampoline_kernelINS0_14default_configENS1_35radix_sort_onesweep_config_selectorIiiEEZZNS1_29radix_sort_onesweep_iterationIS3_Lb1EN6thrust23THRUST_200600_302600_NS6detail15normal_iteratorINS8_10device_ptrIiEEEESD_SD_SD_jNS0_19identity_decomposerENS1_16block_id_wrapperIjLb1EEEEE10hipError_tT1_PNSt15iterator_traitsISI_E10value_typeET2_T3_PNSJ_ISO_E10value_typeET4_T5_PST_SU_PNS1_23onesweep_lookback_stateEbbT6_jjT7_P12ihipStream_tbENKUlT_T0_SI_SN_E_clISD_SD_SD_SD_EEDaS11_S12_SI_SN_EUlS11_E_NS1_11comp_targetILNS1_3genE3ELNS1_11target_archE908ELNS1_3gpuE7ELNS1_3repE0EEENS1_47radix_sort_onesweep_sort_config_static_selectorELNS0_4arch9wavefront6targetE0EEEvSI_.num_named_barrier, 0
	.set _ZN7rocprim17ROCPRIM_400000_NS6detail17trampoline_kernelINS0_14default_configENS1_35radix_sort_onesweep_config_selectorIiiEEZZNS1_29radix_sort_onesweep_iterationIS3_Lb1EN6thrust23THRUST_200600_302600_NS6detail15normal_iteratorINS8_10device_ptrIiEEEESD_SD_SD_jNS0_19identity_decomposerENS1_16block_id_wrapperIjLb1EEEEE10hipError_tT1_PNSt15iterator_traitsISI_E10value_typeET2_T3_PNSJ_ISO_E10value_typeET4_T5_PST_SU_PNS1_23onesweep_lookback_stateEbbT6_jjT7_P12ihipStream_tbENKUlT_T0_SI_SN_E_clISD_SD_SD_SD_EEDaS11_S12_SI_SN_EUlS11_E_NS1_11comp_targetILNS1_3genE3ELNS1_11target_archE908ELNS1_3gpuE7ELNS1_3repE0EEENS1_47radix_sort_onesweep_sort_config_static_selectorELNS0_4arch9wavefront6targetE0EEEvSI_.private_seg_size, 0
	.set _ZN7rocprim17ROCPRIM_400000_NS6detail17trampoline_kernelINS0_14default_configENS1_35radix_sort_onesweep_config_selectorIiiEEZZNS1_29radix_sort_onesweep_iterationIS3_Lb1EN6thrust23THRUST_200600_302600_NS6detail15normal_iteratorINS8_10device_ptrIiEEEESD_SD_SD_jNS0_19identity_decomposerENS1_16block_id_wrapperIjLb1EEEEE10hipError_tT1_PNSt15iterator_traitsISI_E10value_typeET2_T3_PNSJ_ISO_E10value_typeET4_T5_PST_SU_PNS1_23onesweep_lookback_stateEbbT6_jjT7_P12ihipStream_tbENKUlT_T0_SI_SN_E_clISD_SD_SD_SD_EEDaS11_S12_SI_SN_EUlS11_E_NS1_11comp_targetILNS1_3genE3ELNS1_11target_archE908ELNS1_3gpuE7ELNS1_3repE0EEENS1_47radix_sort_onesweep_sort_config_static_selectorELNS0_4arch9wavefront6targetE0EEEvSI_.uses_vcc, 0
	.set _ZN7rocprim17ROCPRIM_400000_NS6detail17trampoline_kernelINS0_14default_configENS1_35radix_sort_onesweep_config_selectorIiiEEZZNS1_29radix_sort_onesweep_iterationIS3_Lb1EN6thrust23THRUST_200600_302600_NS6detail15normal_iteratorINS8_10device_ptrIiEEEESD_SD_SD_jNS0_19identity_decomposerENS1_16block_id_wrapperIjLb1EEEEE10hipError_tT1_PNSt15iterator_traitsISI_E10value_typeET2_T3_PNSJ_ISO_E10value_typeET4_T5_PST_SU_PNS1_23onesweep_lookback_stateEbbT6_jjT7_P12ihipStream_tbENKUlT_T0_SI_SN_E_clISD_SD_SD_SD_EEDaS11_S12_SI_SN_EUlS11_E_NS1_11comp_targetILNS1_3genE3ELNS1_11target_archE908ELNS1_3gpuE7ELNS1_3repE0EEENS1_47radix_sort_onesweep_sort_config_static_selectorELNS0_4arch9wavefront6targetE0EEEvSI_.uses_flat_scratch, 0
	.set _ZN7rocprim17ROCPRIM_400000_NS6detail17trampoline_kernelINS0_14default_configENS1_35radix_sort_onesweep_config_selectorIiiEEZZNS1_29radix_sort_onesweep_iterationIS3_Lb1EN6thrust23THRUST_200600_302600_NS6detail15normal_iteratorINS8_10device_ptrIiEEEESD_SD_SD_jNS0_19identity_decomposerENS1_16block_id_wrapperIjLb1EEEEE10hipError_tT1_PNSt15iterator_traitsISI_E10value_typeET2_T3_PNSJ_ISO_E10value_typeET4_T5_PST_SU_PNS1_23onesweep_lookback_stateEbbT6_jjT7_P12ihipStream_tbENKUlT_T0_SI_SN_E_clISD_SD_SD_SD_EEDaS11_S12_SI_SN_EUlS11_E_NS1_11comp_targetILNS1_3genE3ELNS1_11target_archE908ELNS1_3gpuE7ELNS1_3repE0EEENS1_47radix_sort_onesweep_sort_config_static_selectorELNS0_4arch9wavefront6targetE0EEEvSI_.has_dyn_sized_stack, 0
	.set _ZN7rocprim17ROCPRIM_400000_NS6detail17trampoline_kernelINS0_14default_configENS1_35radix_sort_onesweep_config_selectorIiiEEZZNS1_29radix_sort_onesweep_iterationIS3_Lb1EN6thrust23THRUST_200600_302600_NS6detail15normal_iteratorINS8_10device_ptrIiEEEESD_SD_SD_jNS0_19identity_decomposerENS1_16block_id_wrapperIjLb1EEEEE10hipError_tT1_PNSt15iterator_traitsISI_E10value_typeET2_T3_PNSJ_ISO_E10value_typeET4_T5_PST_SU_PNS1_23onesweep_lookback_stateEbbT6_jjT7_P12ihipStream_tbENKUlT_T0_SI_SN_E_clISD_SD_SD_SD_EEDaS11_S12_SI_SN_EUlS11_E_NS1_11comp_targetILNS1_3genE3ELNS1_11target_archE908ELNS1_3gpuE7ELNS1_3repE0EEENS1_47radix_sort_onesweep_sort_config_static_selectorELNS0_4arch9wavefront6targetE0EEEvSI_.has_recursion, 0
	.set _ZN7rocprim17ROCPRIM_400000_NS6detail17trampoline_kernelINS0_14default_configENS1_35radix_sort_onesweep_config_selectorIiiEEZZNS1_29radix_sort_onesweep_iterationIS3_Lb1EN6thrust23THRUST_200600_302600_NS6detail15normal_iteratorINS8_10device_ptrIiEEEESD_SD_SD_jNS0_19identity_decomposerENS1_16block_id_wrapperIjLb1EEEEE10hipError_tT1_PNSt15iterator_traitsISI_E10value_typeET2_T3_PNSJ_ISO_E10value_typeET4_T5_PST_SU_PNS1_23onesweep_lookback_stateEbbT6_jjT7_P12ihipStream_tbENKUlT_T0_SI_SN_E_clISD_SD_SD_SD_EEDaS11_S12_SI_SN_EUlS11_E_NS1_11comp_targetILNS1_3genE3ELNS1_11target_archE908ELNS1_3gpuE7ELNS1_3repE0EEENS1_47radix_sort_onesweep_sort_config_static_selectorELNS0_4arch9wavefront6targetE0EEEvSI_.has_indirect_call, 0
	.section	.AMDGPU.csdata,"",@progbits
; Kernel info:
; codeLenInByte = 0
; TotalNumSgprs: 0
; NumVgprs: 0
; ScratchSize: 0
; MemoryBound: 0
; FloatMode: 240
; IeeeMode: 1
; LDSByteSize: 0 bytes/workgroup (compile time only)
; SGPRBlocks: 0
; VGPRBlocks: 0
; NumSGPRsForWavesPerEU: 1
; NumVGPRsForWavesPerEU: 1
; Occupancy: 16
; WaveLimiterHint : 0
; COMPUTE_PGM_RSRC2:SCRATCH_EN: 0
; COMPUTE_PGM_RSRC2:USER_SGPR: 6
; COMPUTE_PGM_RSRC2:TRAP_HANDLER: 0
; COMPUTE_PGM_RSRC2:TGID_X_EN: 1
; COMPUTE_PGM_RSRC2:TGID_Y_EN: 0
; COMPUTE_PGM_RSRC2:TGID_Z_EN: 0
; COMPUTE_PGM_RSRC2:TIDIG_COMP_CNT: 0
	.section	.text._ZN7rocprim17ROCPRIM_400000_NS6detail17trampoline_kernelINS0_14default_configENS1_35radix_sort_onesweep_config_selectorIiiEEZZNS1_29radix_sort_onesweep_iterationIS3_Lb1EN6thrust23THRUST_200600_302600_NS6detail15normal_iteratorINS8_10device_ptrIiEEEESD_SD_SD_jNS0_19identity_decomposerENS1_16block_id_wrapperIjLb1EEEEE10hipError_tT1_PNSt15iterator_traitsISI_E10value_typeET2_T3_PNSJ_ISO_E10value_typeET4_T5_PST_SU_PNS1_23onesweep_lookback_stateEbbT6_jjT7_P12ihipStream_tbENKUlT_T0_SI_SN_E_clISD_SD_SD_SD_EEDaS11_S12_SI_SN_EUlS11_E_NS1_11comp_targetILNS1_3genE10ELNS1_11target_archE1201ELNS1_3gpuE5ELNS1_3repE0EEENS1_47radix_sort_onesweep_sort_config_static_selectorELNS0_4arch9wavefront6targetE0EEEvSI_,"axG",@progbits,_ZN7rocprim17ROCPRIM_400000_NS6detail17trampoline_kernelINS0_14default_configENS1_35radix_sort_onesweep_config_selectorIiiEEZZNS1_29radix_sort_onesweep_iterationIS3_Lb1EN6thrust23THRUST_200600_302600_NS6detail15normal_iteratorINS8_10device_ptrIiEEEESD_SD_SD_jNS0_19identity_decomposerENS1_16block_id_wrapperIjLb1EEEEE10hipError_tT1_PNSt15iterator_traitsISI_E10value_typeET2_T3_PNSJ_ISO_E10value_typeET4_T5_PST_SU_PNS1_23onesweep_lookback_stateEbbT6_jjT7_P12ihipStream_tbENKUlT_T0_SI_SN_E_clISD_SD_SD_SD_EEDaS11_S12_SI_SN_EUlS11_E_NS1_11comp_targetILNS1_3genE10ELNS1_11target_archE1201ELNS1_3gpuE5ELNS1_3repE0EEENS1_47radix_sort_onesweep_sort_config_static_selectorELNS0_4arch9wavefront6targetE0EEEvSI_,comdat
	.protected	_ZN7rocprim17ROCPRIM_400000_NS6detail17trampoline_kernelINS0_14default_configENS1_35radix_sort_onesweep_config_selectorIiiEEZZNS1_29radix_sort_onesweep_iterationIS3_Lb1EN6thrust23THRUST_200600_302600_NS6detail15normal_iteratorINS8_10device_ptrIiEEEESD_SD_SD_jNS0_19identity_decomposerENS1_16block_id_wrapperIjLb1EEEEE10hipError_tT1_PNSt15iterator_traitsISI_E10value_typeET2_T3_PNSJ_ISO_E10value_typeET4_T5_PST_SU_PNS1_23onesweep_lookback_stateEbbT6_jjT7_P12ihipStream_tbENKUlT_T0_SI_SN_E_clISD_SD_SD_SD_EEDaS11_S12_SI_SN_EUlS11_E_NS1_11comp_targetILNS1_3genE10ELNS1_11target_archE1201ELNS1_3gpuE5ELNS1_3repE0EEENS1_47radix_sort_onesweep_sort_config_static_selectorELNS0_4arch9wavefront6targetE0EEEvSI_ ; -- Begin function _ZN7rocprim17ROCPRIM_400000_NS6detail17trampoline_kernelINS0_14default_configENS1_35radix_sort_onesweep_config_selectorIiiEEZZNS1_29radix_sort_onesweep_iterationIS3_Lb1EN6thrust23THRUST_200600_302600_NS6detail15normal_iteratorINS8_10device_ptrIiEEEESD_SD_SD_jNS0_19identity_decomposerENS1_16block_id_wrapperIjLb1EEEEE10hipError_tT1_PNSt15iterator_traitsISI_E10value_typeET2_T3_PNSJ_ISO_E10value_typeET4_T5_PST_SU_PNS1_23onesweep_lookback_stateEbbT6_jjT7_P12ihipStream_tbENKUlT_T0_SI_SN_E_clISD_SD_SD_SD_EEDaS11_S12_SI_SN_EUlS11_E_NS1_11comp_targetILNS1_3genE10ELNS1_11target_archE1201ELNS1_3gpuE5ELNS1_3repE0EEENS1_47radix_sort_onesweep_sort_config_static_selectorELNS0_4arch9wavefront6targetE0EEEvSI_
	.globl	_ZN7rocprim17ROCPRIM_400000_NS6detail17trampoline_kernelINS0_14default_configENS1_35radix_sort_onesweep_config_selectorIiiEEZZNS1_29radix_sort_onesweep_iterationIS3_Lb1EN6thrust23THRUST_200600_302600_NS6detail15normal_iteratorINS8_10device_ptrIiEEEESD_SD_SD_jNS0_19identity_decomposerENS1_16block_id_wrapperIjLb1EEEEE10hipError_tT1_PNSt15iterator_traitsISI_E10value_typeET2_T3_PNSJ_ISO_E10value_typeET4_T5_PST_SU_PNS1_23onesweep_lookback_stateEbbT6_jjT7_P12ihipStream_tbENKUlT_T0_SI_SN_E_clISD_SD_SD_SD_EEDaS11_S12_SI_SN_EUlS11_E_NS1_11comp_targetILNS1_3genE10ELNS1_11target_archE1201ELNS1_3gpuE5ELNS1_3repE0EEENS1_47radix_sort_onesweep_sort_config_static_selectorELNS0_4arch9wavefront6targetE0EEEvSI_
	.p2align	8
	.type	_ZN7rocprim17ROCPRIM_400000_NS6detail17trampoline_kernelINS0_14default_configENS1_35radix_sort_onesweep_config_selectorIiiEEZZNS1_29radix_sort_onesweep_iterationIS3_Lb1EN6thrust23THRUST_200600_302600_NS6detail15normal_iteratorINS8_10device_ptrIiEEEESD_SD_SD_jNS0_19identity_decomposerENS1_16block_id_wrapperIjLb1EEEEE10hipError_tT1_PNSt15iterator_traitsISI_E10value_typeET2_T3_PNSJ_ISO_E10value_typeET4_T5_PST_SU_PNS1_23onesweep_lookback_stateEbbT6_jjT7_P12ihipStream_tbENKUlT_T0_SI_SN_E_clISD_SD_SD_SD_EEDaS11_S12_SI_SN_EUlS11_E_NS1_11comp_targetILNS1_3genE10ELNS1_11target_archE1201ELNS1_3gpuE5ELNS1_3repE0EEENS1_47radix_sort_onesweep_sort_config_static_selectorELNS0_4arch9wavefront6targetE0EEEvSI_,@function
_ZN7rocprim17ROCPRIM_400000_NS6detail17trampoline_kernelINS0_14default_configENS1_35radix_sort_onesweep_config_selectorIiiEEZZNS1_29radix_sort_onesweep_iterationIS3_Lb1EN6thrust23THRUST_200600_302600_NS6detail15normal_iteratorINS8_10device_ptrIiEEEESD_SD_SD_jNS0_19identity_decomposerENS1_16block_id_wrapperIjLb1EEEEE10hipError_tT1_PNSt15iterator_traitsISI_E10value_typeET2_T3_PNSJ_ISO_E10value_typeET4_T5_PST_SU_PNS1_23onesweep_lookback_stateEbbT6_jjT7_P12ihipStream_tbENKUlT_T0_SI_SN_E_clISD_SD_SD_SD_EEDaS11_S12_SI_SN_EUlS11_E_NS1_11comp_targetILNS1_3genE10ELNS1_11target_archE1201ELNS1_3gpuE5ELNS1_3repE0EEENS1_47radix_sort_onesweep_sort_config_static_selectorELNS0_4arch9wavefront6targetE0EEEvSI_: ; @_ZN7rocprim17ROCPRIM_400000_NS6detail17trampoline_kernelINS0_14default_configENS1_35radix_sort_onesweep_config_selectorIiiEEZZNS1_29radix_sort_onesweep_iterationIS3_Lb1EN6thrust23THRUST_200600_302600_NS6detail15normal_iteratorINS8_10device_ptrIiEEEESD_SD_SD_jNS0_19identity_decomposerENS1_16block_id_wrapperIjLb1EEEEE10hipError_tT1_PNSt15iterator_traitsISI_E10value_typeET2_T3_PNSJ_ISO_E10value_typeET4_T5_PST_SU_PNS1_23onesweep_lookback_stateEbbT6_jjT7_P12ihipStream_tbENKUlT_T0_SI_SN_E_clISD_SD_SD_SD_EEDaS11_S12_SI_SN_EUlS11_E_NS1_11comp_targetILNS1_3genE10ELNS1_11target_archE1201ELNS1_3gpuE5ELNS1_3repE0EEENS1_47radix_sort_onesweep_sort_config_static_selectorELNS0_4arch9wavefront6targetE0EEEvSI_
; %bb.0:
	.section	.rodata,"a",@progbits
	.p2align	6, 0x0
	.amdhsa_kernel _ZN7rocprim17ROCPRIM_400000_NS6detail17trampoline_kernelINS0_14default_configENS1_35radix_sort_onesweep_config_selectorIiiEEZZNS1_29radix_sort_onesweep_iterationIS3_Lb1EN6thrust23THRUST_200600_302600_NS6detail15normal_iteratorINS8_10device_ptrIiEEEESD_SD_SD_jNS0_19identity_decomposerENS1_16block_id_wrapperIjLb1EEEEE10hipError_tT1_PNSt15iterator_traitsISI_E10value_typeET2_T3_PNSJ_ISO_E10value_typeET4_T5_PST_SU_PNS1_23onesweep_lookback_stateEbbT6_jjT7_P12ihipStream_tbENKUlT_T0_SI_SN_E_clISD_SD_SD_SD_EEDaS11_S12_SI_SN_EUlS11_E_NS1_11comp_targetILNS1_3genE10ELNS1_11target_archE1201ELNS1_3gpuE5ELNS1_3repE0EEENS1_47radix_sort_onesweep_sort_config_static_selectorELNS0_4arch9wavefront6targetE0EEEvSI_
		.amdhsa_group_segment_fixed_size 0
		.amdhsa_private_segment_fixed_size 0
		.amdhsa_kernarg_size 88
		.amdhsa_user_sgpr_count 6
		.amdhsa_user_sgpr_private_segment_buffer 1
		.amdhsa_user_sgpr_dispatch_ptr 0
		.amdhsa_user_sgpr_queue_ptr 0
		.amdhsa_user_sgpr_kernarg_segment_ptr 1
		.amdhsa_user_sgpr_dispatch_id 0
		.amdhsa_user_sgpr_flat_scratch_init 0
		.amdhsa_user_sgpr_private_segment_size 0
		.amdhsa_wavefront_size32 1
		.amdhsa_uses_dynamic_stack 0
		.amdhsa_system_sgpr_private_segment_wavefront_offset 0
		.amdhsa_system_sgpr_workgroup_id_x 1
		.amdhsa_system_sgpr_workgroup_id_y 0
		.amdhsa_system_sgpr_workgroup_id_z 0
		.amdhsa_system_sgpr_workgroup_info 0
		.amdhsa_system_vgpr_workitem_id 0
		.amdhsa_next_free_vgpr 1
		.amdhsa_next_free_sgpr 1
		.amdhsa_reserve_vcc 0
		.amdhsa_reserve_flat_scratch 0
		.amdhsa_float_round_mode_32 0
		.amdhsa_float_round_mode_16_64 0
		.amdhsa_float_denorm_mode_32 3
		.amdhsa_float_denorm_mode_16_64 3
		.amdhsa_dx10_clamp 1
		.amdhsa_ieee_mode 1
		.amdhsa_fp16_overflow 0
		.amdhsa_workgroup_processor_mode 1
		.amdhsa_memory_ordered 1
		.amdhsa_forward_progress 1
		.amdhsa_shared_vgpr_count 0
		.amdhsa_exception_fp_ieee_invalid_op 0
		.amdhsa_exception_fp_denorm_src 0
		.amdhsa_exception_fp_ieee_div_zero 0
		.amdhsa_exception_fp_ieee_overflow 0
		.amdhsa_exception_fp_ieee_underflow 0
		.amdhsa_exception_fp_ieee_inexact 0
		.amdhsa_exception_int_div_zero 0
	.end_amdhsa_kernel
	.section	.text._ZN7rocprim17ROCPRIM_400000_NS6detail17trampoline_kernelINS0_14default_configENS1_35radix_sort_onesweep_config_selectorIiiEEZZNS1_29radix_sort_onesweep_iterationIS3_Lb1EN6thrust23THRUST_200600_302600_NS6detail15normal_iteratorINS8_10device_ptrIiEEEESD_SD_SD_jNS0_19identity_decomposerENS1_16block_id_wrapperIjLb1EEEEE10hipError_tT1_PNSt15iterator_traitsISI_E10value_typeET2_T3_PNSJ_ISO_E10value_typeET4_T5_PST_SU_PNS1_23onesweep_lookback_stateEbbT6_jjT7_P12ihipStream_tbENKUlT_T0_SI_SN_E_clISD_SD_SD_SD_EEDaS11_S12_SI_SN_EUlS11_E_NS1_11comp_targetILNS1_3genE10ELNS1_11target_archE1201ELNS1_3gpuE5ELNS1_3repE0EEENS1_47radix_sort_onesweep_sort_config_static_selectorELNS0_4arch9wavefront6targetE0EEEvSI_,"axG",@progbits,_ZN7rocprim17ROCPRIM_400000_NS6detail17trampoline_kernelINS0_14default_configENS1_35radix_sort_onesweep_config_selectorIiiEEZZNS1_29radix_sort_onesweep_iterationIS3_Lb1EN6thrust23THRUST_200600_302600_NS6detail15normal_iteratorINS8_10device_ptrIiEEEESD_SD_SD_jNS0_19identity_decomposerENS1_16block_id_wrapperIjLb1EEEEE10hipError_tT1_PNSt15iterator_traitsISI_E10value_typeET2_T3_PNSJ_ISO_E10value_typeET4_T5_PST_SU_PNS1_23onesweep_lookback_stateEbbT6_jjT7_P12ihipStream_tbENKUlT_T0_SI_SN_E_clISD_SD_SD_SD_EEDaS11_S12_SI_SN_EUlS11_E_NS1_11comp_targetILNS1_3genE10ELNS1_11target_archE1201ELNS1_3gpuE5ELNS1_3repE0EEENS1_47radix_sort_onesweep_sort_config_static_selectorELNS0_4arch9wavefront6targetE0EEEvSI_,comdat
.Lfunc_end1005:
	.size	_ZN7rocprim17ROCPRIM_400000_NS6detail17trampoline_kernelINS0_14default_configENS1_35radix_sort_onesweep_config_selectorIiiEEZZNS1_29radix_sort_onesweep_iterationIS3_Lb1EN6thrust23THRUST_200600_302600_NS6detail15normal_iteratorINS8_10device_ptrIiEEEESD_SD_SD_jNS0_19identity_decomposerENS1_16block_id_wrapperIjLb1EEEEE10hipError_tT1_PNSt15iterator_traitsISI_E10value_typeET2_T3_PNSJ_ISO_E10value_typeET4_T5_PST_SU_PNS1_23onesweep_lookback_stateEbbT6_jjT7_P12ihipStream_tbENKUlT_T0_SI_SN_E_clISD_SD_SD_SD_EEDaS11_S12_SI_SN_EUlS11_E_NS1_11comp_targetILNS1_3genE10ELNS1_11target_archE1201ELNS1_3gpuE5ELNS1_3repE0EEENS1_47radix_sort_onesweep_sort_config_static_selectorELNS0_4arch9wavefront6targetE0EEEvSI_, .Lfunc_end1005-_ZN7rocprim17ROCPRIM_400000_NS6detail17trampoline_kernelINS0_14default_configENS1_35radix_sort_onesweep_config_selectorIiiEEZZNS1_29radix_sort_onesweep_iterationIS3_Lb1EN6thrust23THRUST_200600_302600_NS6detail15normal_iteratorINS8_10device_ptrIiEEEESD_SD_SD_jNS0_19identity_decomposerENS1_16block_id_wrapperIjLb1EEEEE10hipError_tT1_PNSt15iterator_traitsISI_E10value_typeET2_T3_PNSJ_ISO_E10value_typeET4_T5_PST_SU_PNS1_23onesweep_lookback_stateEbbT6_jjT7_P12ihipStream_tbENKUlT_T0_SI_SN_E_clISD_SD_SD_SD_EEDaS11_S12_SI_SN_EUlS11_E_NS1_11comp_targetILNS1_3genE10ELNS1_11target_archE1201ELNS1_3gpuE5ELNS1_3repE0EEENS1_47radix_sort_onesweep_sort_config_static_selectorELNS0_4arch9wavefront6targetE0EEEvSI_
                                        ; -- End function
	.set _ZN7rocprim17ROCPRIM_400000_NS6detail17trampoline_kernelINS0_14default_configENS1_35radix_sort_onesweep_config_selectorIiiEEZZNS1_29radix_sort_onesweep_iterationIS3_Lb1EN6thrust23THRUST_200600_302600_NS6detail15normal_iteratorINS8_10device_ptrIiEEEESD_SD_SD_jNS0_19identity_decomposerENS1_16block_id_wrapperIjLb1EEEEE10hipError_tT1_PNSt15iterator_traitsISI_E10value_typeET2_T3_PNSJ_ISO_E10value_typeET4_T5_PST_SU_PNS1_23onesweep_lookback_stateEbbT6_jjT7_P12ihipStream_tbENKUlT_T0_SI_SN_E_clISD_SD_SD_SD_EEDaS11_S12_SI_SN_EUlS11_E_NS1_11comp_targetILNS1_3genE10ELNS1_11target_archE1201ELNS1_3gpuE5ELNS1_3repE0EEENS1_47radix_sort_onesweep_sort_config_static_selectorELNS0_4arch9wavefront6targetE0EEEvSI_.num_vgpr, 0
	.set _ZN7rocprim17ROCPRIM_400000_NS6detail17trampoline_kernelINS0_14default_configENS1_35radix_sort_onesweep_config_selectorIiiEEZZNS1_29radix_sort_onesweep_iterationIS3_Lb1EN6thrust23THRUST_200600_302600_NS6detail15normal_iteratorINS8_10device_ptrIiEEEESD_SD_SD_jNS0_19identity_decomposerENS1_16block_id_wrapperIjLb1EEEEE10hipError_tT1_PNSt15iterator_traitsISI_E10value_typeET2_T3_PNSJ_ISO_E10value_typeET4_T5_PST_SU_PNS1_23onesweep_lookback_stateEbbT6_jjT7_P12ihipStream_tbENKUlT_T0_SI_SN_E_clISD_SD_SD_SD_EEDaS11_S12_SI_SN_EUlS11_E_NS1_11comp_targetILNS1_3genE10ELNS1_11target_archE1201ELNS1_3gpuE5ELNS1_3repE0EEENS1_47radix_sort_onesweep_sort_config_static_selectorELNS0_4arch9wavefront6targetE0EEEvSI_.num_agpr, 0
	.set _ZN7rocprim17ROCPRIM_400000_NS6detail17trampoline_kernelINS0_14default_configENS1_35radix_sort_onesweep_config_selectorIiiEEZZNS1_29radix_sort_onesweep_iterationIS3_Lb1EN6thrust23THRUST_200600_302600_NS6detail15normal_iteratorINS8_10device_ptrIiEEEESD_SD_SD_jNS0_19identity_decomposerENS1_16block_id_wrapperIjLb1EEEEE10hipError_tT1_PNSt15iterator_traitsISI_E10value_typeET2_T3_PNSJ_ISO_E10value_typeET4_T5_PST_SU_PNS1_23onesweep_lookback_stateEbbT6_jjT7_P12ihipStream_tbENKUlT_T0_SI_SN_E_clISD_SD_SD_SD_EEDaS11_S12_SI_SN_EUlS11_E_NS1_11comp_targetILNS1_3genE10ELNS1_11target_archE1201ELNS1_3gpuE5ELNS1_3repE0EEENS1_47radix_sort_onesweep_sort_config_static_selectorELNS0_4arch9wavefront6targetE0EEEvSI_.numbered_sgpr, 0
	.set _ZN7rocprim17ROCPRIM_400000_NS6detail17trampoline_kernelINS0_14default_configENS1_35radix_sort_onesweep_config_selectorIiiEEZZNS1_29radix_sort_onesweep_iterationIS3_Lb1EN6thrust23THRUST_200600_302600_NS6detail15normal_iteratorINS8_10device_ptrIiEEEESD_SD_SD_jNS0_19identity_decomposerENS1_16block_id_wrapperIjLb1EEEEE10hipError_tT1_PNSt15iterator_traitsISI_E10value_typeET2_T3_PNSJ_ISO_E10value_typeET4_T5_PST_SU_PNS1_23onesweep_lookback_stateEbbT6_jjT7_P12ihipStream_tbENKUlT_T0_SI_SN_E_clISD_SD_SD_SD_EEDaS11_S12_SI_SN_EUlS11_E_NS1_11comp_targetILNS1_3genE10ELNS1_11target_archE1201ELNS1_3gpuE5ELNS1_3repE0EEENS1_47radix_sort_onesweep_sort_config_static_selectorELNS0_4arch9wavefront6targetE0EEEvSI_.num_named_barrier, 0
	.set _ZN7rocprim17ROCPRIM_400000_NS6detail17trampoline_kernelINS0_14default_configENS1_35radix_sort_onesweep_config_selectorIiiEEZZNS1_29radix_sort_onesweep_iterationIS3_Lb1EN6thrust23THRUST_200600_302600_NS6detail15normal_iteratorINS8_10device_ptrIiEEEESD_SD_SD_jNS0_19identity_decomposerENS1_16block_id_wrapperIjLb1EEEEE10hipError_tT1_PNSt15iterator_traitsISI_E10value_typeET2_T3_PNSJ_ISO_E10value_typeET4_T5_PST_SU_PNS1_23onesweep_lookback_stateEbbT6_jjT7_P12ihipStream_tbENKUlT_T0_SI_SN_E_clISD_SD_SD_SD_EEDaS11_S12_SI_SN_EUlS11_E_NS1_11comp_targetILNS1_3genE10ELNS1_11target_archE1201ELNS1_3gpuE5ELNS1_3repE0EEENS1_47radix_sort_onesweep_sort_config_static_selectorELNS0_4arch9wavefront6targetE0EEEvSI_.private_seg_size, 0
	.set _ZN7rocprim17ROCPRIM_400000_NS6detail17trampoline_kernelINS0_14default_configENS1_35radix_sort_onesweep_config_selectorIiiEEZZNS1_29radix_sort_onesweep_iterationIS3_Lb1EN6thrust23THRUST_200600_302600_NS6detail15normal_iteratorINS8_10device_ptrIiEEEESD_SD_SD_jNS0_19identity_decomposerENS1_16block_id_wrapperIjLb1EEEEE10hipError_tT1_PNSt15iterator_traitsISI_E10value_typeET2_T3_PNSJ_ISO_E10value_typeET4_T5_PST_SU_PNS1_23onesweep_lookback_stateEbbT6_jjT7_P12ihipStream_tbENKUlT_T0_SI_SN_E_clISD_SD_SD_SD_EEDaS11_S12_SI_SN_EUlS11_E_NS1_11comp_targetILNS1_3genE10ELNS1_11target_archE1201ELNS1_3gpuE5ELNS1_3repE0EEENS1_47radix_sort_onesweep_sort_config_static_selectorELNS0_4arch9wavefront6targetE0EEEvSI_.uses_vcc, 0
	.set _ZN7rocprim17ROCPRIM_400000_NS6detail17trampoline_kernelINS0_14default_configENS1_35radix_sort_onesweep_config_selectorIiiEEZZNS1_29radix_sort_onesweep_iterationIS3_Lb1EN6thrust23THRUST_200600_302600_NS6detail15normal_iteratorINS8_10device_ptrIiEEEESD_SD_SD_jNS0_19identity_decomposerENS1_16block_id_wrapperIjLb1EEEEE10hipError_tT1_PNSt15iterator_traitsISI_E10value_typeET2_T3_PNSJ_ISO_E10value_typeET4_T5_PST_SU_PNS1_23onesweep_lookback_stateEbbT6_jjT7_P12ihipStream_tbENKUlT_T0_SI_SN_E_clISD_SD_SD_SD_EEDaS11_S12_SI_SN_EUlS11_E_NS1_11comp_targetILNS1_3genE10ELNS1_11target_archE1201ELNS1_3gpuE5ELNS1_3repE0EEENS1_47radix_sort_onesweep_sort_config_static_selectorELNS0_4arch9wavefront6targetE0EEEvSI_.uses_flat_scratch, 0
	.set _ZN7rocprim17ROCPRIM_400000_NS6detail17trampoline_kernelINS0_14default_configENS1_35radix_sort_onesweep_config_selectorIiiEEZZNS1_29radix_sort_onesweep_iterationIS3_Lb1EN6thrust23THRUST_200600_302600_NS6detail15normal_iteratorINS8_10device_ptrIiEEEESD_SD_SD_jNS0_19identity_decomposerENS1_16block_id_wrapperIjLb1EEEEE10hipError_tT1_PNSt15iterator_traitsISI_E10value_typeET2_T3_PNSJ_ISO_E10value_typeET4_T5_PST_SU_PNS1_23onesweep_lookback_stateEbbT6_jjT7_P12ihipStream_tbENKUlT_T0_SI_SN_E_clISD_SD_SD_SD_EEDaS11_S12_SI_SN_EUlS11_E_NS1_11comp_targetILNS1_3genE10ELNS1_11target_archE1201ELNS1_3gpuE5ELNS1_3repE0EEENS1_47radix_sort_onesweep_sort_config_static_selectorELNS0_4arch9wavefront6targetE0EEEvSI_.has_dyn_sized_stack, 0
	.set _ZN7rocprim17ROCPRIM_400000_NS6detail17trampoline_kernelINS0_14default_configENS1_35radix_sort_onesweep_config_selectorIiiEEZZNS1_29radix_sort_onesweep_iterationIS3_Lb1EN6thrust23THRUST_200600_302600_NS6detail15normal_iteratorINS8_10device_ptrIiEEEESD_SD_SD_jNS0_19identity_decomposerENS1_16block_id_wrapperIjLb1EEEEE10hipError_tT1_PNSt15iterator_traitsISI_E10value_typeET2_T3_PNSJ_ISO_E10value_typeET4_T5_PST_SU_PNS1_23onesweep_lookback_stateEbbT6_jjT7_P12ihipStream_tbENKUlT_T0_SI_SN_E_clISD_SD_SD_SD_EEDaS11_S12_SI_SN_EUlS11_E_NS1_11comp_targetILNS1_3genE10ELNS1_11target_archE1201ELNS1_3gpuE5ELNS1_3repE0EEENS1_47radix_sort_onesweep_sort_config_static_selectorELNS0_4arch9wavefront6targetE0EEEvSI_.has_recursion, 0
	.set _ZN7rocprim17ROCPRIM_400000_NS6detail17trampoline_kernelINS0_14default_configENS1_35radix_sort_onesweep_config_selectorIiiEEZZNS1_29radix_sort_onesweep_iterationIS3_Lb1EN6thrust23THRUST_200600_302600_NS6detail15normal_iteratorINS8_10device_ptrIiEEEESD_SD_SD_jNS0_19identity_decomposerENS1_16block_id_wrapperIjLb1EEEEE10hipError_tT1_PNSt15iterator_traitsISI_E10value_typeET2_T3_PNSJ_ISO_E10value_typeET4_T5_PST_SU_PNS1_23onesweep_lookback_stateEbbT6_jjT7_P12ihipStream_tbENKUlT_T0_SI_SN_E_clISD_SD_SD_SD_EEDaS11_S12_SI_SN_EUlS11_E_NS1_11comp_targetILNS1_3genE10ELNS1_11target_archE1201ELNS1_3gpuE5ELNS1_3repE0EEENS1_47radix_sort_onesweep_sort_config_static_selectorELNS0_4arch9wavefront6targetE0EEEvSI_.has_indirect_call, 0
	.section	.AMDGPU.csdata,"",@progbits
; Kernel info:
; codeLenInByte = 0
; TotalNumSgprs: 0
; NumVgprs: 0
; ScratchSize: 0
; MemoryBound: 0
; FloatMode: 240
; IeeeMode: 1
; LDSByteSize: 0 bytes/workgroup (compile time only)
; SGPRBlocks: 0
; VGPRBlocks: 0
; NumSGPRsForWavesPerEU: 1
; NumVGPRsForWavesPerEU: 1
; Occupancy: 16
; WaveLimiterHint : 0
; COMPUTE_PGM_RSRC2:SCRATCH_EN: 0
; COMPUTE_PGM_RSRC2:USER_SGPR: 6
; COMPUTE_PGM_RSRC2:TRAP_HANDLER: 0
; COMPUTE_PGM_RSRC2:TGID_X_EN: 1
; COMPUTE_PGM_RSRC2:TGID_Y_EN: 0
; COMPUTE_PGM_RSRC2:TGID_Z_EN: 0
; COMPUTE_PGM_RSRC2:TIDIG_COMP_CNT: 0
	.section	.text._ZN7rocprim17ROCPRIM_400000_NS6detail17trampoline_kernelINS0_14default_configENS1_35radix_sort_onesweep_config_selectorIiiEEZZNS1_29radix_sort_onesweep_iterationIS3_Lb1EN6thrust23THRUST_200600_302600_NS6detail15normal_iteratorINS8_10device_ptrIiEEEESD_SD_SD_jNS0_19identity_decomposerENS1_16block_id_wrapperIjLb1EEEEE10hipError_tT1_PNSt15iterator_traitsISI_E10value_typeET2_T3_PNSJ_ISO_E10value_typeET4_T5_PST_SU_PNS1_23onesweep_lookback_stateEbbT6_jjT7_P12ihipStream_tbENKUlT_T0_SI_SN_E_clISD_SD_SD_SD_EEDaS11_S12_SI_SN_EUlS11_E_NS1_11comp_targetILNS1_3genE9ELNS1_11target_archE1100ELNS1_3gpuE3ELNS1_3repE0EEENS1_47radix_sort_onesweep_sort_config_static_selectorELNS0_4arch9wavefront6targetE0EEEvSI_,"axG",@progbits,_ZN7rocprim17ROCPRIM_400000_NS6detail17trampoline_kernelINS0_14default_configENS1_35radix_sort_onesweep_config_selectorIiiEEZZNS1_29radix_sort_onesweep_iterationIS3_Lb1EN6thrust23THRUST_200600_302600_NS6detail15normal_iteratorINS8_10device_ptrIiEEEESD_SD_SD_jNS0_19identity_decomposerENS1_16block_id_wrapperIjLb1EEEEE10hipError_tT1_PNSt15iterator_traitsISI_E10value_typeET2_T3_PNSJ_ISO_E10value_typeET4_T5_PST_SU_PNS1_23onesweep_lookback_stateEbbT6_jjT7_P12ihipStream_tbENKUlT_T0_SI_SN_E_clISD_SD_SD_SD_EEDaS11_S12_SI_SN_EUlS11_E_NS1_11comp_targetILNS1_3genE9ELNS1_11target_archE1100ELNS1_3gpuE3ELNS1_3repE0EEENS1_47radix_sort_onesweep_sort_config_static_selectorELNS0_4arch9wavefront6targetE0EEEvSI_,comdat
	.protected	_ZN7rocprim17ROCPRIM_400000_NS6detail17trampoline_kernelINS0_14default_configENS1_35radix_sort_onesweep_config_selectorIiiEEZZNS1_29radix_sort_onesweep_iterationIS3_Lb1EN6thrust23THRUST_200600_302600_NS6detail15normal_iteratorINS8_10device_ptrIiEEEESD_SD_SD_jNS0_19identity_decomposerENS1_16block_id_wrapperIjLb1EEEEE10hipError_tT1_PNSt15iterator_traitsISI_E10value_typeET2_T3_PNSJ_ISO_E10value_typeET4_T5_PST_SU_PNS1_23onesweep_lookback_stateEbbT6_jjT7_P12ihipStream_tbENKUlT_T0_SI_SN_E_clISD_SD_SD_SD_EEDaS11_S12_SI_SN_EUlS11_E_NS1_11comp_targetILNS1_3genE9ELNS1_11target_archE1100ELNS1_3gpuE3ELNS1_3repE0EEENS1_47radix_sort_onesweep_sort_config_static_selectorELNS0_4arch9wavefront6targetE0EEEvSI_ ; -- Begin function _ZN7rocprim17ROCPRIM_400000_NS6detail17trampoline_kernelINS0_14default_configENS1_35radix_sort_onesweep_config_selectorIiiEEZZNS1_29radix_sort_onesweep_iterationIS3_Lb1EN6thrust23THRUST_200600_302600_NS6detail15normal_iteratorINS8_10device_ptrIiEEEESD_SD_SD_jNS0_19identity_decomposerENS1_16block_id_wrapperIjLb1EEEEE10hipError_tT1_PNSt15iterator_traitsISI_E10value_typeET2_T3_PNSJ_ISO_E10value_typeET4_T5_PST_SU_PNS1_23onesweep_lookback_stateEbbT6_jjT7_P12ihipStream_tbENKUlT_T0_SI_SN_E_clISD_SD_SD_SD_EEDaS11_S12_SI_SN_EUlS11_E_NS1_11comp_targetILNS1_3genE9ELNS1_11target_archE1100ELNS1_3gpuE3ELNS1_3repE0EEENS1_47radix_sort_onesweep_sort_config_static_selectorELNS0_4arch9wavefront6targetE0EEEvSI_
	.globl	_ZN7rocprim17ROCPRIM_400000_NS6detail17trampoline_kernelINS0_14default_configENS1_35radix_sort_onesweep_config_selectorIiiEEZZNS1_29radix_sort_onesweep_iterationIS3_Lb1EN6thrust23THRUST_200600_302600_NS6detail15normal_iteratorINS8_10device_ptrIiEEEESD_SD_SD_jNS0_19identity_decomposerENS1_16block_id_wrapperIjLb1EEEEE10hipError_tT1_PNSt15iterator_traitsISI_E10value_typeET2_T3_PNSJ_ISO_E10value_typeET4_T5_PST_SU_PNS1_23onesweep_lookback_stateEbbT6_jjT7_P12ihipStream_tbENKUlT_T0_SI_SN_E_clISD_SD_SD_SD_EEDaS11_S12_SI_SN_EUlS11_E_NS1_11comp_targetILNS1_3genE9ELNS1_11target_archE1100ELNS1_3gpuE3ELNS1_3repE0EEENS1_47radix_sort_onesweep_sort_config_static_selectorELNS0_4arch9wavefront6targetE0EEEvSI_
	.p2align	8
	.type	_ZN7rocprim17ROCPRIM_400000_NS6detail17trampoline_kernelINS0_14default_configENS1_35radix_sort_onesweep_config_selectorIiiEEZZNS1_29radix_sort_onesweep_iterationIS3_Lb1EN6thrust23THRUST_200600_302600_NS6detail15normal_iteratorINS8_10device_ptrIiEEEESD_SD_SD_jNS0_19identity_decomposerENS1_16block_id_wrapperIjLb1EEEEE10hipError_tT1_PNSt15iterator_traitsISI_E10value_typeET2_T3_PNSJ_ISO_E10value_typeET4_T5_PST_SU_PNS1_23onesweep_lookback_stateEbbT6_jjT7_P12ihipStream_tbENKUlT_T0_SI_SN_E_clISD_SD_SD_SD_EEDaS11_S12_SI_SN_EUlS11_E_NS1_11comp_targetILNS1_3genE9ELNS1_11target_archE1100ELNS1_3gpuE3ELNS1_3repE0EEENS1_47radix_sort_onesweep_sort_config_static_selectorELNS0_4arch9wavefront6targetE0EEEvSI_,@function
_ZN7rocprim17ROCPRIM_400000_NS6detail17trampoline_kernelINS0_14default_configENS1_35radix_sort_onesweep_config_selectorIiiEEZZNS1_29radix_sort_onesweep_iterationIS3_Lb1EN6thrust23THRUST_200600_302600_NS6detail15normal_iteratorINS8_10device_ptrIiEEEESD_SD_SD_jNS0_19identity_decomposerENS1_16block_id_wrapperIjLb1EEEEE10hipError_tT1_PNSt15iterator_traitsISI_E10value_typeET2_T3_PNSJ_ISO_E10value_typeET4_T5_PST_SU_PNS1_23onesweep_lookback_stateEbbT6_jjT7_P12ihipStream_tbENKUlT_T0_SI_SN_E_clISD_SD_SD_SD_EEDaS11_S12_SI_SN_EUlS11_E_NS1_11comp_targetILNS1_3genE9ELNS1_11target_archE1100ELNS1_3gpuE3ELNS1_3repE0EEENS1_47radix_sort_onesweep_sort_config_static_selectorELNS0_4arch9wavefront6targetE0EEEvSI_: ; @_ZN7rocprim17ROCPRIM_400000_NS6detail17trampoline_kernelINS0_14default_configENS1_35radix_sort_onesweep_config_selectorIiiEEZZNS1_29radix_sort_onesweep_iterationIS3_Lb1EN6thrust23THRUST_200600_302600_NS6detail15normal_iteratorINS8_10device_ptrIiEEEESD_SD_SD_jNS0_19identity_decomposerENS1_16block_id_wrapperIjLb1EEEEE10hipError_tT1_PNSt15iterator_traitsISI_E10value_typeET2_T3_PNSJ_ISO_E10value_typeET4_T5_PST_SU_PNS1_23onesweep_lookback_stateEbbT6_jjT7_P12ihipStream_tbENKUlT_T0_SI_SN_E_clISD_SD_SD_SD_EEDaS11_S12_SI_SN_EUlS11_E_NS1_11comp_targetILNS1_3genE9ELNS1_11target_archE1100ELNS1_3gpuE3ELNS1_3repE0EEENS1_47radix_sort_onesweep_sort_config_static_selectorELNS0_4arch9wavefront6targetE0EEEvSI_
; %bb.0:
	.section	.rodata,"a",@progbits
	.p2align	6, 0x0
	.amdhsa_kernel _ZN7rocprim17ROCPRIM_400000_NS6detail17trampoline_kernelINS0_14default_configENS1_35radix_sort_onesweep_config_selectorIiiEEZZNS1_29radix_sort_onesweep_iterationIS3_Lb1EN6thrust23THRUST_200600_302600_NS6detail15normal_iteratorINS8_10device_ptrIiEEEESD_SD_SD_jNS0_19identity_decomposerENS1_16block_id_wrapperIjLb1EEEEE10hipError_tT1_PNSt15iterator_traitsISI_E10value_typeET2_T3_PNSJ_ISO_E10value_typeET4_T5_PST_SU_PNS1_23onesweep_lookback_stateEbbT6_jjT7_P12ihipStream_tbENKUlT_T0_SI_SN_E_clISD_SD_SD_SD_EEDaS11_S12_SI_SN_EUlS11_E_NS1_11comp_targetILNS1_3genE9ELNS1_11target_archE1100ELNS1_3gpuE3ELNS1_3repE0EEENS1_47radix_sort_onesweep_sort_config_static_selectorELNS0_4arch9wavefront6targetE0EEEvSI_
		.amdhsa_group_segment_fixed_size 0
		.amdhsa_private_segment_fixed_size 0
		.amdhsa_kernarg_size 88
		.amdhsa_user_sgpr_count 6
		.amdhsa_user_sgpr_private_segment_buffer 1
		.amdhsa_user_sgpr_dispatch_ptr 0
		.amdhsa_user_sgpr_queue_ptr 0
		.amdhsa_user_sgpr_kernarg_segment_ptr 1
		.amdhsa_user_sgpr_dispatch_id 0
		.amdhsa_user_sgpr_flat_scratch_init 0
		.amdhsa_user_sgpr_private_segment_size 0
		.amdhsa_wavefront_size32 1
		.amdhsa_uses_dynamic_stack 0
		.amdhsa_system_sgpr_private_segment_wavefront_offset 0
		.amdhsa_system_sgpr_workgroup_id_x 1
		.amdhsa_system_sgpr_workgroup_id_y 0
		.amdhsa_system_sgpr_workgroup_id_z 0
		.amdhsa_system_sgpr_workgroup_info 0
		.amdhsa_system_vgpr_workitem_id 0
		.amdhsa_next_free_vgpr 1
		.amdhsa_next_free_sgpr 1
		.amdhsa_reserve_vcc 0
		.amdhsa_reserve_flat_scratch 0
		.amdhsa_float_round_mode_32 0
		.amdhsa_float_round_mode_16_64 0
		.amdhsa_float_denorm_mode_32 3
		.amdhsa_float_denorm_mode_16_64 3
		.amdhsa_dx10_clamp 1
		.amdhsa_ieee_mode 1
		.amdhsa_fp16_overflow 0
		.amdhsa_workgroup_processor_mode 1
		.amdhsa_memory_ordered 1
		.amdhsa_forward_progress 1
		.amdhsa_shared_vgpr_count 0
		.amdhsa_exception_fp_ieee_invalid_op 0
		.amdhsa_exception_fp_denorm_src 0
		.amdhsa_exception_fp_ieee_div_zero 0
		.amdhsa_exception_fp_ieee_overflow 0
		.amdhsa_exception_fp_ieee_underflow 0
		.amdhsa_exception_fp_ieee_inexact 0
		.amdhsa_exception_int_div_zero 0
	.end_amdhsa_kernel
	.section	.text._ZN7rocprim17ROCPRIM_400000_NS6detail17trampoline_kernelINS0_14default_configENS1_35radix_sort_onesweep_config_selectorIiiEEZZNS1_29radix_sort_onesweep_iterationIS3_Lb1EN6thrust23THRUST_200600_302600_NS6detail15normal_iteratorINS8_10device_ptrIiEEEESD_SD_SD_jNS0_19identity_decomposerENS1_16block_id_wrapperIjLb1EEEEE10hipError_tT1_PNSt15iterator_traitsISI_E10value_typeET2_T3_PNSJ_ISO_E10value_typeET4_T5_PST_SU_PNS1_23onesweep_lookback_stateEbbT6_jjT7_P12ihipStream_tbENKUlT_T0_SI_SN_E_clISD_SD_SD_SD_EEDaS11_S12_SI_SN_EUlS11_E_NS1_11comp_targetILNS1_3genE9ELNS1_11target_archE1100ELNS1_3gpuE3ELNS1_3repE0EEENS1_47radix_sort_onesweep_sort_config_static_selectorELNS0_4arch9wavefront6targetE0EEEvSI_,"axG",@progbits,_ZN7rocprim17ROCPRIM_400000_NS6detail17trampoline_kernelINS0_14default_configENS1_35radix_sort_onesweep_config_selectorIiiEEZZNS1_29radix_sort_onesweep_iterationIS3_Lb1EN6thrust23THRUST_200600_302600_NS6detail15normal_iteratorINS8_10device_ptrIiEEEESD_SD_SD_jNS0_19identity_decomposerENS1_16block_id_wrapperIjLb1EEEEE10hipError_tT1_PNSt15iterator_traitsISI_E10value_typeET2_T3_PNSJ_ISO_E10value_typeET4_T5_PST_SU_PNS1_23onesweep_lookback_stateEbbT6_jjT7_P12ihipStream_tbENKUlT_T0_SI_SN_E_clISD_SD_SD_SD_EEDaS11_S12_SI_SN_EUlS11_E_NS1_11comp_targetILNS1_3genE9ELNS1_11target_archE1100ELNS1_3gpuE3ELNS1_3repE0EEENS1_47radix_sort_onesweep_sort_config_static_selectorELNS0_4arch9wavefront6targetE0EEEvSI_,comdat
.Lfunc_end1006:
	.size	_ZN7rocprim17ROCPRIM_400000_NS6detail17trampoline_kernelINS0_14default_configENS1_35radix_sort_onesweep_config_selectorIiiEEZZNS1_29radix_sort_onesweep_iterationIS3_Lb1EN6thrust23THRUST_200600_302600_NS6detail15normal_iteratorINS8_10device_ptrIiEEEESD_SD_SD_jNS0_19identity_decomposerENS1_16block_id_wrapperIjLb1EEEEE10hipError_tT1_PNSt15iterator_traitsISI_E10value_typeET2_T3_PNSJ_ISO_E10value_typeET4_T5_PST_SU_PNS1_23onesweep_lookback_stateEbbT6_jjT7_P12ihipStream_tbENKUlT_T0_SI_SN_E_clISD_SD_SD_SD_EEDaS11_S12_SI_SN_EUlS11_E_NS1_11comp_targetILNS1_3genE9ELNS1_11target_archE1100ELNS1_3gpuE3ELNS1_3repE0EEENS1_47radix_sort_onesweep_sort_config_static_selectorELNS0_4arch9wavefront6targetE0EEEvSI_, .Lfunc_end1006-_ZN7rocprim17ROCPRIM_400000_NS6detail17trampoline_kernelINS0_14default_configENS1_35radix_sort_onesweep_config_selectorIiiEEZZNS1_29radix_sort_onesweep_iterationIS3_Lb1EN6thrust23THRUST_200600_302600_NS6detail15normal_iteratorINS8_10device_ptrIiEEEESD_SD_SD_jNS0_19identity_decomposerENS1_16block_id_wrapperIjLb1EEEEE10hipError_tT1_PNSt15iterator_traitsISI_E10value_typeET2_T3_PNSJ_ISO_E10value_typeET4_T5_PST_SU_PNS1_23onesweep_lookback_stateEbbT6_jjT7_P12ihipStream_tbENKUlT_T0_SI_SN_E_clISD_SD_SD_SD_EEDaS11_S12_SI_SN_EUlS11_E_NS1_11comp_targetILNS1_3genE9ELNS1_11target_archE1100ELNS1_3gpuE3ELNS1_3repE0EEENS1_47radix_sort_onesweep_sort_config_static_selectorELNS0_4arch9wavefront6targetE0EEEvSI_
                                        ; -- End function
	.set _ZN7rocprim17ROCPRIM_400000_NS6detail17trampoline_kernelINS0_14default_configENS1_35radix_sort_onesweep_config_selectorIiiEEZZNS1_29radix_sort_onesweep_iterationIS3_Lb1EN6thrust23THRUST_200600_302600_NS6detail15normal_iteratorINS8_10device_ptrIiEEEESD_SD_SD_jNS0_19identity_decomposerENS1_16block_id_wrapperIjLb1EEEEE10hipError_tT1_PNSt15iterator_traitsISI_E10value_typeET2_T3_PNSJ_ISO_E10value_typeET4_T5_PST_SU_PNS1_23onesweep_lookback_stateEbbT6_jjT7_P12ihipStream_tbENKUlT_T0_SI_SN_E_clISD_SD_SD_SD_EEDaS11_S12_SI_SN_EUlS11_E_NS1_11comp_targetILNS1_3genE9ELNS1_11target_archE1100ELNS1_3gpuE3ELNS1_3repE0EEENS1_47radix_sort_onesweep_sort_config_static_selectorELNS0_4arch9wavefront6targetE0EEEvSI_.num_vgpr, 0
	.set _ZN7rocprim17ROCPRIM_400000_NS6detail17trampoline_kernelINS0_14default_configENS1_35radix_sort_onesweep_config_selectorIiiEEZZNS1_29radix_sort_onesweep_iterationIS3_Lb1EN6thrust23THRUST_200600_302600_NS6detail15normal_iteratorINS8_10device_ptrIiEEEESD_SD_SD_jNS0_19identity_decomposerENS1_16block_id_wrapperIjLb1EEEEE10hipError_tT1_PNSt15iterator_traitsISI_E10value_typeET2_T3_PNSJ_ISO_E10value_typeET4_T5_PST_SU_PNS1_23onesweep_lookback_stateEbbT6_jjT7_P12ihipStream_tbENKUlT_T0_SI_SN_E_clISD_SD_SD_SD_EEDaS11_S12_SI_SN_EUlS11_E_NS1_11comp_targetILNS1_3genE9ELNS1_11target_archE1100ELNS1_3gpuE3ELNS1_3repE0EEENS1_47radix_sort_onesweep_sort_config_static_selectorELNS0_4arch9wavefront6targetE0EEEvSI_.num_agpr, 0
	.set _ZN7rocprim17ROCPRIM_400000_NS6detail17trampoline_kernelINS0_14default_configENS1_35radix_sort_onesweep_config_selectorIiiEEZZNS1_29radix_sort_onesweep_iterationIS3_Lb1EN6thrust23THRUST_200600_302600_NS6detail15normal_iteratorINS8_10device_ptrIiEEEESD_SD_SD_jNS0_19identity_decomposerENS1_16block_id_wrapperIjLb1EEEEE10hipError_tT1_PNSt15iterator_traitsISI_E10value_typeET2_T3_PNSJ_ISO_E10value_typeET4_T5_PST_SU_PNS1_23onesweep_lookback_stateEbbT6_jjT7_P12ihipStream_tbENKUlT_T0_SI_SN_E_clISD_SD_SD_SD_EEDaS11_S12_SI_SN_EUlS11_E_NS1_11comp_targetILNS1_3genE9ELNS1_11target_archE1100ELNS1_3gpuE3ELNS1_3repE0EEENS1_47radix_sort_onesweep_sort_config_static_selectorELNS0_4arch9wavefront6targetE0EEEvSI_.numbered_sgpr, 0
	.set _ZN7rocprim17ROCPRIM_400000_NS6detail17trampoline_kernelINS0_14default_configENS1_35radix_sort_onesweep_config_selectorIiiEEZZNS1_29radix_sort_onesweep_iterationIS3_Lb1EN6thrust23THRUST_200600_302600_NS6detail15normal_iteratorINS8_10device_ptrIiEEEESD_SD_SD_jNS0_19identity_decomposerENS1_16block_id_wrapperIjLb1EEEEE10hipError_tT1_PNSt15iterator_traitsISI_E10value_typeET2_T3_PNSJ_ISO_E10value_typeET4_T5_PST_SU_PNS1_23onesweep_lookback_stateEbbT6_jjT7_P12ihipStream_tbENKUlT_T0_SI_SN_E_clISD_SD_SD_SD_EEDaS11_S12_SI_SN_EUlS11_E_NS1_11comp_targetILNS1_3genE9ELNS1_11target_archE1100ELNS1_3gpuE3ELNS1_3repE0EEENS1_47radix_sort_onesweep_sort_config_static_selectorELNS0_4arch9wavefront6targetE0EEEvSI_.num_named_barrier, 0
	.set _ZN7rocprim17ROCPRIM_400000_NS6detail17trampoline_kernelINS0_14default_configENS1_35radix_sort_onesweep_config_selectorIiiEEZZNS1_29radix_sort_onesweep_iterationIS3_Lb1EN6thrust23THRUST_200600_302600_NS6detail15normal_iteratorINS8_10device_ptrIiEEEESD_SD_SD_jNS0_19identity_decomposerENS1_16block_id_wrapperIjLb1EEEEE10hipError_tT1_PNSt15iterator_traitsISI_E10value_typeET2_T3_PNSJ_ISO_E10value_typeET4_T5_PST_SU_PNS1_23onesweep_lookback_stateEbbT6_jjT7_P12ihipStream_tbENKUlT_T0_SI_SN_E_clISD_SD_SD_SD_EEDaS11_S12_SI_SN_EUlS11_E_NS1_11comp_targetILNS1_3genE9ELNS1_11target_archE1100ELNS1_3gpuE3ELNS1_3repE0EEENS1_47radix_sort_onesweep_sort_config_static_selectorELNS0_4arch9wavefront6targetE0EEEvSI_.private_seg_size, 0
	.set _ZN7rocprim17ROCPRIM_400000_NS6detail17trampoline_kernelINS0_14default_configENS1_35radix_sort_onesweep_config_selectorIiiEEZZNS1_29radix_sort_onesweep_iterationIS3_Lb1EN6thrust23THRUST_200600_302600_NS6detail15normal_iteratorINS8_10device_ptrIiEEEESD_SD_SD_jNS0_19identity_decomposerENS1_16block_id_wrapperIjLb1EEEEE10hipError_tT1_PNSt15iterator_traitsISI_E10value_typeET2_T3_PNSJ_ISO_E10value_typeET4_T5_PST_SU_PNS1_23onesweep_lookback_stateEbbT6_jjT7_P12ihipStream_tbENKUlT_T0_SI_SN_E_clISD_SD_SD_SD_EEDaS11_S12_SI_SN_EUlS11_E_NS1_11comp_targetILNS1_3genE9ELNS1_11target_archE1100ELNS1_3gpuE3ELNS1_3repE0EEENS1_47radix_sort_onesweep_sort_config_static_selectorELNS0_4arch9wavefront6targetE0EEEvSI_.uses_vcc, 0
	.set _ZN7rocprim17ROCPRIM_400000_NS6detail17trampoline_kernelINS0_14default_configENS1_35radix_sort_onesweep_config_selectorIiiEEZZNS1_29radix_sort_onesweep_iterationIS3_Lb1EN6thrust23THRUST_200600_302600_NS6detail15normal_iteratorINS8_10device_ptrIiEEEESD_SD_SD_jNS0_19identity_decomposerENS1_16block_id_wrapperIjLb1EEEEE10hipError_tT1_PNSt15iterator_traitsISI_E10value_typeET2_T3_PNSJ_ISO_E10value_typeET4_T5_PST_SU_PNS1_23onesweep_lookback_stateEbbT6_jjT7_P12ihipStream_tbENKUlT_T0_SI_SN_E_clISD_SD_SD_SD_EEDaS11_S12_SI_SN_EUlS11_E_NS1_11comp_targetILNS1_3genE9ELNS1_11target_archE1100ELNS1_3gpuE3ELNS1_3repE0EEENS1_47radix_sort_onesweep_sort_config_static_selectorELNS0_4arch9wavefront6targetE0EEEvSI_.uses_flat_scratch, 0
	.set _ZN7rocprim17ROCPRIM_400000_NS6detail17trampoline_kernelINS0_14default_configENS1_35radix_sort_onesweep_config_selectorIiiEEZZNS1_29radix_sort_onesweep_iterationIS3_Lb1EN6thrust23THRUST_200600_302600_NS6detail15normal_iteratorINS8_10device_ptrIiEEEESD_SD_SD_jNS0_19identity_decomposerENS1_16block_id_wrapperIjLb1EEEEE10hipError_tT1_PNSt15iterator_traitsISI_E10value_typeET2_T3_PNSJ_ISO_E10value_typeET4_T5_PST_SU_PNS1_23onesweep_lookback_stateEbbT6_jjT7_P12ihipStream_tbENKUlT_T0_SI_SN_E_clISD_SD_SD_SD_EEDaS11_S12_SI_SN_EUlS11_E_NS1_11comp_targetILNS1_3genE9ELNS1_11target_archE1100ELNS1_3gpuE3ELNS1_3repE0EEENS1_47radix_sort_onesweep_sort_config_static_selectorELNS0_4arch9wavefront6targetE0EEEvSI_.has_dyn_sized_stack, 0
	.set _ZN7rocprim17ROCPRIM_400000_NS6detail17trampoline_kernelINS0_14default_configENS1_35radix_sort_onesweep_config_selectorIiiEEZZNS1_29radix_sort_onesweep_iterationIS3_Lb1EN6thrust23THRUST_200600_302600_NS6detail15normal_iteratorINS8_10device_ptrIiEEEESD_SD_SD_jNS0_19identity_decomposerENS1_16block_id_wrapperIjLb1EEEEE10hipError_tT1_PNSt15iterator_traitsISI_E10value_typeET2_T3_PNSJ_ISO_E10value_typeET4_T5_PST_SU_PNS1_23onesweep_lookback_stateEbbT6_jjT7_P12ihipStream_tbENKUlT_T0_SI_SN_E_clISD_SD_SD_SD_EEDaS11_S12_SI_SN_EUlS11_E_NS1_11comp_targetILNS1_3genE9ELNS1_11target_archE1100ELNS1_3gpuE3ELNS1_3repE0EEENS1_47radix_sort_onesweep_sort_config_static_selectorELNS0_4arch9wavefront6targetE0EEEvSI_.has_recursion, 0
	.set _ZN7rocprim17ROCPRIM_400000_NS6detail17trampoline_kernelINS0_14default_configENS1_35radix_sort_onesweep_config_selectorIiiEEZZNS1_29radix_sort_onesweep_iterationIS3_Lb1EN6thrust23THRUST_200600_302600_NS6detail15normal_iteratorINS8_10device_ptrIiEEEESD_SD_SD_jNS0_19identity_decomposerENS1_16block_id_wrapperIjLb1EEEEE10hipError_tT1_PNSt15iterator_traitsISI_E10value_typeET2_T3_PNSJ_ISO_E10value_typeET4_T5_PST_SU_PNS1_23onesweep_lookback_stateEbbT6_jjT7_P12ihipStream_tbENKUlT_T0_SI_SN_E_clISD_SD_SD_SD_EEDaS11_S12_SI_SN_EUlS11_E_NS1_11comp_targetILNS1_3genE9ELNS1_11target_archE1100ELNS1_3gpuE3ELNS1_3repE0EEENS1_47radix_sort_onesweep_sort_config_static_selectorELNS0_4arch9wavefront6targetE0EEEvSI_.has_indirect_call, 0
	.section	.AMDGPU.csdata,"",@progbits
; Kernel info:
; codeLenInByte = 0
; TotalNumSgprs: 0
; NumVgprs: 0
; ScratchSize: 0
; MemoryBound: 0
; FloatMode: 240
; IeeeMode: 1
; LDSByteSize: 0 bytes/workgroup (compile time only)
; SGPRBlocks: 0
; VGPRBlocks: 0
; NumSGPRsForWavesPerEU: 1
; NumVGPRsForWavesPerEU: 1
; Occupancy: 16
; WaveLimiterHint : 0
; COMPUTE_PGM_RSRC2:SCRATCH_EN: 0
; COMPUTE_PGM_RSRC2:USER_SGPR: 6
; COMPUTE_PGM_RSRC2:TRAP_HANDLER: 0
; COMPUTE_PGM_RSRC2:TGID_X_EN: 1
; COMPUTE_PGM_RSRC2:TGID_Y_EN: 0
; COMPUTE_PGM_RSRC2:TGID_Z_EN: 0
; COMPUTE_PGM_RSRC2:TIDIG_COMP_CNT: 0
	.section	.text._ZN7rocprim17ROCPRIM_400000_NS6detail17trampoline_kernelINS0_14default_configENS1_35radix_sort_onesweep_config_selectorIiiEEZZNS1_29radix_sort_onesweep_iterationIS3_Lb1EN6thrust23THRUST_200600_302600_NS6detail15normal_iteratorINS8_10device_ptrIiEEEESD_SD_SD_jNS0_19identity_decomposerENS1_16block_id_wrapperIjLb1EEEEE10hipError_tT1_PNSt15iterator_traitsISI_E10value_typeET2_T3_PNSJ_ISO_E10value_typeET4_T5_PST_SU_PNS1_23onesweep_lookback_stateEbbT6_jjT7_P12ihipStream_tbENKUlT_T0_SI_SN_E_clISD_SD_SD_SD_EEDaS11_S12_SI_SN_EUlS11_E_NS1_11comp_targetILNS1_3genE8ELNS1_11target_archE1030ELNS1_3gpuE2ELNS1_3repE0EEENS1_47radix_sort_onesweep_sort_config_static_selectorELNS0_4arch9wavefront6targetE0EEEvSI_,"axG",@progbits,_ZN7rocprim17ROCPRIM_400000_NS6detail17trampoline_kernelINS0_14default_configENS1_35radix_sort_onesweep_config_selectorIiiEEZZNS1_29radix_sort_onesweep_iterationIS3_Lb1EN6thrust23THRUST_200600_302600_NS6detail15normal_iteratorINS8_10device_ptrIiEEEESD_SD_SD_jNS0_19identity_decomposerENS1_16block_id_wrapperIjLb1EEEEE10hipError_tT1_PNSt15iterator_traitsISI_E10value_typeET2_T3_PNSJ_ISO_E10value_typeET4_T5_PST_SU_PNS1_23onesweep_lookback_stateEbbT6_jjT7_P12ihipStream_tbENKUlT_T0_SI_SN_E_clISD_SD_SD_SD_EEDaS11_S12_SI_SN_EUlS11_E_NS1_11comp_targetILNS1_3genE8ELNS1_11target_archE1030ELNS1_3gpuE2ELNS1_3repE0EEENS1_47radix_sort_onesweep_sort_config_static_selectorELNS0_4arch9wavefront6targetE0EEEvSI_,comdat
	.protected	_ZN7rocprim17ROCPRIM_400000_NS6detail17trampoline_kernelINS0_14default_configENS1_35radix_sort_onesweep_config_selectorIiiEEZZNS1_29radix_sort_onesweep_iterationIS3_Lb1EN6thrust23THRUST_200600_302600_NS6detail15normal_iteratorINS8_10device_ptrIiEEEESD_SD_SD_jNS0_19identity_decomposerENS1_16block_id_wrapperIjLb1EEEEE10hipError_tT1_PNSt15iterator_traitsISI_E10value_typeET2_T3_PNSJ_ISO_E10value_typeET4_T5_PST_SU_PNS1_23onesweep_lookback_stateEbbT6_jjT7_P12ihipStream_tbENKUlT_T0_SI_SN_E_clISD_SD_SD_SD_EEDaS11_S12_SI_SN_EUlS11_E_NS1_11comp_targetILNS1_3genE8ELNS1_11target_archE1030ELNS1_3gpuE2ELNS1_3repE0EEENS1_47radix_sort_onesweep_sort_config_static_selectorELNS0_4arch9wavefront6targetE0EEEvSI_ ; -- Begin function _ZN7rocprim17ROCPRIM_400000_NS6detail17trampoline_kernelINS0_14default_configENS1_35radix_sort_onesweep_config_selectorIiiEEZZNS1_29radix_sort_onesweep_iterationIS3_Lb1EN6thrust23THRUST_200600_302600_NS6detail15normal_iteratorINS8_10device_ptrIiEEEESD_SD_SD_jNS0_19identity_decomposerENS1_16block_id_wrapperIjLb1EEEEE10hipError_tT1_PNSt15iterator_traitsISI_E10value_typeET2_T3_PNSJ_ISO_E10value_typeET4_T5_PST_SU_PNS1_23onesweep_lookback_stateEbbT6_jjT7_P12ihipStream_tbENKUlT_T0_SI_SN_E_clISD_SD_SD_SD_EEDaS11_S12_SI_SN_EUlS11_E_NS1_11comp_targetILNS1_3genE8ELNS1_11target_archE1030ELNS1_3gpuE2ELNS1_3repE0EEENS1_47radix_sort_onesweep_sort_config_static_selectorELNS0_4arch9wavefront6targetE0EEEvSI_
	.globl	_ZN7rocprim17ROCPRIM_400000_NS6detail17trampoline_kernelINS0_14default_configENS1_35radix_sort_onesweep_config_selectorIiiEEZZNS1_29radix_sort_onesweep_iterationIS3_Lb1EN6thrust23THRUST_200600_302600_NS6detail15normal_iteratorINS8_10device_ptrIiEEEESD_SD_SD_jNS0_19identity_decomposerENS1_16block_id_wrapperIjLb1EEEEE10hipError_tT1_PNSt15iterator_traitsISI_E10value_typeET2_T3_PNSJ_ISO_E10value_typeET4_T5_PST_SU_PNS1_23onesweep_lookback_stateEbbT6_jjT7_P12ihipStream_tbENKUlT_T0_SI_SN_E_clISD_SD_SD_SD_EEDaS11_S12_SI_SN_EUlS11_E_NS1_11comp_targetILNS1_3genE8ELNS1_11target_archE1030ELNS1_3gpuE2ELNS1_3repE0EEENS1_47radix_sort_onesweep_sort_config_static_selectorELNS0_4arch9wavefront6targetE0EEEvSI_
	.p2align	8
	.type	_ZN7rocprim17ROCPRIM_400000_NS6detail17trampoline_kernelINS0_14default_configENS1_35radix_sort_onesweep_config_selectorIiiEEZZNS1_29radix_sort_onesweep_iterationIS3_Lb1EN6thrust23THRUST_200600_302600_NS6detail15normal_iteratorINS8_10device_ptrIiEEEESD_SD_SD_jNS0_19identity_decomposerENS1_16block_id_wrapperIjLb1EEEEE10hipError_tT1_PNSt15iterator_traitsISI_E10value_typeET2_T3_PNSJ_ISO_E10value_typeET4_T5_PST_SU_PNS1_23onesweep_lookback_stateEbbT6_jjT7_P12ihipStream_tbENKUlT_T0_SI_SN_E_clISD_SD_SD_SD_EEDaS11_S12_SI_SN_EUlS11_E_NS1_11comp_targetILNS1_3genE8ELNS1_11target_archE1030ELNS1_3gpuE2ELNS1_3repE0EEENS1_47radix_sort_onesweep_sort_config_static_selectorELNS0_4arch9wavefront6targetE0EEEvSI_,@function
_ZN7rocprim17ROCPRIM_400000_NS6detail17trampoline_kernelINS0_14default_configENS1_35radix_sort_onesweep_config_selectorIiiEEZZNS1_29radix_sort_onesweep_iterationIS3_Lb1EN6thrust23THRUST_200600_302600_NS6detail15normal_iteratorINS8_10device_ptrIiEEEESD_SD_SD_jNS0_19identity_decomposerENS1_16block_id_wrapperIjLb1EEEEE10hipError_tT1_PNSt15iterator_traitsISI_E10value_typeET2_T3_PNSJ_ISO_E10value_typeET4_T5_PST_SU_PNS1_23onesweep_lookback_stateEbbT6_jjT7_P12ihipStream_tbENKUlT_T0_SI_SN_E_clISD_SD_SD_SD_EEDaS11_S12_SI_SN_EUlS11_E_NS1_11comp_targetILNS1_3genE8ELNS1_11target_archE1030ELNS1_3gpuE2ELNS1_3repE0EEENS1_47radix_sort_onesweep_sort_config_static_selectorELNS0_4arch9wavefront6targetE0EEEvSI_: ; @_ZN7rocprim17ROCPRIM_400000_NS6detail17trampoline_kernelINS0_14default_configENS1_35radix_sort_onesweep_config_selectorIiiEEZZNS1_29radix_sort_onesweep_iterationIS3_Lb1EN6thrust23THRUST_200600_302600_NS6detail15normal_iteratorINS8_10device_ptrIiEEEESD_SD_SD_jNS0_19identity_decomposerENS1_16block_id_wrapperIjLb1EEEEE10hipError_tT1_PNSt15iterator_traitsISI_E10value_typeET2_T3_PNSJ_ISO_E10value_typeET4_T5_PST_SU_PNS1_23onesweep_lookback_stateEbbT6_jjT7_P12ihipStream_tbENKUlT_T0_SI_SN_E_clISD_SD_SD_SD_EEDaS11_S12_SI_SN_EUlS11_E_NS1_11comp_targetILNS1_3genE8ELNS1_11target_archE1030ELNS1_3gpuE2ELNS1_3repE0EEENS1_47radix_sort_onesweep_sort_config_static_selectorELNS0_4arch9wavefront6targetE0EEEvSI_
; %bb.0:
	s_clause 0x2
	s_load_dwordx4 s[28:31], s[4:5], 0x28
	s_load_dwordx2 s[26:27], s[4:5], 0x38
	s_load_dwordx4 s[44:47], s[4:5], 0x44
	s_add_u32 s0, s0, s7
	v_cmp_eq_u32_e64 s7, 0, v0
	s_addc_u32 s1, s1, 0
	s_and_saveexec_b32 s8, s7
	s_cbranch_execz .LBB1007_4
; %bb.1:
	s_mov_b32 s10, exec_lo
	s_mov_b32 s9, exec_lo
	v_mbcnt_lo_u32_b32 v3, s10, 0
                                        ; implicit-def: $vgpr4
	v_cmpx_eq_u32_e32 0, v3
	s_cbranch_execz .LBB1007_3
; %bb.2:
	s_load_dwordx2 s[12:13], s[4:5], 0x50
	s_bcnt1_i32_b32 s10, s10
	v_mov_b32_e32 v4, 0
	v_mov_b32_e32 v5, s10
	s_waitcnt lgkmcnt(0)
	global_atomic_add v4, v4, v5, s[12:13] glc
.LBB1007_3:
	s_or_b32 exec_lo, exec_lo, s9
	s_waitcnt vmcnt(0)
	v_readfirstlane_b32 s9, v4
	v_mov_b32_e32 v4, 0
	v_add_nc_u32_e32 v3, s9, v3
	ds_write_b32 v4, v3 offset:36992
.LBB1007_4:
	s_or_b32 exec_lo, exec_lo, s8
	v_mov_b32_e32 v3, 0
	s_clause 0x1
	s_load_dwordx8 s[36:43], s[4:5], 0x0
	s_load_dword s8, s[4:5], 0x20
	s_waitcnt lgkmcnt(0)
	s_barrier
	buffer_gl0_inv
	ds_read_b32 v3, v3 offset:36992
	v_mbcnt_lo_u32_b32 v11, -1, 0
	v_and_b32_e32 v12, 0x3e0, v0
	s_mov_b32 s9, -1
	s_waitcnt lgkmcnt(0)
	s_barrier
	buffer_gl0_inv
	v_readfirstlane_b32 s33, v3
	v_cmp_le_u32_e32 vcc_lo, s46, v3
	s_mul_i32 s34, s33, 0x3000
	s_cbranch_vccz .LBB1007_136
; %bb.5:
	s_mov_b32 s35, 0
	s_mul_i32 s48, s46, 0xffffd000
	v_mul_u32_u24_e32 v3, 12, v12
	v_lshlrev_b32_e32 v13, 2, v11
	s_lshl_b64 s[46:47], s[34:35], 2
	s_add_i32 s48, s48, s8
	s_add_u32 s8, s36, s46
	s_addc_u32 s9, s37, s47
	v_lshlrev_b32_e32 v14, 2, v3
	v_add_co_u32 v4, s8, s8, v13
	v_add_co_ci_u32_e64 v6, null, s9, 0, s8
	v_or_b32_e32 v5, v11, v3
	v_add_co_u32 v3, vcc_lo, v4, v14
	v_mov_b32_e32 v15, -1
	v_add_co_ci_u32_e64 v4, null, 0, v6, vcc_lo
	v_cmp_gt_u32_e64 s8, s48, v5
	v_mov_b32_e32 v16, -1
	s_and_saveexec_b32 s9, s8
	s_cbranch_execz .LBB1007_7
; %bb.6:
	global_load_dword v6, v[3:4], off
	s_waitcnt vmcnt(0)
	v_xor_b32_e32 v16, 0x7fffffff, v6
.LBB1007_7:
	s_or_b32 exec_lo, exec_lo, s9
	v_or_b32_e32 v6, 32, v5
	v_cmp_gt_u32_e64 s9, s48, v6
	s_and_saveexec_b32 s10, s9
	s_cbranch_execz .LBB1007_9
; %bb.8:
	global_load_dword v6, v[3:4], off offset:128
	s_waitcnt vmcnt(0)
	v_xor_b32_e32 v15, 0x7fffffff, v6
.LBB1007_9:
	s_or_b32 exec_lo, exec_lo, s10
	v_or_b32_e32 v6, 64, v5
	v_mov_b32_e32 v17, -1
	v_mov_b32_e32 v18, -1
	v_cmp_gt_u32_e64 s10, s48, v6
	s_and_saveexec_b32 s11, s10
	s_cbranch_execz .LBB1007_11
; %bb.10:
	global_load_dword v6, v[3:4], off offset:256
	s_waitcnt vmcnt(0)
	v_xor_b32_e32 v18, 0x7fffffff, v6
.LBB1007_11:
	s_or_b32 exec_lo, exec_lo, s11
	v_or_b32_e32 v6, 0x60, v5
	v_cmp_gt_u32_e64 s11, s48, v6
	s_and_saveexec_b32 s12, s11
	s_cbranch_execz .LBB1007_13
; %bb.12:
	global_load_dword v6, v[3:4], off offset:384
	s_waitcnt vmcnt(0)
	v_xor_b32_e32 v17, 0x7fffffff, v6
.LBB1007_13:
	s_or_b32 exec_lo, exec_lo, s12
	v_add_nc_u32_e32 v6, 0x80, v5
	v_mov_b32_e32 v19, -1
	v_mov_b32_e32 v20, -1
	v_cmp_gt_u32_e64 s12, s48, v6
	s_and_saveexec_b32 s13, s12
	s_cbranch_execz .LBB1007_15
; %bb.14:
	global_load_dword v6, v[3:4], off offset:512
	s_waitcnt vmcnt(0)
	v_xor_b32_e32 v20, 0x7fffffff, v6
.LBB1007_15:
	s_or_b32 exec_lo, exec_lo, s13
	v_add_nc_u32_e32 v6, 0xa0, v5
	v_cmp_gt_u32_e64 s13, s48, v6
	s_and_saveexec_b32 s14, s13
	s_cbranch_execz .LBB1007_17
; %bb.16:
	global_load_dword v6, v[3:4], off offset:640
	s_waitcnt vmcnt(0)
	v_xor_b32_e32 v19, 0x7fffffff, v6
.LBB1007_17:
	s_or_b32 exec_lo, exec_lo, s14
	v_add_nc_u32_e32 v6, 0xc0, v5
	v_mov_b32_e32 v21, -1
	v_mov_b32_e32 v22, -1
	v_cmp_gt_u32_e64 s14, s48, v6
	s_and_saveexec_b32 s15, s14
	s_cbranch_execz .LBB1007_19
; %bb.18:
	global_load_dword v6, v[3:4], off offset:768
	s_waitcnt vmcnt(0)
	v_xor_b32_e32 v22, 0x7fffffff, v6
.LBB1007_19:
	s_or_b32 exec_lo, exec_lo, s15
	v_add_nc_u32_e32 v6, 0xe0, v5
	;; [unrolled: 22-line block ×4, first 2 shown]
	v_cmp_gt_u32_e64 s19, s48, v5
	s_and_saveexec_b32 s20, s19
	s_cbranch_execz .LBB1007_29
; %bb.28:
	global_load_dword v3, v[3:4], off offset:1408
	s_waitcnt vmcnt(0)
	v_xor_b32_e32 v25, 0x7fffffff, v3
.LBB1007_29:
	s_or_b32 exec_lo, exec_lo, s20
	s_clause 0x1
	s_load_dword s20, s[4:5], 0x64
	s_load_dword s35, s[4:5], 0x58
	s_add_u32 s21, s4, 0x58
	s_addc_u32 s22, s5, 0
	v_mov_b32_e32 v5, 0
	v_lshrrev_b32_e32 v4, s44, v16
	s_waitcnt lgkmcnt(0)
	s_lshr_b32 s23, s20, 16
	s_cmp_lt_u32 s6, s35
	s_cselect_b32 s20, 12, 18
	s_add_u32 s20, s21, s20
	s_addc_u32 s21, s22, 0
	global_load_ushort v3, v5, s[20:21]
	s_lshl_b32 s20, -1, s45
	s_not_b32 s49, s20
	v_and_b32_e32 v6, s49, v4
	v_and_b32_e32 v4, 1, v6
	v_lshlrev_b32_e32 v7, 30, v6
	v_lshlrev_b32_e32 v8, 29, v6
	;; [unrolled: 1-line block ×4, first 2 shown]
	v_add_co_u32 v4, s20, v4, -1
	v_cndmask_b32_e64 v10, 0, 1, s20
	v_not_b32_e32 v30, v7
	v_cmp_gt_i32_e64 s20, 0, v7
	v_not_b32_e32 v7, v8
	v_lshlrev_b32_e32 v28, 26, v6
	v_cmp_ne_u32_e32 vcc_lo, 0, v10
	v_ashrrev_i32_e32 v30, 31, v30
	v_lshlrev_b32_e32 v29, 25, v6
	v_ashrrev_i32_e32 v7, 31, v7
	v_lshlrev_b32_e32 v10, 24, v6
	v_xor_b32_e32 v4, vcc_lo, v4
	v_cmp_gt_i32_e32 vcc_lo, 0, v8
	v_not_b32_e32 v8, v9
	v_xor_b32_e32 v30, s20, v30
	v_cmp_gt_i32_e64 s20, 0, v9
	v_and_b32_e32 v4, exec_lo, v4
	v_not_b32_e32 v9, v27
	v_ashrrev_i32_e32 v8, 31, v8
	v_xor_b32_e32 v7, vcc_lo, v7
	v_cmp_gt_i32_e32 vcc_lo, 0, v27
	v_and_b32_e32 v4, v4, v30
	v_not_b32_e32 v27, v28
	v_ashrrev_i32_e32 v9, 31, v9
	v_xor_b32_e32 v8, s20, v8
	v_cmp_gt_i32_e64 s20, 0, v28
	v_and_b32_e32 v4, v4, v7
	v_not_b32_e32 v7, v29
	v_ashrrev_i32_e32 v27, 31, v27
	v_xor_b32_e32 v9, vcc_lo, v9
	v_cmp_gt_i32_e32 vcc_lo, 0, v29
	v_and_b32_e32 v4, v4, v8
	v_not_b32_e32 v8, v10
	v_ashrrev_i32_e32 v7, 31, v7
	v_xor_b32_e32 v27, s20, v27
	v_cmp_gt_i32_e64 s20, 0, v10
	v_and_b32_e32 v4, v4, v9
	v_ashrrev_i32_e32 v8, 31, v8
	v_xor_b32_e32 v7, vcc_lo, v7
	v_mad_u32_u24 v9, v2, s23, v1
	v_mul_lo_u32 v6, 0x84, v6
	v_and_b32_e32 v4, v4, v27
	v_xor_b32_e32 v8, s20, v8
	v_mul_u32_u24_e32 v30, 36, v0
	ds_write2_b32 v30, v5, v5 offset0:32 offset1:33
	ds_write2_b32 v30, v5, v5 offset0:34 offset1:35
	;; [unrolled: 1-line block ×3, first 2 shown]
	v_and_b32_e32 v7, v4, v7
	ds_write2_b32 v30, v5, v5 offset0:38 offset1:39
	ds_write_b32 v30, v5 offset:160
	s_waitcnt vmcnt(0) lgkmcnt(0)
	s_barrier
	buffer_gl0_inv
	; wave barrier
	v_mad_u64_u32 v[3:4], null, v9, v3, v[0:1]
	v_and_b32_e32 v4, v7, v8
	v_mbcnt_lo_u32_b32 v27, v4, 0
	v_lshrrev_b32_e32 v3, 5, v3
	v_cmp_ne_u32_e64 s20, 0, v4
	v_cmp_eq_u32_e32 vcc_lo, 0, v27
	v_lshl_add_u32 v31, v3, 2, v6
	s_and_b32 s21, s20, vcc_lo
	s_and_saveexec_b32 s20, s21
; %bb.30:
	v_bcnt_u32_b32 v4, v4, 0
	ds_write_b32 v31, v4 offset:128
; %bb.31:
	s_or_b32 exec_lo, exec_lo, s20
	v_lshrrev_b32_e32 v4, s44, v15
	; wave barrier
	v_and_b32_e32 v4, s49, v4
	v_and_b32_e32 v6, 1, v4
	v_lshlrev_b32_e32 v7, 30, v4
	v_lshlrev_b32_e32 v8, 29, v4
	;; [unrolled: 1-line block ×4, first 2 shown]
	v_add_co_u32 v6, s20, v6, -1
	v_cndmask_b32_e64 v10, 0, 1, s20
	v_not_b32_e32 v33, v7
	v_cmp_gt_i32_e64 s20, 0, v7
	v_not_b32_e32 v7, v8
	v_lshlrev_b32_e32 v29, 26, v4
	v_cmp_ne_u32_e32 vcc_lo, 0, v10
	v_ashrrev_i32_e32 v10, 31, v33
	v_lshlrev_b32_e32 v32, 25, v4
	v_ashrrev_i32_e32 v7, 31, v7
	v_mul_lo_u32 v5, 0x84, v4
	v_xor_b32_e32 v6, vcc_lo, v6
	v_cmp_gt_i32_e32 vcc_lo, 0, v8
	v_not_b32_e32 v8, v9
	v_xor_b32_e32 v10, s20, v10
	v_cmp_gt_i32_e64 s20, 0, v9
	v_and_b32_e32 v6, exec_lo, v6
	v_not_b32_e32 v9, v28
	v_ashrrev_i32_e32 v8, 31, v8
	v_xor_b32_e32 v7, vcc_lo, v7
	v_cmp_gt_i32_e32 vcc_lo, 0, v28
	v_and_b32_e32 v6, v6, v10
	v_not_b32_e32 v10, v29
	v_ashrrev_i32_e32 v9, 31, v9
	v_xor_b32_e32 v8, s20, v8
	v_lshlrev_b32_e32 v4, 24, v4
	v_and_b32_e32 v6, v6, v7
	v_cmp_gt_i32_e64 s20, 0, v29
	v_not_b32_e32 v7, v32
	v_ashrrev_i32_e32 v10, 31, v10
	v_xor_b32_e32 v9, vcc_lo, v9
	v_and_b32_e32 v6, v6, v8
	v_cmp_gt_i32_e32 vcc_lo, 0, v32
	v_not_b32_e32 v8, v4
	v_ashrrev_i32_e32 v7, 31, v7
	v_xor_b32_e32 v10, s20, v10
	v_and_b32_e32 v6, v6, v9
	v_cmp_gt_i32_e64 s20, 0, v4
	v_ashrrev_i32_e32 v4, 31, v8
	v_xor_b32_e32 v7, vcc_lo, v7
	v_lshl_add_u32 v34, v3, 2, v5
	v_and_b32_e32 v6, v6, v10
	v_xor_b32_e32 v4, s20, v4
	ds_read_b32 v28, v34 offset:128
	v_and_b32_e32 v5, v6, v7
	; wave barrier
	v_and_b32_e32 v4, v5, v4
	v_mbcnt_lo_u32_b32 v29, v4, 0
	v_cmp_ne_u32_e64 s20, 0, v4
	v_cmp_eq_u32_e32 vcc_lo, 0, v29
	s_and_b32 s21, s20, vcc_lo
	s_and_saveexec_b32 s20, s21
	s_cbranch_execz .LBB1007_33
; %bb.32:
	s_waitcnt lgkmcnt(0)
	v_bcnt_u32_b32 v4, v4, v28
	ds_write_b32 v34, v4 offset:128
.LBB1007_33:
	s_or_b32 exec_lo, exec_lo, s20
	v_lshrrev_b32_e32 v4, s44, v18
	; wave barrier
	v_and_b32_e32 v4, s49, v4
	v_and_b32_e32 v6, 1, v4
	v_lshlrev_b32_e32 v7, 30, v4
	v_lshlrev_b32_e32 v8, 29, v4
	;; [unrolled: 1-line block ×4, first 2 shown]
	v_add_co_u32 v6, s20, v6, -1
	v_cndmask_b32_e64 v10, 0, 1, s20
	v_not_b32_e32 v36, v7
	v_cmp_gt_i32_e64 s20, 0, v7
	v_not_b32_e32 v7, v8
	v_lshlrev_b32_e32 v33, 26, v4
	v_cmp_ne_u32_e32 vcc_lo, 0, v10
	v_ashrrev_i32_e32 v10, 31, v36
	v_lshlrev_b32_e32 v35, 25, v4
	v_ashrrev_i32_e32 v7, 31, v7
	v_mul_lo_u32 v5, 0x84, v4
	v_xor_b32_e32 v6, vcc_lo, v6
	v_cmp_gt_i32_e32 vcc_lo, 0, v8
	v_not_b32_e32 v8, v9
	v_xor_b32_e32 v10, s20, v10
	v_cmp_gt_i32_e64 s20, 0, v9
	v_and_b32_e32 v6, exec_lo, v6
	v_not_b32_e32 v9, v32
	v_ashrrev_i32_e32 v8, 31, v8
	v_xor_b32_e32 v7, vcc_lo, v7
	v_cmp_gt_i32_e32 vcc_lo, 0, v32
	v_and_b32_e32 v6, v6, v10
	v_not_b32_e32 v10, v33
	v_ashrrev_i32_e32 v9, 31, v9
	v_xor_b32_e32 v8, s20, v8
	v_lshlrev_b32_e32 v4, 24, v4
	v_and_b32_e32 v6, v6, v7
	v_cmp_gt_i32_e64 s20, 0, v33
	v_not_b32_e32 v7, v35
	v_ashrrev_i32_e32 v10, 31, v10
	v_xor_b32_e32 v9, vcc_lo, v9
	v_and_b32_e32 v6, v6, v8
	v_cmp_gt_i32_e32 vcc_lo, 0, v35
	v_not_b32_e32 v8, v4
	v_ashrrev_i32_e32 v7, 31, v7
	v_xor_b32_e32 v10, s20, v10
	v_and_b32_e32 v6, v6, v9
	v_cmp_gt_i32_e64 s20, 0, v4
	v_ashrrev_i32_e32 v4, 31, v8
	v_xor_b32_e32 v7, vcc_lo, v7
	v_lshl_add_u32 v37, v3, 2, v5
	v_and_b32_e32 v6, v6, v10
	v_xor_b32_e32 v4, s20, v4
	ds_read_b32 v32, v37 offset:128
	v_and_b32_e32 v5, v6, v7
	; wave barrier
	v_and_b32_e32 v4, v5, v4
	v_mbcnt_lo_u32_b32 v33, v4, 0
	v_cmp_ne_u32_e64 s20, 0, v4
	v_cmp_eq_u32_e32 vcc_lo, 0, v33
	s_and_b32 s21, s20, vcc_lo
	s_and_saveexec_b32 s20, s21
	s_cbranch_execz .LBB1007_35
; %bb.34:
	s_waitcnt lgkmcnt(0)
	v_bcnt_u32_b32 v4, v4, v32
	ds_write_b32 v37, v4 offset:128
.LBB1007_35:
	s_or_b32 exec_lo, exec_lo, s20
	v_lshrrev_b32_e32 v4, s44, v17
	; wave barrier
	v_and_b32_e32 v4, s49, v4
	v_and_b32_e32 v6, 1, v4
	v_lshlrev_b32_e32 v7, 30, v4
	v_lshlrev_b32_e32 v8, 29, v4
	;; [unrolled: 1-line block ×4, first 2 shown]
	v_add_co_u32 v6, s20, v6, -1
	v_cndmask_b32_e64 v10, 0, 1, s20
	v_not_b32_e32 v39, v7
	v_cmp_gt_i32_e64 s20, 0, v7
	v_not_b32_e32 v7, v8
	v_lshlrev_b32_e32 v36, 26, v4
	v_cmp_ne_u32_e32 vcc_lo, 0, v10
	v_ashrrev_i32_e32 v10, 31, v39
	v_lshlrev_b32_e32 v38, 25, v4
	v_ashrrev_i32_e32 v7, 31, v7
	v_mul_lo_u32 v5, 0x84, v4
	v_xor_b32_e32 v6, vcc_lo, v6
	v_cmp_gt_i32_e32 vcc_lo, 0, v8
	v_not_b32_e32 v8, v9
	v_xor_b32_e32 v10, s20, v10
	v_cmp_gt_i32_e64 s20, 0, v9
	v_and_b32_e32 v6, exec_lo, v6
	v_not_b32_e32 v9, v35
	v_ashrrev_i32_e32 v8, 31, v8
	v_xor_b32_e32 v7, vcc_lo, v7
	v_cmp_gt_i32_e32 vcc_lo, 0, v35
	v_and_b32_e32 v6, v6, v10
	v_not_b32_e32 v10, v36
	v_ashrrev_i32_e32 v9, 31, v9
	v_xor_b32_e32 v8, s20, v8
	v_lshlrev_b32_e32 v4, 24, v4
	v_and_b32_e32 v6, v6, v7
	v_cmp_gt_i32_e64 s20, 0, v36
	v_not_b32_e32 v7, v38
	v_ashrrev_i32_e32 v10, 31, v10
	v_xor_b32_e32 v9, vcc_lo, v9
	v_and_b32_e32 v6, v6, v8
	v_cmp_gt_i32_e32 vcc_lo, 0, v38
	v_not_b32_e32 v8, v4
	v_ashrrev_i32_e32 v7, 31, v7
	v_xor_b32_e32 v10, s20, v10
	v_and_b32_e32 v6, v6, v9
	v_cmp_gt_i32_e64 s20, 0, v4
	v_ashrrev_i32_e32 v4, 31, v8
	v_xor_b32_e32 v7, vcc_lo, v7
	v_lshl_add_u32 v40, v3, 2, v5
	v_and_b32_e32 v6, v6, v10
	v_xor_b32_e32 v4, s20, v4
	ds_read_b32 v35, v40 offset:128
	v_and_b32_e32 v5, v6, v7
	; wave barrier
	v_and_b32_e32 v4, v5, v4
	v_mbcnt_lo_u32_b32 v36, v4, 0
	v_cmp_ne_u32_e64 s20, 0, v4
	v_cmp_eq_u32_e32 vcc_lo, 0, v36
	s_and_b32 s21, s20, vcc_lo
	s_and_saveexec_b32 s20, s21
	s_cbranch_execz .LBB1007_37
; %bb.36:
	s_waitcnt lgkmcnt(0)
	v_bcnt_u32_b32 v4, v4, v35
	ds_write_b32 v40, v4 offset:128
.LBB1007_37:
	s_or_b32 exec_lo, exec_lo, s20
	v_lshrrev_b32_e32 v4, s44, v20
	; wave barrier
	v_and_b32_e32 v4, s49, v4
	v_and_b32_e32 v6, 1, v4
	v_lshlrev_b32_e32 v7, 30, v4
	v_lshlrev_b32_e32 v8, 29, v4
	;; [unrolled: 1-line block ×4, first 2 shown]
	v_add_co_u32 v6, s20, v6, -1
	v_cndmask_b32_e64 v10, 0, 1, s20
	v_not_b32_e32 v42, v7
	v_cmp_gt_i32_e64 s20, 0, v7
	v_not_b32_e32 v7, v8
	v_lshlrev_b32_e32 v39, 26, v4
	v_cmp_ne_u32_e32 vcc_lo, 0, v10
	v_ashrrev_i32_e32 v10, 31, v42
	v_lshlrev_b32_e32 v41, 25, v4
	v_ashrrev_i32_e32 v7, 31, v7
	v_mul_lo_u32 v5, 0x84, v4
	v_xor_b32_e32 v6, vcc_lo, v6
	v_cmp_gt_i32_e32 vcc_lo, 0, v8
	v_not_b32_e32 v8, v9
	v_xor_b32_e32 v10, s20, v10
	v_cmp_gt_i32_e64 s20, 0, v9
	v_and_b32_e32 v6, exec_lo, v6
	v_not_b32_e32 v9, v38
	v_ashrrev_i32_e32 v8, 31, v8
	v_xor_b32_e32 v7, vcc_lo, v7
	v_cmp_gt_i32_e32 vcc_lo, 0, v38
	v_and_b32_e32 v6, v6, v10
	v_not_b32_e32 v10, v39
	v_ashrrev_i32_e32 v9, 31, v9
	v_xor_b32_e32 v8, s20, v8
	v_lshlrev_b32_e32 v4, 24, v4
	v_and_b32_e32 v6, v6, v7
	v_cmp_gt_i32_e64 s20, 0, v39
	v_not_b32_e32 v7, v41
	v_ashrrev_i32_e32 v10, 31, v10
	v_xor_b32_e32 v9, vcc_lo, v9
	v_and_b32_e32 v6, v6, v8
	v_cmp_gt_i32_e32 vcc_lo, 0, v41
	v_not_b32_e32 v8, v4
	v_ashrrev_i32_e32 v7, 31, v7
	v_xor_b32_e32 v10, s20, v10
	v_and_b32_e32 v6, v6, v9
	v_cmp_gt_i32_e64 s20, 0, v4
	v_ashrrev_i32_e32 v4, 31, v8
	v_xor_b32_e32 v7, vcc_lo, v7
	v_lshl_add_u32 v43, v3, 2, v5
	v_and_b32_e32 v6, v6, v10
	v_xor_b32_e32 v4, s20, v4
	ds_read_b32 v38, v43 offset:128
	v_and_b32_e32 v5, v6, v7
	; wave barrier
	v_and_b32_e32 v4, v5, v4
	v_mbcnt_lo_u32_b32 v39, v4, 0
	v_cmp_ne_u32_e64 s20, 0, v4
	v_cmp_eq_u32_e32 vcc_lo, 0, v39
	s_and_b32 s21, s20, vcc_lo
	s_and_saveexec_b32 s20, s21
	s_cbranch_execz .LBB1007_39
; %bb.38:
	s_waitcnt lgkmcnt(0)
	v_bcnt_u32_b32 v4, v4, v38
	ds_write_b32 v43, v4 offset:128
.LBB1007_39:
	s_or_b32 exec_lo, exec_lo, s20
	v_lshrrev_b32_e32 v4, s44, v19
	; wave barrier
	v_and_b32_e32 v4, s49, v4
	v_and_b32_e32 v6, 1, v4
	v_lshlrev_b32_e32 v7, 30, v4
	v_lshlrev_b32_e32 v8, 29, v4
	;; [unrolled: 1-line block ×4, first 2 shown]
	v_add_co_u32 v6, s20, v6, -1
	v_cndmask_b32_e64 v10, 0, 1, s20
	v_not_b32_e32 v45, v7
	v_cmp_gt_i32_e64 s20, 0, v7
	v_not_b32_e32 v7, v8
	v_lshlrev_b32_e32 v42, 26, v4
	v_cmp_ne_u32_e32 vcc_lo, 0, v10
	v_ashrrev_i32_e32 v10, 31, v45
	v_lshlrev_b32_e32 v44, 25, v4
	v_ashrrev_i32_e32 v7, 31, v7
	v_mul_lo_u32 v5, 0x84, v4
	v_xor_b32_e32 v6, vcc_lo, v6
	v_cmp_gt_i32_e32 vcc_lo, 0, v8
	v_not_b32_e32 v8, v9
	v_xor_b32_e32 v10, s20, v10
	v_cmp_gt_i32_e64 s20, 0, v9
	v_and_b32_e32 v6, exec_lo, v6
	v_not_b32_e32 v9, v41
	v_ashrrev_i32_e32 v8, 31, v8
	v_xor_b32_e32 v7, vcc_lo, v7
	v_cmp_gt_i32_e32 vcc_lo, 0, v41
	v_and_b32_e32 v6, v6, v10
	v_not_b32_e32 v10, v42
	v_ashrrev_i32_e32 v9, 31, v9
	v_xor_b32_e32 v8, s20, v8
	v_lshlrev_b32_e32 v4, 24, v4
	v_and_b32_e32 v6, v6, v7
	v_cmp_gt_i32_e64 s20, 0, v42
	v_not_b32_e32 v7, v44
	v_ashrrev_i32_e32 v10, 31, v10
	v_xor_b32_e32 v9, vcc_lo, v9
	v_and_b32_e32 v6, v6, v8
	v_cmp_gt_i32_e32 vcc_lo, 0, v44
	v_not_b32_e32 v8, v4
	v_ashrrev_i32_e32 v7, 31, v7
	v_xor_b32_e32 v10, s20, v10
	v_and_b32_e32 v6, v6, v9
	v_cmp_gt_i32_e64 s20, 0, v4
	v_ashrrev_i32_e32 v4, 31, v8
	v_xor_b32_e32 v7, vcc_lo, v7
	v_lshl_add_u32 v46, v3, 2, v5
	v_and_b32_e32 v6, v6, v10
	v_xor_b32_e32 v4, s20, v4
	ds_read_b32 v41, v46 offset:128
	v_and_b32_e32 v5, v6, v7
	; wave barrier
	v_and_b32_e32 v4, v5, v4
	v_mbcnt_lo_u32_b32 v42, v4, 0
	v_cmp_ne_u32_e64 s20, 0, v4
	v_cmp_eq_u32_e32 vcc_lo, 0, v42
	s_and_b32 s21, s20, vcc_lo
	s_and_saveexec_b32 s20, s21
	s_cbranch_execz .LBB1007_41
; %bb.40:
	s_waitcnt lgkmcnt(0)
	v_bcnt_u32_b32 v4, v4, v41
	ds_write_b32 v46, v4 offset:128
.LBB1007_41:
	s_or_b32 exec_lo, exec_lo, s20
	v_lshrrev_b32_e32 v4, s44, v22
	; wave barrier
	v_and_b32_e32 v4, s49, v4
	v_and_b32_e32 v6, 1, v4
	v_lshlrev_b32_e32 v7, 30, v4
	v_lshlrev_b32_e32 v8, 29, v4
	;; [unrolled: 1-line block ×4, first 2 shown]
	v_add_co_u32 v6, s20, v6, -1
	v_cndmask_b32_e64 v10, 0, 1, s20
	v_not_b32_e32 v48, v7
	v_cmp_gt_i32_e64 s20, 0, v7
	v_not_b32_e32 v7, v8
	v_lshlrev_b32_e32 v45, 26, v4
	v_cmp_ne_u32_e32 vcc_lo, 0, v10
	v_ashrrev_i32_e32 v10, 31, v48
	v_lshlrev_b32_e32 v47, 25, v4
	v_ashrrev_i32_e32 v7, 31, v7
	v_mul_lo_u32 v5, 0x84, v4
	v_xor_b32_e32 v6, vcc_lo, v6
	v_cmp_gt_i32_e32 vcc_lo, 0, v8
	v_not_b32_e32 v8, v9
	v_xor_b32_e32 v10, s20, v10
	v_cmp_gt_i32_e64 s20, 0, v9
	v_and_b32_e32 v6, exec_lo, v6
	v_not_b32_e32 v9, v44
	v_ashrrev_i32_e32 v8, 31, v8
	v_xor_b32_e32 v7, vcc_lo, v7
	v_cmp_gt_i32_e32 vcc_lo, 0, v44
	v_and_b32_e32 v6, v6, v10
	v_not_b32_e32 v10, v45
	v_ashrrev_i32_e32 v9, 31, v9
	v_xor_b32_e32 v8, s20, v8
	v_lshlrev_b32_e32 v4, 24, v4
	v_and_b32_e32 v6, v6, v7
	v_cmp_gt_i32_e64 s20, 0, v45
	v_not_b32_e32 v7, v47
	v_ashrrev_i32_e32 v10, 31, v10
	v_xor_b32_e32 v9, vcc_lo, v9
	v_and_b32_e32 v6, v6, v8
	v_cmp_gt_i32_e32 vcc_lo, 0, v47
	v_not_b32_e32 v8, v4
	v_ashrrev_i32_e32 v7, 31, v7
	v_xor_b32_e32 v10, s20, v10
	v_and_b32_e32 v6, v6, v9
	v_cmp_gt_i32_e64 s20, 0, v4
	v_ashrrev_i32_e32 v4, 31, v8
	v_xor_b32_e32 v7, vcc_lo, v7
	v_lshl_add_u32 v49, v3, 2, v5
	v_and_b32_e32 v6, v6, v10
	v_xor_b32_e32 v4, s20, v4
	ds_read_b32 v44, v49 offset:128
	v_and_b32_e32 v5, v6, v7
	; wave barrier
	v_and_b32_e32 v4, v5, v4
	v_mbcnt_lo_u32_b32 v45, v4, 0
	v_cmp_ne_u32_e64 s20, 0, v4
	v_cmp_eq_u32_e32 vcc_lo, 0, v45
	s_and_b32 s21, s20, vcc_lo
	s_and_saveexec_b32 s20, s21
	s_cbranch_execz .LBB1007_43
; %bb.42:
	s_waitcnt lgkmcnt(0)
	v_bcnt_u32_b32 v4, v4, v44
	ds_write_b32 v49, v4 offset:128
.LBB1007_43:
	s_or_b32 exec_lo, exec_lo, s20
	v_lshrrev_b32_e32 v4, s44, v21
	; wave barrier
	v_and_b32_e32 v4, s49, v4
	v_and_b32_e32 v6, 1, v4
	v_lshlrev_b32_e32 v7, 30, v4
	v_lshlrev_b32_e32 v8, 29, v4
	;; [unrolled: 1-line block ×4, first 2 shown]
	v_add_co_u32 v6, s20, v6, -1
	v_cndmask_b32_e64 v10, 0, 1, s20
	v_not_b32_e32 v51, v7
	v_cmp_gt_i32_e64 s20, 0, v7
	v_not_b32_e32 v7, v8
	v_lshlrev_b32_e32 v48, 26, v4
	v_cmp_ne_u32_e32 vcc_lo, 0, v10
	v_ashrrev_i32_e32 v10, 31, v51
	v_lshlrev_b32_e32 v50, 25, v4
	v_ashrrev_i32_e32 v7, 31, v7
	v_mul_lo_u32 v5, 0x84, v4
	v_xor_b32_e32 v6, vcc_lo, v6
	v_cmp_gt_i32_e32 vcc_lo, 0, v8
	v_not_b32_e32 v8, v9
	v_xor_b32_e32 v10, s20, v10
	v_cmp_gt_i32_e64 s20, 0, v9
	v_and_b32_e32 v6, exec_lo, v6
	v_not_b32_e32 v9, v47
	v_ashrrev_i32_e32 v8, 31, v8
	v_xor_b32_e32 v7, vcc_lo, v7
	v_cmp_gt_i32_e32 vcc_lo, 0, v47
	v_and_b32_e32 v6, v6, v10
	v_not_b32_e32 v10, v48
	v_ashrrev_i32_e32 v9, 31, v9
	v_xor_b32_e32 v8, s20, v8
	v_lshlrev_b32_e32 v4, 24, v4
	v_and_b32_e32 v6, v6, v7
	v_cmp_gt_i32_e64 s20, 0, v48
	v_not_b32_e32 v7, v50
	v_ashrrev_i32_e32 v10, 31, v10
	v_xor_b32_e32 v9, vcc_lo, v9
	v_and_b32_e32 v6, v6, v8
	v_cmp_gt_i32_e32 vcc_lo, 0, v50
	v_not_b32_e32 v8, v4
	v_ashrrev_i32_e32 v7, 31, v7
	v_xor_b32_e32 v10, s20, v10
	v_and_b32_e32 v6, v6, v9
	v_cmp_gt_i32_e64 s20, 0, v4
	v_ashrrev_i32_e32 v4, 31, v8
	v_xor_b32_e32 v7, vcc_lo, v7
	v_lshl_add_u32 v52, v3, 2, v5
	v_and_b32_e32 v6, v6, v10
	v_xor_b32_e32 v4, s20, v4
	ds_read_b32 v47, v52 offset:128
	v_and_b32_e32 v5, v6, v7
	; wave barrier
	v_and_b32_e32 v4, v5, v4
	v_mbcnt_lo_u32_b32 v48, v4, 0
	v_cmp_ne_u32_e64 s20, 0, v4
	v_cmp_eq_u32_e32 vcc_lo, 0, v48
	s_and_b32 s21, s20, vcc_lo
	s_and_saveexec_b32 s20, s21
	s_cbranch_execz .LBB1007_45
; %bb.44:
	s_waitcnt lgkmcnt(0)
	v_bcnt_u32_b32 v4, v4, v47
	ds_write_b32 v52, v4 offset:128
.LBB1007_45:
	s_or_b32 exec_lo, exec_lo, s20
	v_lshrrev_b32_e32 v4, s44, v24
	; wave barrier
	v_and_b32_e32 v4, s49, v4
	v_and_b32_e32 v6, 1, v4
	v_lshlrev_b32_e32 v7, 30, v4
	v_lshlrev_b32_e32 v8, 29, v4
	;; [unrolled: 1-line block ×4, first 2 shown]
	v_add_co_u32 v6, s20, v6, -1
	v_cndmask_b32_e64 v10, 0, 1, s20
	v_not_b32_e32 v54, v7
	v_cmp_gt_i32_e64 s20, 0, v7
	v_not_b32_e32 v7, v8
	v_lshlrev_b32_e32 v51, 26, v4
	v_cmp_ne_u32_e32 vcc_lo, 0, v10
	v_ashrrev_i32_e32 v10, 31, v54
	v_lshlrev_b32_e32 v53, 25, v4
	v_ashrrev_i32_e32 v7, 31, v7
	v_mul_lo_u32 v5, 0x84, v4
	v_xor_b32_e32 v6, vcc_lo, v6
	v_cmp_gt_i32_e32 vcc_lo, 0, v8
	v_not_b32_e32 v8, v9
	v_xor_b32_e32 v10, s20, v10
	v_cmp_gt_i32_e64 s20, 0, v9
	v_and_b32_e32 v6, exec_lo, v6
	v_not_b32_e32 v9, v50
	v_ashrrev_i32_e32 v8, 31, v8
	v_xor_b32_e32 v7, vcc_lo, v7
	v_cmp_gt_i32_e32 vcc_lo, 0, v50
	v_and_b32_e32 v6, v6, v10
	v_not_b32_e32 v10, v51
	v_ashrrev_i32_e32 v9, 31, v9
	v_xor_b32_e32 v8, s20, v8
	v_lshlrev_b32_e32 v4, 24, v4
	v_and_b32_e32 v6, v6, v7
	v_cmp_gt_i32_e64 s20, 0, v51
	v_not_b32_e32 v7, v53
	v_ashrrev_i32_e32 v10, 31, v10
	v_xor_b32_e32 v9, vcc_lo, v9
	v_and_b32_e32 v6, v6, v8
	v_cmp_gt_i32_e32 vcc_lo, 0, v53
	v_not_b32_e32 v8, v4
	v_ashrrev_i32_e32 v7, 31, v7
	v_xor_b32_e32 v10, s20, v10
	v_and_b32_e32 v6, v6, v9
	v_cmp_gt_i32_e64 s20, 0, v4
	v_ashrrev_i32_e32 v4, 31, v8
	v_xor_b32_e32 v7, vcc_lo, v7
	v_lshl_add_u32 v55, v3, 2, v5
	v_and_b32_e32 v6, v6, v10
	v_xor_b32_e32 v4, s20, v4
	ds_read_b32 v50, v55 offset:128
	v_and_b32_e32 v5, v6, v7
	; wave barrier
	v_and_b32_e32 v4, v5, v4
	v_mbcnt_lo_u32_b32 v51, v4, 0
	v_cmp_ne_u32_e64 s20, 0, v4
	v_cmp_eq_u32_e32 vcc_lo, 0, v51
	s_and_b32 s21, s20, vcc_lo
	s_and_saveexec_b32 s20, s21
	s_cbranch_execz .LBB1007_47
; %bb.46:
	s_waitcnt lgkmcnt(0)
	v_bcnt_u32_b32 v4, v4, v50
	ds_write_b32 v55, v4 offset:128
.LBB1007_47:
	s_or_b32 exec_lo, exec_lo, s20
	v_lshrrev_b32_e32 v4, s44, v23
	; wave barrier
	v_and_b32_e32 v4, s49, v4
	v_and_b32_e32 v6, 1, v4
	v_lshlrev_b32_e32 v7, 30, v4
	v_lshlrev_b32_e32 v8, 29, v4
	;; [unrolled: 1-line block ×4, first 2 shown]
	v_add_co_u32 v6, s20, v6, -1
	v_cndmask_b32_e64 v10, 0, 1, s20
	v_not_b32_e32 v57, v7
	v_cmp_gt_i32_e64 s20, 0, v7
	v_not_b32_e32 v7, v8
	v_lshlrev_b32_e32 v54, 26, v4
	v_cmp_ne_u32_e32 vcc_lo, 0, v10
	v_ashrrev_i32_e32 v10, 31, v57
	v_lshlrev_b32_e32 v56, 25, v4
	v_ashrrev_i32_e32 v7, 31, v7
	v_mul_lo_u32 v5, 0x84, v4
	v_xor_b32_e32 v6, vcc_lo, v6
	v_cmp_gt_i32_e32 vcc_lo, 0, v8
	v_not_b32_e32 v8, v9
	v_xor_b32_e32 v10, s20, v10
	v_cmp_gt_i32_e64 s20, 0, v9
	v_and_b32_e32 v6, exec_lo, v6
	v_not_b32_e32 v9, v53
	v_ashrrev_i32_e32 v8, 31, v8
	v_xor_b32_e32 v7, vcc_lo, v7
	v_cmp_gt_i32_e32 vcc_lo, 0, v53
	v_and_b32_e32 v6, v6, v10
	v_not_b32_e32 v10, v54
	v_ashrrev_i32_e32 v9, 31, v9
	v_xor_b32_e32 v8, s20, v8
	v_lshlrev_b32_e32 v4, 24, v4
	v_and_b32_e32 v6, v6, v7
	v_cmp_gt_i32_e64 s20, 0, v54
	v_not_b32_e32 v7, v56
	v_ashrrev_i32_e32 v10, 31, v10
	v_xor_b32_e32 v9, vcc_lo, v9
	v_and_b32_e32 v6, v6, v8
	v_cmp_gt_i32_e32 vcc_lo, 0, v56
	v_not_b32_e32 v8, v4
	v_ashrrev_i32_e32 v7, 31, v7
	v_xor_b32_e32 v10, s20, v10
	v_and_b32_e32 v6, v6, v9
	v_cmp_gt_i32_e64 s20, 0, v4
	v_ashrrev_i32_e32 v4, 31, v8
	v_xor_b32_e32 v7, vcc_lo, v7
	v_lshl_add_u32 v58, v3, 2, v5
	v_and_b32_e32 v6, v6, v10
	v_xor_b32_e32 v4, s20, v4
	ds_read_b32 v53, v58 offset:128
	v_and_b32_e32 v5, v6, v7
	; wave barrier
	v_and_b32_e32 v4, v5, v4
	v_mbcnt_lo_u32_b32 v54, v4, 0
	v_cmp_ne_u32_e64 s20, 0, v4
	v_cmp_eq_u32_e32 vcc_lo, 0, v54
	s_and_b32 s21, s20, vcc_lo
	s_and_saveexec_b32 s20, s21
	s_cbranch_execz .LBB1007_49
; %bb.48:
	s_waitcnt lgkmcnt(0)
	v_bcnt_u32_b32 v4, v4, v53
	ds_write_b32 v58, v4 offset:128
.LBB1007_49:
	s_or_b32 exec_lo, exec_lo, s20
	v_lshrrev_b32_e32 v4, s44, v26
	; wave barrier
	v_and_b32_e32 v4, s49, v4
	v_and_b32_e32 v6, 1, v4
	v_lshlrev_b32_e32 v7, 30, v4
	v_lshlrev_b32_e32 v8, 29, v4
	;; [unrolled: 1-line block ×4, first 2 shown]
	v_add_co_u32 v6, s20, v6, -1
	v_cndmask_b32_e64 v10, 0, 1, s20
	v_not_b32_e32 v60, v7
	v_cmp_gt_i32_e64 s20, 0, v7
	v_not_b32_e32 v7, v8
	v_lshlrev_b32_e32 v57, 26, v4
	v_cmp_ne_u32_e32 vcc_lo, 0, v10
	v_ashrrev_i32_e32 v10, 31, v60
	v_lshlrev_b32_e32 v59, 25, v4
	v_ashrrev_i32_e32 v7, 31, v7
	v_mul_lo_u32 v5, 0x84, v4
	v_xor_b32_e32 v6, vcc_lo, v6
	v_cmp_gt_i32_e32 vcc_lo, 0, v8
	v_not_b32_e32 v8, v9
	v_xor_b32_e32 v10, s20, v10
	v_cmp_gt_i32_e64 s20, 0, v9
	v_and_b32_e32 v6, exec_lo, v6
	v_not_b32_e32 v9, v56
	v_ashrrev_i32_e32 v8, 31, v8
	v_xor_b32_e32 v7, vcc_lo, v7
	v_cmp_gt_i32_e32 vcc_lo, 0, v56
	v_and_b32_e32 v6, v6, v10
	v_not_b32_e32 v10, v57
	v_ashrrev_i32_e32 v9, 31, v9
	v_xor_b32_e32 v8, s20, v8
	v_lshlrev_b32_e32 v4, 24, v4
	v_and_b32_e32 v6, v6, v7
	v_cmp_gt_i32_e64 s20, 0, v57
	v_not_b32_e32 v7, v59
	v_ashrrev_i32_e32 v10, 31, v10
	v_xor_b32_e32 v9, vcc_lo, v9
	v_and_b32_e32 v6, v6, v8
	v_cmp_gt_i32_e32 vcc_lo, 0, v59
	v_not_b32_e32 v8, v4
	v_ashrrev_i32_e32 v7, 31, v7
	v_xor_b32_e32 v10, s20, v10
	v_and_b32_e32 v6, v6, v9
	v_cmp_gt_i32_e64 s20, 0, v4
	v_ashrrev_i32_e32 v4, 31, v8
	v_xor_b32_e32 v7, vcc_lo, v7
	v_lshl_add_u32 v61, v3, 2, v5
	v_and_b32_e32 v6, v6, v10
	v_xor_b32_e32 v4, s20, v4
	ds_read_b32 v56, v61 offset:128
	v_and_b32_e32 v5, v6, v7
	; wave barrier
	v_and_b32_e32 v4, v5, v4
	v_mbcnt_lo_u32_b32 v57, v4, 0
	v_cmp_ne_u32_e64 s20, 0, v4
	v_cmp_eq_u32_e32 vcc_lo, 0, v57
	s_and_b32 s21, s20, vcc_lo
	s_and_saveexec_b32 s20, s21
	s_cbranch_execz .LBB1007_51
; %bb.50:
	s_waitcnt lgkmcnt(0)
	v_bcnt_u32_b32 v4, v4, v56
	ds_write_b32 v61, v4 offset:128
.LBB1007_51:
	s_or_b32 exec_lo, exec_lo, s20
	v_lshrrev_b32_e32 v4, s44, v25
	; wave barrier
	v_and_b32_e32 v4, s49, v4
	v_and_b32_e32 v6, 1, v4
	v_lshlrev_b32_e32 v7, 30, v4
	v_lshlrev_b32_e32 v8, 29, v4
	;; [unrolled: 1-line block ×4, first 2 shown]
	v_add_co_u32 v6, s20, v6, -1
	v_cndmask_b32_e64 v10, 0, 1, s20
	v_not_b32_e32 v63, v7
	v_cmp_gt_i32_e64 s20, 0, v7
	v_not_b32_e32 v7, v8
	v_lshlrev_b32_e32 v60, 26, v4
	v_cmp_ne_u32_e32 vcc_lo, 0, v10
	v_ashrrev_i32_e32 v10, 31, v63
	v_lshlrev_b32_e32 v62, 25, v4
	v_ashrrev_i32_e32 v7, 31, v7
	v_mul_lo_u32 v5, 0x84, v4
	v_xor_b32_e32 v6, vcc_lo, v6
	v_cmp_gt_i32_e32 vcc_lo, 0, v8
	v_not_b32_e32 v8, v9
	v_xor_b32_e32 v10, s20, v10
	v_cmp_gt_i32_e64 s20, 0, v9
	v_and_b32_e32 v6, exec_lo, v6
	v_not_b32_e32 v9, v59
	v_ashrrev_i32_e32 v8, 31, v8
	v_xor_b32_e32 v7, vcc_lo, v7
	v_cmp_gt_i32_e32 vcc_lo, 0, v59
	v_and_b32_e32 v6, v6, v10
	v_not_b32_e32 v10, v60
	v_ashrrev_i32_e32 v9, 31, v9
	v_xor_b32_e32 v8, s20, v8
	v_lshlrev_b32_e32 v4, 24, v4
	v_and_b32_e32 v6, v6, v7
	v_cmp_gt_i32_e64 s20, 0, v60
	v_not_b32_e32 v7, v62
	v_ashrrev_i32_e32 v10, 31, v10
	v_xor_b32_e32 v9, vcc_lo, v9
	v_and_b32_e32 v6, v6, v8
	v_cmp_gt_i32_e32 vcc_lo, 0, v62
	v_not_b32_e32 v8, v4
	v_ashrrev_i32_e32 v7, 31, v7
	v_xor_b32_e32 v10, s20, v10
	v_and_b32_e32 v6, v6, v9
	v_cmp_gt_i32_e64 s20, 0, v4
	v_ashrrev_i32_e32 v4, 31, v8
	v_xor_b32_e32 v7, vcc_lo, v7
	v_lshl_add_u32 v62, v3, 2, v5
	v_and_b32_e32 v6, v6, v10
	v_xor_b32_e32 v3, s20, v4
	ds_read_b32 v59, v62 offset:128
	v_and_b32_e32 v4, v6, v7
	; wave barrier
	v_and_b32_e32 v3, v4, v3
	v_mbcnt_lo_u32_b32 v60, v3, 0
	v_cmp_ne_u32_e64 s20, 0, v3
	v_cmp_eq_u32_e32 vcc_lo, 0, v60
	s_and_b32 s21, s20, vcc_lo
	s_and_saveexec_b32 s20, s21
	s_cbranch_execz .LBB1007_53
; %bb.52:
	s_waitcnt lgkmcnt(0)
	v_bcnt_u32_b32 v3, v3, v59
	ds_write_b32 v62, v3 offset:128
.LBB1007_53:
	s_or_b32 exec_lo, exec_lo, s20
	; wave barrier
	s_waitcnt lgkmcnt(0)
	s_barrier
	buffer_gl0_inv
	ds_read2_b32 v[9:10], v30 offset0:32 offset1:33
	ds_read2_b32 v[7:8], v30 offset0:34 offset1:35
	;; [unrolled: 1-line block ×4, first 2 shown]
	ds_read_b32 v63, v30 offset:160
	v_and_b32_e32 v66, 16, v11
	v_and_b32_e32 v67, 31, v0
	s_mov_b32 s25, exec_lo
	v_cmp_eq_u32_e64 s23, 0, v66
	s_waitcnt lgkmcnt(3)
	v_add3_u32 v64, v10, v9, v7
	s_waitcnt lgkmcnt(2)
	v_add3_u32 v64, v64, v8, v5
	;; [unrolled: 2-line block ×4, first 2 shown]
	v_and_b32_e32 v64, 15, v11
	v_mov_b32_dpp v65, v63 row_shr:1 row_mask:0xf bank_mask:0xf
	v_cmp_eq_u32_e32 vcc_lo, 0, v64
	v_cmp_lt_u32_e64 s20, 1, v64
	v_cmp_lt_u32_e64 s21, 3, v64
	v_cmp_lt_u32_e64 s22, 7, v64
	v_cndmask_b32_e64 v65, v65, 0, vcc_lo
	v_add_nc_u32_e32 v63, v65, v63
	v_mov_b32_dpp v65, v63 row_shr:2 row_mask:0xf bank_mask:0xf
	v_cndmask_b32_e64 v65, 0, v65, s20
	v_add_nc_u32_e32 v63, v63, v65
	v_mov_b32_dpp v65, v63 row_shr:4 row_mask:0xf bank_mask:0xf
	v_cndmask_b32_e64 v65, 0, v65, s21
	;; [unrolled: 3-line block ×3, first 2 shown]
	v_bfe_i32 v65, v11, 4, 1
	v_add_nc_u32_e32 v63, v63, v64
	ds_swizzle_b32 v64, v63 offset:swizzle(BROADCAST,32,15)
	s_waitcnt lgkmcnt(0)
	v_and_b32_e32 v65, v65, v64
	v_lshrrev_b32_e32 v64, 5, v0
	v_add_nc_u32_e32 v63, v63, v65
	v_cmpx_eq_u32_e32 31, v67
; %bb.54:
	v_lshlrev_b32_e32 v65, 2, v64
	ds_write_b32 v65, v63
; %bb.55:
	s_or_b32 exec_lo, exec_lo, s25
	v_cmp_lt_u32_e64 s24, 31, v0
	s_mov_b32 s50, exec_lo
	s_waitcnt lgkmcnt(0)
	s_barrier
	buffer_gl0_inv
	v_cmpx_gt_u32_e32 32, v0
	s_cbranch_execz .LBB1007_57
; %bb.56:
	v_lshlrev_b32_e32 v65, 2, v0
	ds_read_b32 v66, v65
	s_waitcnt lgkmcnt(0)
	v_mov_b32_dpp v67, v66 row_shr:1 row_mask:0xf bank_mask:0xf
	v_cndmask_b32_e64 v67, v67, 0, vcc_lo
	v_add_nc_u32_e32 v66, v67, v66
	v_mov_b32_dpp v67, v66 row_shr:2 row_mask:0xf bank_mask:0xf
	v_cndmask_b32_e64 v67, 0, v67, s20
	v_add_nc_u32_e32 v66, v66, v67
	v_mov_b32_dpp v67, v66 row_shr:4 row_mask:0xf bank_mask:0xf
	v_cndmask_b32_e64 v67, 0, v67, s21
	v_add_nc_u32_e32 v66, v66, v67
	v_mov_b32_dpp v67, v66 row_shr:8 row_mask:0xf bank_mask:0xf
	v_cndmask_b32_e64 v67, 0, v67, s22
	v_add_nc_u32_e32 v66, v66, v67
	ds_swizzle_b32 v67, v66 offset:swizzle(BROADCAST,32,15)
	s_waitcnt lgkmcnt(0)
	v_cndmask_b32_e64 v67, v67, 0, s23
	v_add_nc_u32_e32 v66, v66, v67
	ds_write_b32 v65, v66
.LBB1007_57:
	s_or_b32 exec_lo, exec_lo, s50
	v_mov_b32_e32 v65, 0
	s_waitcnt lgkmcnt(0)
	s_barrier
	buffer_gl0_inv
	s_and_saveexec_b32 s20, s24
; %bb.58:
	v_lshl_add_u32 v64, v64, 2, -4
	ds_read_b32 v65, v64
; %bb.59:
	s_or_b32 exec_lo, exec_lo, s20
	v_sub_co_u32 v64, vcc_lo, v11, 1
	s_waitcnt lgkmcnt(0)
	v_add_nc_u32_e32 v63, v65, v63
	v_cmp_gt_i32_e64 s20, 0, v64
	v_cndmask_b32_e64 v64, v64, v11, s20
	v_cmp_lt_u32_e64 s20, 0xff, v0
	v_lshlrev_b32_e32 v64, 2, v64
	ds_bpermute_b32 v63, v64, v63
	s_waitcnt lgkmcnt(0)
	v_cndmask_b32_e32 v63, v63, v65, vcc_lo
	v_cmp_gt_u32_e32 vcc_lo, 0x100, v0
	v_cndmask_b32_e64 v63, v63, 0, s7
	v_add_nc_u32_e32 v9, v63, v9
	v_add_nc_u32_e32 v10, v9, v10
	;; [unrolled: 1-line block ×8, first 2 shown]
	ds_write2_b32 v30, v63, v9 offset0:32 offset1:33
	ds_write2_b32 v30, v10, v7 offset0:34 offset1:35
	;; [unrolled: 1-line block ×4, first 2 shown]
	ds_write_b32 v30, v4 offset:160
	s_waitcnt lgkmcnt(0)
	s_barrier
	buffer_gl0_inv
	ds_read_b32 v31, v31 offset:128
	ds_read_b32 v34, v34 offset:128
	;; [unrolled: 1-line block ×12, first 2 shown]
                                        ; implicit-def: $vgpr9
                                        ; implicit-def: $vgpr10
	s_and_saveexec_b32 s22, vcc_lo
	s_cbranch_execz .LBB1007_63
; %bb.60:
	v_mul_u32_u24_e32 v3, 0x84, v0
	v_add_nc_u32_e32 v4, 1, v0
	s_mov_b32 s23, exec_lo
	ds_read_b32 v9, v3 offset:128
	v_mov_b32_e32 v3, 0x3000
	v_cmpx_ne_u32_e32 0x100, v4
; %bb.61:
	v_mul_u32_u24_e32 v3, 0x84, v4
	ds_read_b32 v3, v3 offset:128
; %bb.62:
	s_or_b32 exec_lo, exec_lo, s23
	s_waitcnt lgkmcnt(0)
	v_sub_nc_u32_e32 v10, v3, v9
.LBB1007_63:
	s_or_b32 exec_lo, exec_lo, s22
	v_mov_b32_e32 v4, 0
	v_lshlrev_b32_e32 v30, 2, v0
	s_waitcnt lgkmcnt(0)
	s_barrier
	buffer_gl0_inv
	s_and_saveexec_b32 s21, vcc_lo
	s_cbranch_execz .LBB1007_73
; %bb.64:
	v_lshl_add_u32 v3, s33, 8, v0
	v_mov_b32_e32 v63, 0
	s_mov_b32 s22, 0
	s_mov_b32 s23, s33
                                        ; implicit-def: $sgpr24
	v_lshlrev_b64 v[5:6], 2, v[3:4]
	v_or_b32_e32 v3, 2.0, v10
	v_add_co_u32 v5, vcc_lo, s26, v5
	v_add_co_ci_u32_e64 v6, null, s27, v6, vcc_lo
	global_store_dword v[5:6], v3, off
	s_branch .LBB1007_67
	.p2align	6
.LBB1007_65:                            ;   in Loop: Header=BB1007_67 Depth=1
	s_or_b32 exec_lo, exec_lo, s25
.LBB1007_66:                            ;   in Loop: Header=BB1007_67 Depth=1
	s_or_b32 exec_lo, exec_lo, s24
	v_and_b32_e32 v7, 0x3fffffff, v3
	v_cmp_gt_i32_e64 s24, -2.0, v3
	v_add_nc_u32_e32 v63, v7, v63
	s_and_b32 s25, exec_lo, s24
	s_or_b32 s22, s25, s22
	s_andn2_b32 exec_lo, exec_lo, s22
	s_cbranch_execz .LBB1007_72
.LBB1007_67:                            ; =>This Loop Header: Depth=1
                                        ;     Child Loop BB1007_70 Depth 2
	s_or_b32 s24, s24, exec_lo
	s_cmp_eq_u32 s23, 0
	s_cbranch_scc1 .LBB1007_71
; %bb.68:                               ;   in Loop: Header=BB1007_67 Depth=1
	s_add_i32 s23, s23, -1
	s_mov_b32 s24, exec_lo
	v_lshl_or_b32 v3, s23, 8, v0
	v_lshlrev_b64 v[7:8], 2, v[3:4]
	v_add_co_u32 v7, vcc_lo, s26, v7
	v_add_co_ci_u32_e64 v8, null, s27, v8, vcc_lo
	global_load_dword v3, v[7:8], off glc dlc
	s_waitcnt vmcnt(0)
	v_cmpx_gt_u32_e32 2.0, v3
	s_cbranch_execz .LBB1007_66
; %bb.69:                               ;   in Loop: Header=BB1007_67 Depth=1
	s_mov_b32 s25, 0
.LBB1007_70:                            ;   Parent Loop BB1007_67 Depth=1
                                        ; =>  This Inner Loop Header: Depth=2
	global_load_dword v3, v[7:8], off glc dlc
	s_waitcnt vmcnt(0)
	v_cmp_lt_u32_e32 vcc_lo, 0x3fffffff, v3
	s_or_b32 s25, vcc_lo, s25
	s_andn2_b32 exec_lo, exec_lo, s25
	s_cbranch_execnz .LBB1007_70
	s_branch .LBB1007_65
.LBB1007_71:                            ;   in Loop: Header=BB1007_67 Depth=1
                                        ; implicit-def: $sgpr23
	s_and_b32 s25, exec_lo, s24
	s_or_b32 s22, s25, s22
	s_andn2_b32 exec_lo, exec_lo, s22
	s_cbranch_execnz .LBB1007_67
.LBB1007_72:
	s_or_b32 exec_lo, exec_lo, s22
	v_add_nc_u32_e32 v3, v63, v10
	v_sub_nc_u32_e32 v4, v63, v9
	v_or_b32_e32 v3, 0x80000000, v3
	global_store_dword v[5:6], v3, off
	global_load_dword v3, v30, s[28:29]
	s_waitcnt vmcnt(0)
	v_add_nc_u32_e32 v3, v4, v3
	ds_write_b32 v30, v3
.LBB1007_73:
	s_or_b32 exec_lo, exec_lo, s21
	v_add_nc_u32_e32 v5, v31, v27
	v_add3_u32 v6, v29, v28, v34
	v_add3_u32 v7, v33, v32, v37
	;; [unrolled: 1-line block ×11, first 2 shown]
	v_mov_b32_e32 v4, 0
	v_mov_b32_e32 v36, v5
	;; [unrolled: 1-line block ×14, first 2 shown]
	s_mov_b32 s21, 32
	s_mov_b32 s23, 0
	s_mov_b32 s22, -1
	s_branch .LBB1007_75
.LBB1007_74:                            ;   in Loop: Header=BB1007_75 Depth=1
	s_or_b32 exec_lo, exec_lo, s24
	v_add_nc_u32_e32 v48, 0x2000, v48
	v_add_nc_u32_e32 v47, 0xffffe000, v47
	;; [unrolled: 1-line block ×13, first 2 shown]
	s_xor_b32 s23, s22, -1
	s_mov_b32 s22, 0
	s_and_b32 vcc_lo, exec_lo, s23
	s_mov_b32 s23, s21
	s_waitcnt_vscnt null, 0x0
	s_barrier
	buffer_gl0_inv
	s_cbranch_vccnz .LBB1007_91
.LBB1007_75:                            ; =>This Inner Loop Header: Depth=1
	v_min_u32_e32 v3, 0x2000, v36
	v_min_u32_e32 v49, 0x2000, v37
	;; [unrolled: 1-line block ×5, first 2 shown]
	v_lshlrev_b32_e32 v3, 2, v3
	v_lshlrev_b32_e32 v49, 2, v49
	v_min_u32_e32 v53, 0x2000, v41
	v_lshlrev_b32_e32 v50, 2, v50
	s_mov_b32 s24, exec_lo
	ds_write_b32 v3, v16 offset:1024
	ds_write_b32 v49, v15 offset:1024
	v_min_u32_e32 v3, 0x2000, v42
	v_lshlrev_b32_e32 v49, 2, v51
	v_lshlrev_b32_e32 v51, 2, v52
	;; [unrolled: 1-line block ×3, first 2 shown]
	ds_write_b32 v50, v18 offset:1024
	v_lshlrev_b32_e32 v3, 2, v3
	ds_write_b32 v49, v17 offset:1024
	ds_write_b32 v51, v20 offset:1024
	;; [unrolled: 1-line block ×3, first 2 shown]
	v_min_u32_e32 v49, 0x2000, v43
	v_min_u32_e32 v50, 0x2000, v45
	;; [unrolled: 1-line block ×3, first 2 shown]
	ds_write_b32 v3, v22 offset:1024
	v_min_u32_e32 v3, 0x2000, v44
	v_lshlrev_b32_e32 v49, 2, v49
	v_min_u32_e32 v52, 0x2000, v47
	v_lshlrev_b32_e32 v50, 2, v50
	v_lshlrev_b32_e32 v51, 2, v51
	;; [unrolled: 1-line block ×3, first 2 shown]
	ds_write_b32 v49, v21 offset:1024
	v_lshlrev_b32_e32 v49, 2, v52
	ds_write_b32 v3, v24 offset:1024
	ds_write_b32 v50, v23 offset:1024
	;; [unrolled: 1-line block ×4, first 2 shown]
	s_waitcnt lgkmcnt(0)
	s_waitcnt_vscnt null, 0x0
	s_barrier
	buffer_gl0_inv
	v_cmpx_gt_u32_e64 s48, v48
	s_cbranch_execz .LBB1007_77
; %bb.76:                               ;   in Loop: Header=BB1007_75 Depth=1
	ds_read_b32 v51, v30 offset:1024
	s_waitcnt lgkmcnt(0)
	v_lshrrev_b32_e32 v3, s44, v51
	v_and_b32_e32 v52, s49, v3
	v_lshlrev_b32_e32 v3, 2, v52
	ds_read_b32 v3, v3
	s_waitcnt lgkmcnt(0)
	v_add_nc_u32_e32 v3, v48, v3
	v_lshlrev_b64 v[49:50], 2, v[3:4]
	v_xor_b32_e32 v3, 0x7fffffff, v51
	v_mov_b32_e32 v51, s23
	v_add_co_u32 v49, vcc_lo, s38, v49
	v_add_co_ci_u32_e64 v50, null, s39, v50, vcc_lo
	buffer_store_dword v52, v51, s[0:3], 0 offen
	global_store_dword v[49:50], v3, off
.LBB1007_77:                            ;   in Loop: Header=BB1007_75 Depth=1
	s_or_b32 exec_lo, exec_lo, s24
	v_add_nc_u32_e32 v3, 0x400, v48
	s_mov_b32 s24, exec_lo
	v_cmpx_gt_u32_e64 s48, v3
	s_cbranch_execz .LBB1007_79
; %bb.78:                               ;   in Loop: Header=BB1007_75 Depth=1
	ds_read_b32 v51, v30 offset:5120
	s_waitcnt lgkmcnt(0)
	v_lshrrev_b32_e32 v3, s44, v51
	v_and_b32_e32 v52, s49, v3
	v_lshlrev_b32_e32 v3, 2, v52
	ds_read_b32 v3, v3
	s_waitcnt lgkmcnt(0)
	v_add3_u32 v3, v48, v3, 0x400
	v_lshlrev_b64 v[49:50], 2, v[3:4]
	v_xor_b32_e32 v3, 0x7fffffff, v51
	v_mov_b32_e32 v51, s23
	v_add_co_u32 v49, vcc_lo, s38, v49
	v_add_co_ci_u32_e64 v50, null, s39, v50, vcc_lo
	buffer_store_dword v52, v51, s[0:3], 0 offen offset:4
	global_store_dword v[49:50], v3, off
.LBB1007_79:                            ;   in Loop: Header=BB1007_75 Depth=1
	s_or_b32 exec_lo, exec_lo, s24
	v_add_nc_u32_e32 v3, 0x800, v48
	s_mov_b32 s24, exec_lo
	v_cmpx_gt_u32_e64 s48, v3
	s_cbranch_execz .LBB1007_81
; %bb.80:                               ;   in Loop: Header=BB1007_75 Depth=1
	ds_read_b32 v51, v30 offset:9216
	s_waitcnt lgkmcnt(0)
	v_lshrrev_b32_e32 v3, s44, v51
	v_and_b32_e32 v52, s49, v3
	v_lshlrev_b32_e32 v3, 2, v52
	ds_read_b32 v3, v3
	s_waitcnt lgkmcnt(0)
	v_add3_u32 v3, v48, v3, 0x800
	v_lshlrev_b64 v[49:50], 2, v[3:4]
	v_xor_b32_e32 v3, 0x7fffffff, v51
	v_mov_b32_e32 v51, s23
	v_add_co_u32 v49, vcc_lo, s38, v49
	v_add_co_ci_u32_e64 v50, null, s39, v50, vcc_lo
	buffer_store_dword v52, v51, s[0:3], 0 offen offset:8
	global_store_dword v[49:50], v3, off
.LBB1007_81:                            ;   in Loop: Header=BB1007_75 Depth=1
	;; [unrolled: 22-line block ×6, first 2 shown]
	s_or_b32 exec_lo, exec_lo, s24
	v_add_nc_u32_e32 v3, 0x1c00, v48
	s_mov_b32 s24, exec_lo
	v_cmpx_gt_u32_e64 s48, v3
	s_cbranch_execz .LBB1007_74
; %bb.90:                               ;   in Loop: Header=BB1007_75 Depth=1
	ds_read_b32 v51, v30 offset:29696
	s_waitcnt lgkmcnt(0)
	v_lshrrev_b32_e32 v3, s44, v51
	v_and_b32_e32 v52, s49, v3
	v_lshlrev_b32_e32 v3, 2, v52
	ds_read_b32 v3, v3
	s_waitcnt lgkmcnt(0)
	v_add3_u32 v3, v48, v3, 0x1c00
	v_lshlrev_b64 v[49:50], 2, v[3:4]
	v_xor_b32_e32 v3, 0x7fffffff, v51
	v_mov_b32_e32 v51, s23
	v_add_co_u32 v49, vcc_lo, s38, v49
	v_add_co_ci_u32_e64 v50, null, s39, v50, vcc_lo
	buffer_store_dword v52, v51, s[0:3], 0 offen offset:28
	global_store_dword v[49:50], v3, off
	s_branch .LBB1007_74
.LBB1007_91:
	s_add_u32 s22, s40, s46
	s_addc_u32 s23, s41, s47
	v_add_co_u32 v3, s22, s22, v13
	v_add_co_ci_u32_e64 v4, null, s23, 0, s22
                                        ; implicit-def: $vgpr13
	v_add_co_u32 v3, vcc_lo, v3, v14
	v_add_co_ci_u32_e64 v4, null, 0, v4, vcc_lo
	s_and_saveexec_b32 s22, s8
	s_cbranch_execz .LBB1007_103
; %bb.92:
	global_load_dword v13, v[3:4], off
	s_or_b32 exec_lo, exec_lo, s22
                                        ; implicit-def: $vgpr14
	s_and_saveexec_b32 s8, s9
	s_cbranch_execnz .LBB1007_104
.LBB1007_93:
	s_or_b32 exec_lo, exec_lo, s8
                                        ; implicit-def: $vgpr15
	s_and_saveexec_b32 s8, s10
	s_cbranch_execz .LBB1007_105
.LBB1007_94:
	global_load_dword v15, v[3:4], off offset:256
	s_or_b32 exec_lo, exec_lo, s8
                                        ; implicit-def: $vgpr16
	s_and_saveexec_b32 s8, s11
	s_cbranch_execnz .LBB1007_106
.LBB1007_95:
	s_or_b32 exec_lo, exec_lo, s8
                                        ; implicit-def: $vgpr17
	s_and_saveexec_b32 s8, s12
	s_cbranch_execz .LBB1007_107
.LBB1007_96:
	global_load_dword v17, v[3:4], off offset:512
	s_or_b32 exec_lo, exec_lo, s8
                                        ; implicit-def: $vgpr18
	s_and_saveexec_b32 s8, s13
	s_cbranch_execnz .LBB1007_108
.LBB1007_97:
	s_or_b32 exec_lo, exec_lo, s8
                                        ; implicit-def: $vgpr19
	s_and_saveexec_b32 s8, s14
	s_cbranch_execz .LBB1007_109
.LBB1007_98:
	global_load_dword v19, v[3:4], off offset:768
	s_or_b32 exec_lo, exec_lo, s8
                                        ; implicit-def: $vgpr20
	s_and_saveexec_b32 s8, s15
	s_cbranch_execnz .LBB1007_110
.LBB1007_99:
	s_or_b32 exec_lo, exec_lo, s8
                                        ; implicit-def: $vgpr21
	s_and_saveexec_b32 s8, s16
	s_cbranch_execz .LBB1007_111
.LBB1007_100:
	global_load_dword v21, v[3:4], off offset:1024
	s_or_b32 exec_lo, exec_lo, s8
                                        ; implicit-def: $vgpr22
	s_and_saveexec_b32 s8, s17
	s_cbranch_execnz .LBB1007_112
.LBB1007_101:
	s_or_b32 exec_lo, exec_lo, s8
                                        ; implicit-def: $vgpr23
	s_and_saveexec_b32 s8, s18
	s_cbranch_execz .LBB1007_113
.LBB1007_102:
	global_load_dword v23, v[3:4], off offset:1280
	s_or_b32 exec_lo, exec_lo, s8
                                        ; implicit-def: $vgpr24
	s_and_saveexec_b32 s8, s19
	s_cbranch_execnz .LBB1007_114
	s_branch .LBB1007_115
.LBB1007_103:
	s_or_b32 exec_lo, exec_lo, s22
                                        ; implicit-def: $vgpr14
	s_and_saveexec_b32 s8, s9
	s_cbranch_execz .LBB1007_93
.LBB1007_104:
	global_load_dword v14, v[3:4], off offset:128
	s_or_b32 exec_lo, exec_lo, s8
                                        ; implicit-def: $vgpr15
	s_and_saveexec_b32 s8, s10
	s_cbranch_execnz .LBB1007_94
.LBB1007_105:
	s_or_b32 exec_lo, exec_lo, s8
                                        ; implicit-def: $vgpr16
	s_and_saveexec_b32 s8, s11
	s_cbranch_execz .LBB1007_95
.LBB1007_106:
	global_load_dword v16, v[3:4], off offset:384
	s_or_b32 exec_lo, exec_lo, s8
                                        ; implicit-def: $vgpr17
	s_and_saveexec_b32 s8, s12
	s_cbranch_execnz .LBB1007_96
.LBB1007_107:
	s_or_b32 exec_lo, exec_lo, s8
                                        ; implicit-def: $vgpr18
	s_and_saveexec_b32 s8, s13
	s_cbranch_execz .LBB1007_97
.LBB1007_108:
	global_load_dword v18, v[3:4], off offset:640
	s_or_b32 exec_lo, exec_lo, s8
                                        ; implicit-def: $vgpr19
	s_and_saveexec_b32 s8, s14
	s_cbranch_execnz .LBB1007_98
.LBB1007_109:
	s_or_b32 exec_lo, exec_lo, s8
                                        ; implicit-def: $vgpr20
	s_and_saveexec_b32 s8, s15
	s_cbranch_execz .LBB1007_99
.LBB1007_110:
	global_load_dword v20, v[3:4], off offset:896
	s_or_b32 exec_lo, exec_lo, s8
                                        ; implicit-def: $vgpr21
	s_and_saveexec_b32 s8, s16
	s_cbranch_execnz .LBB1007_100
.LBB1007_111:
	s_or_b32 exec_lo, exec_lo, s8
                                        ; implicit-def: $vgpr22
	s_and_saveexec_b32 s8, s17
	s_cbranch_execz .LBB1007_101
.LBB1007_112:
	global_load_dword v22, v[3:4], off offset:1152
	s_or_b32 exec_lo, exec_lo, s8
                                        ; implicit-def: $vgpr23
	s_and_saveexec_b32 s8, s18
	s_cbranch_execnz .LBB1007_102
.LBB1007_113:
	s_or_b32 exec_lo, exec_lo, s8
                                        ; implicit-def: $vgpr24
	s_and_saveexec_b32 s8, s19
	s_cbranch_execz .LBB1007_115
.LBB1007_114:
	global_load_dword v24, v[3:4], off offset:1408
.LBB1007_115:
	s_or_b32 exec_lo, exec_lo, s8
	v_mov_b32_e32 v4, 0
	v_mov_b32_e32 v25, v0
	s_mov_b32 s9, 0
	s_mov_b32 s8, -1
	s_branch .LBB1007_117
.LBB1007_116:                           ;   in Loop: Header=BB1007_117 Depth=1
	s_or_b32 exec_lo, exec_lo, s10
	v_add_nc_u32_e32 v25, 0x2000, v25
	v_add_nc_u32_e32 v35, 0xffffe000, v35
	;; [unrolled: 1-line block ×13, first 2 shown]
	s_xor_b32 s9, s8, -1
	s_mov_b32 s8, 0
	s_and_b32 vcc_lo, exec_lo, s9
	s_mov_b32 s9, s21
	s_waitcnt_vscnt null, 0x0
	s_barrier
	buffer_gl0_inv
	s_cbranch_vccnz .LBB1007_133
.LBB1007_117:                           ; =>This Inner Loop Header: Depth=1
	v_min_u32_e32 v3, 0x2000, v5
	v_min_u32_e32 v26, 0x2000, v6
	;; [unrolled: 1-line block ×5, first 2 shown]
	v_lshlrev_b32_e32 v3, 2, v3
	v_lshlrev_b32_e32 v26, 2, v26
	v_min_u32_e32 v39, 0x2000, v28
	v_lshlrev_b32_e32 v36, 2, v36
	s_mov_b32 s10, exec_lo
	s_waitcnt vmcnt(0)
	ds_write_b32 v3, v13 offset:1024
	ds_write_b32 v26, v14 offset:1024
	v_min_u32_e32 v3, 0x2000, v29
	v_lshlrev_b32_e32 v26, 2, v37
	v_lshlrev_b32_e32 v37, 2, v38
	;; [unrolled: 1-line block ×3, first 2 shown]
	ds_write_b32 v36, v15 offset:1024
	v_lshlrev_b32_e32 v3, 2, v3
	ds_write_b32 v26, v16 offset:1024
	ds_write_b32 v37, v17 offset:1024
	;; [unrolled: 1-line block ×3, first 2 shown]
	v_min_u32_e32 v26, 0x2000, v31
	v_min_u32_e32 v36, 0x2000, v33
	;; [unrolled: 1-line block ×3, first 2 shown]
	ds_write_b32 v3, v19 offset:1024
	v_min_u32_e32 v3, 0x2000, v32
	v_lshlrev_b32_e32 v26, 2, v26
	v_min_u32_e32 v38, 0x2000, v35
	v_lshlrev_b32_e32 v36, 2, v36
	v_lshlrev_b32_e32 v37, 2, v37
	;; [unrolled: 1-line block ×3, first 2 shown]
	ds_write_b32 v26, v20 offset:1024
	v_lshlrev_b32_e32 v26, 2, v38
	ds_write_b32 v3, v21 offset:1024
	ds_write_b32 v36, v22 offset:1024
	ds_write_b32 v37, v23 offset:1024
	ds_write_b32 v26, v24 offset:1024
	s_waitcnt lgkmcnt(0)
	s_barrier
	buffer_gl0_inv
	v_cmpx_gt_u32_e64 s48, v25
	s_cbranch_execz .LBB1007_119
; %bb.118:                              ;   in Loop: Header=BB1007_117 Depth=1
	v_mov_b32_e32 v3, s9
	buffer_load_dword v3, v3, s[0:3], 0 offen
	s_waitcnt vmcnt(0)
	v_lshlrev_b32_e32 v3, 2, v3
	ds_read_b32 v3, v3
	ds_read_b32 v26, v30 offset:1024
	s_waitcnt lgkmcnt(1)
	v_add_nc_u32_e32 v3, v25, v3
	v_lshlrev_b64 v[36:37], 2, v[3:4]
	v_add_co_u32 v36, vcc_lo, s42, v36
	v_add_co_ci_u32_e64 v37, null, s43, v37, vcc_lo
	s_waitcnt lgkmcnt(0)
	global_store_dword v[36:37], v26, off
.LBB1007_119:                           ;   in Loop: Header=BB1007_117 Depth=1
	s_or_b32 exec_lo, exec_lo, s10
	v_add_nc_u32_e32 v3, 0x400, v25
	s_mov_b32 s10, exec_lo
	v_cmpx_gt_u32_e64 s48, v3
	s_cbranch_execz .LBB1007_121
; %bb.120:                              ;   in Loop: Header=BB1007_117 Depth=1
	v_mov_b32_e32 v3, s9
	buffer_load_dword v3, v3, s[0:3], 0 offen offset:4
	s_waitcnt vmcnt(0)
	v_lshlrev_b32_e32 v3, 2, v3
	ds_read_b32 v3, v3
	ds_read_b32 v26, v30 offset:5120
	s_waitcnt lgkmcnt(1)
	v_add3_u32 v3, v25, v3, 0x400
	v_lshlrev_b64 v[36:37], 2, v[3:4]
	v_add_co_u32 v36, vcc_lo, s42, v36
	v_add_co_ci_u32_e64 v37, null, s43, v37, vcc_lo
	s_waitcnt lgkmcnt(0)
	global_store_dword v[36:37], v26, off
.LBB1007_121:                           ;   in Loop: Header=BB1007_117 Depth=1
	s_or_b32 exec_lo, exec_lo, s10
	v_add_nc_u32_e32 v3, 0x800, v25
	s_mov_b32 s10, exec_lo
	v_cmpx_gt_u32_e64 s48, v3
	s_cbranch_execz .LBB1007_123
; %bb.122:                              ;   in Loop: Header=BB1007_117 Depth=1
	v_mov_b32_e32 v3, s9
	buffer_load_dword v3, v3, s[0:3], 0 offen offset:8
	s_waitcnt vmcnt(0)
	v_lshlrev_b32_e32 v3, 2, v3
	ds_read_b32 v3, v3
	ds_read_b32 v26, v30 offset:9216
	s_waitcnt lgkmcnt(1)
	v_add3_u32 v3, v25, v3, 0x800
	v_lshlrev_b64 v[36:37], 2, v[3:4]
	v_add_co_u32 v36, vcc_lo, s42, v36
	v_add_co_ci_u32_e64 v37, null, s43, v37, vcc_lo
	s_waitcnt lgkmcnt(0)
	global_store_dword v[36:37], v26, off
.LBB1007_123:                           ;   in Loop: Header=BB1007_117 Depth=1
	;; [unrolled: 20-line block ×6, first 2 shown]
	s_or_b32 exec_lo, exec_lo, s10
	v_add_nc_u32_e32 v3, 0x1c00, v25
	s_mov_b32 s10, exec_lo
	v_cmpx_gt_u32_e64 s48, v3
	s_cbranch_execz .LBB1007_116
; %bb.132:                              ;   in Loop: Header=BB1007_117 Depth=1
	v_mov_b32_e32 v3, s9
	buffer_load_dword v3, v3, s[0:3], 0 offen offset:28
	s_waitcnt vmcnt(0)
	v_lshlrev_b32_e32 v3, 2, v3
	ds_read_b32 v3, v3
	ds_read_b32 v26, v30 offset:29696
	s_waitcnt lgkmcnt(1)
	v_add3_u32 v3, v25, v3, 0x1c00
	v_lshlrev_b64 v[36:37], 2, v[3:4]
	v_add_co_u32 v36, vcc_lo, s42, v36
	v_add_co_ci_u32_e64 v37, null, s43, v37, vcc_lo
	s_waitcnt lgkmcnt(0)
	global_store_dword v[36:37], v26, off
	s_branch .LBB1007_116
.LBB1007_133:
	s_add_i32 s35, s35, -1
	s_cmp_eq_u32 s33, s35
	s_cselect_b32 s8, -1, 0
	s_xor_b32 s9, s20, -1
	s_and_b32 s9, s9, s8
	s_and_saveexec_b32 s8, s9
	s_cbranch_execz .LBB1007_135
; %bb.134:
	ds_read_b32 v3, v30
	s_waitcnt lgkmcnt(0)
	v_add3_u32 v3, v9, v10, v3
	global_store_dword v30, v3, s[30:31]
.LBB1007_135:
	s_or_b32 exec_lo, exec_lo, s8
	s_mov_b32 s9, 0
.LBB1007_136:
	s_and_b32 vcc_lo, exec_lo, s9
	s_cbranch_vccz .LBB1007_203
; %bb.137:
	s_mov_b32 s35, 0
	v_mul_u32_u24_e32 v3, 12, v12
	v_lshlrev_b32_e32 v9, 2, v11
	s_lshl_b64 s[12:13], s[34:35], 2
	v_mov_b32_e32 v22, 0
	s_add_u32 s8, s36, s12
	s_addc_u32 s9, s37, s13
	v_lshlrev_b32_e32 v10, 2, v3
	v_add_co_u32 v3, s8, s8, v9
	v_add_co_ci_u32_e64 v4, null, s9, 0, s8
	v_add_co_u32 v18, vcc_lo, v3, v10
	v_add_co_ci_u32_e64 v19, null, 0, v4, vcc_lo
	global_load_dword v12, v[18:19], off
	s_clause 0x1
	s_load_dword s8, s[4:5], 0x64
	s_load_dword s11, s[4:5], 0x58
	s_add_u32 s4, s4, 0x58
	s_addc_u32 s5, s5, 0
	s_waitcnt lgkmcnt(0)
	s_lshr_b32 s8, s8, 16
	s_cmp_lt_u32 s6, s11
	v_mad_u32_u24 v1, v2, s8, v1
	s_cselect_b32 s6, 12, 18
	s_add_u32 s4, s4, s6
	s_addc_u32 s5, s5, 0
	global_load_ushort v16, v22, s[4:5]
	s_clause 0xa
	global_load_dword v13, v[18:19], off offset:128
	global_load_dword v14, v[18:19], off offset:256
	;; [unrolled: 1-line block ×11, first 2 shown]
	s_lshl_b32 s4, -1, s45
	s_not_b32 s14, s4
	s_waitcnt vmcnt(12)
	v_xor_b32_e32 v12, 0x7fffffff, v12
	v_lshrrev_b32_e32 v18, s44, v12
	v_and_b32_e32 v18, s14, v18
	v_and_b32_e32 v19, 1, v18
	v_lshlrev_b32_e32 v21, 30, v18
	v_lshlrev_b32_e32 v23, 29, v18
	;; [unrolled: 1-line block ×4, first 2 shown]
	v_add_co_u32 v19, s4, v19, -1
	v_cndmask_b32_e64 v25, 0, 1, s4
	v_not_b32_e32 v29, v21
	v_cmp_gt_i32_e64 s4, 0, v21
	v_not_b32_e32 v21, v23
	v_lshlrev_b32_e32 v27, 26, v18
	v_cmp_ne_u32_e32 vcc_lo, 0, v25
	v_ashrrev_i32_e32 v29, 31, v29
	v_lshlrev_b32_e32 v28, 25, v18
	v_ashrrev_i32_e32 v21, 31, v21
	v_lshlrev_b32_e32 v25, 24, v18
	v_xor_b32_e32 v19, vcc_lo, v19
	v_cmp_gt_i32_e32 vcc_lo, 0, v23
	v_not_b32_e32 v23, v24
	v_xor_b32_e32 v29, s4, v29
	v_cmp_gt_i32_e64 s4, 0, v24
	v_and_b32_e32 v19, exec_lo, v19
	v_not_b32_e32 v24, v26
	v_ashrrev_i32_e32 v23, 31, v23
	v_xor_b32_e32 v21, vcc_lo, v21
	v_cmp_gt_i32_e32 vcc_lo, 0, v26
	v_and_b32_e32 v19, v19, v29
	v_not_b32_e32 v26, v27
	v_ashrrev_i32_e32 v24, 31, v24
	v_xor_b32_e32 v23, s4, v23
	v_cmp_gt_i32_e64 s4, 0, v27
	v_and_b32_e32 v19, v19, v21
	v_not_b32_e32 v21, v28
	v_ashrrev_i32_e32 v26, 31, v26
	v_xor_b32_e32 v24, vcc_lo, v24
	v_cmp_gt_i32_e32 vcc_lo, 0, v28
	v_and_b32_e32 v19, v19, v23
	v_not_b32_e32 v23, v25
	v_ashrrev_i32_e32 v21, 31, v21
	v_xor_b32_e32 v26, s4, v26
	v_cmp_gt_i32_e64 s4, 0, v25
	v_and_b32_e32 v19, v19, v24
	v_ashrrev_i32_e32 v23, 31, v23
	v_xor_b32_e32 v21, vcc_lo, v21
	s_waitcnt vmcnt(11)
	v_mad_u64_u32 v[1:2], null, v1, v16, v[0:1]
	v_and_b32_e32 v19, v19, v26
	v_xor_b32_e32 v23, s4, v23
	v_mul_lo_u32 v18, 0x84, v18
	v_and_b32_e32 v19, v19, v21
	v_mul_u32_u24_e32 v21, 36, v0
	v_lshrrev_b32_e32 v1, 5, v1
	ds_write2_b32 v21, v22, v22 offset0:32 offset1:33
	ds_write2_b32 v21, v22, v22 offset0:34 offset1:35
	;; [unrolled: 1-line block ×3, first 2 shown]
	v_and_b32_e32 v2, v19, v23
	ds_write2_b32 v21, v22, v22 offset0:38 offset1:39
	ds_write_b32 v21, v22 offset:160
	v_lshl_add_u32 v22, v1, 2, v18
	s_waitcnt vmcnt(0) lgkmcnt(0)
	s_waitcnt_vscnt null, 0x0
	s_barrier
	v_mbcnt_lo_u32_b32 v16, v2, 0
	v_cmp_ne_u32_e64 s4, 0, v2
	buffer_gl0_inv
	; wave barrier
	v_cmp_eq_u32_e32 vcc_lo, 0, v16
	s_and_b32 s5, s4, vcc_lo
	s_and_saveexec_b32 s4, s5
; %bb.138:
	v_bcnt_u32_b32 v2, v2, 0
	ds_write_b32 v22, v2 offset:128
; %bb.139:
	s_or_b32 exec_lo, exec_lo, s4
	v_xor_b32_e32 v13, 0x7fffffff, v13
	; wave barrier
	v_lshrrev_b32_e32 v2, s44, v13
	v_and_b32_e32 v2, s14, v2
	v_and_b32_e32 v19, 1, v2
	v_lshlrev_b32_e32 v23, 30, v2
	v_lshlrev_b32_e32 v24, 29, v2
	;; [unrolled: 1-line block ×4, first 2 shown]
	v_add_co_u32 v19, s4, v19, -1
	v_cndmask_b32_e64 v26, 0, 1, s4
	v_not_b32_e32 v30, v23
	v_cmp_gt_i32_e64 s4, 0, v23
	v_not_b32_e32 v23, v24
	v_lshlrev_b32_e32 v28, 26, v2
	v_cmp_ne_u32_e32 vcc_lo, 0, v26
	v_ashrrev_i32_e32 v26, 31, v30
	v_lshlrev_b32_e32 v29, 25, v2
	v_ashrrev_i32_e32 v23, 31, v23
	v_mul_lo_u32 v18, 0x84, v2
	v_xor_b32_e32 v19, vcc_lo, v19
	v_cmp_gt_i32_e32 vcc_lo, 0, v24
	v_not_b32_e32 v24, v25
	v_xor_b32_e32 v26, s4, v26
	v_cmp_gt_i32_e64 s4, 0, v25
	v_and_b32_e32 v19, exec_lo, v19
	v_not_b32_e32 v25, v27
	v_ashrrev_i32_e32 v24, 31, v24
	v_xor_b32_e32 v23, vcc_lo, v23
	v_cmp_gt_i32_e32 vcc_lo, 0, v27
	v_and_b32_e32 v19, v19, v26
	v_not_b32_e32 v26, v28
	v_ashrrev_i32_e32 v25, 31, v25
	v_xor_b32_e32 v24, s4, v24
	v_lshlrev_b32_e32 v2, 24, v2
	v_and_b32_e32 v19, v19, v23
	v_cmp_gt_i32_e64 s4, 0, v28
	v_not_b32_e32 v23, v29
	v_ashrrev_i32_e32 v26, 31, v26
	v_xor_b32_e32 v25, vcc_lo, v25
	v_and_b32_e32 v19, v19, v24
	v_cmp_gt_i32_e32 vcc_lo, 0, v29
	v_not_b32_e32 v24, v2
	v_ashrrev_i32_e32 v23, 31, v23
	v_xor_b32_e32 v26, s4, v26
	v_and_b32_e32 v19, v19, v25
	v_cmp_gt_i32_e64 s4, 0, v2
	v_ashrrev_i32_e32 v2, 31, v24
	v_xor_b32_e32 v23, vcc_lo, v23
	v_and_b32_e32 v19, v19, v26
	v_lshl_add_u32 v26, v1, 2, v18
	v_xor_b32_e32 v2, s4, v2
	v_and_b32_e32 v19, v19, v23
	ds_read_b32 v18, v26 offset:128
	; wave barrier
	v_and_b32_e32 v2, v19, v2
	v_mbcnt_lo_u32_b32 v19, v2, 0
	v_cmp_ne_u32_e64 s4, 0, v2
	v_cmp_eq_u32_e32 vcc_lo, 0, v19
	s_and_b32 s5, s4, vcc_lo
	s_and_saveexec_b32 s4, s5
	s_cbranch_execz .LBB1007_141
; %bb.140:
	s_waitcnt lgkmcnt(0)
	v_bcnt_u32_b32 v2, v2, v18
	ds_write_b32 v26, v2 offset:128
.LBB1007_141:
	s_or_b32 exec_lo, exec_lo, s4
	v_xor_b32_e32 v14, 0x7fffffff, v14
	; wave barrier
	v_lshrrev_b32_e32 v2, s44, v14
	v_and_b32_e32 v2, s14, v2
	v_and_b32_e32 v24, 1, v2
	v_lshlrev_b32_e32 v25, 30, v2
	v_lshlrev_b32_e32 v27, 29, v2
	;; [unrolled: 1-line block ×4, first 2 shown]
	v_add_co_u32 v24, s4, v24, -1
	v_cndmask_b32_e64 v29, 0, 1, s4
	v_not_b32_e32 v33, v25
	v_cmp_gt_i32_e64 s4, 0, v25
	v_not_b32_e32 v25, v27
	v_lshlrev_b32_e32 v31, 26, v2
	v_cmp_ne_u32_e32 vcc_lo, 0, v29
	v_ashrrev_i32_e32 v29, 31, v33
	v_lshlrev_b32_e32 v32, 25, v2
	v_ashrrev_i32_e32 v25, 31, v25
	v_mul_lo_u32 v23, 0x84, v2
	v_xor_b32_e32 v24, vcc_lo, v24
	v_cmp_gt_i32_e32 vcc_lo, 0, v27
	v_not_b32_e32 v27, v28
	v_xor_b32_e32 v29, s4, v29
	v_cmp_gt_i32_e64 s4, 0, v28
	v_and_b32_e32 v24, exec_lo, v24
	v_not_b32_e32 v28, v30
	v_ashrrev_i32_e32 v27, 31, v27
	v_xor_b32_e32 v25, vcc_lo, v25
	v_cmp_gt_i32_e32 vcc_lo, 0, v30
	v_and_b32_e32 v24, v24, v29
	v_not_b32_e32 v29, v31
	v_ashrrev_i32_e32 v28, 31, v28
	v_xor_b32_e32 v27, s4, v27
	v_lshlrev_b32_e32 v2, 24, v2
	v_and_b32_e32 v24, v24, v25
	v_cmp_gt_i32_e64 s4, 0, v31
	v_not_b32_e32 v25, v32
	v_ashrrev_i32_e32 v29, 31, v29
	v_xor_b32_e32 v28, vcc_lo, v28
	v_and_b32_e32 v24, v24, v27
	v_cmp_gt_i32_e32 vcc_lo, 0, v32
	v_not_b32_e32 v27, v2
	v_ashrrev_i32_e32 v25, 31, v25
	v_xor_b32_e32 v29, s4, v29
	v_and_b32_e32 v24, v24, v28
	v_cmp_gt_i32_e64 s4, 0, v2
	v_ashrrev_i32_e32 v2, 31, v27
	v_xor_b32_e32 v25, vcc_lo, v25
	v_lshl_add_u32 v30, v1, 2, v23
	v_and_b32_e32 v24, v24, v29
	v_xor_b32_e32 v2, s4, v2
	ds_read_b32 v23, v30 offset:128
	v_and_b32_e32 v24, v24, v25
	; wave barrier
	v_and_b32_e32 v2, v24, v2
	v_mbcnt_lo_u32_b32 v24, v2, 0
	v_cmp_ne_u32_e64 s4, 0, v2
	v_cmp_eq_u32_e32 vcc_lo, 0, v24
	s_and_b32 s5, s4, vcc_lo
	s_and_saveexec_b32 s4, s5
	s_cbranch_execz .LBB1007_143
; %bb.142:
	s_waitcnt lgkmcnt(0)
	v_bcnt_u32_b32 v2, v2, v23
	ds_write_b32 v30, v2 offset:128
.LBB1007_143:
	s_or_b32 exec_lo, exec_lo, s4
	v_xor_b32_e32 v15, 0x7fffffff, v15
	; wave barrier
	v_lshrrev_b32_e32 v2, s44, v15
	v_and_b32_e32 v2, s14, v2
	v_and_b32_e32 v27, 1, v2
	v_lshlrev_b32_e32 v28, 30, v2
	v_lshlrev_b32_e32 v29, 29, v2
	;; [unrolled: 1-line block ×4, first 2 shown]
	v_add_co_u32 v27, s4, v27, -1
	v_cndmask_b32_e64 v32, 0, 1, s4
	v_not_b32_e32 v36, v28
	v_cmp_gt_i32_e64 s4, 0, v28
	v_not_b32_e32 v28, v29
	v_lshlrev_b32_e32 v34, 26, v2
	v_cmp_ne_u32_e32 vcc_lo, 0, v32
	v_ashrrev_i32_e32 v32, 31, v36
	v_lshlrev_b32_e32 v35, 25, v2
	v_ashrrev_i32_e32 v28, 31, v28
	v_mul_lo_u32 v25, 0x84, v2
	v_xor_b32_e32 v27, vcc_lo, v27
	v_cmp_gt_i32_e32 vcc_lo, 0, v29
	v_not_b32_e32 v29, v31
	v_xor_b32_e32 v32, s4, v32
	v_cmp_gt_i32_e64 s4, 0, v31
	v_and_b32_e32 v27, exec_lo, v27
	v_not_b32_e32 v31, v33
	v_ashrrev_i32_e32 v29, 31, v29
	v_xor_b32_e32 v28, vcc_lo, v28
	v_cmp_gt_i32_e32 vcc_lo, 0, v33
	v_and_b32_e32 v27, v27, v32
	v_not_b32_e32 v32, v34
	v_ashrrev_i32_e32 v31, 31, v31
	v_xor_b32_e32 v29, s4, v29
	v_lshlrev_b32_e32 v2, 24, v2
	v_and_b32_e32 v27, v27, v28
	v_cmp_gt_i32_e64 s4, 0, v34
	v_not_b32_e32 v28, v35
	v_ashrrev_i32_e32 v32, 31, v32
	v_xor_b32_e32 v31, vcc_lo, v31
	v_and_b32_e32 v27, v27, v29
	v_cmp_gt_i32_e32 vcc_lo, 0, v35
	v_not_b32_e32 v29, v2
	v_ashrrev_i32_e32 v28, 31, v28
	v_xor_b32_e32 v32, s4, v32
	v_and_b32_e32 v27, v27, v31
	v_cmp_gt_i32_e64 s4, 0, v2
	v_ashrrev_i32_e32 v2, 31, v29
	v_xor_b32_e32 v28, vcc_lo, v28
	v_lshl_add_u32 v34, v1, 2, v25
	v_and_b32_e32 v27, v27, v32
	v_xor_b32_e32 v2, s4, v2
	v_and_b32_e32 v25, v27, v28
	ds_read_b32 v27, v34 offset:128
	; wave barrier
	v_and_b32_e32 v2, v25, v2
	v_mbcnt_lo_u32_b32 v28, v2, 0
	v_cmp_ne_u32_e64 s4, 0, v2
	v_cmp_eq_u32_e32 vcc_lo, 0, v28
	s_and_b32 s5, s4, vcc_lo
	s_and_saveexec_b32 s4, s5
	s_cbranch_execz .LBB1007_145
; %bb.144:
	s_waitcnt lgkmcnt(0)
	v_bcnt_u32_b32 v2, v2, v27
	ds_write_b32 v34, v2 offset:128
.LBB1007_145:
	s_or_b32 exec_lo, exec_lo, s4
	v_xor_b32_e32 v17, 0x7fffffff, v17
	; wave barrier
	v_lshrrev_b32_e32 v2, s44, v17
	v_and_b32_e32 v2, s14, v2
	v_and_b32_e32 v29, 1, v2
	v_lshlrev_b32_e32 v31, 30, v2
	v_lshlrev_b32_e32 v32, 29, v2
	;; [unrolled: 1-line block ×4, first 2 shown]
	v_add_co_u32 v29, s4, v29, -1
	v_cndmask_b32_e64 v35, 0, 1, s4
	v_not_b32_e32 v39, v31
	v_cmp_gt_i32_e64 s4, 0, v31
	v_not_b32_e32 v31, v32
	v_lshlrev_b32_e32 v37, 26, v2
	v_cmp_ne_u32_e32 vcc_lo, 0, v35
	v_ashrrev_i32_e32 v35, 31, v39
	v_lshlrev_b32_e32 v38, 25, v2
	v_ashrrev_i32_e32 v31, 31, v31
	v_mul_lo_u32 v25, 0x84, v2
	v_xor_b32_e32 v29, vcc_lo, v29
	v_cmp_gt_i32_e32 vcc_lo, 0, v32
	v_not_b32_e32 v32, v33
	v_xor_b32_e32 v35, s4, v35
	v_cmp_gt_i32_e64 s4, 0, v33
	v_and_b32_e32 v29, exec_lo, v29
	v_not_b32_e32 v33, v36
	v_ashrrev_i32_e32 v32, 31, v32
	v_xor_b32_e32 v31, vcc_lo, v31
	v_cmp_gt_i32_e32 vcc_lo, 0, v36
	v_and_b32_e32 v29, v29, v35
	v_not_b32_e32 v35, v37
	v_ashrrev_i32_e32 v33, 31, v33
	v_xor_b32_e32 v32, s4, v32
	v_lshlrev_b32_e32 v2, 24, v2
	v_and_b32_e32 v29, v29, v31
	v_cmp_gt_i32_e64 s4, 0, v37
	v_not_b32_e32 v31, v38
	v_ashrrev_i32_e32 v35, 31, v35
	v_xor_b32_e32 v33, vcc_lo, v33
	v_and_b32_e32 v29, v29, v32
	v_cmp_gt_i32_e32 vcc_lo, 0, v38
	v_not_b32_e32 v32, v2
	v_ashrrev_i32_e32 v31, 31, v31
	v_xor_b32_e32 v35, s4, v35
	v_and_b32_e32 v29, v29, v33
	v_cmp_gt_i32_e64 s4, 0, v2
	v_ashrrev_i32_e32 v2, 31, v32
	v_xor_b32_e32 v31, vcc_lo, v31
	v_lshl_add_u32 v38, v1, 2, v25
	v_and_b32_e32 v29, v29, v35
	v_xor_b32_e32 v2, s4, v2
	v_and_b32_e32 v25, v29, v31
	ds_read_b32 v31, v38 offset:128
	; wave barrier
	v_and_b32_e32 v2, v25, v2
	v_mbcnt_lo_u32_b32 v32, v2, 0
	v_cmp_ne_u32_e64 s4, 0, v2
	v_cmp_eq_u32_e32 vcc_lo, 0, v32
	s_and_b32 s5, s4, vcc_lo
	s_and_saveexec_b32 s4, s5
	s_cbranch_execz .LBB1007_147
; %bb.146:
	s_waitcnt lgkmcnt(0)
	v_bcnt_u32_b32 v2, v2, v31
	ds_write_b32 v38, v2 offset:128
.LBB1007_147:
	s_or_b32 exec_lo, exec_lo, s4
	v_xor_b32_e32 v20, 0x7fffffff, v20
	; wave barrier
	v_lshrrev_b32_e32 v2, s44, v20
	v_and_b32_e32 v2, s14, v2
	v_and_b32_e32 v29, 1, v2
	v_lshlrev_b32_e32 v33, 30, v2
	v_lshlrev_b32_e32 v35, 29, v2
	;; [unrolled: 1-line block ×4, first 2 shown]
	v_add_co_u32 v29, s4, v29, -1
	v_cndmask_b32_e64 v37, 0, 1, s4
	v_not_b32_e32 v42, v33
	v_cmp_gt_i32_e64 s4, 0, v33
	v_not_b32_e32 v33, v35
	v_lshlrev_b32_e32 v40, 26, v2
	v_cmp_ne_u32_e32 vcc_lo, 0, v37
	v_ashrrev_i32_e32 v37, 31, v42
	v_lshlrev_b32_e32 v41, 25, v2
	v_ashrrev_i32_e32 v33, 31, v33
	v_mul_lo_u32 v25, 0x84, v2
	v_xor_b32_e32 v29, vcc_lo, v29
	v_cmp_gt_i32_e32 vcc_lo, 0, v35
	v_not_b32_e32 v35, v36
	v_xor_b32_e32 v37, s4, v37
	v_cmp_gt_i32_e64 s4, 0, v36
	v_and_b32_e32 v29, exec_lo, v29
	v_not_b32_e32 v36, v39
	v_ashrrev_i32_e32 v35, 31, v35
	v_xor_b32_e32 v33, vcc_lo, v33
	v_cmp_gt_i32_e32 vcc_lo, 0, v39
	v_and_b32_e32 v29, v29, v37
	v_not_b32_e32 v37, v40
	v_ashrrev_i32_e32 v36, 31, v36
	v_xor_b32_e32 v35, s4, v35
	v_lshlrev_b32_e32 v2, 24, v2
	v_and_b32_e32 v29, v29, v33
	v_cmp_gt_i32_e64 s4, 0, v40
	v_not_b32_e32 v33, v41
	v_ashrrev_i32_e32 v37, 31, v37
	v_xor_b32_e32 v36, vcc_lo, v36
	v_and_b32_e32 v29, v29, v35
	v_cmp_gt_i32_e32 vcc_lo, 0, v41
	v_not_b32_e32 v35, v2
	v_ashrrev_i32_e32 v33, 31, v33
	v_xor_b32_e32 v37, s4, v37
	v_and_b32_e32 v29, v29, v36
	v_cmp_gt_i32_e64 s4, 0, v2
	v_ashrrev_i32_e32 v2, 31, v35
	v_xor_b32_e32 v33, vcc_lo, v33
	v_lshl_add_u32 v43, v1, 2, v25
	v_and_b32_e32 v29, v29, v37
	v_xor_b32_e32 v2, s4, v2
	ds_read_b32 v35, v43 offset:128
	v_and_b32_e32 v25, v29, v33
	; wave barrier
	v_and_b32_e32 v2, v25, v2
	v_mbcnt_lo_u32_b32 v36, v2, 0
	v_cmp_ne_u32_e64 s4, 0, v2
	v_cmp_eq_u32_e32 vcc_lo, 0, v36
	s_and_b32 s5, s4, vcc_lo
	s_and_saveexec_b32 s4, s5
	s_cbranch_execz .LBB1007_149
; %bb.148:
	s_waitcnt lgkmcnt(0)
	v_bcnt_u32_b32 v2, v2, v35
	ds_write_b32 v43, v2 offset:128
.LBB1007_149:
	s_or_b32 exec_lo, exec_lo, s4
	v_xor_b32_e32 v25, 0x7fffffff, v8
	; wave barrier
	v_lshrrev_b32_e32 v2, s44, v25
	v_and_b32_e32 v2, s14, v2
	v_and_b32_e32 v29, 1, v2
	v_lshlrev_b32_e32 v33, 30, v2
	v_lshlrev_b32_e32 v37, 29, v2
	v_lshlrev_b32_e32 v39, 28, v2
	v_lshlrev_b32_e32 v41, 27, v2
	v_add_co_u32 v29, s4, v29, -1
	v_cndmask_b32_e64 v40, 0, 1, s4
	v_not_b32_e32 v45, v33
	v_cmp_gt_i32_e64 s4, 0, v33
	v_not_b32_e32 v33, v37
	v_lshlrev_b32_e32 v42, 26, v2
	v_cmp_ne_u32_e32 vcc_lo, 0, v40
	v_ashrrev_i32_e32 v40, 31, v45
	v_lshlrev_b32_e32 v44, 25, v2
	v_ashrrev_i32_e32 v33, 31, v33
	v_mul_lo_u32 v8, 0x84, v2
	v_xor_b32_e32 v29, vcc_lo, v29
	v_cmp_gt_i32_e32 vcc_lo, 0, v37
	v_not_b32_e32 v37, v39
	v_xor_b32_e32 v40, s4, v40
	v_cmp_gt_i32_e64 s4, 0, v39
	v_and_b32_e32 v29, exec_lo, v29
	v_not_b32_e32 v39, v41
	v_ashrrev_i32_e32 v37, 31, v37
	v_xor_b32_e32 v33, vcc_lo, v33
	v_cmp_gt_i32_e32 vcc_lo, 0, v41
	v_and_b32_e32 v29, v29, v40
	v_not_b32_e32 v40, v42
	v_ashrrev_i32_e32 v39, 31, v39
	v_xor_b32_e32 v37, s4, v37
	v_lshlrev_b32_e32 v2, 24, v2
	v_and_b32_e32 v29, v29, v33
	v_cmp_gt_i32_e64 s4, 0, v42
	v_not_b32_e32 v33, v44
	v_ashrrev_i32_e32 v40, 31, v40
	v_xor_b32_e32 v39, vcc_lo, v39
	v_and_b32_e32 v29, v29, v37
	v_cmp_gt_i32_e32 vcc_lo, 0, v44
	v_not_b32_e32 v37, v2
	v_ashrrev_i32_e32 v33, 31, v33
	v_xor_b32_e32 v40, s4, v40
	v_and_b32_e32 v29, v29, v39
	v_cmp_gt_i32_e64 s4, 0, v2
	v_ashrrev_i32_e32 v2, 31, v37
	v_xor_b32_e32 v33, vcc_lo, v33
	v_lshl_add_u32 v47, v1, 2, v8
	v_and_b32_e32 v29, v29, v40
	v_xor_b32_e32 v2, s4, v2
	ds_read_b32 v39, v47 offset:128
	v_and_b32_e32 v8, v29, v33
	; wave barrier
	v_and_b32_e32 v2, v8, v2
	v_mbcnt_lo_u32_b32 v41, v2, 0
	v_cmp_ne_u32_e64 s4, 0, v2
	v_cmp_eq_u32_e32 vcc_lo, 0, v41
	s_and_b32 s5, s4, vcc_lo
	s_and_saveexec_b32 s4, s5
	s_cbranch_execz .LBB1007_151
; %bb.150:
	s_waitcnt lgkmcnt(0)
	v_bcnt_u32_b32 v2, v2, v39
	ds_write_b32 v47, v2 offset:128
.LBB1007_151:
	s_or_b32 exec_lo, exec_lo, s4
	v_xor_b32_e32 v29, 0x7fffffff, v7
	; wave barrier
	v_lshrrev_b32_e32 v2, s44, v29
	v_and_b32_e32 v2, s14, v2
	v_and_b32_e32 v8, 1, v2
	v_lshlrev_b32_e32 v33, 30, v2
	v_lshlrev_b32_e32 v37, 29, v2
	;; [unrolled: 1-line block ×4, first 2 shown]
	v_add_co_u32 v8, s4, v8, -1
	v_cndmask_b32_e64 v42, 0, 1, s4
	v_not_b32_e32 v48, v33
	v_cmp_gt_i32_e64 s4, 0, v33
	v_not_b32_e32 v33, v37
	v_lshlrev_b32_e32 v45, 26, v2
	v_cmp_ne_u32_e32 vcc_lo, 0, v42
	v_ashrrev_i32_e32 v42, 31, v48
	v_lshlrev_b32_e32 v46, 25, v2
	v_ashrrev_i32_e32 v33, 31, v33
	v_mul_lo_u32 v7, 0x84, v2
	v_xor_b32_e32 v8, vcc_lo, v8
	v_cmp_gt_i32_e32 vcc_lo, 0, v37
	v_not_b32_e32 v37, v40
	v_xor_b32_e32 v42, s4, v42
	v_cmp_gt_i32_e64 s4, 0, v40
	v_and_b32_e32 v8, exec_lo, v8
	v_not_b32_e32 v40, v44
	v_ashrrev_i32_e32 v37, 31, v37
	v_xor_b32_e32 v33, vcc_lo, v33
	v_cmp_gt_i32_e32 vcc_lo, 0, v44
	v_and_b32_e32 v8, v8, v42
	v_not_b32_e32 v42, v45
	v_ashrrev_i32_e32 v40, 31, v40
	v_xor_b32_e32 v37, s4, v37
	v_lshlrev_b32_e32 v2, 24, v2
	v_and_b32_e32 v8, v8, v33
	v_cmp_gt_i32_e64 s4, 0, v45
	v_not_b32_e32 v33, v46
	v_ashrrev_i32_e32 v42, 31, v42
	v_xor_b32_e32 v40, vcc_lo, v40
	v_and_b32_e32 v8, v8, v37
	v_cmp_gt_i32_e32 vcc_lo, 0, v46
	v_not_b32_e32 v37, v2
	v_ashrrev_i32_e32 v33, 31, v33
	v_xor_b32_e32 v42, s4, v42
	v_and_b32_e32 v8, v8, v40
	v_cmp_gt_i32_e64 s4, 0, v2
	v_ashrrev_i32_e32 v2, 31, v37
	v_xor_b32_e32 v33, vcc_lo, v33
	v_lshl_add_u32 v50, v1, 2, v7
	v_and_b32_e32 v8, v8, v42
	v_xor_b32_e32 v2, s4, v2
	ds_read_b32 v44, v50 offset:128
	v_and_b32_e32 v7, v8, v33
	; wave barrier
	v_and_b32_e32 v2, v7, v2
	v_mbcnt_lo_u32_b32 v45, v2, 0
	v_cmp_ne_u32_e64 s4, 0, v2
	v_cmp_eq_u32_e32 vcc_lo, 0, v45
	s_and_b32 s5, s4, vcc_lo
	s_and_saveexec_b32 s4, s5
	s_cbranch_execz .LBB1007_153
; %bb.152:
	s_waitcnt lgkmcnt(0)
	v_bcnt_u32_b32 v2, v2, v44
	ds_write_b32 v50, v2 offset:128
.LBB1007_153:
	s_or_b32 exec_lo, exec_lo, s4
	v_xor_b32_e32 v33, 0x7fffffff, v6
	; wave barrier
	v_lshrrev_b32_e32 v2, s44, v33
	v_and_b32_e32 v2, s14, v2
	v_and_b32_e32 v7, 1, v2
	v_lshlrev_b32_e32 v8, 30, v2
	v_lshlrev_b32_e32 v37, 29, v2
	;; [unrolled: 1-line block ×4, first 2 shown]
	v_add_co_u32 v7, s4, v7, -1
	v_cndmask_b32_e64 v42, 0, 1, s4
	v_not_b32_e32 v51, v8
	v_cmp_gt_i32_e64 s4, 0, v8
	v_not_b32_e32 v8, v37
	v_lshlrev_b32_e32 v48, 26, v2
	v_cmp_ne_u32_e32 vcc_lo, 0, v42
	v_ashrrev_i32_e32 v42, 31, v51
	v_lshlrev_b32_e32 v49, 25, v2
	v_ashrrev_i32_e32 v8, 31, v8
	v_mul_lo_u32 v6, 0x84, v2
	v_xor_b32_e32 v7, vcc_lo, v7
	v_cmp_gt_i32_e32 vcc_lo, 0, v37
	v_not_b32_e32 v37, v40
	v_xor_b32_e32 v42, s4, v42
	v_cmp_gt_i32_e64 s4, 0, v40
	v_and_b32_e32 v7, exec_lo, v7
	v_not_b32_e32 v40, v46
	v_ashrrev_i32_e32 v37, 31, v37
	v_xor_b32_e32 v8, vcc_lo, v8
	v_cmp_gt_i32_e32 vcc_lo, 0, v46
	v_and_b32_e32 v7, v7, v42
	v_not_b32_e32 v42, v48
	v_ashrrev_i32_e32 v40, 31, v40
	v_xor_b32_e32 v37, s4, v37
	v_lshlrev_b32_e32 v2, 24, v2
	v_and_b32_e32 v7, v7, v8
	v_cmp_gt_i32_e64 s4, 0, v48
	v_not_b32_e32 v8, v49
	v_ashrrev_i32_e32 v42, 31, v42
	v_xor_b32_e32 v40, vcc_lo, v40
	v_and_b32_e32 v7, v7, v37
	v_cmp_gt_i32_e32 vcc_lo, 0, v49
	v_not_b32_e32 v37, v2
	v_ashrrev_i32_e32 v8, 31, v8
	v_xor_b32_e32 v42, s4, v42
	v_and_b32_e32 v7, v7, v40
	v_cmp_gt_i32_e64 s4, 0, v2
	v_ashrrev_i32_e32 v2, 31, v37
	v_xor_b32_e32 v8, vcc_lo, v8
	v_lshl_add_u32 v53, v1, 2, v6
	v_and_b32_e32 v7, v7, v42
	v_xor_b32_e32 v2, s4, v2
	ds_read_b32 v48, v53 offset:128
	v_and_b32_e32 v6, v7, v8
	; wave barrier
	v_and_b32_e32 v2, v6, v2
	v_mbcnt_lo_u32_b32 v49, v2, 0
	v_cmp_ne_u32_e64 s4, 0, v2
	v_cmp_eq_u32_e32 vcc_lo, 0, v49
	s_and_b32 s5, s4, vcc_lo
	s_and_saveexec_b32 s4, s5
	s_cbranch_execz .LBB1007_155
; %bb.154:
	s_waitcnt lgkmcnt(0)
	v_bcnt_u32_b32 v2, v2, v48
	ds_write_b32 v53, v2 offset:128
.LBB1007_155:
	s_or_b32 exec_lo, exec_lo, s4
	v_xor_b32_e32 v37, 0x7fffffff, v5
	; wave barrier
	v_lshrrev_b32_e32 v2, s44, v37
	v_and_b32_e32 v2, s14, v2
	v_and_b32_e32 v6, 1, v2
	v_lshlrev_b32_e32 v7, 30, v2
	v_lshlrev_b32_e32 v8, 29, v2
	v_lshlrev_b32_e32 v40, 28, v2
	v_lshlrev_b32_e32 v46, 27, v2
	v_add_co_u32 v6, s4, v6, -1
	v_cndmask_b32_e64 v42, 0, 1, s4
	v_not_b32_e32 v54, v7
	v_cmp_gt_i32_e64 s4, 0, v7
	v_not_b32_e32 v7, v8
	v_lshlrev_b32_e32 v51, 26, v2
	v_cmp_ne_u32_e32 vcc_lo, 0, v42
	v_ashrrev_i32_e32 v42, 31, v54
	v_lshlrev_b32_e32 v52, 25, v2
	v_ashrrev_i32_e32 v7, 31, v7
	v_mul_lo_u32 v5, 0x84, v2
	v_xor_b32_e32 v6, vcc_lo, v6
	v_cmp_gt_i32_e32 vcc_lo, 0, v8
	v_not_b32_e32 v8, v40
	v_xor_b32_e32 v42, s4, v42
	v_cmp_gt_i32_e64 s4, 0, v40
	v_and_b32_e32 v6, exec_lo, v6
	v_not_b32_e32 v40, v46
	v_ashrrev_i32_e32 v8, 31, v8
	v_xor_b32_e32 v7, vcc_lo, v7
	v_cmp_gt_i32_e32 vcc_lo, 0, v46
	v_and_b32_e32 v6, v6, v42
	v_not_b32_e32 v42, v51
	v_ashrrev_i32_e32 v40, 31, v40
	v_xor_b32_e32 v8, s4, v8
	v_lshlrev_b32_e32 v2, 24, v2
	v_and_b32_e32 v6, v6, v7
	v_cmp_gt_i32_e64 s4, 0, v51
	v_not_b32_e32 v7, v52
	v_ashrrev_i32_e32 v42, 31, v42
	v_xor_b32_e32 v40, vcc_lo, v40
	v_and_b32_e32 v6, v6, v8
	v_cmp_gt_i32_e32 vcc_lo, 0, v52
	v_not_b32_e32 v8, v2
	v_ashrrev_i32_e32 v7, 31, v7
	v_xor_b32_e32 v42, s4, v42
	v_and_b32_e32 v6, v6, v40
	v_cmp_gt_i32_e64 s4, 0, v2
	v_ashrrev_i32_e32 v2, 31, v8
	v_xor_b32_e32 v7, vcc_lo, v7
	v_lshl_add_u32 v56, v1, 2, v5
	v_and_b32_e32 v6, v6, v42
	v_xor_b32_e32 v2, s4, v2
	ds_read_b32 v51, v56 offset:128
	v_and_b32_e32 v5, v6, v7
	; wave barrier
	v_and_b32_e32 v2, v5, v2
	v_mbcnt_lo_u32_b32 v52, v2, 0
	v_cmp_ne_u32_e64 s4, 0, v2
	v_cmp_eq_u32_e32 vcc_lo, 0, v52
	s_and_b32 s5, s4, vcc_lo
	s_and_saveexec_b32 s4, s5
	s_cbranch_execz .LBB1007_157
; %bb.156:
	s_waitcnt lgkmcnt(0)
	v_bcnt_u32_b32 v2, v2, v51
	ds_write_b32 v56, v2 offset:128
.LBB1007_157:
	s_or_b32 exec_lo, exec_lo, s4
	v_xor_b32_e32 v42, 0x7fffffff, v4
	; wave barrier
	v_lshrrev_b32_e32 v2, s44, v42
	v_and_b32_e32 v2, s14, v2
	v_and_b32_e32 v5, 1, v2
	v_lshlrev_b32_e32 v6, 30, v2
	v_lshlrev_b32_e32 v7, 29, v2
	;; [unrolled: 1-line block ×4, first 2 shown]
	v_add_co_u32 v5, s4, v5, -1
	v_cndmask_b32_e64 v40, 0, 1, s4
	v_not_b32_e32 v57, v6
	v_cmp_gt_i32_e64 s4, 0, v6
	v_not_b32_e32 v6, v7
	v_lshlrev_b32_e32 v54, 26, v2
	v_cmp_ne_u32_e32 vcc_lo, 0, v40
	v_ashrrev_i32_e32 v40, 31, v57
	v_lshlrev_b32_e32 v55, 25, v2
	v_ashrrev_i32_e32 v6, 31, v6
	v_mul_lo_u32 v4, 0x84, v2
	v_xor_b32_e32 v5, vcc_lo, v5
	v_cmp_gt_i32_e32 vcc_lo, 0, v7
	v_not_b32_e32 v7, v8
	v_xor_b32_e32 v40, s4, v40
	v_cmp_gt_i32_e64 s4, 0, v8
	v_and_b32_e32 v5, exec_lo, v5
	v_not_b32_e32 v8, v46
	v_ashrrev_i32_e32 v7, 31, v7
	v_xor_b32_e32 v6, vcc_lo, v6
	v_cmp_gt_i32_e32 vcc_lo, 0, v46
	v_and_b32_e32 v5, v5, v40
	v_not_b32_e32 v40, v54
	v_ashrrev_i32_e32 v8, 31, v8
	v_xor_b32_e32 v7, s4, v7
	v_lshlrev_b32_e32 v2, 24, v2
	v_and_b32_e32 v5, v5, v6
	v_cmp_gt_i32_e64 s4, 0, v54
	v_not_b32_e32 v6, v55
	v_ashrrev_i32_e32 v40, 31, v40
	v_xor_b32_e32 v8, vcc_lo, v8
	v_and_b32_e32 v5, v5, v7
	v_cmp_gt_i32_e32 vcc_lo, 0, v55
	v_not_b32_e32 v7, v2
	v_ashrrev_i32_e32 v6, 31, v6
	v_xor_b32_e32 v40, s4, v40
	v_and_b32_e32 v5, v5, v8
	v_cmp_gt_i32_e64 s4, 0, v2
	v_ashrrev_i32_e32 v2, 31, v7
	v_xor_b32_e32 v6, vcc_lo, v6
	v_lshl_add_u32 v59, v1, 2, v4
	v_and_b32_e32 v5, v5, v40
	v_xor_b32_e32 v2, s4, v2
	ds_read_b32 v54, v59 offset:128
	v_and_b32_e32 v4, v5, v6
	; wave barrier
	v_and_b32_e32 v2, v4, v2
	v_mbcnt_lo_u32_b32 v55, v2, 0
	v_cmp_ne_u32_e64 s4, 0, v2
	v_cmp_eq_u32_e32 vcc_lo, 0, v55
	s_and_b32 s5, s4, vcc_lo
	s_and_saveexec_b32 s4, s5
	s_cbranch_execz .LBB1007_159
; %bb.158:
	s_waitcnt lgkmcnt(0)
	v_bcnt_u32_b32 v2, v2, v54
	ds_write_b32 v59, v2 offset:128
.LBB1007_159:
	s_or_b32 exec_lo, exec_lo, s4
	v_xor_b32_e32 v46, 0x7fffffff, v3
	; wave barrier
	v_lshrrev_b32_e32 v2, s44, v46
	v_and_b32_e32 v2, s14, v2
	v_and_b32_e32 v4, 1, v2
	v_lshlrev_b32_e32 v5, 30, v2
	v_lshlrev_b32_e32 v6, 29, v2
	;; [unrolled: 1-line block ×4, first 2 shown]
	v_add_co_u32 v4, s4, v4, -1
	v_cndmask_b32_e64 v8, 0, 1, s4
	v_not_b32_e32 v60, v5
	v_cmp_gt_i32_e64 s4, 0, v5
	v_not_b32_e32 v5, v6
	v_lshlrev_b32_e32 v57, 26, v2
	v_cmp_ne_u32_e32 vcc_lo, 0, v8
	v_ashrrev_i32_e32 v8, 31, v60
	v_lshlrev_b32_e32 v58, 25, v2
	v_ashrrev_i32_e32 v5, 31, v5
	v_mul_lo_u32 v3, 0x84, v2
	v_xor_b32_e32 v4, vcc_lo, v4
	v_cmp_gt_i32_e32 vcc_lo, 0, v6
	v_not_b32_e32 v6, v7
	v_xor_b32_e32 v8, s4, v8
	v_cmp_gt_i32_e64 s4, 0, v7
	v_and_b32_e32 v4, exec_lo, v4
	v_not_b32_e32 v7, v40
	v_ashrrev_i32_e32 v6, 31, v6
	v_xor_b32_e32 v5, vcc_lo, v5
	v_cmp_gt_i32_e32 vcc_lo, 0, v40
	v_and_b32_e32 v4, v4, v8
	v_not_b32_e32 v8, v57
	v_ashrrev_i32_e32 v7, 31, v7
	v_xor_b32_e32 v6, s4, v6
	v_lshlrev_b32_e32 v2, 24, v2
	v_and_b32_e32 v4, v4, v5
	v_cmp_gt_i32_e64 s4, 0, v57
	v_not_b32_e32 v5, v58
	v_ashrrev_i32_e32 v8, 31, v8
	v_xor_b32_e32 v7, vcc_lo, v7
	v_and_b32_e32 v4, v4, v6
	v_cmp_gt_i32_e32 vcc_lo, 0, v58
	v_not_b32_e32 v6, v2
	v_ashrrev_i32_e32 v5, 31, v5
	v_xor_b32_e32 v8, s4, v8
	v_and_b32_e32 v4, v4, v7
	v_cmp_gt_i32_e64 s4, 0, v2
	v_ashrrev_i32_e32 v2, 31, v6
	v_xor_b32_e32 v5, vcc_lo, v5
	v_lshl_add_u32 v60, v1, 2, v3
	v_and_b32_e32 v4, v4, v8
	v_xor_b32_e32 v1, s4, v2
	ds_read_b32 v57, v60 offset:128
	v_and_b32_e32 v2, v4, v5
	; wave barrier
	v_and_b32_e32 v1, v2, v1
	v_mbcnt_lo_u32_b32 v58, v1, 0
	v_cmp_ne_u32_e64 s4, 0, v1
	v_cmp_eq_u32_e32 vcc_lo, 0, v58
	s_and_b32 s5, s4, vcc_lo
	s_and_saveexec_b32 s4, s5
	s_cbranch_execz .LBB1007_161
; %bb.160:
	s_waitcnt lgkmcnt(0)
	v_bcnt_u32_b32 v1, v1, v57
	ds_write_b32 v60, v1 offset:128
.LBB1007_161:
	s_or_b32 exec_lo, exec_lo, s4
	; wave barrier
	s_waitcnt lgkmcnt(0)
	s_barrier
	buffer_gl0_inv
	ds_read2_b32 v[7:8], v21 offset0:32 offset1:33
	ds_read2_b32 v[5:6], v21 offset0:34 offset1:35
	;; [unrolled: 1-line block ×4, first 2 shown]
	ds_read_b32 v40, v21 offset:160
	v_and_b32_e32 v63, 16, v11
	v_and_b32_e32 v64, 31, v0
	s_mov_b32 s10, exec_lo
	v_cmp_eq_u32_e64 s8, 0, v63
	s_waitcnt lgkmcnt(3)
	v_add3_u32 v61, v8, v7, v5
	s_waitcnt lgkmcnt(2)
	v_add3_u32 v61, v61, v6, v3
	;; [unrolled: 2-line block ×4, first 2 shown]
	v_and_b32_e32 v61, 15, v11
	v_mov_b32_dpp v62, v40 row_shr:1 row_mask:0xf bank_mask:0xf
	v_cmp_eq_u32_e32 vcc_lo, 0, v61
	v_cmp_lt_u32_e64 s4, 1, v61
	v_cmp_lt_u32_e64 s5, 3, v61
	;; [unrolled: 1-line block ×3, first 2 shown]
	v_cndmask_b32_e64 v62, v62, 0, vcc_lo
	v_add_nc_u32_e32 v40, v62, v40
	v_mov_b32_dpp v62, v40 row_shr:2 row_mask:0xf bank_mask:0xf
	v_cndmask_b32_e64 v62, 0, v62, s4
	v_add_nc_u32_e32 v40, v40, v62
	v_mov_b32_dpp v62, v40 row_shr:4 row_mask:0xf bank_mask:0xf
	v_cndmask_b32_e64 v62, 0, v62, s5
	;; [unrolled: 3-line block ×3, first 2 shown]
	v_bfe_i32 v62, v11, 4, 1
	v_add_nc_u32_e32 v40, v40, v61
	ds_swizzle_b32 v61, v40 offset:swizzle(BROADCAST,32,15)
	s_waitcnt lgkmcnt(0)
	v_and_b32_e32 v61, v62, v61
	v_lshrrev_b32_e32 v62, 5, v0
	v_add_nc_u32_e32 v61, v40, v61
	v_cmpx_eq_u32_e32 31, v64
; %bb.162:
	v_lshlrev_b32_e32 v40, 2, v62
	ds_write_b32 v40, v61
; %bb.163:
	s_or_b32 exec_lo, exec_lo, s10
	v_cmp_lt_u32_e64 s9, 31, v0
	v_lshlrev_b32_e32 v40, 2, v0
	s_mov_b32 s15, exec_lo
	s_waitcnt lgkmcnt(0)
	s_barrier
	buffer_gl0_inv
	v_cmpx_gt_u32_e32 32, v0
	s_cbranch_execz .LBB1007_165
; %bb.164:
	ds_read_b32 v63, v40
	s_waitcnt lgkmcnt(0)
	v_mov_b32_dpp v64, v63 row_shr:1 row_mask:0xf bank_mask:0xf
	v_cndmask_b32_e64 v64, v64, 0, vcc_lo
	v_add_nc_u32_e32 v63, v64, v63
	v_mov_b32_dpp v64, v63 row_shr:2 row_mask:0xf bank_mask:0xf
	v_cndmask_b32_e64 v64, 0, v64, s4
	v_add_nc_u32_e32 v63, v63, v64
	v_mov_b32_dpp v64, v63 row_shr:4 row_mask:0xf bank_mask:0xf
	v_cndmask_b32_e64 v64, 0, v64, s5
	;; [unrolled: 3-line block ×3, first 2 shown]
	v_add_nc_u32_e32 v63, v63, v64
	ds_swizzle_b32 v64, v63 offset:swizzle(BROADCAST,32,15)
	s_waitcnt lgkmcnt(0)
	v_cndmask_b32_e64 v64, v64, 0, s8
	v_add_nc_u32_e32 v63, v63, v64
	ds_write_b32 v40, v63
.LBB1007_165:
	s_or_b32 exec_lo, exec_lo, s15
	v_mov_b32_e32 v63, 0
	s_waitcnt lgkmcnt(0)
	s_barrier
	buffer_gl0_inv
	s_and_saveexec_b32 s4, s9
; %bb.166:
	v_lshl_add_u32 v62, v62, 2, -4
	ds_read_b32 v63, v62
; %bb.167:
	s_or_b32 exec_lo, exec_lo, s4
	v_sub_co_u32 v62, vcc_lo, v11, 1
	s_waitcnt lgkmcnt(0)
	v_add_nc_u32_e32 v61, v63, v61
	v_cmp_gt_i32_e64 s4, 0, v62
	v_cndmask_b32_e64 v11, v62, v11, s4
	v_cmp_lt_u32_e64 s4, 0xff, v0
	v_lshlrev_b32_e32 v11, 2, v11
	ds_bpermute_b32 v11, v11, v61
	s_waitcnt lgkmcnt(0)
	v_cndmask_b32_e32 v11, v11, v63, vcc_lo
	v_cmp_gt_u32_e32 vcc_lo, 0x100, v0
	v_cndmask_b32_e64 v11, v11, 0, s7
	v_add_nc_u32_e32 v7, v11, v7
	v_add_nc_u32_e32 v8, v7, v8
	;; [unrolled: 1-line block ×8, first 2 shown]
	ds_write2_b32 v21, v11, v7 offset0:32 offset1:33
	ds_write2_b32 v21, v8, v5 offset0:34 offset1:35
	;; [unrolled: 1-line block ×4, first 2 shown]
	ds_write_b32 v21, v2 offset:160
	s_waitcnt lgkmcnt(0)
	s_barrier
	buffer_gl0_inv
	ds_read_b32 v11, v22 offset:128
	ds_read_b32 v21, v26 offset:128
	;; [unrolled: 1-line block ×12, first 2 shown]
                                        ; implicit-def: $vgpr7
                                        ; implicit-def: $vgpr8
	s_and_saveexec_b32 s6, vcc_lo
	s_cbranch_execz .LBB1007_171
; %bb.168:
	v_mul_u32_u24_e32 v1, 0x84, v0
	v_add_nc_u32_e32 v2, 1, v0
	s_mov_b32 s7, exec_lo
	ds_read_b32 v7, v1 offset:128
	v_mov_b32_e32 v1, 0x3000
	v_cmpx_ne_u32_e32 0x100, v2
; %bb.169:
	v_mul_u32_u24_e32 v1, 0x84, v2
	ds_read_b32 v1, v1 offset:128
; %bb.170:
	s_or_b32 exec_lo, exec_lo, s7
	s_waitcnt lgkmcnt(0)
	v_sub_nc_u32_e32 v8, v1, v7
.LBB1007_171:
	s_or_b32 exec_lo, exec_lo, s6
	v_mov_b32_e32 v2, 0
	s_waitcnt lgkmcnt(0)
	s_barrier
	buffer_gl0_inv
	s_and_saveexec_b32 s5, vcc_lo
	s_cbranch_execz .LBB1007_181
; %bb.172:
	v_lshl_add_u32 v1, s33, 8, v0
	v_mov_b32_e32 v59, 0
	s_mov_b32 s6, 0
	s_mov_b32 s7, s33
                                        ; implicit-def: $sgpr8
	v_lshlrev_b64 v[3:4], 2, v[1:2]
	v_or_b32_e32 v1, 2.0, v8
	v_add_co_u32 v3, vcc_lo, s26, v3
	v_add_co_ci_u32_e64 v4, null, s27, v4, vcc_lo
	global_store_dword v[3:4], v1, off
	s_branch .LBB1007_175
	.p2align	6
.LBB1007_173:                           ;   in Loop: Header=BB1007_175 Depth=1
	s_or_b32 exec_lo, exec_lo, s9
.LBB1007_174:                           ;   in Loop: Header=BB1007_175 Depth=1
	s_or_b32 exec_lo, exec_lo, s8
	v_and_b32_e32 v5, 0x3fffffff, v1
	v_cmp_gt_i32_e64 s8, -2.0, v1
	v_add_nc_u32_e32 v59, v5, v59
	s_and_b32 s9, exec_lo, s8
	s_or_b32 s6, s9, s6
	s_andn2_b32 exec_lo, exec_lo, s6
	s_cbranch_execz .LBB1007_180
.LBB1007_175:                           ; =>This Loop Header: Depth=1
                                        ;     Child Loop BB1007_178 Depth 2
	s_or_b32 s8, s8, exec_lo
	s_cmp_eq_u32 s7, 0
	s_cbranch_scc1 .LBB1007_179
; %bb.176:                              ;   in Loop: Header=BB1007_175 Depth=1
	s_add_i32 s7, s7, -1
	s_mov_b32 s8, exec_lo
	v_lshl_or_b32 v1, s7, 8, v0
	v_lshlrev_b64 v[5:6], 2, v[1:2]
	v_add_co_u32 v5, vcc_lo, s26, v5
	v_add_co_ci_u32_e64 v6, null, s27, v6, vcc_lo
	global_load_dword v1, v[5:6], off glc dlc
	s_waitcnt vmcnt(0)
	v_cmpx_gt_u32_e32 2.0, v1
	s_cbranch_execz .LBB1007_174
; %bb.177:                              ;   in Loop: Header=BB1007_175 Depth=1
	s_mov_b32 s9, 0
.LBB1007_178:                           ;   Parent Loop BB1007_175 Depth=1
                                        ; =>  This Inner Loop Header: Depth=2
	global_load_dword v1, v[5:6], off glc dlc
	s_waitcnt vmcnt(0)
	v_cmp_lt_u32_e32 vcc_lo, 0x3fffffff, v1
	s_or_b32 s9, vcc_lo, s9
	s_andn2_b32 exec_lo, exec_lo, s9
	s_cbranch_execnz .LBB1007_178
	s_branch .LBB1007_173
.LBB1007_179:                           ;   in Loop: Header=BB1007_175 Depth=1
                                        ; implicit-def: $sgpr7
	s_and_b32 s9, exec_lo, s8
	s_or_b32 s6, s9, s6
	s_andn2_b32 exec_lo, exec_lo, s6
	s_cbranch_execnz .LBB1007_175
.LBB1007_180:
	s_or_b32 exec_lo, exec_lo, s6
	v_add_nc_u32_e32 v1, v59, v8
	v_sub_nc_u32_e32 v2, v59, v7
	v_or_b32_e32 v1, 0x80000000, v1
	global_store_dword v[3:4], v1, off
	global_load_dword v1, v40, s[28:29]
	s_waitcnt vmcnt(0)
	v_add_nc_u32_e32 v1, v2, v1
	ds_write_b32 v40, v1
.LBB1007_181:
	s_or_b32 exec_lo, exec_lo, s5
	v_add_nc_u32_e32 v3, v11, v16
	v_add3_u32 v4, v19, v18, v21
	v_add3_u32 v5, v24, v23, v22
	;; [unrolled: 1-line block ×11, first 2 shown]
	v_mov_b32_e32 v2, 0
	v_mov_b32_e32 v26, v3
	;; [unrolled: 1-line block ×13, first 2 shown]
	s_mov_b32 s5, 32
	s_mov_b32 s8, 0
	;; [unrolled: 1-line block ×3, first 2 shown]
	s_mov_b32 s7, -1
	s_branch .LBB1007_183
.LBB1007_182:                           ;   in Loop: Header=BB1007_183 Depth=1
	v_add_nc_u32_e32 v41, 0xffffe000, v41
	v_add_nc_u32_e32 v39, 0xffffe000, v39
	;; [unrolled: 1-line block ×12, first 2 shown]
	s_xor_b32 s8, s7, -1
	s_addk_i32 s6, 0x2000
	s_mov_b32 s7, 0
	s_and_b32 vcc_lo, exec_lo, s8
	s_mov_b32 s8, s5
	s_waitcnt_vscnt null, 0x0
	s_barrier
	buffer_gl0_inv
	s_cbranch_vccnz .LBB1007_191
.LBB1007_183:                           ; =>This Inner Loop Header: Depth=1
	v_min_u32_e32 v1, 0x2000, v26
	v_min_u32_e32 v43, 0x2000, v27
	;; [unrolled: 1-line block ×5, first 2 shown]
	v_lshlrev_b32_e32 v1, 2, v1
	v_lshlrev_b32_e32 v43, 2, v43
	v_min_u32_e32 v48, 0x2000, v32
	v_min_u32_e32 v49, 0x2000, v34
	v_mov_b32_e32 v57, s8
	ds_write_b32 v1, v12 offset:1024
	ds_write_b32 v43, v13 offset:1024
	v_lshlrev_b32_e32 v1, 2, v44
	v_lshlrev_b32_e32 v43, 2, v45
	;; [unrolled: 1-line block ×5, first 2 shown]
	ds_write_b32 v1, v14 offset:1024
	ds_write_b32 v43, v15 offset:1024
	;; [unrolled: 1-line block ×5, first 2 shown]
	v_min_u32_e32 v1, 0x2000, v35
	v_min_u32_e32 v43, 0x2000, v36
	v_min_u32_e32 v44, 0x2000, v38
	v_min_u32_e32 v45, 0x2000, v39
	v_min_u32_e32 v47, 0x2000, v41
	v_lshlrev_b32_e32 v1, 2, v1
	v_lshlrev_b32_e32 v43, 2, v43
	;; [unrolled: 1-line block ×5, first 2 shown]
	ds_write_b32 v1, v29 offset:1024
	ds_write_b32 v43, v33 offset:1024
	;; [unrolled: 1-line block ×5, first 2 shown]
	s_waitcnt lgkmcnt(0)
	s_waitcnt_vscnt null, 0x0
	s_barrier
	buffer_gl0_inv
	ds_read2st64_b32 v[44:45], v40 offset0:4 offset1:20
	ds_read2st64_b32 v[47:48], v40 offset0:36 offset1:52
	s_add_i32 s9, s6, 0x1000
	s_cmpk_lt_u32 s9, 0x3000
	s_waitcnt lgkmcnt(1)
	v_lshrrev_b32_e32 v1, s44, v44
	v_xor_b32_e32 v58, 0x7fffffff, v44
	v_xor_b32_e32 v59, 0x7fffffff, v45
	s_waitcnt lgkmcnt(0)
	v_xor_b32_e32 v60, 0x7fffffff, v47
	v_xor_b32_e32 v61, 0x7fffffff, v48
	v_and_b32_e32 v49, s14, v1
	v_lshrrev_b32_e32 v1, s44, v45
	v_lshlrev_b32_e32 v43, 2, v49
	v_and_b32_e32 v50, s14, v1
	v_lshrrev_b32_e32 v1, s44, v47
	ds_read_b32 v51, v43
	v_and_b32_e32 v53, s14, v1
	v_lshrrev_b32_e32 v1, s44, v48
	v_and_b32_e32 v54, s14, v1
	v_lshlrev_b32_e32 v1, 2, v54
	ds_read_b32 v56, v1
	v_lshlrev_b32_e32 v43, 2, v50
	ds_read_b32 v52, v43
	;; [unrolled: 2-line block ×3, first 2 shown]
	v_add_nc_u32_e32 v43, s6, v0
	buffer_store_dword v49, v57, s[0:3], 0 offen
	buffer_store_dword v50, v57, s[0:3], 0 offen offset:4
	buffer_store_dword v53, v57, s[0:3], 0 offen offset:8
	s_waitcnt lgkmcnt(3)
	v_add_nc_u32_e32 v1, v43, v51
	v_lshlrev_b64 v[44:45], 2, v[1:2]
	s_waitcnt lgkmcnt(1)
	v_add3_u32 v1, v43, v52, 0x400
	v_add_co_u32 v44, vcc_lo, s38, v44
	v_lshlrev_b64 v[47:48], 2, v[1:2]
	s_waitcnt lgkmcnt(0)
	v_add3_u32 v1, v43, v55, 0x800
	v_add_co_ci_u32_e64 v45, null, s39, v45, vcc_lo
	v_lshlrev_b64 v[49:50], 2, v[1:2]
	v_add3_u32 v1, v43, v56, 0xc00
	v_add_co_u32 v47, vcc_lo, s38, v47
	v_add_co_ci_u32_e64 v48, null, s39, v48, vcc_lo
	v_lshlrev_b64 v[51:52], 2, v[1:2]
	v_add_co_u32 v49, vcc_lo, s38, v49
	v_add_co_ci_u32_e64 v50, null, s39, v50, vcc_lo
	v_add_co_u32 v51, vcc_lo, s38, v51
	v_add_co_ci_u32_e64 v52, null, s39, v52, vcc_lo
	global_store_dword v[44:45], v58, off
	global_store_dword v[47:48], v59, off
	;; [unrolled: 1-line block ×4, first 2 shown]
	buffer_store_dword v54, v57, s[0:3], 0 offen offset:12
	s_cbranch_scc0 .LBB1007_187
; %bb.184:                              ;   in Loop: Header=BB1007_183 Depth=1
	ds_read_b32 v47, v40 offset:17408
	s_waitcnt lgkmcnt(0)
	v_lshrrev_b32_e32 v1, s44, v47
	v_and_b32_e32 v48, s14, v1
	v_lshlrev_b32_e32 v1, 2, v48
	ds_read_b32 v1, v1
	s_waitcnt lgkmcnt(0)
	v_add3_u32 v1, v43, v1, 0x1000
	v_lshlrev_b64 v[44:45], 2, v[1:2]
	v_xor_b32_e32 v1, 0x7fffffff, v47
	v_mov_b32_e32 v47, s8
	v_add_co_u32 v44, vcc_lo, s38, v44
	v_add_co_ci_u32_e64 v45, null, s39, v45, vcc_lo
	buffer_store_dword v48, v47, s[0:3], 0 offen offset:16
	global_store_dword v[44:45], v1, off
	s_add_i32 s9, s6, 0x1400
	s_cmpk_gt_u32 s9, 0x2fff
	s_cbranch_scc0 .LBB1007_188
.LBB1007_185:                           ;   in Loop: Header=BB1007_183 Depth=1
	s_add_i32 s9, s6, 0x1800
	s_cmpk_gt_u32 s9, 0x2fff
	s_cbranch_scc1 .LBB1007_189
.LBB1007_186:                           ;   in Loop: Header=BB1007_183 Depth=1
	ds_read_b32 v47, v40 offset:25600
	s_waitcnt lgkmcnt(0)
	v_lshrrev_b32_e32 v1, s44, v47
	v_and_b32_e32 v48, s14, v1
	v_lshlrev_b32_e32 v1, 2, v48
	ds_read_b32 v1, v1
	s_waitcnt lgkmcnt(0)
	v_add3_u32 v1, v43, v1, 0x1800
	v_lshlrev_b64 v[44:45], 2, v[1:2]
	v_xor_b32_e32 v1, 0x7fffffff, v47
	v_mov_b32_e32 v47, s8
	v_add_co_u32 v44, vcc_lo, s38, v44
	v_add_co_ci_u32_e64 v45, null, s39, v45, vcc_lo
	buffer_store_dword v48, v47, s[0:3], 0 offen offset:24
	global_store_dword v[44:45], v1, off
	s_add_i32 s9, s6, 0x1c00
	s_cmpk_gt_u32 s9, 0x2fff
	s_cbranch_scc1 .LBB1007_182
	s_branch .LBB1007_190
.LBB1007_187:                           ;   in Loop: Header=BB1007_183 Depth=1
	s_add_i32 s9, s6, 0x1400
	s_cmpk_gt_u32 s9, 0x2fff
	s_cbranch_scc1 .LBB1007_185
.LBB1007_188:                           ;   in Loop: Header=BB1007_183 Depth=1
	ds_read_b32 v47, v40 offset:21504
	s_waitcnt lgkmcnt(0)
	v_lshrrev_b32_e32 v1, s44, v47
	v_and_b32_e32 v48, s14, v1
	v_lshlrev_b32_e32 v1, 2, v48
	ds_read_b32 v1, v1
	s_waitcnt lgkmcnt(0)
	v_add3_u32 v1, v43, v1, 0x1400
	v_lshlrev_b64 v[44:45], 2, v[1:2]
	v_xor_b32_e32 v1, 0x7fffffff, v47
	v_mov_b32_e32 v47, s8
	v_add_co_u32 v44, vcc_lo, s38, v44
	v_add_co_ci_u32_e64 v45, null, s39, v45, vcc_lo
	buffer_store_dword v48, v47, s[0:3], 0 offen offset:20
	global_store_dword v[44:45], v1, off
	s_add_i32 s9, s6, 0x1800
	s_cmpk_gt_u32 s9, 0x2fff
	s_cbranch_scc0 .LBB1007_186
.LBB1007_189:                           ;   in Loop: Header=BB1007_183 Depth=1
	s_add_i32 s9, s6, 0x1c00
	s_cmpk_gt_u32 s9, 0x2fff
	s_cbranch_scc1 .LBB1007_182
.LBB1007_190:                           ;   in Loop: Header=BB1007_183 Depth=1
	ds_read_b32 v45, v40 offset:29696
	s_waitcnt lgkmcnt(0)
	v_lshrrev_b32_e32 v1, s44, v45
	v_and_b32_e32 v47, s14, v1
	v_lshlrev_b32_e32 v1, 2, v47
	ds_read_b32 v1, v1
	s_waitcnt lgkmcnt(0)
	v_add3_u32 v1, v43, v1, 0x1c00
	v_lshlrev_b64 v[43:44], 2, v[1:2]
	v_xor_b32_e32 v1, 0x7fffffff, v45
	v_mov_b32_e32 v45, s8
	v_add_co_u32 v43, vcc_lo, s38, v43
	v_add_co_ci_u32_e64 v44, null, s39, v44, vcc_lo
	buffer_store_dword v47, v45, s[0:3], 0 offen offset:28
	global_store_dword v[43:44], v1, off
	s_branch .LBB1007_182
.LBB1007_191:
	s_add_u32 s6, s40, s12
	s_addc_u32 s7, s41, s13
	v_add_co_u32 v1, s6, s6, v9
	v_add_co_ci_u32_e64 v2, null, s7, 0, s6
	s_mov_b32 s8, 0
	v_add_co_u32 v1, vcc_lo, v1, v10
	v_add_co_ci_u32_e64 v2, null, 0, v2, vcc_lo
	s_mov_b32 s7, -1
	s_mov_b32 s6, 0
	s_clause 0xb
	global_load_dword v9, v[1:2], off
	global_load_dword v10, v[1:2], off offset:128
	global_load_dword v12, v[1:2], off offset:256
	;; [unrolled: 1-line block ×11, first 2 shown]
	v_mov_b32_e32 v2, 0
	s_branch .LBB1007_193
.LBB1007_192:                           ;   in Loop: Header=BB1007_193 Depth=1
	v_add_nc_u32_e32 v24, 0xffffe000, v24
	v_add_nc_u32_e32 v23, 0xffffe000, v23
	;; [unrolled: 1-line block ×12, first 2 shown]
	s_xor_b32 s8, s7, -1
	s_addk_i32 s6, 0x2000
	s_mov_b32 s7, 0
	s_and_b32 vcc_lo, exec_lo, s8
	s_mov_b32 s8, s5
	s_waitcnt_vscnt null, 0x0
	s_barrier
	buffer_gl0_inv
	s_cbranch_vccnz .LBB1007_201
.LBB1007_193:                           ; =>This Inner Loop Header: Depth=1
	v_min_u32_e32 v1, 0x2000, v3
	v_min_u32_e32 v29, 0x2000, v4
	;; [unrolled: 1-line block ×5, first 2 shown]
	v_lshlrev_b32_e32 v1, 2, v1
	v_lshlrev_b32_e32 v29, 2, v29
	v_min_u32_e32 v33, 0x2000, v16
	v_lshlrev_b32_e32 v30, 2, v30
	s_add_i32 s9, s6, 0x1000
	s_waitcnt vmcnt(11)
	ds_write_b32 v1, v9 offset:1024
	s_waitcnt vmcnt(10)
	ds_write_b32 v29, v10 offset:1024
	v_min_u32_e32 v1, 0x2000, v18
	v_lshlrev_b32_e32 v29, 2, v31
	v_lshlrev_b32_e32 v31, 2, v32
	;; [unrolled: 1-line block ×3, first 2 shown]
	s_waitcnt vmcnt(9)
	ds_write_b32 v30, v12 offset:1024
	v_lshlrev_b32_e32 v1, 2, v1
	s_waitcnt vmcnt(8)
	ds_write_b32 v29, v13 offset:1024
	s_waitcnt vmcnt(7)
	ds_write_b32 v31, v14 offset:1024
	;; [unrolled: 2-line block ×3, first 2 shown]
	v_min_u32_e32 v29, 0x2000, v19
	v_min_u32_e32 v30, 0x2000, v22
	;; [unrolled: 1-line block ×3, first 2 shown]
	s_waitcnt vmcnt(5)
	ds_write_b32 v1, v17 offset:1024
	v_min_u32_e32 v1, 0x2000, v21
	v_lshlrev_b32_e32 v29, 2, v29
	v_min_u32_e32 v32, 0x2000, v24
	v_lshlrev_b32_e32 v30, 2, v30
	v_lshlrev_b32_e32 v31, 2, v31
	;; [unrolled: 1-line block ×3, first 2 shown]
	s_waitcnt vmcnt(4)
	ds_write_b32 v29, v20 offset:1024
	v_lshlrev_b32_e32 v29, 2, v32
	s_waitcnt vmcnt(3)
	ds_write_b32 v1, v25 offset:1024
	s_waitcnt vmcnt(2)
	ds_write_b32 v30, v26 offset:1024
	;; [unrolled: 2-line block ×3, first 2 shown]
	v_mov_b32_e32 v1, s8
	s_waitcnt vmcnt(0)
	ds_write_b32 v29, v28 offset:1024
	s_waitcnt lgkmcnt(0)
	s_barrier
	buffer_gl0_inv
	s_clause 0x3
	buffer_load_dword v29, v1, s[0:3], 0 offen
	buffer_load_dword v30, v1, s[0:3], 0 offen offset:4
	buffer_load_dword v31, v1, s[0:3], 0 offen offset:8
	;; [unrolled: 1-line block ×3, first 2 shown]
	s_cmpk_lt_u32 s9, 0x3000
	s_waitcnt vmcnt(3)
	v_lshlrev_b32_e32 v29, 2, v29
	s_waitcnt vmcnt(0)
	v_lshlrev_b32_e32 v1, 2, v1
	ds_read_b32 v32, v29
	ds_read_b32 v41, v1
	v_lshlrev_b32_e32 v29, 2, v30
	ds_read_b32 v34, v29
	v_lshlrev_b32_e32 v29, 2, v31
	ds_read2st64_b32 v[30:31], v40 offset0:4 offset1:20
	ds_read_b32 v36, v29
	v_add_nc_u32_e32 v29, s6, v0
	s_waitcnt lgkmcnt(4)
	v_add_nc_u32_e32 v1, v29, v32
	v_lshlrev_b64 v[32:33], 2, v[1:2]
	s_waitcnt lgkmcnt(2)
	v_add3_u32 v1, v29, v34, 0x400
	v_add_co_u32 v32, vcc_lo, s42, v32
	v_lshlrev_b64 v[34:35], 2, v[1:2]
	s_waitcnt lgkmcnt(0)
	v_add3_u32 v1, v29, v36, 0x800
	ds_read2st64_b32 v[36:37], v40 offset0:36 offset1:52
	v_add_co_ci_u32_e64 v33, null, s43, v33, vcc_lo
	v_lshlrev_b64 v[38:39], 2, v[1:2]
	v_add3_u32 v1, v29, v41, 0xc00
	global_store_dword v[32:33], v30, off
	v_add_co_u32 v32, vcc_lo, s42, v34
	v_add_co_ci_u32_e64 v33, null, s43, v35, vcc_lo
	v_lshlrev_b64 v[34:35], 2, v[1:2]
	v_add_co_u32 v38, vcc_lo, s42, v38
	v_add_co_ci_u32_e64 v39, null, s43, v39, vcc_lo
	global_store_dword v[32:33], v31, off
	v_add_co_u32 v34, vcc_lo, s42, v34
	v_add_co_ci_u32_e64 v35, null, s43, v35, vcc_lo
	s_waitcnt lgkmcnt(0)
	global_store_dword v[38:39], v36, off
	global_store_dword v[34:35], v37, off
	s_cbranch_scc0 .LBB1007_197
; %bb.194:                              ;   in Loop: Header=BB1007_193 Depth=1
	v_mov_b32_e32 v1, s8
	buffer_load_dword v1, v1, s[0:3], 0 offen offset:16
	s_waitcnt vmcnt(0)
	v_lshlrev_b32_e32 v1, 2, v1
	ds_read_b32 v1, v1
	ds_read_b32 v32, v40 offset:17408
	s_waitcnt lgkmcnt(1)
	v_add3_u32 v1, v29, v1, 0x1000
	v_lshlrev_b64 v[30:31], 2, v[1:2]
	v_add_co_u32 v30, vcc_lo, s42, v30
	v_add_co_ci_u32_e64 v31, null, s43, v31, vcc_lo
	s_waitcnt lgkmcnt(0)
	global_store_dword v[30:31], v32, off
	s_add_i32 s9, s6, 0x1400
	s_cmpk_gt_u32 s9, 0x2fff
	s_cbranch_scc0 .LBB1007_198
.LBB1007_195:                           ;   in Loop: Header=BB1007_193 Depth=1
	s_add_i32 s9, s6, 0x1800
	s_cmpk_gt_u32 s9, 0x2fff
	s_cbranch_scc1 .LBB1007_199
.LBB1007_196:                           ;   in Loop: Header=BB1007_193 Depth=1
	v_mov_b32_e32 v1, s8
	buffer_load_dword v1, v1, s[0:3], 0 offen offset:24
	s_waitcnt vmcnt(0)
	v_lshlrev_b32_e32 v1, 2, v1
	ds_read_b32 v1, v1
	ds_read_b32 v32, v40 offset:25600
	s_waitcnt lgkmcnt(1)
	v_add3_u32 v1, v29, v1, 0x1800
	v_lshlrev_b64 v[30:31], 2, v[1:2]
	v_add_co_u32 v30, vcc_lo, s42, v30
	v_add_co_ci_u32_e64 v31, null, s43, v31, vcc_lo
	s_waitcnt lgkmcnt(0)
	global_store_dword v[30:31], v32, off
	s_add_i32 s9, s6, 0x1c00
	s_cmpk_gt_u32 s9, 0x2fff
	s_cbranch_scc1 .LBB1007_192
	s_branch .LBB1007_200
.LBB1007_197:                           ;   in Loop: Header=BB1007_193 Depth=1
	s_add_i32 s9, s6, 0x1400
	s_cmpk_gt_u32 s9, 0x2fff
	s_cbranch_scc1 .LBB1007_195
.LBB1007_198:                           ;   in Loop: Header=BB1007_193 Depth=1
	v_mov_b32_e32 v1, s8
	buffer_load_dword v1, v1, s[0:3], 0 offen offset:20
	s_waitcnt vmcnt(0)
	v_lshlrev_b32_e32 v1, 2, v1
	ds_read_b32 v1, v1
	ds_read_b32 v32, v40 offset:21504
	s_waitcnt lgkmcnt(1)
	v_add3_u32 v1, v29, v1, 0x1400
	v_lshlrev_b64 v[30:31], 2, v[1:2]
	v_add_co_u32 v30, vcc_lo, s42, v30
	v_add_co_ci_u32_e64 v31, null, s43, v31, vcc_lo
	s_waitcnt lgkmcnt(0)
	global_store_dword v[30:31], v32, off
	s_add_i32 s9, s6, 0x1800
	s_cmpk_gt_u32 s9, 0x2fff
	s_cbranch_scc0 .LBB1007_196
.LBB1007_199:                           ;   in Loop: Header=BB1007_193 Depth=1
	s_add_i32 s9, s6, 0x1c00
	s_cmpk_gt_u32 s9, 0x2fff
	s_cbranch_scc1 .LBB1007_192
.LBB1007_200:                           ;   in Loop: Header=BB1007_193 Depth=1
	v_mov_b32_e32 v1, s8
	buffer_load_dword v1, v1, s[0:3], 0 offen offset:28
	s_waitcnt vmcnt(0)
	v_lshlrev_b32_e32 v1, 2, v1
	ds_read_b32 v1, v1
	ds_read_b32 v31, v40 offset:29696
	s_waitcnt lgkmcnt(1)
	v_add3_u32 v1, v29, v1, 0x1c00
	v_lshlrev_b64 v[29:30], 2, v[1:2]
	v_add_co_u32 v29, vcc_lo, s42, v29
	v_add_co_ci_u32_e64 v30, null, s43, v30, vcc_lo
	s_waitcnt lgkmcnt(0)
	global_store_dword v[29:30], v31, off
	s_branch .LBB1007_192
.LBB1007_201:
	s_add_i32 s11, s11, -1
	s_cmp_eq_u32 s33, s11
	s_cselect_b32 s5, -1, 0
	s_xor_b32 s4, s4, -1
	s_and_b32 s4, s4, s5
	s_and_saveexec_b32 s5, s4
	s_cbranch_execz .LBB1007_203
; %bb.202:
	ds_read_b32 v0, v40
	s_waitcnt lgkmcnt(0)
	v_add3_u32 v0, v7, v8, v0
	global_store_dword v40, v0, s[30:31]
.LBB1007_203:
	s_endpgm
	.section	.rodata,"a",@progbits
	.p2align	6, 0x0
	.amdhsa_kernel _ZN7rocprim17ROCPRIM_400000_NS6detail17trampoline_kernelINS0_14default_configENS1_35radix_sort_onesweep_config_selectorIiiEEZZNS1_29radix_sort_onesweep_iterationIS3_Lb1EN6thrust23THRUST_200600_302600_NS6detail15normal_iteratorINS8_10device_ptrIiEEEESD_SD_SD_jNS0_19identity_decomposerENS1_16block_id_wrapperIjLb1EEEEE10hipError_tT1_PNSt15iterator_traitsISI_E10value_typeET2_T3_PNSJ_ISO_E10value_typeET4_T5_PST_SU_PNS1_23onesweep_lookback_stateEbbT6_jjT7_P12ihipStream_tbENKUlT_T0_SI_SN_E_clISD_SD_SD_SD_EEDaS11_S12_SI_SN_EUlS11_E_NS1_11comp_targetILNS1_3genE8ELNS1_11target_archE1030ELNS1_3gpuE2ELNS1_3repE0EEENS1_47radix_sort_onesweep_sort_config_static_selectorELNS0_4arch9wavefront6targetE0EEEvSI_
		.amdhsa_group_segment_fixed_size 37000
		.amdhsa_private_segment_fixed_size 64
		.amdhsa_kernarg_size 344
		.amdhsa_user_sgpr_count 6
		.amdhsa_user_sgpr_private_segment_buffer 1
		.amdhsa_user_sgpr_dispatch_ptr 0
		.amdhsa_user_sgpr_queue_ptr 0
		.amdhsa_user_sgpr_kernarg_segment_ptr 1
		.amdhsa_user_sgpr_dispatch_id 0
		.amdhsa_user_sgpr_flat_scratch_init 0
		.amdhsa_user_sgpr_private_segment_size 0
		.amdhsa_wavefront_size32 1
		.amdhsa_uses_dynamic_stack 0
		.amdhsa_system_sgpr_private_segment_wavefront_offset 1
		.amdhsa_system_sgpr_workgroup_id_x 1
		.amdhsa_system_sgpr_workgroup_id_y 0
		.amdhsa_system_sgpr_workgroup_id_z 0
		.amdhsa_system_sgpr_workgroup_info 0
		.amdhsa_system_vgpr_workitem_id 2
		.amdhsa_next_free_vgpr 68
		.amdhsa_next_free_sgpr 51
		.amdhsa_reserve_vcc 1
		.amdhsa_reserve_flat_scratch 0
		.amdhsa_float_round_mode_32 0
		.amdhsa_float_round_mode_16_64 0
		.amdhsa_float_denorm_mode_32 3
		.amdhsa_float_denorm_mode_16_64 3
		.amdhsa_dx10_clamp 1
		.amdhsa_ieee_mode 1
		.amdhsa_fp16_overflow 0
		.amdhsa_workgroup_processor_mode 1
		.amdhsa_memory_ordered 1
		.amdhsa_forward_progress 1
		.amdhsa_shared_vgpr_count 0
		.amdhsa_exception_fp_ieee_invalid_op 0
		.amdhsa_exception_fp_denorm_src 0
		.amdhsa_exception_fp_ieee_div_zero 0
		.amdhsa_exception_fp_ieee_overflow 0
		.amdhsa_exception_fp_ieee_underflow 0
		.amdhsa_exception_fp_ieee_inexact 0
		.amdhsa_exception_int_div_zero 0
	.end_amdhsa_kernel
	.section	.text._ZN7rocprim17ROCPRIM_400000_NS6detail17trampoline_kernelINS0_14default_configENS1_35radix_sort_onesweep_config_selectorIiiEEZZNS1_29radix_sort_onesweep_iterationIS3_Lb1EN6thrust23THRUST_200600_302600_NS6detail15normal_iteratorINS8_10device_ptrIiEEEESD_SD_SD_jNS0_19identity_decomposerENS1_16block_id_wrapperIjLb1EEEEE10hipError_tT1_PNSt15iterator_traitsISI_E10value_typeET2_T3_PNSJ_ISO_E10value_typeET4_T5_PST_SU_PNS1_23onesweep_lookback_stateEbbT6_jjT7_P12ihipStream_tbENKUlT_T0_SI_SN_E_clISD_SD_SD_SD_EEDaS11_S12_SI_SN_EUlS11_E_NS1_11comp_targetILNS1_3genE8ELNS1_11target_archE1030ELNS1_3gpuE2ELNS1_3repE0EEENS1_47radix_sort_onesweep_sort_config_static_selectorELNS0_4arch9wavefront6targetE0EEEvSI_,"axG",@progbits,_ZN7rocprim17ROCPRIM_400000_NS6detail17trampoline_kernelINS0_14default_configENS1_35radix_sort_onesweep_config_selectorIiiEEZZNS1_29radix_sort_onesweep_iterationIS3_Lb1EN6thrust23THRUST_200600_302600_NS6detail15normal_iteratorINS8_10device_ptrIiEEEESD_SD_SD_jNS0_19identity_decomposerENS1_16block_id_wrapperIjLb1EEEEE10hipError_tT1_PNSt15iterator_traitsISI_E10value_typeET2_T3_PNSJ_ISO_E10value_typeET4_T5_PST_SU_PNS1_23onesweep_lookback_stateEbbT6_jjT7_P12ihipStream_tbENKUlT_T0_SI_SN_E_clISD_SD_SD_SD_EEDaS11_S12_SI_SN_EUlS11_E_NS1_11comp_targetILNS1_3genE8ELNS1_11target_archE1030ELNS1_3gpuE2ELNS1_3repE0EEENS1_47radix_sort_onesweep_sort_config_static_selectorELNS0_4arch9wavefront6targetE0EEEvSI_,comdat
.Lfunc_end1007:
	.size	_ZN7rocprim17ROCPRIM_400000_NS6detail17trampoline_kernelINS0_14default_configENS1_35radix_sort_onesweep_config_selectorIiiEEZZNS1_29radix_sort_onesweep_iterationIS3_Lb1EN6thrust23THRUST_200600_302600_NS6detail15normal_iteratorINS8_10device_ptrIiEEEESD_SD_SD_jNS0_19identity_decomposerENS1_16block_id_wrapperIjLb1EEEEE10hipError_tT1_PNSt15iterator_traitsISI_E10value_typeET2_T3_PNSJ_ISO_E10value_typeET4_T5_PST_SU_PNS1_23onesweep_lookback_stateEbbT6_jjT7_P12ihipStream_tbENKUlT_T0_SI_SN_E_clISD_SD_SD_SD_EEDaS11_S12_SI_SN_EUlS11_E_NS1_11comp_targetILNS1_3genE8ELNS1_11target_archE1030ELNS1_3gpuE2ELNS1_3repE0EEENS1_47radix_sort_onesweep_sort_config_static_selectorELNS0_4arch9wavefront6targetE0EEEvSI_, .Lfunc_end1007-_ZN7rocprim17ROCPRIM_400000_NS6detail17trampoline_kernelINS0_14default_configENS1_35radix_sort_onesweep_config_selectorIiiEEZZNS1_29radix_sort_onesweep_iterationIS3_Lb1EN6thrust23THRUST_200600_302600_NS6detail15normal_iteratorINS8_10device_ptrIiEEEESD_SD_SD_jNS0_19identity_decomposerENS1_16block_id_wrapperIjLb1EEEEE10hipError_tT1_PNSt15iterator_traitsISI_E10value_typeET2_T3_PNSJ_ISO_E10value_typeET4_T5_PST_SU_PNS1_23onesweep_lookback_stateEbbT6_jjT7_P12ihipStream_tbENKUlT_T0_SI_SN_E_clISD_SD_SD_SD_EEDaS11_S12_SI_SN_EUlS11_E_NS1_11comp_targetILNS1_3genE8ELNS1_11target_archE1030ELNS1_3gpuE2ELNS1_3repE0EEENS1_47radix_sort_onesweep_sort_config_static_selectorELNS0_4arch9wavefront6targetE0EEEvSI_
                                        ; -- End function
	.set _ZN7rocprim17ROCPRIM_400000_NS6detail17trampoline_kernelINS0_14default_configENS1_35radix_sort_onesweep_config_selectorIiiEEZZNS1_29radix_sort_onesweep_iterationIS3_Lb1EN6thrust23THRUST_200600_302600_NS6detail15normal_iteratorINS8_10device_ptrIiEEEESD_SD_SD_jNS0_19identity_decomposerENS1_16block_id_wrapperIjLb1EEEEE10hipError_tT1_PNSt15iterator_traitsISI_E10value_typeET2_T3_PNSJ_ISO_E10value_typeET4_T5_PST_SU_PNS1_23onesweep_lookback_stateEbbT6_jjT7_P12ihipStream_tbENKUlT_T0_SI_SN_E_clISD_SD_SD_SD_EEDaS11_S12_SI_SN_EUlS11_E_NS1_11comp_targetILNS1_3genE8ELNS1_11target_archE1030ELNS1_3gpuE2ELNS1_3repE0EEENS1_47radix_sort_onesweep_sort_config_static_selectorELNS0_4arch9wavefront6targetE0EEEvSI_.num_vgpr, 68
	.set _ZN7rocprim17ROCPRIM_400000_NS6detail17trampoline_kernelINS0_14default_configENS1_35radix_sort_onesweep_config_selectorIiiEEZZNS1_29radix_sort_onesweep_iterationIS3_Lb1EN6thrust23THRUST_200600_302600_NS6detail15normal_iteratorINS8_10device_ptrIiEEEESD_SD_SD_jNS0_19identity_decomposerENS1_16block_id_wrapperIjLb1EEEEE10hipError_tT1_PNSt15iterator_traitsISI_E10value_typeET2_T3_PNSJ_ISO_E10value_typeET4_T5_PST_SU_PNS1_23onesweep_lookback_stateEbbT6_jjT7_P12ihipStream_tbENKUlT_T0_SI_SN_E_clISD_SD_SD_SD_EEDaS11_S12_SI_SN_EUlS11_E_NS1_11comp_targetILNS1_3genE8ELNS1_11target_archE1030ELNS1_3gpuE2ELNS1_3repE0EEENS1_47radix_sort_onesweep_sort_config_static_selectorELNS0_4arch9wavefront6targetE0EEEvSI_.num_agpr, 0
	.set _ZN7rocprim17ROCPRIM_400000_NS6detail17trampoline_kernelINS0_14default_configENS1_35radix_sort_onesweep_config_selectorIiiEEZZNS1_29radix_sort_onesweep_iterationIS3_Lb1EN6thrust23THRUST_200600_302600_NS6detail15normal_iteratorINS8_10device_ptrIiEEEESD_SD_SD_jNS0_19identity_decomposerENS1_16block_id_wrapperIjLb1EEEEE10hipError_tT1_PNSt15iterator_traitsISI_E10value_typeET2_T3_PNSJ_ISO_E10value_typeET4_T5_PST_SU_PNS1_23onesweep_lookback_stateEbbT6_jjT7_P12ihipStream_tbENKUlT_T0_SI_SN_E_clISD_SD_SD_SD_EEDaS11_S12_SI_SN_EUlS11_E_NS1_11comp_targetILNS1_3genE8ELNS1_11target_archE1030ELNS1_3gpuE2ELNS1_3repE0EEENS1_47radix_sort_onesweep_sort_config_static_selectorELNS0_4arch9wavefront6targetE0EEEvSI_.numbered_sgpr, 51
	.set _ZN7rocprim17ROCPRIM_400000_NS6detail17trampoline_kernelINS0_14default_configENS1_35radix_sort_onesweep_config_selectorIiiEEZZNS1_29radix_sort_onesweep_iterationIS3_Lb1EN6thrust23THRUST_200600_302600_NS6detail15normal_iteratorINS8_10device_ptrIiEEEESD_SD_SD_jNS0_19identity_decomposerENS1_16block_id_wrapperIjLb1EEEEE10hipError_tT1_PNSt15iterator_traitsISI_E10value_typeET2_T3_PNSJ_ISO_E10value_typeET4_T5_PST_SU_PNS1_23onesweep_lookback_stateEbbT6_jjT7_P12ihipStream_tbENKUlT_T0_SI_SN_E_clISD_SD_SD_SD_EEDaS11_S12_SI_SN_EUlS11_E_NS1_11comp_targetILNS1_3genE8ELNS1_11target_archE1030ELNS1_3gpuE2ELNS1_3repE0EEENS1_47radix_sort_onesweep_sort_config_static_selectorELNS0_4arch9wavefront6targetE0EEEvSI_.num_named_barrier, 0
	.set _ZN7rocprim17ROCPRIM_400000_NS6detail17trampoline_kernelINS0_14default_configENS1_35radix_sort_onesweep_config_selectorIiiEEZZNS1_29radix_sort_onesweep_iterationIS3_Lb1EN6thrust23THRUST_200600_302600_NS6detail15normal_iteratorINS8_10device_ptrIiEEEESD_SD_SD_jNS0_19identity_decomposerENS1_16block_id_wrapperIjLb1EEEEE10hipError_tT1_PNSt15iterator_traitsISI_E10value_typeET2_T3_PNSJ_ISO_E10value_typeET4_T5_PST_SU_PNS1_23onesweep_lookback_stateEbbT6_jjT7_P12ihipStream_tbENKUlT_T0_SI_SN_E_clISD_SD_SD_SD_EEDaS11_S12_SI_SN_EUlS11_E_NS1_11comp_targetILNS1_3genE8ELNS1_11target_archE1030ELNS1_3gpuE2ELNS1_3repE0EEENS1_47radix_sort_onesweep_sort_config_static_selectorELNS0_4arch9wavefront6targetE0EEEvSI_.private_seg_size, 64
	.set _ZN7rocprim17ROCPRIM_400000_NS6detail17trampoline_kernelINS0_14default_configENS1_35radix_sort_onesweep_config_selectorIiiEEZZNS1_29radix_sort_onesweep_iterationIS3_Lb1EN6thrust23THRUST_200600_302600_NS6detail15normal_iteratorINS8_10device_ptrIiEEEESD_SD_SD_jNS0_19identity_decomposerENS1_16block_id_wrapperIjLb1EEEEE10hipError_tT1_PNSt15iterator_traitsISI_E10value_typeET2_T3_PNSJ_ISO_E10value_typeET4_T5_PST_SU_PNS1_23onesweep_lookback_stateEbbT6_jjT7_P12ihipStream_tbENKUlT_T0_SI_SN_E_clISD_SD_SD_SD_EEDaS11_S12_SI_SN_EUlS11_E_NS1_11comp_targetILNS1_3genE8ELNS1_11target_archE1030ELNS1_3gpuE2ELNS1_3repE0EEENS1_47radix_sort_onesweep_sort_config_static_selectorELNS0_4arch9wavefront6targetE0EEEvSI_.uses_vcc, 1
	.set _ZN7rocprim17ROCPRIM_400000_NS6detail17trampoline_kernelINS0_14default_configENS1_35radix_sort_onesweep_config_selectorIiiEEZZNS1_29radix_sort_onesweep_iterationIS3_Lb1EN6thrust23THRUST_200600_302600_NS6detail15normal_iteratorINS8_10device_ptrIiEEEESD_SD_SD_jNS0_19identity_decomposerENS1_16block_id_wrapperIjLb1EEEEE10hipError_tT1_PNSt15iterator_traitsISI_E10value_typeET2_T3_PNSJ_ISO_E10value_typeET4_T5_PST_SU_PNS1_23onesweep_lookback_stateEbbT6_jjT7_P12ihipStream_tbENKUlT_T0_SI_SN_E_clISD_SD_SD_SD_EEDaS11_S12_SI_SN_EUlS11_E_NS1_11comp_targetILNS1_3genE8ELNS1_11target_archE1030ELNS1_3gpuE2ELNS1_3repE0EEENS1_47radix_sort_onesweep_sort_config_static_selectorELNS0_4arch9wavefront6targetE0EEEvSI_.uses_flat_scratch, 0
	.set _ZN7rocprim17ROCPRIM_400000_NS6detail17trampoline_kernelINS0_14default_configENS1_35radix_sort_onesweep_config_selectorIiiEEZZNS1_29radix_sort_onesweep_iterationIS3_Lb1EN6thrust23THRUST_200600_302600_NS6detail15normal_iteratorINS8_10device_ptrIiEEEESD_SD_SD_jNS0_19identity_decomposerENS1_16block_id_wrapperIjLb1EEEEE10hipError_tT1_PNSt15iterator_traitsISI_E10value_typeET2_T3_PNSJ_ISO_E10value_typeET4_T5_PST_SU_PNS1_23onesweep_lookback_stateEbbT6_jjT7_P12ihipStream_tbENKUlT_T0_SI_SN_E_clISD_SD_SD_SD_EEDaS11_S12_SI_SN_EUlS11_E_NS1_11comp_targetILNS1_3genE8ELNS1_11target_archE1030ELNS1_3gpuE2ELNS1_3repE0EEENS1_47radix_sort_onesweep_sort_config_static_selectorELNS0_4arch9wavefront6targetE0EEEvSI_.has_dyn_sized_stack, 0
	.set _ZN7rocprim17ROCPRIM_400000_NS6detail17trampoline_kernelINS0_14default_configENS1_35radix_sort_onesweep_config_selectorIiiEEZZNS1_29radix_sort_onesweep_iterationIS3_Lb1EN6thrust23THRUST_200600_302600_NS6detail15normal_iteratorINS8_10device_ptrIiEEEESD_SD_SD_jNS0_19identity_decomposerENS1_16block_id_wrapperIjLb1EEEEE10hipError_tT1_PNSt15iterator_traitsISI_E10value_typeET2_T3_PNSJ_ISO_E10value_typeET4_T5_PST_SU_PNS1_23onesweep_lookback_stateEbbT6_jjT7_P12ihipStream_tbENKUlT_T0_SI_SN_E_clISD_SD_SD_SD_EEDaS11_S12_SI_SN_EUlS11_E_NS1_11comp_targetILNS1_3genE8ELNS1_11target_archE1030ELNS1_3gpuE2ELNS1_3repE0EEENS1_47radix_sort_onesweep_sort_config_static_selectorELNS0_4arch9wavefront6targetE0EEEvSI_.has_recursion, 0
	.set _ZN7rocprim17ROCPRIM_400000_NS6detail17trampoline_kernelINS0_14default_configENS1_35radix_sort_onesweep_config_selectorIiiEEZZNS1_29radix_sort_onesweep_iterationIS3_Lb1EN6thrust23THRUST_200600_302600_NS6detail15normal_iteratorINS8_10device_ptrIiEEEESD_SD_SD_jNS0_19identity_decomposerENS1_16block_id_wrapperIjLb1EEEEE10hipError_tT1_PNSt15iterator_traitsISI_E10value_typeET2_T3_PNSJ_ISO_E10value_typeET4_T5_PST_SU_PNS1_23onesweep_lookback_stateEbbT6_jjT7_P12ihipStream_tbENKUlT_T0_SI_SN_E_clISD_SD_SD_SD_EEDaS11_S12_SI_SN_EUlS11_E_NS1_11comp_targetILNS1_3genE8ELNS1_11target_archE1030ELNS1_3gpuE2ELNS1_3repE0EEENS1_47radix_sort_onesweep_sort_config_static_selectorELNS0_4arch9wavefront6targetE0EEEvSI_.has_indirect_call, 0
	.section	.AMDGPU.csdata,"",@progbits
; Kernel info:
; codeLenInByte = 17560
; TotalNumSgprs: 53
; NumVgprs: 68
; ScratchSize: 64
; MemoryBound: 0
; FloatMode: 240
; IeeeMode: 1
; LDSByteSize: 37000 bytes/workgroup (compile time only)
; SGPRBlocks: 0
; VGPRBlocks: 8
; NumSGPRsForWavesPerEU: 53
; NumVGPRsForWavesPerEU: 68
; Occupancy: 12
; WaveLimiterHint : 1
; COMPUTE_PGM_RSRC2:SCRATCH_EN: 1
; COMPUTE_PGM_RSRC2:USER_SGPR: 6
; COMPUTE_PGM_RSRC2:TRAP_HANDLER: 0
; COMPUTE_PGM_RSRC2:TGID_X_EN: 1
; COMPUTE_PGM_RSRC2:TGID_Y_EN: 0
; COMPUTE_PGM_RSRC2:TGID_Z_EN: 0
; COMPUTE_PGM_RSRC2:TIDIG_COMP_CNT: 2
	.section	.text._ZN7rocprim17ROCPRIM_400000_NS6detail17trampoline_kernelINS0_14default_configENS1_35radix_sort_onesweep_config_selectorIiiEEZZNS1_29radix_sort_onesweep_iterationIS3_Lb1EN6thrust23THRUST_200600_302600_NS6detail15normal_iteratorINS8_10device_ptrIiEEEESD_SD_SD_jNS0_19identity_decomposerENS1_16block_id_wrapperIjLb1EEEEE10hipError_tT1_PNSt15iterator_traitsISI_E10value_typeET2_T3_PNSJ_ISO_E10value_typeET4_T5_PST_SU_PNS1_23onesweep_lookback_stateEbbT6_jjT7_P12ihipStream_tbENKUlT_T0_SI_SN_E_clISD_PiSD_S15_EEDaS11_S12_SI_SN_EUlS11_E_NS1_11comp_targetILNS1_3genE0ELNS1_11target_archE4294967295ELNS1_3gpuE0ELNS1_3repE0EEENS1_47radix_sort_onesweep_sort_config_static_selectorELNS0_4arch9wavefront6targetE0EEEvSI_,"axG",@progbits,_ZN7rocprim17ROCPRIM_400000_NS6detail17trampoline_kernelINS0_14default_configENS1_35radix_sort_onesweep_config_selectorIiiEEZZNS1_29radix_sort_onesweep_iterationIS3_Lb1EN6thrust23THRUST_200600_302600_NS6detail15normal_iteratorINS8_10device_ptrIiEEEESD_SD_SD_jNS0_19identity_decomposerENS1_16block_id_wrapperIjLb1EEEEE10hipError_tT1_PNSt15iterator_traitsISI_E10value_typeET2_T3_PNSJ_ISO_E10value_typeET4_T5_PST_SU_PNS1_23onesweep_lookback_stateEbbT6_jjT7_P12ihipStream_tbENKUlT_T0_SI_SN_E_clISD_PiSD_S15_EEDaS11_S12_SI_SN_EUlS11_E_NS1_11comp_targetILNS1_3genE0ELNS1_11target_archE4294967295ELNS1_3gpuE0ELNS1_3repE0EEENS1_47radix_sort_onesweep_sort_config_static_selectorELNS0_4arch9wavefront6targetE0EEEvSI_,comdat
	.protected	_ZN7rocprim17ROCPRIM_400000_NS6detail17trampoline_kernelINS0_14default_configENS1_35radix_sort_onesweep_config_selectorIiiEEZZNS1_29radix_sort_onesweep_iterationIS3_Lb1EN6thrust23THRUST_200600_302600_NS6detail15normal_iteratorINS8_10device_ptrIiEEEESD_SD_SD_jNS0_19identity_decomposerENS1_16block_id_wrapperIjLb1EEEEE10hipError_tT1_PNSt15iterator_traitsISI_E10value_typeET2_T3_PNSJ_ISO_E10value_typeET4_T5_PST_SU_PNS1_23onesweep_lookback_stateEbbT6_jjT7_P12ihipStream_tbENKUlT_T0_SI_SN_E_clISD_PiSD_S15_EEDaS11_S12_SI_SN_EUlS11_E_NS1_11comp_targetILNS1_3genE0ELNS1_11target_archE4294967295ELNS1_3gpuE0ELNS1_3repE0EEENS1_47radix_sort_onesweep_sort_config_static_selectorELNS0_4arch9wavefront6targetE0EEEvSI_ ; -- Begin function _ZN7rocprim17ROCPRIM_400000_NS6detail17trampoline_kernelINS0_14default_configENS1_35radix_sort_onesweep_config_selectorIiiEEZZNS1_29radix_sort_onesweep_iterationIS3_Lb1EN6thrust23THRUST_200600_302600_NS6detail15normal_iteratorINS8_10device_ptrIiEEEESD_SD_SD_jNS0_19identity_decomposerENS1_16block_id_wrapperIjLb1EEEEE10hipError_tT1_PNSt15iterator_traitsISI_E10value_typeET2_T3_PNSJ_ISO_E10value_typeET4_T5_PST_SU_PNS1_23onesweep_lookback_stateEbbT6_jjT7_P12ihipStream_tbENKUlT_T0_SI_SN_E_clISD_PiSD_S15_EEDaS11_S12_SI_SN_EUlS11_E_NS1_11comp_targetILNS1_3genE0ELNS1_11target_archE4294967295ELNS1_3gpuE0ELNS1_3repE0EEENS1_47radix_sort_onesweep_sort_config_static_selectorELNS0_4arch9wavefront6targetE0EEEvSI_
	.globl	_ZN7rocprim17ROCPRIM_400000_NS6detail17trampoline_kernelINS0_14default_configENS1_35radix_sort_onesweep_config_selectorIiiEEZZNS1_29radix_sort_onesweep_iterationIS3_Lb1EN6thrust23THRUST_200600_302600_NS6detail15normal_iteratorINS8_10device_ptrIiEEEESD_SD_SD_jNS0_19identity_decomposerENS1_16block_id_wrapperIjLb1EEEEE10hipError_tT1_PNSt15iterator_traitsISI_E10value_typeET2_T3_PNSJ_ISO_E10value_typeET4_T5_PST_SU_PNS1_23onesweep_lookback_stateEbbT6_jjT7_P12ihipStream_tbENKUlT_T0_SI_SN_E_clISD_PiSD_S15_EEDaS11_S12_SI_SN_EUlS11_E_NS1_11comp_targetILNS1_3genE0ELNS1_11target_archE4294967295ELNS1_3gpuE0ELNS1_3repE0EEENS1_47radix_sort_onesweep_sort_config_static_selectorELNS0_4arch9wavefront6targetE0EEEvSI_
	.p2align	8
	.type	_ZN7rocprim17ROCPRIM_400000_NS6detail17trampoline_kernelINS0_14default_configENS1_35radix_sort_onesweep_config_selectorIiiEEZZNS1_29radix_sort_onesweep_iterationIS3_Lb1EN6thrust23THRUST_200600_302600_NS6detail15normal_iteratorINS8_10device_ptrIiEEEESD_SD_SD_jNS0_19identity_decomposerENS1_16block_id_wrapperIjLb1EEEEE10hipError_tT1_PNSt15iterator_traitsISI_E10value_typeET2_T3_PNSJ_ISO_E10value_typeET4_T5_PST_SU_PNS1_23onesweep_lookback_stateEbbT6_jjT7_P12ihipStream_tbENKUlT_T0_SI_SN_E_clISD_PiSD_S15_EEDaS11_S12_SI_SN_EUlS11_E_NS1_11comp_targetILNS1_3genE0ELNS1_11target_archE4294967295ELNS1_3gpuE0ELNS1_3repE0EEENS1_47radix_sort_onesweep_sort_config_static_selectorELNS0_4arch9wavefront6targetE0EEEvSI_,@function
_ZN7rocprim17ROCPRIM_400000_NS6detail17trampoline_kernelINS0_14default_configENS1_35radix_sort_onesweep_config_selectorIiiEEZZNS1_29radix_sort_onesweep_iterationIS3_Lb1EN6thrust23THRUST_200600_302600_NS6detail15normal_iteratorINS8_10device_ptrIiEEEESD_SD_SD_jNS0_19identity_decomposerENS1_16block_id_wrapperIjLb1EEEEE10hipError_tT1_PNSt15iterator_traitsISI_E10value_typeET2_T3_PNSJ_ISO_E10value_typeET4_T5_PST_SU_PNS1_23onesweep_lookback_stateEbbT6_jjT7_P12ihipStream_tbENKUlT_T0_SI_SN_E_clISD_PiSD_S15_EEDaS11_S12_SI_SN_EUlS11_E_NS1_11comp_targetILNS1_3genE0ELNS1_11target_archE4294967295ELNS1_3gpuE0ELNS1_3repE0EEENS1_47radix_sort_onesweep_sort_config_static_selectorELNS0_4arch9wavefront6targetE0EEEvSI_: ; @_ZN7rocprim17ROCPRIM_400000_NS6detail17trampoline_kernelINS0_14default_configENS1_35radix_sort_onesweep_config_selectorIiiEEZZNS1_29radix_sort_onesweep_iterationIS3_Lb1EN6thrust23THRUST_200600_302600_NS6detail15normal_iteratorINS8_10device_ptrIiEEEESD_SD_SD_jNS0_19identity_decomposerENS1_16block_id_wrapperIjLb1EEEEE10hipError_tT1_PNSt15iterator_traitsISI_E10value_typeET2_T3_PNSJ_ISO_E10value_typeET4_T5_PST_SU_PNS1_23onesweep_lookback_stateEbbT6_jjT7_P12ihipStream_tbENKUlT_T0_SI_SN_E_clISD_PiSD_S15_EEDaS11_S12_SI_SN_EUlS11_E_NS1_11comp_targetILNS1_3genE0ELNS1_11target_archE4294967295ELNS1_3gpuE0ELNS1_3repE0EEENS1_47radix_sort_onesweep_sort_config_static_selectorELNS0_4arch9wavefront6targetE0EEEvSI_
; %bb.0:
	.section	.rodata,"a",@progbits
	.p2align	6, 0x0
	.amdhsa_kernel _ZN7rocprim17ROCPRIM_400000_NS6detail17trampoline_kernelINS0_14default_configENS1_35radix_sort_onesweep_config_selectorIiiEEZZNS1_29radix_sort_onesweep_iterationIS3_Lb1EN6thrust23THRUST_200600_302600_NS6detail15normal_iteratorINS8_10device_ptrIiEEEESD_SD_SD_jNS0_19identity_decomposerENS1_16block_id_wrapperIjLb1EEEEE10hipError_tT1_PNSt15iterator_traitsISI_E10value_typeET2_T3_PNSJ_ISO_E10value_typeET4_T5_PST_SU_PNS1_23onesweep_lookback_stateEbbT6_jjT7_P12ihipStream_tbENKUlT_T0_SI_SN_E_clISD_PiSD_S15_EEDaS11_S12_SI_SN_EUlS11_E_NS1_11comp_targetILNS1_3genE0ELNS1_11target_archE4294967295ELNS1_3gpuE0ELNS1_3repE0EEENS1_47radix_sort_onesweep_sort_config_static_selectorELNS0_4arch9wavefront6targetE0EEEvSI_
		.amdhsa_group_segment_fixed_size 0
		.amdhsa_private_segment_fixed_size 0
		.amdhsa_kernarg_size 88
		.amdhsa_user_sgpr_count 6
		.amdhsa_user_sgpr_private_segment_buffer 1
		.amdhsa_user_sgpr_dispatch_ptr 0
		.amdhsa_user_sgpr_queue_ptr 0
		.amdhsa_user_sgpr_kernarg_segment_ptr 1
		.amdhsa_user_sgpr_dispatch_id 0
		.amdhsa_user_sgpr_flat_scratch_init 0
		.amdhsa_user_sgpr_private_segment_size 0
		.amdhsa_wavefront_size32 1
		.amdhsa_uses_dynamic_stack 0
		.amdhsa_system_sgpr_private_segment_wavefront_offset 0
		.amdhsa_system_sgpr_workgroup_id_x 1
		.amdhsa_system_sgpr_workgroup_id_y 0
		.amdhsa_system_sgpr_workgroup_id_z 0
		.amdhsa_system_sgpr_workgroup_info 0
		.amdhsa_system_vgpr_workitem_id 0
		.amdhsa_next_free_vgpr 1
		.amdhsa_next_free_sgpr 1
		.amdhsa_reserve_vcc 0
		.amdhsa_reserve_flat_scratch 0
		.amdhsa_float_round_mode_32 0
		.amdhsa_float_round_mode_16_64 0
		.amdhsa_float_denorm_mode_32 3
		.amdhsa_float_denorm_mode_16_64 3
		.amdhsa_dx10_clamp 1
		.amdhsa_ieee_mode 1
		.amdhsa_fp16_overflow 0
		.amdhsa_workgroup_processor_mode 1
		.amdhsa_memory_ordered 1
		.amdhsa_forward_progress 1
		.amdhsa_shared_vgpr_count 0
		.amdhsa_exception_fp_ieee_invalid_op 0
		.amdhsa_exception_fp_denorm_src 0
		.amdhsa_exception_fp_ieee_div_zero 0
		.amdhsa_exception_fp_ieee_overflow 0
		.amdhsa_exception_fp_ieee_underflow 0
		.amdhsa_exception_fp_ieee_inexact 0
		.amdhsa_exception_int_div_zero 0
	.end_amdhsa_kernel
	.section	.text._ZN7rocprim17ROCPRIM_400000_NS6detail17trampoline_kernelINS0_14default_configENS1_35radix_sort_onesweep_config_selectorIiiEEZZNS1_29radix_sort_onesweep_iterationIS3_Lb1EN6thrust23THRUST_200600_302600_NS6detail15normal_iteratorINS8_10device_ptrIiEEEESD_SD_SD_jNS0_19identity_decomposerENS1_16block_id_wrapperIjLb1EEEEE10hipError_tT1_PNSt15iterator_traitsISI_E10value_typeET2_T3_PNSJ_ISO_E10value_typeET4_T5_PST_SU_PNS1_23onesweep_lookback_stateEbbT6_jjT7_P12ihipStream_tbENKUlT_T0_SI_SN_E_clISD_PiSD_S15_EEDaS11_S12_SI_SN_EUlS11_E_NS1_11comp_targetILNS1_3genE0ELNS1_11target_archE4294967295ELNS1_3gpuE0ELNS1_3repE0EEENS1_47radix_sort_onesweep_sort_config_static_selectorELNS0_4arch9wavefront6targetE0EEEvSI_,"axG",@progbits,_ZN7rocprim17ROCPRIM_400000_NS6detail17trampoline_kernelINS0_14default_configENS1_35radix_sort_onesweep_config_selectorIiiEEZZNS1_29radix_sort_onesweep_iterationIS3_Lb1EN6thrust23THRUST_200600_302600_NS6detail15normal_iteratorINS8_10device_ptrIiEEEESD_SD_SD_jNS0_19identity_decomposerENS1_16block_id_wrapperIjLb1EEEEE10hipError_tT1_PNSt15iterator_traitsISI_E10value_typeET2_T3_PNSJ_ISO_E10value_typeET4_T5_PST_SU_PNS1_23onesweep_lookback_stateEbbT6_jjT7_P12ihipStream_tbENKUlT_T0_SI_SN_E_clISD_PiSD_S15_EEDaS11_S12_SI_SN_EUlS11_E_NS1_11comp_targetILNS1_3genE0ELNS1_11target_archE4294967295ELNS1_3gpuE0ELNS1_3repE0EEENS1_47radix_sort_onesweep_sort_config_static_selectorELNS0_4arch9wavefront6targetE0EEEvSI_,comdat
.Lfunc_end1008:
	.size	_ZN7rocprim17ROCPRIM_400000_NS6detail17trampoline_kernelINS0_14default_configENS1_35radix_sort_onesweep_config_selectorIiiEEZZNS1_29radix_sort_onesweep_iterationIS3_Lb1EN6thrust23THRUST_200600_302600_NS6detail15normal_iteratorINS8_10device_ptrIiEEEESD_SD_SD_jNS0_19identity_decomposerENS1_16block_id_wrapperIjLb1EEEEE10hipError_tT1_PNSt15iterator_traitsISI_E10value_typeET2_T3_PNSJ_ISO_E10value_typeET4_T5_PST_SU_PNS1_23onesweep_lookback_stateEbbT6_jjT7_P12ihipStream_tbENKUlT_T0_SI_SN_E_clISD_PiSD_S15_EEDaS11_S12_SI_SN_EUlS11_E_NS1_11comp_targetILNS1_3genE0ELNS1_11target_archE4294967295ELNS1_3gpuE0ELNS1_3repE0EEENS1_47radix_sort_onesweep_sort_config_static_selectorELNS0_4arch9wavefront6targetE0EEEvSI_, .Lfunc_end1008-_ZN7rocprim17ROCPRIM_400000_NS6detail17trampoline_kernelINS0_14default_configENS1_35radix_sort_onesweep_config_selectorIiiEEZZNS1_29radix_sort_onesweep_iterationIS3_Lb1EN6thrust23THRUST_200600_302600_NS6detail15normal_iteratorINS8_10device_ptrIiEEEESD_SD_SD_jNS0_19identity_decomposerENS1_16block_id_wrapperIjLb1EEEEE10hipError_tT1_PNSt15iterator_traitsISI_E10value_typeET2_T3_PNSJ_ISO_E10value_typeET4_T5_PST_SU_PNS1_23onesweep_lookback_stateEbbT6_jjT7_P12ihipStream_tbENKUlT_T0_SI_SN_E_clISD_PiSD_S15_EEDaS11_S12_SI_SN_EUlS11_E_NS1_11comp_targetILNS1_3genE0ELNS1_11target_archE4294967295ELNS1_3gpuE0ELNS1_3repE0EEENS1_47radix_sort_onesweep_sort_config_static_selectorELNS0_4arch9wavefront6targetE0EEEvSI_
                                        ; -- End function
	.set _ZN7rocprim17ROCPRIM_400000_NS6detail17trampoline_kernelINS0_14default_configENS1_35radix_sort_onesweep_config_selectorIiiEEZZNS1_29radix_sort_onesweep_iterationIS3_Lb1EN6thrust23THRUST_200600_302600_NS6detail15normal_iteratorINS8_10device_ptrIiEEEESD_SD_SD_jNS0_19identity_decomposerENS1_16block_id_wrapperIjLb1EEEEE10hipError_tT1_PNSt15iterator_traitsISI_E10value_typeET2_T3_PNSJ_ISO_E10value_typeET4_T5_PST_SU_PNS1_23onesweep_lookback_stateEbbT6_jjT7_P12ihipStream_tbENKUlT_T0_SI_SN_E_clISD_PiSD_S15_EEDaS11_S12_SI_SN_EUlS11_E_NS1_11comp_targetILNS1_3genE0ELNS1_11target_archE4294967295ELNS1_3gpuE0ELNS1_3repE0EEENS1_47radix_sort_onesweep_sort_config_static_selectorELNS0_4arch9wavefront6targetE0EEEvSI_.num_vgpr, 0
	.set _ZN7rocprim17ROCPRIM_400000_NS6detail17trampoline_kernelINS0_14default_configENS1_35radix_sort_onesweep_config_selectorIiiEEZZNS1_29radix_sort_onesweep_iterationIS3_Lb1EN6thrust23THRUST_200600_302600_NS6detail15normal_iteratorINS8_10device_ptrIiEEEESD_SD_SD_jNS0_19identity_decomposerENS1_16block_id_wrapperIjLb1EEEEE10hipError_tT1_PNSt15iterator_traitsISI_E10value_typeET2_T3_PNSJ_ISO_E10value_typeET4_T5_PST_SU_PNS1_23onesweep_lookback_stateEbbT6_jjT7_P12ihipStream_tbENKUlT_T0_SI_SN_E_clISD_PiSD_S15_EEDaS11_S12_SI_SN_EUlS11_E_NS1_11comp_targetILNS1_3genE0ELNS1_11target_archE4294967295ELNS1_3gpuE0ELNS1_3repE0EEENS1_47radix_sort_onesweep_sort_config_static_selectorELNS0_4arch9wavefront6targetE0EEEvSI_.num_agpr, 0
	.set _ZN7rocprim17ROCPRIM_400000_NS6detail17trampoline_kernelINS0_14default_configENS1_35radix_sort_onesweep_config_selectorIiiEEZZNS1_29radix_sort_onesweep_iterationIS3_Lb1EN6thrust23THRUST_200600_302600_NS6detail15normal_iteratorINS8_10device_ptrIiEEEESD_SD_SD_jNS0_19identity_decomposerENS1_16block_id_wrapperIjLb1EEEEE10hipError_tT1_PNSt15iterator_traitsISI_E10value_typeET2_T3_PNSJ_ISO_E10value_typeET4_T5_PST_SU_PNS1_23onesweep_lookback_stateEbbT6_jjT7_P12ihipStream_tbENKUlT_T0_SI_SN_E_clISD_PiSD_S15_EEDaS11_S12_SI_SN_EUlS11_E_NS1_11comp_targetILNS1_3genE0ELNS1_11target_archE4294967295ELNS1_3gpuE0ELNS1_3repE0EEENS1_47radix_sort_onesweep_sort_config_static_selectorELNS0_4arch9wavefront6targetE0EEEvSI_.numbered_sgpr, 0
	.set _ZN7rocprim17ROCPRIM_400000_NS6detail17trampoline_kernelINS0_14default_configENS1_35radix_sort_onesweep_config_selectorIiiEEZZNS1_29radix_sort_onesweep_iterationIS3_Lb1EN6thrust23THRUST_200600_302600_NS6detail15normal_iteratorINS8_10device_ptrIiEEEESD_SD_SD_jNS0_19identity_decomposerENS1_16block_id_wrapperIjLb1EEEEE10hipError_tT1_PNSt15iterator_traitsISI_E10value_typeET2_T3_PNSJ_ISO_E10value_typeET4_T5_PST_SU_PNS1_23onesweep_lookback_stateEbbT6_jjT7_P12ihipStream_tbENKUlT_T0_SI_SN_E_clISD_PiSD_S15_EEDaS11_S12_SI_SN_EUlS11_E_NS1_11comp_targetILNS1_3genE0ELNS1_11target_archE4294967295ELNS1_3gpuE0ELNS1_3repE0EEENS1_47radix_sort_onesweep_sort_config_static_selectorELNS0_4arch9wavefront6targetE0EEEvSI_.num_named_barrier, 0
	.set _ZN7rocprim17ROCPRIM_400000_NS6detail17trampoline_kernelINS0_14default_configENS1_35radix_sort_onesweep_config_selectorIiiEEZZNS1_29radix_sort_onesweep_iterationIS3_Lb1EN6thrust23THRUST_200600_302600_NS6detail15normal_iteratorINS8_10device_ptrIiEEEESD_SD_SD_jNS0_19identity_decomposerENS1_16block_id_wrapperIjLb1EEEEE10hipError_tT1_PNSt15iterator_traitsISI_E10value_typeET2_T3_PNSJ_ISO_E10value_typeET4_T5_PST_SU_PNS1_23onesweep_lookback_stateEbbT6_jjT7_P12ihipStream_tbENKUlT_T0_SI_SN_E_clISD_PiSD_S15_EEDaS11_S12_SI_SN_EUlS11_E_NS1_11comp_targetILNS1_3genE0ELNS1_11target_archE4294967295ELNS1_3gpuE0ELNS1_3repE0EEENS1_47radix_sort_onesweep_sort_config_static_selectorELNS0_4arch9wavefront6targetE0EEEvSI_.private_seg_size, 0
	.set _ZN7rocprim17ROCPRIM_400000_NS6detail17trampoline_kernelINS0_14default_configENS1_35radix_sort_onesweep_config_selectorIiiEEZZNS1_29radix_sort_onesweep_iterationIS3_Lb1EN6thrust23THRUST_200600_302600_NS6detail15normal_iteratorINS8_10device_ptrIiEEEESD_SD_SD_jNS0_19identity_decomposerENS1_16block_id_wrapperIjLb1EEEEE10hipError_tT1_PNSt15iterator_traitsISI_E10value_typeET2_T3_PNSJ_ISO_E10value_typeET4_T5_PST_SU_PNS1_23onesweep_lookback_stateEbbT6_jjT7_P12ihipStream_tbENKUlT_T0_SI_SN_E_clISD_PiSD_S15_EEDaS11_S12_SI_SN_EUlS11_E_NS1_11comp_targetILNS1_3genE0ELNS1_11target_archE4294967295ELNS1_3gpuE0ELNS1_3repE0EEENS1_47radix_sort_onesweep_sort_config_static_selectorELNS0_4arch9wavefront6targetE0EEEvSI_.uses_vcc, 0
	.set _ZN7rocprim17ROCPRIM_400000_NS6detail17trampoline_kernelINS0_14default_configENS1_35radix_sort_onesweep_config_selectorIiiEEZZNS1_29radix_sort_onesweep_iterationIS3_Lb1EN6thrust23THRUST_200600_302600_NS6detail15normal_iteratorINS8_10device_ptrIiEEEESD_SD_SD_jNS0_19identity_decomposerENS1_16block_id_wrapperIjLb1EEEEE10hipError_tT1_PNSt15iterator_traitsISI_E10value_typeET2_T3_PNSJ_ISO_E10value_typeET4_T5_PST_SU_PNS1_23onesweep_lookback_stateEbbT6_jjT7_P12ihipStream_tbENKUlT_T0_SI_SN_E_clISD_PiSD_S15_EEDaS11_S12_SI_SN_EUlS11_E_NS1_11comp_targetILNS1_3genE0ELNS1_11target_archE4294967295ELNS1_3gpuE0ELNS1_3repE0EEENS1_47radix_sort_onesweep_sort_config_static_selectorELNS0_4arch9wavefront6targetE0EEEvSI_.uses_flat_scratch, 0
	.set _ZN7rocprim17ROCPRIM_400000_NS6detail17trampoline_kernelINS0_14default_configENS1_35radix_sort_onesweep_config_selectorIiiEEZZNS1_29radix_sort_onesweep_iterationIS3_Lb1EN6thrust23THRUST_200600_302600_NS6detail15normal_iteratorINS8_10device_ptrIiEEEESD_SD_SD_jNS0_19identity_decomposerENS1_16block_id_wrapperIjLb1EEEEE10hipError_tT1_PNSt15iterator_traitsISI_E10value_typeET2_T3_PNSJ_ISO_E10value_typeET4_T5_PST_SU_PNS1_23onesweep_lookback_stateEbbT6_jjT7_P12ihipStream_tbENKUlT_T0_SI_SN_E_clISD_PiSD_S15_EEDaS11_S12_SI_SN_EUlS11_E_NS1_11comp_targetILNS1_3genE0ELNS1_11target_archE4294967295ELNS1_3gpuE0ELNS1_3repE0EEENS1_47radix_sort_onesweep_sort_config_static_selectorELNS0_4arch9wavefront6targetE0EEEvSI_.has_dyn_sized_stack, 0
	.set _ZN7rocprim17ROCPRIM_400000_NS6detail17trampoline_kernelINS0_14default_configENS1_35radix_sort_onesweep_config_selectorIiiEEZZNS1_29radix_sort_onesweep_iterationIS3_Lb1EN6thrust23THRUST_200600_302600_NS6detail15normal_iteratorINS8_10device_ptrIiEEEESD_SD_SD_jNS0_19identity_decomposerENS1_16block_id_wrapperIjLb1EEEEE10hipError_tT1_PNSt15iterator_traitsISI_E10value_typeET2_T3_PNSJ_ISO_E10value_typeET4_T5_PST_SU_PNS1_23onesweep_lookback_stateEbbT6_jjT7_P12ihipStream_tbENKUlT_T0_SI_SN_E_clISD_PiSD_S15_EEDaS11_S12_SI_SN_EUlS11_E_NS1_11comp_targetILNS1_3genE0ELNS1_11target_archE4294967295ELNS1_3gpuE0ELNS1_3repE0EEENS1_47radix_sort_onesweep_sort_config_static_selectorELNS0_4arch9wavefront6targetE0EEEvSI_.has_recursion, 0
	.set _ZN7rocprim17ROCPRIM_400000_NS6detail17trampoline_kernelINS0_14default_configENS1_35radix_sort_onesweep_config_selectorIiiEEZZNS1_29radix_sort_onesweep_iterationIS3_Lb1EN6thrust23THRUST_200600_302600_NS6detail15normal_iteratorINS8_10device_ptrIiEEEESD_SD_SD_jNS0_19identity_decomposerENS1_16block_id_wrapperIjLb1EEEEE10hipError_tT1_PNSt15iterator_traitsISI_E10value_typeET2_T3_PNSJ_ISO_E10value_typeET4_T5_PST_SU_PNS1_23onesweep_lookback_stateEbbT6_jjT7_P12ihipStream_tbENKUlT_T0_SI_SN_E_clISD_PiSD_S15_EEDaS11_S12_SI_SN_EUlS11_E_NS1_11comp_targetILNS1_3genE0ELNS1_11target_archE4294967295ELNS1_3gpuE0ELNS1_3repE0EEENS1_47radix_sort_onesweep_sort_config_static_selectorELNS0_4arch9wavefront6targetE0EEEvSI_.has_indirect_call, 0
	.section	.AMDGPU.csdata,"",@progbits
; Kernel info:
; codeLenInByte = 0
; TotalNumSgprs: 0
; NumVgprs: 0
; ScratchSize: 0
; MemoryBound: 0
; FloatMode: 240
; IeeeMode: 1
; LDSByteSize: 0 bytes/workgroup (compile time only)
; SGPRBlocks: 0
; VGPRBlocks: 0
; NumSGPRsForWavesPerEU: 1
; NumVGPRsForWavesPerEU: 1
; Occupancy: 16
; WaveLimiterHint : 0
; COMPUTE_PGM_RSRC2:SCRATCH_EN: 0
; COMPUTE_PGM_RSRC2:USER_SGPR: 6
; COMPUTE_PGM_RSRC2:TRAP_HANDLER: 0
; COMPUTE_PGM_RSRC2:TGID_X_EN: 1
; COMPUTE_PGM_RSRC2:TGID_Y_EN: 0
; COMPUTE_PGM_RSRC2:TGID_Z_EN: 0
; COMPUTE_PGM_RSRC2:TIDIG_COMP_CNT: 0
	.section	.text._ZN7rocprim17ROCPRIM_400000_NS6detail17trampoline_kernelINS0_14default_configENS1_35radix_sort_onesweep_config_selectorIiiEEZZNS1_29radix_sort_onesweep_iterationIS3_Lb1EN6thrust23THRUST_200600_302600_NS6detail15normal_iteratorINS8_10device_ptrIiEEEESD_SD_SD_jNS0_19identity_decomposerENS1_16block_id_wrapperIjLb1EEEEE10hipError_tT1_PNSt15iterator_traitsISI_E10value_typeET2_T3_PNSJ_ISO_E10value_typeET4_T5_PST_SU_PNS1_23onesweep_lookback_stateEbbT6_jjT7_P12ihipStream_tbENKUlT_T0_SI_SN_E_clISD_PiSD_S15_EEDaS11_S12_SI_SN_EUlS11_E_NS1_11comp_targetILNS1_3genE6ELNS1_11target_archE950ELNS1_3gpuE13ELNS1_3repE0EEENS1_47radix_sort_onesweep_sort_config_static_selectorELNS0_4arch9wavefront6targetE0EEEvSI_,"axG",@progbits,_ZN7rocprim17ROCPRIM_400000_NS6detail17trampoline_kernelINS0_14default_configENS1_35radix_sort_onesweep_config_selectorIiiEEZZNS1_29radix_sort_onesweep_iterationIS3_Lb1EN6thrust23THRUST_200600_302600_NS6detail15normal_iteratorINS8_10device_ptrIiEEEESD_SD_SD_jNS0_19identity_decomposerENS1_16block_id_wrapperIjLb1EEEEE10hipError_tT1_PNSt15iterator_traitsISI_E10value_typeET2_T3_PNSJ_ISO_E10value_typeET4_T5_PST_SU_PNS1_23onesweep_lookback_stateEbbT6_jjT7_P12ihipStream_tbENKUlT_T0_SI_SN_E_clISD_PiSD_S15_EEDaS11_S12_SI_SN_EUlS11_E_NS1_11comp_targetILNS1_3genE6ELNS1_11target_archE950ELNS1_3gpuE13ELNS1_3repE0EEENS1_47radix_sort_onesweep_sort_config_static_selectorELNS0_4arch9wavefront6targetE0EEEvSI_,comdat
	.protected	_ZN7rocprim17ROCPRIM_400000_NS6detail17trampoline_kernelINS0_14default_configENS1_35radix_sort_onesweep_config_selectorIiiEEZZNS1_29radix_sort_onesweep_iterationIS3_Lb1EN6thrust23THRUST_200600_302600_NS6detail15normal_iteratorINS8_10device_ptrIiEEEESD_SD_SD_jNS0_19identity_decomposerENS1_16block_id_wrapperIjLb1EEEEE10hipError_tT1_PNSt15iterator_traitsISI_E10value_typeET2_T3_PNSJ_ISO_E10value_typeET4_T5_PST_SU_PNS1_23onesweep_lookback_stateEbbT6_jjT7_P12ihipStream_tbENKUlT_T0_SI_SN_E_clISD_PiSD_S15_EEDaS11_S12_SI_SN_EUlS11_E_NS1_11comp_targetILNS1_3genE6ELNS1_11target_archE950ELNS1_3gpuE13ELNS1_3repE0EEENS1_47radix_sort_onesweep_sort_config_static_selectorELNS0_4arch9wavefront6targetE0EEEvSI_ ; -- Begin function _ZN7rocprim17ROCPRIM_400000_NS6detail17trampoline_kernelINS0_14default_configENS1_35radix_sort_onesweep_config_selectorIiiEEZZNS1_29radix_sort_onesweep_iterationIS3_Lb1EN6thrust23THRUST_200600_302600_NS6detail15normal_iteratorINS8_10device_ptrIiEEEESD_SD_SD_jNS0_19identity_decomposerENS1_16block_id_wrapperIjLb1EEEEE10hipError_tT1_PNSt15iterator_traitsISI_E10value_typeET2_T3_PNSJ_ISO_E10value_typeET4_T5_PST_SU_PNS1_23onesweep_lookback_stateEbbT6_jjT7_P12ihipStream_tbENKUlT_T0_SI_SN_E_clISD_PiSD_S15_EEDaS11_S12_SI_SN_EUlS11_E_NS1_11comp_targetILNS1_3genE6ELNS1_11target_archE950ELNS1_3gpuE13ELNS1_3repE0EEENS1_47radix_sort_onesweep_sort_config_static_selectorELNS0_4arch9wavefront6targetE0EEEvSI_
	.globl	_ZN7rocprim17ROCPRIM_400000_NS6detail17trampoline_kernelINS0_14default_configENS1_35radix_sort_onesweep_config_selectorIiiEEZZNS1_29radix_sort_onesweep_iterationIS3_Lb1EN6thrust23THRUST_200600_302600_NS6detail15normal_iteratorINS8_10device_ptrIiEEEESD_SD_SD_jNS0_19identity_decomposerENS1_16block_id_wrapperIjLb1EEEEE10hipError_tT1_PNSt15iterator_traitsISI_E10value_typeET2_T3_PNSJ_ISO_E10value_typeET4_T5_PST_SU_PNS1_23onesweep_lookback_stateEbbT6_jjT7_P12ihipStream_tbENKUlT_T0_SI_SN_E_clISD_PiSD_S15_EEDaS11_S12_SI_SN_EUlS11_E_NS1_11comp_targetILNS1_3genE6ELNS1_11target_archE950ELNS1_3gpuE13ELNS1_3repE0EEENS1_47radix_sort_onesweep_sort_config_static_selectorELNS0_4arch9wavefront6targetE0EEEvSI_
	.p2align	8
	.type	_ZN7rocprim17ROCPRIM_400000_NS6detail17trampoline_kernelINS0_14default_configENS1_35radix_sort_onesweep_config_selectorIiiEEZZNS1_29radix_sort_onesweep_iterationIS3_Lb1EN6thrust23THRUST_200600_302600_NS6detail15normal_iteratorINS8_10device_ptrIiEEEESD_SD_SD_jNS0_19identity_decomposerENS1_16block_id_wrapperIjLb1EEEEE10hipError_tT1_PNSt15iterator_traitsISI_E10value_typeET2_T3_PNSJ_ISO_E10value_typeET4_T5_PST_SU_PNS1_23onesweep_lookback_stateEbbT6_jjT7_P12ihipStream_tbENKUlT_T0_SI_SN_E_clISD_PiSD_S15_EEDaS11_S12_SI_SN_EUlS11_E_NS1_11comp_targetILNS1_3genE6ELNS1_11target_archE950ELNS1_3gpuE13ELNS1_3repE0EEENS1_47radix_sort_onesweep_sort_config_static_selectorELNS0_4arch9wavefront6targetE0EEEvSI_,@function
_ZN7rocprim17ROCPRIM_400000_NS6detail17trampoline_kernelINS0_14default_configENS1_35radix_sort_onesweep_config_selectorIiiEEZZNS1_29radix_sort_onesweep_iterationIS3_Lb1EN6thrust23THRUST_200600_302600_NS6detail15normal_iteratorINS8_10device_ptrIiEEEESD_SD_SD_jNS0_19identity_decomposerENS1_16block_id_wrapperIjLb1EEEEE10hipError_tT1_PNSt15iterator_traitsISI_E10value_typeET2_T3_PNSJ_ISO_E10value_typeET4_T5_PST_SU_PNS1_23onesweep_lookback_stateEbbT6_jjT7_P12ihipStream_tbENKUlT_T0_SI_SN_E_clISD_PiSD_S15_EEDaS11_S12_SI_SN_EUlS11_E_NS1_11comp_targetILNS1_3genE6ELNS1_11target_archE950ELNS1_3gpuE13ELNS1_3repE0EEENS1_47radix_sort_onesweep_sort_config_static_selectorELNS0_4arch9wavefront6targetE0EEEvSI_: ; @_ZN7rocprim17ROCPRIM_400000_NS6detail17trampoline_kernelINS0_14default_configENS1_35radix_sort_onesweep_config_selectorIiiEEZZNS1_29radix_sort_onesweep_iterationIS3_Lb1EN6thrust23THRUST_200600_302600_NS6detail15normal_iteratorINS8_10device_ptrIiEEEESD_SD_SD_jNS0_19identity_decomposerENS1_16block_id_wrapperIjLb1EEEEE10hipError_tT1_PNSt15iterator_traitsISI_E10value_typeET2_T3_PNSJ_ISO_E10value_typeET4_T5_PST_SU_PNS1_23onesweep_lookback_stateEbbT6_jjT7_P12ihipStream_tbENKUlT_T0_SI_SN_E_clISD_PiSD_S15_EEDaS11_S12_SI_SN_EUlS11_E_NS1_11comp_targetILNS1_3genE6ELNS1_11target_archE950ELNS1_3gpuE13ELNS1_3repE0EEENS1_47radix_sort_onesweep_sort_config_static_selectorELNS0_4arch9wavefront6targetE0EEEvSI_
; %bb.0:
	.section	.rodata,"a",@progbits
	.p2align	6, 0x0
	.amdhsa_kernel _ZN7rocprim17ROCPRIM_400000_NS6detail17trampoline_kernelINS0_14default_configENS1_35radix_sort_onesweep_config_selectorIiiEEZZNS1_29radix_sort_onesweep_iterationIS3_Lb1EN6thrust23THRUST_200600_302600_NS6detail15normal_iteratorINS8_10device_ptrIiEEEESD_SD_SD_jNS0_19identity_decomposerENS1_16block_id_wrapperIjLb1EEEEE10hipError_tT1_PNSt15iterator_traitsISI_E10value_typeET2_T3_PNSJ_ISO_E10value_typeET4_T5_PST_SU_PNS1_23onesweep_lookback_stateEbbT6_jjT7_P12ihipStream_tbENKUlT_T0_SI_SN_E_clISD_PiSD_S15_EEDaS11_S12_SI_SN_EUlS11_E_NS1_11comp_targetILNS1_3genE6ELNS1_11target_archE950ELNS1_3gpuE13ELNS1_3repE0EEENS1_47radix_sort_onesweep_sort_config_static_selectorELNS0_4arch9wavefront6targetE0EEEvSI_
		.amdhsa_group_segment_fixed_size 0
		.amdhsa_private_segment_fixed_size 0
		.amdhsa_kernarg_size 88
		.amdhsa_user_sgpr_count 6
		.amdhsa_user_sgpr_private_segment_buffer 1
		.amdhsa_user_sgpr_dispatch_ptr 0
		.amdhsa_user_sgpr_queue_ptr 0
		.amdhsa_user_sgpr_kernarg_segment_ptr 1
		.amdhsa_user_sgpr_dispatch_id 0
		.amdhsa_user_sgpr_flat_scratch_init 0
		.amdhsa_user_sgpr_private_segment_size 0
		.amdhsa_wavefront_size32 1
		.amdhsa_uses_dynamic_stack 0
		.amdhsa_system_sgpr_private_segment_wavefront_offset 0
		.amdhsa_system_sgpr_workgroup_id_x 1
		.amdhsa_system_sgpr_workgroup_id_y 0
		.amdhsa_system_sgpr_workgroup_id_z 0
		.amdhsa_system_sgpr_workgroup_info 0
		.amdhsa_system_vgpr_workitem_id 0
		.amdhsa_next_free_vgpr 1
		.amdhsa_next_free_sgpr 1
		.amdhsa_reserve_vcc 0
		.amdhsa_reserve_flat_scratch 0
		.amdhsa_float_round_mode_32 0
		.amdhsa_float_round_mode_16_64 0
		.amdhsa_float_denorm_mode_32 3
		.amdhsa_float_denorm_mode_16_64 3
		.amdhsa_dx10_clamp 1
		.amdhsa_ieee_mode 1
		.amdhsa_fp16_overflow 0
		.amdhsa_workgroup_processor_mode 1
		.amdhsa_memory_ordered 1
		.amdhsa_forward_progress 1
		.amdhsa_shared_vgpr_count 0
		.amdhsa_exception_fp_ieee_invalid_op 0
		.amdhsa_exception_fp_denorm_src 0
		.amdhsa_exception_fp_ieee_div_zero 0
		.amdhsa_exception_fp_ieee_overflow 0
		.amdhsa_exception_fp_ieee_underflow 0
		.amdhsa_exception_fp_ieee_inexact 0
		.amdhsa_exception_int_div_zero 0
	.end_amdhsa_kernel
	.section	.text._ZN7rocprim17ROCPRIM_400000_NS6detail17trampoline_kernelINS0_14default_configENS1_35radix_sort_onesweep_config_selectorIiiEEZZNS1_29radix_sort_onesweep_iterationIS3_Lb1EN6thrust23THRUST_200600_302600_NS6detail15normal_iteratorINS8_10device_ptrIiEEEESD_SD_SD_jNS0_19identity_decomposerENS1_16block_id_wrapperIjLb1EEEEE10hipError_tT1_PNSt15iterator_traitsISI_E10value_typeET2_T3_PNSJ_ISO_E10value_typeET4_T5_PST_SU_PNS1_23onesweep_lookback_stateEbbT6_jjT7_P12ihipStream_tbENKUlT_T0_SI_SN_E_clISD_PiSD_S15_EEDaS11_S12_SI_SN_EUlS11_E_NS1_11comp_targetILNS1_3genE6ELNS1_11target_archE950ELNS1_3gpuE13ELNS1_3repE0EEENS1_47radix_sort_onesweep_sort_config_static_selectorELNS0_4arch9wavefront6targetE0EEEvSI_,"axG",@progbits,_ZN7rocprim17ROCPRIM_400000_NS6detail17trampoline_kernelINS0_14default_configENS1_35radix_sort_onesweep_config_selectorIiiEEZZNS1_29radix_sort_onesweep_iterationIS3_Lb1EN6thrust23THRUST_200600_302600_NS6detail15normal_iteratorINS8_10device_ptrIiEEEESD_SD_SD_jNS0_19identity_decomposerENS1_16block_id_wrapperIjLb1EEEEE10hipError_tT1_PNSt15iterator_traitsISI_E10value_typeET2_T3_PNSJ_ISO_E10value_typeET4_T5_PST_SU_PNS1_23onesweep_lookback_stateEbbT6_jjT7_P12ihipStream_tbENKUlT_T0_SI_SN_E_clISD_PiSD_S15_EEDaS11_S12_SI_SN_EUlS11_E_NS1_11comp_targetILNS1_3genE6ELNS1_11target_archE950ELNS1_3gpuE13ELNS1_3repE0EEENS1_47radix_sort_onesweep_sort_config_static_selectorELNS0_4arch9wavefront6targetE0EEEvSI_,comdat
.Lfunc_end1009:
	.size	_ZN7rocprim17ROCPRIM_400000_NS6detail17trampoline_kernelINS0_14default_configENS1_35radix_sort_onesweep_config_selectorIiiEEZZNS1_29radix_sort_onesweep_iterationIS3_Lb1EN6thrust23THRUST_200600_302600_NS6detail15normal_iteratorINS8_10device_ptrIiEEEESD_SD_SD_jNS0_19identity_decomposerENS1_16block_id_wrapperIjLb1EEEEE10hipError_tT1_PNSt15iterator_traitsISI_E10value_typeET2_T3_PNSJ_ISO_E10value_typeET4_T5_PST_SU_PNS1_23onesweep_lookback_stateEbbT6_jjT7_P12ihipStream_tbENKUlT_T0_SI_SN_E_clISD_PiSD_S15_EEDaS11_S12_SI_SN_EUlS11_E_NS1_11comp_targetILNS1_3genE6ELNS1_11target_archE950ELNS1_3gpuE13ELNS1_3repE0EEENS1_47radix_sort_onesweep_sort_config_static_selectorELNS0_4arch9wavefront6targetE0EEEvSI_, .Lfunc_end1009-_ZN7rocprim17ROCPRIM_400000_NS6detail17trampoline_kernelINS0_14default_configENS1_35radix_sort_onesweep_config_selectorIiiEEZZNS1_29radix_sort_onesweep_iterationIS3_Lb1EN6thrust23THRUST_200600_302600_NS6detail15normal_iteratorINS8_10device_ptrIiEEEESD_SD_SD_jNS0_19identity_decomposerENS1_16block_id_wrapperIjLb1EEEEE10hipError_tT1_PNSt15iterator_traitsISI_E10value_typeET2_T3_PNSJ_ISO_E10value_typeET4_T5_PST_SU_PNS1_23onesweep_lookback_stateEbbT6_jjT7_P12ihipStream_tbENKUlT_T0_SI_SN_E_clISD_PiSD_S15_EEDaS11_S12_SI_SN_EUlS11_E_NS1_11comp_targetILNS1_3genE6ELNS1_11target_archE950ELNS1_3gpuE13ELNS1_3repE0EEENS1_47radix_sort_onesweep_sort_config_static_selectorELNS0_4arch9wavefront6targetE0EEEvSI_
                                        ; -- End function
	.set _ZN7rocprim17ROCPRIM_400000_NS6detail17trampoline_kernelINS0_14default_configENS1_35radix_sort_onesweep_config_selectorIiiEEZZNS1_29radix_sort_onesweep_iterationIS3_Lb1EN6thrust23THRUST_200600_302600_NS6detail15normal_iteratorINS8_10device_ptrIiEEEESD_SD_SD_jNS0_19identity_decomposerENS1_16block_id_wrapperIjLb1EEEEE10hipError_tT1_PNSt15iterator_traitsISI_E10value_typeET2_T3_PNSJ_ISO_E10value_typeET4_T5_PST_SU_PNS1_23onesweep_lookback_stateEbbT6_jjT7_P12ihipStream_tbENKUlT_T0_SI_SN_E_clISD_PiSD_S15_EEDaS11_S12_SI_SN_EUlS11_E_NS1_11comp_targetILNS1_3genE6ELNS1_11target_archE950ELNS1_3gpuE13ELNS1_3repE0EEENS1_47radix_sort_onesweep_sort_config_static_selectorELNS0_4arch9wavefront6targetE0EEEvSI_.num_vgpr, 0
	.set _ZN7rocprim17ROCPRIM_400000_NS6detail17trampoline_kernelINS0_14default_configENS1_35radix_sort_onesweep_config_selectorIiiEEZZNS1_29radix_sort_onesweep_iterationIS3_Lb1EN6thrust23THRUST_200600_302600_NS6detail15normal_iteratorINS8_10device_ptrIiEEEESD_SD_SD_jNS0_19identity_decomposerENS1_16block_id_wrapperIjLb1EEEEE10hipError_tT1_PNSt15iterator_traitsISI_E10value_typeET2_T3_PNSJ_ISO_E10value_typeET4_T5_PST_SU_PNS1_23onesweep_lookback_stateEbbT6_jjT7_P12ihipStream_tbENKUlT_T0_SI_SN_E_clISD_PiSD_S15_EEDaS11_S12_SI_SN_EUlS11_E_NS1_11comp_targetILNS1_3genE6ELNS1_11target_archE950ELNS1_3gpuE13ELNS1_3repE0EEENS1_47radix_sort_onesweep_sort_config_static_selectorELNS0_4arch9wavefront6targetE0EEEvSI_.num_agpr, 0
	.set _ZN7rocprim17ROCPRIM_400000_NS6detail17trampoline_kernelINS0_14default_configENS1_35radix_sort_onesweep_config_selectorIiiEEZZNS1_29radix_sort_onesweep_iterationIS3_Lb1EN6thrust23THRUST_200600_302600_NS6detail15normal_iteratorINS8_10device_ptrIiEEEESD_SD_SD_jNS0_19identity_decomposerENS1_16block_id_wrapperIjLb1EEEEE10hipError_tT1_PNSt15iterator_traitsISI_E10value_typeET2_T3_PNSJ_ISO_E10value_typeET4_T5_PST_SU_PNS1_23onesweep_lookback_stateEbbT6_jjT7_P12ihipStream_tbENKUlT_T0_SI_SN_E_clISD_PiSD_S15_EEDaS11_S12_SI_SN_EUlS11_E_NS1_11comp_targetILNS1_3genE6ELNS1_11target_archE950ELNS1_3gpuE13ELNS1_3repE0EEENS1_47radix_sort_onesweep_sort_config_static_selectorELNS0_4arch9wavefront6targetE0EEEvSI_.numbered_sgpr, 0
	.set _ZN7rocprim17ROCPRIM_400000_NS6detail17trampoline_kernelINS0_14default_configENS1_35radix_sort_onesweep_config_selectorIiiEEZZNS1_29radix_sort_onesweep_iterationIS3_Lb1EN6thrust23THRUST_200600_302600_NS6detail15normal_iteratorINS8_10device_ptrIiEEEESD_SD_SD_jNS0_19identity_decomposerENS1_16block_id_wrapperIjLb1EEEEE10hipError_tT1_PNSt15iterator_traitsISI_E10value_typeET2_T3_PNSJ_ISO_E10value_typeET4_T5_PST_SU_PNS1_23onesweep_lookback_stateEbbT6_jjT7_P12ihipStream_tbENKUlT_T0_SI_SN_E_clISD_PiSD_S15_EEDaS11_S12_SI_SN_EUlS11_E_NS1_11comp_targetILNS1_3genE6ELNS1_11target_archE950ELNS1_3gpuE13ELNS1_3repE0EEENS1_47radix_sort_onesweep_sort_config_static_selectorELNS0_4arch9wavefront6targetE0EEEvSI_.num_named_barrier, 0
	.set _ZN7rocprim17ROCPRIM_400000_NS6detail17trampoline_kernelINS0_14default_configENS1_35radix_sort_onesweep_config_selectorIiiEEZZNS1_29radix_sort_onesweep_iterationIS3_Lb1EN6thrust23THRUST_200600_302600_NS6detail15normal_iteratorINS8_10device_ptrIiEEEESD_SD_SD_jNS0_19identity_decomposerENS1_16block_id_wrapperIjLb1EEEEE10hipError_tT1_PNSt15iterator_traitsISI_E10value_typeET2_T3_PNSJ_ISO_E10value_typeET4_T5_PST_SU_PNS1_23onesweep_lookback_stateEbbT6_jjT7_P12ihipStream_tbENKUlT_T0_SI_SN_E_clISD_PiSD_S15_EEDaS11_S12_SI_SN_EUlS11_E_NS1_11comp_targetILNS1_3genE6ELNS1_11target_archE950ELNS1_3gpuE13ELNS1_3repE0EEENS1_47radix_sort_onesweep_sort_config_static_selectorELNS0_4arch9wavefront6targetE0EEEvSI_.private_seg_size, 0
	.set _ZN7rocprim17ROCPRIM_400000_NS6detail17trampoline_kernelINS0_14default_configENS1_35radix_sort_onesweep_config_selectorIiiEEZZNS1_29radix_sort_onesweep_iterationIS3_Lb1EN6thrust23THRUST_200600_302600_NS6detail15normal_iteratorINS8_10device_ptrIiEEEESD_SD_SD_jNS0_19identity_decomposerENS1_16block_id_wrapperIjLb1EEEEE10hipError_tT1_PNSt15iterator_traitsISI_E10value_typeET2_T3_PNSJ_ISO_E10value_typeET4_T5_PST_SU_PNS1_23onesweep_lookback_stateEbbT6_jjT7_P12ihipStream_tbENKUlT_T0_SI_SN_E_clISD_PiSD_S15_EEDaS11_S12_SI_SN_EUlS11_E_NS1_11comp_targetILNS1_3genE6ELNS1_11target_archE950ELNS1_3gpuE13ELNS1_3repE0EEENS1_47radix_sort_onesweep_sort_config_static_selectorELNS0_4arch9wavefront6targetE0EEEvSI_.uses_vcc, 0
	.set _ZN7rocprim17ROCPRIM_400000_NS6detail17trampoline_kernelINS0_14default_configENS1_35radix_sort_onesweep_config_selectorIiiEEZZNS1_29radix_sort_onesweep_iterationIS3_Lb1EN6thrust23THRUST_200600_302600_NS6detail15normal_iteratorINS8_10device_ptrIiEEEESD_SD_SD_jNS0_19identity_decomposerENS1_16block_id_wrapperIjLb1EEEEE10hipError_tT1_PNSt15iterator_traitsISI_E10value_typeET2_T3_PNSJ_ISO_E10value_typeET4_T5_PST_SU_PNS1_23onesweep_lookback_stateEbbT6_jjT7_P12ihipStream_tbENKUlT_T0_SI_SN_E_clISD_PiSD_S15_EEDaS11_S12_SI_SN_EUlS11_E_NS1_11comp_targetILNS1_3genE6ELNS1_11target_archE950ELNS1_3gpuE13ELNS1_3repE0EEENS1_47radix_sort_onesweep_sort_config_static_selectorELNS0_4arch9wavefront6targetE0EEEvSI_.uses_flat_scratch, 0
	.set _ZN7rocprim17ROCPRIM_400000_NS6detail17trampoline_kernelINS0_14default_configENS1_35radix_sort_onesweep_config_selectorIiiEEZZNS1_29radix_sort_onesweep_iterationIS3_Lb1EN6thrust23THRUST_200600_302600_NS6detail15normal_iteratorINS8_10device_ptrIiEEEESD_SD_SD_jNS0_19identity_decomposerENS1_16block_id_wrapperIjLb1EEEEE10hipError_tT1_PNSt15iterator_traitsISI_E10value_typeET2_T3_PNSJ_ISO_E10value_typeET4_T5_PST_SU_PNS1_23onesweep_lookback_stateEbbT6_jjT7_P12ihipStream_tbENKUlT_T0_SI_SN_E_clISD_PiSD_S15_EEDaS11_S12_SI_SN_EUlS11_E_NS1_11comp_targetILNS1_3genE6ELNS1_11target_archE950ELNS1_3gpuE13ELNS1_3repE0EEENS1_47radix_sort_onesweep_sort_config_static_selectorELNS0_4arch9wavefront6targetE0EEEvSI_.has_dyn_sized_stack, 0
	.set _ZN7rocprim17ROCPRIM_400000_NS6detail17trampoline_kernelINS0_14default_configENS1_35radix_sort_onesweep_config_selectorIiiEEZZNS1_29radix_sort_onesweep_iterationIS3_Lb1EN6thrust23THRUST_200600_302600_NS6detail15normal_iteratorINS8_10device_ptrIiEEEESD_SD_SD_jNS0_19identity_decomposerENS1_16block_id_wrapperIjLb1EEEEE10hipError_tT1_PNSt15iterator_traitsISI_E10value_typeET2_T3_PNSJ_ISO_E10value_typeET4_T5_PST_SU_PNS1_23onesweep_lookback_stateEbbT6_jjT7_P12ihipStream_tbENKUlT_T0_SI_SN_E_clISD_PiSD_S15_EEDaS11_S12_SI_SN_EUlS11_E_NS1_11comp_targetILNS1_3genE6ELNS1_11target_archE950ELNS1_3gpuE13ELNS1_3repE0EEENS1_47radix_sort_onesweep_sort_config_static_selectorELNS0_4arch9wavefront6targetE0EEEvSI_.has_recursion, 0
	.set _ZN7rocprim17ROCPRIM_400000_NS6detail17trampoline_kernelINS0_14default_configENS1_35radix_sort_onesweep_config_selectorIiiEEZZNS1_29radix_sort_onesweep_iterationIS3_Lb1EN6thrust23THRUST_200600_302600_NS6detail15normal_iteratorINS8_10device_ptrIiEEEESD_SD_SD_jNS0_19identity_decomposerENS1_16block_id_wrapperIjLb1EEEEE10hipError_tT1_PNSt15iterator_traitsISI_E10value_typeET2_T3_PNSJ_ISO_E10value_typeET4_T5_PST_SU_PNS1_23onesweep_lookback_stateEbbT6_jjT7_P12ihipStream_tbENKUlT_T0_SI_SN_E_clISD_PiSD_S15_EEDaS11_S12_SI_SN_EUlS11_E_NS1_11comp_targetILNS1_3genE6ELNS1_11target_archE950ELNS1_3gpuE13ELNS1_3repE0EEENS1_47radix_sort_onesweep_sort_config_static_selectorELNS0_4arch9wavefront6targetE0EEEvSI_.has_indirect_call, 0
	.section	.AMDGPU.csdata,"",@progbits
; Kernel info:
; codeLenInByte = 0
; TotalNumSgprs: 0
; NumVgprs: 0
; ScratchSize: 0
; MemoryBound: 0
; FloatMode: 240
; IeeeMode: 1
; LDSByteSize: 0 bytes/workgroup (compile time only)
; SGPRBlocks: 0
; VGPRBlocks: 0
; NumSGPRsForWavesPerEU: 1
; NumVGPRsForWavesPerEU: 1
; Occupancy: 16
; WaveLimiterHint : 0
; COMPUTE_PGM_RSRC2:SCRATCH_EN: 0
; COMPUTE_PGM_RSRC2:USER_SGPR: 6
; COMPUTE_PGM_RSRC2:TRAP_HANDLER: 0
; COMPUTE_PGM_RSRC2:TGID_X_EN: 1
; COMPUTE_PGM_RSRC2:TGID_Y_EN: 0
; COMPUTE_PGM_RSRC2:TGID_Z_EN: 0
; COMPUTE_PGM_RSRC2:TIDIG_COMP_CNT: 0
	.section	.text._ZN7rocprim17ROCPRIM_400000_NS6detail17trampoline_kernelINS0_14default_configENS1_35radix_sort_onesweep_config_selectorIiiEEZZNS1_29radix_sort_onesweep_iterationIS3_Lb1EN6thrust23THRUST_200600_302600_NS6detail15normal_iteratorINS8_10device_ptrIiEEEESD_SD_SD_jNS0_19identity_decomposerENS1_16block_id_wrapperIjLb1EEEEE10hipError_tT1_PNSt15iterator_traitsISI_E10value_typeET2_T3_PNSJ_ISO_E10value_typeET4_T5_PST_SU_PNS1_23onesweep_lookback_stateEbbT6_jjT7_P12ihipStream_tbENKUlT_T0_SI_SN_E_clISD_PiSD_S15_EEDaS11_S12_SI_SN_EUlS11_E_NS1_11comp_targetILNS1_3genE5ELNS1_11target_archE942ELNS1_3gpuE9ELNS1_3repE0EEENS1_47radix_sort_onesweep_sort_config_static_selectorELNS0_4arch9wavefront6targetE0EEEvSI_,"axG",@progbits,_ZN7rocprim17ROCPRIM_400000_NS6detail17trampoline_kernelINS0_14default_configENS1_35radix_sort_onesweep_config_selectorIiiEEZZNS1_29radix_sort_onesweep_iterationIS3_Lb1EN6thrust23THRUST_200600_302600_NS6detail15normal_iteratorINS8_10device_ptrIiEEEESD_SD_SD_jNS0_19identity_decomposerENS1_16block_id_wrapperIjLb1EEEEE10hipError_tT1_PNSt15iterator_traitsISI_E10value_typeET2_T3_PNSJ_ISO_E10value_typeET4_T5_PST_SU_PNS1_23onesweep_lookback_stateEbbT6_jjT7_P12ihipStream_tbENKUlT_T0_SI_SN_E_clISD_PiSD_S15_EEDaS11_S12_SI_SN_EUlS11_E_NS1_11comp_targetILNS1_3genE5ELNS1_11target_archE942ELNS1_3gpuE9ELNS1_3repE0EEENS1_47radix_sort_onesweep_sort_config_static_selectorELNS0_4arch9wavefront6targetE0EEEvSI_,comdat
	.protected	_ZN7rocprim17ROCPRIM_400000_NS6detail17trampoline_kernelINS0_14default_configENS1_35radix_sort_onesweep_config_selectorIiiEEZZNS1_29radix_sort_onesweep_iterationIS3_Lb1EN6thrust23THRUST_200600_302600_NS6detail15normal_iteratorINS8_10device_ptrIiEEEESD_SD_SD_jNS0_19identity_decomposerENS1_16block_id_wrapperIjLb1EEEEE10hipError_tT1_PNSt15iterator_traitsISI_E10value_typeET2_T3_PNSJ_ISO_E10value_typeET4_T5_PST_SU_PNS1_23onesweep_lookback_stateEbbT6_jjT7_P12ihipStream_tbENKUlT_T0_SI_SN_E_clISD_PiSD_S15_EEDaS11_S12_SI_SN_EUlS11_E_NS1_11comp_targetILNS1_3genE5ELNS1_11target_archE942ELNS1_3gpuE9ELNS1_3repE0EEENS1_47radix_sort_onesweep_sort_config_static_selectorELNS0_4arch9wavefront6targetE0EEEvSI_ ; -- Begin function _ZN7rocprim17ROCPRIM_400000_NS6detail17trampoline_kernelINS0_14default_configENS1_35radix_sort_onesweep_config_selectorIiiEEZZNS1_29radix_sort_onesweep_iterationIS3_Lb1EN6thrust23THRUST_200600_302600_NS6detail15normal_iteratorINS8_10device_ptrIiEEEESD_SD_SD_jNS0_19identity_decomposerENS1_16block_id_wrapperIjLb1EEEEE10hipError_tT1_PNSt15iterator_traitsISI_E10value_typeET2_T3_PNSJ_ISO_E10value_typeET4_T5_PST_SU_PNS1_23onesweep_lookback_stateEbbT6_jjT7_P12ihipStream_tbENKUlT_T0_SI_SN_E_clISD_PiSD_S15_EEDaS11_S12_SI_SN_EUlS11_E_NS1_11comp_targetILNS1_3genE5ELNS1_11target_archE942ELNS1_3gpuE9ELNS1_3repE0EEENS1_47radix_sort_onesweep_sort_config_static_selectorELNS0_4arch9wavefront6targetE0EEEvSI_
	.globl	_ZN7rocprim17ROCPRIM_400000_NS6detail17trampoline_kernelINS0_14default_configENS1_35radix_sort_onesweep_config_selectorIiiEEZZNS1_29radix_sort_onesweep_iterationIS3_Lb1EN6thrust23THRUST_200600_302600_NS6detail15normal_iteratorINS8_10device_ptrIiEEEESD_SD_SD_jNS0_19identity_decomposerENS1_16block_id_wrapperIjLb1EEEEE10hipError_tT1_PNSt15iterator_traitsISI_E10value_typeET2_T3_PNSJ_ISO_E10value_typeET4_T5_PST_SU_PNS1_23onesweep_lookback_stateEbbT6_jjT7_P12ihipStream_tbENKUlT_T0_SI_SN_E_clISD_PiSD_S15_EEDaS11_S12_SI_SN_EUlS11_E_NS1_11comp_targetILNS1_3genE5ELNS1_11target_archE942ELNS1_3gpuE9ELNS1_3repE0EEENS1_47radix_sort_onesweep_sort_config_static_selectorELNS0_4arch9wavefront6targetE0EEEvSI_
	.p2align	8
	.type	_ZN7rocprim17ROCPRIM_400000_NS6detail17trampoline_kernelINS0_14default_configENS1_35radix_sort_onesweep_config_selectorIiiEEZZNS1_29radix_sort_onesweep_iterationIS3_Lb1EN6thrust23THRUST_200600_302600_NS6detail15normal_iteratorINS8_10device_ptrIiEEEESD_SD_SD_jNS0_19identity_decomposerENS1_16block_id_wrapperIjLb1EEEEE10hipError_tT1_PNSt15iterator_traitsISI_E10value_typeET2_T3_PNSJ_ISO_E10value_typeET4_T5_PST_SU_PNS1_23onesweep_lookback_stateEbbT6_jjT7_P12ihipStream_tbENKUlT_T0_SI_SN_E_clISD_PiSD_S15_EEDaS11_S12_SI_SN_EUlS11_E_NS1_11comp_targetILNS1_3genE5ELNS1_11target_archE942ELNS1_3gpuE9ELNS1_3repE0EEENS1_47radix_sort_onesweep_sort_config_static_selectorELNS0_4arch9wavefront6targetE0EEEvSI_,@function
_ZN7rocprim17ROCPRIM_400000_NS6detail17trampoline_kernelINS0_14default_configENS1_35radix_sort_onesweep_config_selectorIiiEEZZNS1_29radix_sort_onesweep_iterationIS3_Lb1EN6thrust23THRUST_200600_302600_NS6detail15normal_iteratorINS8_10device_ptrIiEEEESD_SD_SD_jNS0_19identity_decomposerENS1_16block_id_wrapperIjLb1EEEEE10hipError_tT1_PNSt15iterator_traitsISI_E10value_typeET2_T3_PNSJ_ISO_E10value_typeET4_T5_PST_SU_PNS1_23onesweep_lookback_stateEbbT6_jjT7_P12ihipStream_tbENKUlT_T0_SI_SN_E_clISD_PiSD_S15_EEDaS11_S12_SI_SN_EUlS11_E_NS1_11comp_targetILNS1_3genE5ELNS1_11target_archE942ELNS1_3gpuE9ELNS1_3repE0EEENS1_47radix_sort_onesweep_sort_config_static_selectorELNS0_4arch9wavefront6targetE0EEEvSI_: ; @_ZN7rocprim17ROCPRIM_400000_NS6detail17trampoline_kernelINS0_14default_configENS1_35radix_sort_onesweep_config_selectorIiiEEZZNS1_29radix_sort_onesweep_iterationIS3_Lb1EN6thrust23THRUST_200600_302600_NS6detail15normal_iteratorINS8_10device_ptrIiEEEESD_SD_SD_jNS0_19identity_decomposerENS1_16block_id_wrapperIjLb1EEEEE10hipError_tT1_PNSt15iterator_traitsISI_E10value_typeET2_T3_PNSJ_ISO_E10value_typeET4_T5_PST_SU_PNS1_23onesweep_lookback_stateEbbT6_jjT7_P12ihipStream_tbENKUlT_T0_SI_SN_E_clISD_PiSD_S15_EEDaS11_S12_SI_SN_EUlS11_E_NS1_11comp_targetILNS1_3genE5ELNS1_11target_archE942ELNS1_3gpuE9ELNS1_3repE0EEENS1_47radix_sort_onesweep_sort_config_static_selectorELNS0_4arch9wavefront6targetE0EEEvSI_
; %bb.0:
	.section	.rodata,"a",@progbits
	.p2align	6, 0x0
	.amdhsa_kernel _ZN7rocprim17ROCPRIM_400000_NS6detail17trampoline_kernelINS0_14default_configENS1_35radix_sort_onesweep_config_selectorIiiEEZZNS1_29radix_sort_onesweep_iterationIS3_Lb1EN6thrust23THRUST_200600_302600_NS6detail15normal_iteratorINS8_10device_ptrIiEEEESD_SD_SD_jNS0_19identity_decomposerENS1_16block_id_wrapperIjLb1EEEEE10hipError_tT1_PNSt15iterator_traitsISI_E10value_typeET2_T3_PNSJ_ISO_E10value_typeET4_T5_PST_SU_PNS1_23onesweep_lookback_stateEbbT6_jjT7_P12ihipStream_tbENKUlT_T0_SI_SN_E_clISD_PiSD_S15_EEDaS11_S12_SI_SN_EUlS11_E_NS1_11comp_targetILNS1_3genE5ELNS1_11target_archE942ELNS1_3gpuE9ELNS1_3repE0EEENS1_47radix_sort_onesweep_sort_config_static_selectorELNS0_4arch9wavefront6targetE0EEEvSI_
		.amdhsa_group_segment_fixed_size 0
		.amdhsa_private_segment_fixed_size 0
		.amdhsa_kernarg_size 88
		.amdhsa_user_sgpr_count 6
		.amdhsa_user_sgpr_private_segment_buffer 1
		.amdhsa_user_sgpr_dispatch_ptr 0
		.amdhsa_user_sgpr_queue_ptr 0
		.amdhsa_user_sgpr_kernarg_segment_ptr 1
		.amdhsa_user_sgpr_dispatch_id 0
		.amdhsa_user_sgpr_flat_scratch_init 0
		.amdhsa_user_sgpr_private_segment_size 0
		.amdhsa_wavefront_size32 1
		.amdhsa_uses_dynamic_stack 0
		.amdhsa_system_sgpr_private_segment_wavefront_offset 0
		.amdhsa_system_sgpr_workgroup_id_x 1
		.amdhsa_system_sgpr_workgroup_id_y 0
		.amdhsa_system_sgpr_workgroup_id_z 0
		.amdhsa_system_sgpr_workgroup_info 0
		.amdhsa_system_vgpr_workitem_id 0
		.amdhsa_next_free_vgpr 1
		.amdhsa_next_free_sgpr 1
		.amdhsa_reserve_vcc 0
		.amdhsa_reserve_flat_scratch 0
		.amdhsa_float_round_mode_32 0
		.amdhsa_float_round_mode_16_64 0
		.amdhsa_float_denorm_mode_32 3
		.amdhsa_float_denorm_mode_16_64 3
		.amdhsa_dx10_clamp 1
		.amdhsa_ieee_mode 1
		.amdhsa_fp16_overflow 0
		.amdhsa_workgroup_processor_mode 1
		.amdhsa_memory_ordered 1
		.amdhsa_forward_progress 1
		.amdhsa_shared_vgpr_count 0
		.amdhsa_exception_fp_ieee_invalid_op 0
		.amdhsa_exception_fp_denorm_src 0
		.amdhsa_exception_fp_ieee_div_zero 0
		.amdhsa_exception_fp_ieee_overflow 0
		.amdhsa_exception_fp_ieee_underflow 0
		.amdhsa_exception_fp_ieee_inexact 0
		.amdhsa_exception_int_div_zero 0
	.end_amdhsa_kernel
	.section	.text._ZN7rocprim17ROCPRIM_400000_NS6detail17trampoline_kernelINS0_14default_configENS1_35radix_sort_onesweep_config_selectorIiiEEZZNS1_29radix_sort_onesweep_iterationIS3_Lb1EN6thrust23THRUST_200600_302600_NS6detail15normal_iteratorINS8_10device_ptrIiEEEESD_SD_SD_jNS0_19identity_decomposerENS1_16block_id_wrapperIjLb1EEEEE10hipError_tT1_PNSt15iterator_traitsISI_E10value_typeET2_T3_PNSJ_ISO_E10value_typeET4_T5_PST_SU_PNS1_23onesweep_lookback_stateEbbT6_jjT7_P12ihipStream_tbENKUlT_T0_SI_SN_E_clISD_PiSD_S15_EEDaS11_S12_SI_SN_EUlS11_E_NS1_11comp_targetILNS1_3genE5ELNS1_11target_archE942ELNS1_3gpuE9ELNS1_3repE0EEENS1_47radix_sort_onesweep_sort_config_static_selectorELNS0_4arch9wavefront6targetE0EEEvSI_,"axG",@progbits,_ZN7rocprim17ROCPRIM_400000_NS6detail17trampoline_kernelINS0_14default_configENS1_35radix_sort_onesweep_config_selectorIiiEEZZNS1_29radix_sort_onesweep_iterationIS3_Lb1EN6thrust23THRUST_200600_302600_NS6detail15normal_iteratorINS8_10device_ptrIiEEEESD_SD_SD_jNS0_19identity_decomposerENS1_16block_id_wrapperIjLb1EEEEE10hipError_tT1_PNSt15iterator_traitsISI_E10value_typeET2_T3_PNSJ_ISO_E10value_typeET4_T5_PST_SU_PNS1_23onesweep_lookback_stateEbbT6_jjT7_P12ihipStream_tbENKUlT_T0_SI_SN_E_clISD_PiSD_S15_EEDaS11_S12_SI_SN_EUlS11_E_NS1_11comp_targetILNS1_3genE5ELNS1_11target_archE942ELNS1_3gpuE9ELNS1_3repE0EEENS1_47radix_sort_onesweep_sort_config_static_selectorELNS0_4arch9wavefront6targetE0EEEvSI_,comdat
.Lfunc_end1010:
	.size	_ZN7rocprim17ROCPRIM_400000_NS6detail17trampoline_kernelINS0_14default_configENS1_35radix_sort_onesweep_config_selectorIiiEEZZNS1_29radix_sort_onesweep_iterationIS3_Lb1EN6thrust23THRUST_200600_302600_NS6detail15normal_iteratorINS8_10device_ptrIiEEEESD_SD_SD_jNS0_19identity_decomposerENS1_16block_id_wrapperIjLb1EEEEE10hipError_tT1_PNSt15iterator_traitsISI_E10value_typeET2_T3_PNSJ_ISO_E10value_typeET4_T5_PST_SU_PNS1_23onesweep_lookback_stateEbbT6_jjT7_P12ihipStream_tbENKUlT_T0_SI_SN_E_clISD_PiSD_S15_EEDaS11_S12_SI_SN_EUlS11_E_NS1_11comp_targetILNS1_3genE5ELNS1_11target_archE942ELNS1_3gpuE9ELNS1_3repE0EEENS1_47radix_sort_onesweep_sort_config_static_selectorELNS0_4arch9wavefront6targetE0EEEvSI_, .Lfunc_end1010-_ZN7rocprim17ROCPRIM_400000_NS6detail17trampoline_kernelINS0_14default_configENS1_35radix_sort_onesweep_config_selectorIiiEEZZNS1_29radix_sort_onesweep_iterationIS3_Lb1EN6thrust23THRUST_200600_302600_NS6detail15normal_iteratorINS8_10device_ptrIiEEEESD_SD_SD_jNS0_19identity_decomposerENS1_16block_id_wrapperIjLb1EEEEE10hipError_tT1_PNSt15iterator_traitsISI_E10value_typeET2_T3_PNSJ_ISO_E10value_typeET4_T5_PST_SU_PNS1_23onesweep_lookback_stateEbbT6_jjT7_P12ihipStream_tbENKUlT_T0_SI_SN_E_clISD_PiSD_S15_EEDaS11_S12_SI_SN_EUlS11_E_NS1_11comp_targetILNS1_3genE5ELNS1_11target_archE942ELNS1_3gpuE9ELNS1_3repE0EEENS1_47radix_sort_onesweep_sort_config_static_selectorELNS0_4arch9wavefront6targetE0EEEvSI_
                                        ; -- End function
	.set _ZN7rocprim17ROCPRIM_400000_NS6detail17trampoline_kernelINS0_14default_configENS1_35radix_sort_onesweep_config_selectorIiiEEZZNS1_29radix_sort_onesweep_iterationIS3_Lb1EN6thrust23THRUST_200600_302600_NS6detail15normal_iteratorINS8_10device_ptrIiEEEESD_SD_SD_jNS0_19identity_decomposerENS1_16block_id_wrapperIjLb1EEEEE10hipError_tT1_PNSt15iterator_traitsISI_E10value_typeET2_T3_PNSJ_ISO_E10value_typeET4_T5_PST_SU_PNS1_23onesweep_lookback_stateEbbT6_jjT7_P12ihipStream_tbENKUlT_T0_SI_SN_E_clISD_PiSD_S15_EEDaS11_S12_SI_SN_EUlS11_E_NS1_11comp_targetILNS1_3genE5ELNS1_11target_archE942ELNS1_3gpuE9ELNS1_3repE0EEENS1_47radix_sort_onesweep_sort_config_static_selectorELNS0_4arch9wavefront6targetE0EEEvSI_.num_vgpr, 0
	.set _ZN7rocprim17ROCPRIM_400000_NS6detail17trampoline_kernelINS0_14default_configENS1_35radix_sort_onesweep_config_selectorIiiEEZZNS1_29radix_sort_onesweep_iterationIS3_Lb1EN6thrust23THRUST_200600_302600_NS6detail15normal_iteratorINS8_10device_ptrIiEEEESD_SD_SD_jNS0_19identity_decomposerENS1_16block_id_wrapperIjLb1EEEEE10hipError_tT1_PNSt15iterator_traitsISI_E10value_typeET2_T3_PNSJ_ISO_E10value_typeET4_T5_PST_SU_PNS1_23onesweep_lookback_stateEbbT6_jjT7_P12ihipStream_tbENKUlT_T0_SI_SN_E_clISD_PiSD_S15_EEDaS11_S12_SI_SN_EUlS11_E_NS1_11comp_targetILNS1_3genE5ELNS1_11target_archE942ELNS1_3gpuE9ELNS1_3repE0EEENS1_47radix_sort_onesweep_sort_config_static_selectorELNS0_4arch9wavefront6targetE0EEEvSI_.num_agpr, 0
	.set _ZN7rocprim17ROCPRIM_400000_NS6detail17trampoline_kernelINS0_14default_configENS1_35radix_sort_onesweep_config_selectorIiiEEZZNS1_29radix_sort_onesweep_iterationIS3_Lb1EN6thrust23THRUST_200600_302600_NS6detail15normal_iteratorINS8_10device_ptrIiEEEESD_SD_SD_jNS0_19identity_decomposerENS1_16block_id_wrapperIjLb1EEEEE10hipError_tT1_PNSt15iterator_traitsISI_E10value_typeET2_T3_PNSJ_ISO_E10value_typeET4_T5_PST_SU_PNS1_23onesweep_lookback_stateEbbT6_jjT7_P12ihipStream_tbENKUlT_T0_SI_SN_E_clISD_PiSD_S15_EEDaS11_S12_SI_SN_EUlS11_E_NS1_11comp_targetILNS1_3genE5ELNS1_11target_archE942ELNS1_3gpuE9ELNS1_3repE0EEENS1_47radix_sort_onesweep_sort_config_static_selectorELNS0_4arch9wavefront6targetE0EEEvSI_.numbered_sgpr, 0
	.set _ZN7rocprim17ROCPRIM_400000_NS6detail17trampoline_kernelINS0_14default_configENS1_35radix_sort_onesweep_config_selectorIiiEEZZNS1_29radix_sort_onesweep_iterationIS3_Lb1EN6thrust23THRUST_200600_302600_NS6detail15normal_iteratorINS8_10device_ptrIiEEEESD_SD_SD_jNS0_19identity_decomposerENS1_16block_id_wrapperIjLb1EEEEE10hipError_tT1_PNSt15iterator_traitsISI_E10value_typeET2_T3_PNSJ_ISO_E10value_typeET4_T5_PST_SU_PNS1_23onesweep_lookback_stateEbbT6_jjT7_P12ihipStream_tbENKUlT_T0_SI_SN_E_clISD_PiSD_S15_EEDaS11_S12_SI_SN_EUlS11_E_NS1_11comp_targetILNS1_3genE5ELNS1_11target_archE942ELNS1_3gpuE9ELNS1_3repE0EEENS1_47radix_sort_onesweep_sort_config_static_selectorELNS0_4arch9wavefront6targetE0EEEvSI_.num_named_barrier, 0
	.set _ZN7rocprim17ROCPRIM_400000_NS6detail17trampoline_kernelINS0_14default_configENS1_35radix_sort_onesweep_config_selectorIiiEEZZNS1_29radix_sort_onesweep_iterationIS3_Lb1EN6thrust23THRUST_200600_302600_NS6detail15normal_iteratorINS8_10device_ptrIiEEEESD_SD_SD_jNS0_19identity_decomposerENS1_16block_id_wrapperIjLb1EEEEE10hipError_tT1_PNSt15iterator_traitsISI_E10value_typeET2_T3_PNSJ_ISO_E10value_typeET4_T5_PST_SU_PNS1_23onesweep_lookback_stateEbbT6_jjT7_P12ihipStream_tbENKUlT_T0_SI_SN_E_clISD_PiSD_S15_EEDaS11_S12_SI_SN_EUlS11_E_NS1_11comp_targetILNS1_3genE5ELNS1_11target_archE942ELNS1_3gpuE9ELNS1_3repE0EEENS1_47radix_sort_onesweep_sort_config_static_selectorELNS0_4arch9wavefront6targetE0EEEvSI_.private_seg_size, 0
	.set _ZN7rocprim17ROCPRIM_400000_NS6detail17trampoline_kernelINS0_14default_configENS1_35radix_sort_onesweep_config_selectorIiiEEZZNS1_29radix_sort_onesweep_iterationIS3_Lb1EN6thrust23THRUST_200600_302600_NS6detail15normal_iteratorINS8_10device_ptrIiEEEESD_SD_SD_jNS0_19identity_decomposerENS1_16block_id_wrapperIjLb1EEEEE10hipError_tT1_PNSt15iterator_traitsISI_E10value_typeET2_T3_PNSJ_ISO_E10value_typeET4_T5_PST_SU_PNS1_23onesweep_lookback_stateEbbT6_jjT7_P12ihipStream_tbENKUlT_T0_SI_SN_E_clISD_PiSD_S15_EEDaS11_S12_SI_SN_EUlS11_E_NS1_11comp_targetILNS1_3genE5ELNS1_11target_archE942ELNS1_3gpuE9ELNS1_3repE0EEENS1_47radix_sort_onesweep_sort_config_static_selectorELNS0_4arch9wavefront6targetE0EEEvSI_.uses_vcc, 0
	.set _ZN7rocprim17ROCPRIM_400000_NS6detail17trampoline_kernelINS0_14default_configENS1_35radix_sort_onesweep_config_selectorIiiEEZZNS1_29radix_sort_onesweep_iterationIS3_Lb1EN6thrust23THRUST_200600_302600_NS6detail15normal_iteratorINS8_10device_ptrIiEEEESD_SD_SD_jNS0_19identity_decomposerENS1_16block_id_wrapperIjLb1EEEEE10hipError_tT1_PNSt15iterator_traitsISI_E10value_typeET2_T3_PNSJ_ISO_E10value_typeET4_T5_PST_SU_PNS1_23onesweep_lookback_stateEbbT6_jjT7_P12ihipStream_tbENKUlT_T0_SI_SN_E_clISD_PiSD_S15_EEDaS11_S12_SI_SN_EUlS11_E_NS1_11comp_targetILNS1_3genE5ELNS1_11target_archE942ELNS1_3gpuE9ELNS1_3repE0EEENS1_47radix_sort_onesweep_sort_config_static_selectorELNS0_4arch9wavefront6targetE0EEEvSI_.uses_flat_scratch, 0
	.set _ZN7rocprim17ROCPRIM_400000_NS6detail17trampoline_kernelINS0_14default_configENS1_35radix_sort_onesweep_config_selectorIiiEEZZNS1_29radix_sort_onesweep_iterationIS3_Lb1EN6thrust23THRUST_200600_302600_NS6detail15normal_iteratorINS8_10device_ptrIiEEEESD_SD_SD_jNS0_19identity_decomposerENS1_16block_id_wrapperIjLb1EEEEE10hipError_tT1_PNSt15iterator_traitsISI_E10value_typeET2_T3_PNSJ_ISO_E10value_typeET4_T5_PST_SU_PNS1_23onesweep_lookback_stateEbbT6_jjT7_P12ihipStream_tbENKUlT_T0_SI_SN_E_clISD_PiSD_S15_EEDaS11_S12_SI_SN_EUlS11_E_NS1_11comp_targetILNS1_3genE5ELNS1_11target_archE942ELNS1_3gpuE9ELNS1_3repE0EEENS1_47radix_sort_onesweep_sort_config_static_selectorELNS0_4arch9wavefront6targetE0EEEvSI_.has_dyn_sized_stack, 0
	.set _ZN7rocprim17ROCPRIM_400000_NS6detail17trampoline_kernelINS0_14default_configENS1_35radix_sort_onesweep_config_selectorIiiEEZZNS1_29radix_sort_onesweep_iterationIS3_Lb1EN6thrust23THRUST_200600_302600_NS6detail15normal_iteratorINS8_10device_ptrIiEEEESD_SD_SD_jNS0_19identity_decomposerENS1_16block_id_wrapperIjLb1EEEEE10hipError_tT1_PNSt15iterator_traitsISI_E10value_typeET2_T3_PNSJ_ISO_E10value_typeET4_T5_PST_SU_PNS1_23onesweep_lookback_stateEbbT6_jjT7_P12ihipStream_tbENKUlT_T0_SI_SN_E_clISD_PiSD_S15_EEDaS11_S12_SI_SN_EUlS11_E_NS1_11comp_targetILNS1_3genE5ELNS1_11target_archE942ELNS1_3gpuE9ELNS1_3repE0EEENS1_47radix_sort_onesweep_sort_config_static_selectorELNS0_4arch9wavefront6targetE0EEEvSI_.has_recursion, 0
	.set _ZN7rocprim17ROCPRIM_400000_NS6detail17trampoline_kernelINS0_14default_configENS1_35radix_sort_onesweep_config_selectorIiiEEZZNS1_29radix_sort_onesweep_iterationIS3_Lb1EN6thrust23THRUST_200600_302600_NS6detail15normal_iteratorINS8_10device_ptrIiEEEESD_SD_SD_jNS0_19identity_decomposerENS1_16block_id_wrapperIjLb1EEEEE10hipError_tT1_PNSt15iterator_traitsISI_E10value_typeET2_T3_PNSJ_ISO_E10value_typeET4_T5_PST_SU_PNS1_23onesweep_lookback_stateEbbT6_jjT7_P12ihipStream_tbENKUlT_T0_SI_SN_E_clISD_PiSD_S15_EEDaS11_S12_SI_SN_EUlS11_E_NS1_11comp_targetILNS1_3genE5ELNS1_11target_archE942ELNS1_3gpuE9ELNS1_3repE0EEENS1_47radix_sort_onesweep_sort_config_static_selectorELNS0_4arch9wavefront6targetE0EEEvSI_.has_indirect_call, 0
	.section	.AMDGPU.csdata,"",@progbits
; Kernel info:
; codeLenInByte = 0
; TotalNumSgprs: 0
; NumVgprs: 0
; ScratchSize: 0
; MemoryBound: 0
; FloatMode: 240
; IeeeMode: 1
; LDSByteSize: 0 bytes/workgroup (compile time only)
; SGPRBlocks: 0
; VGPRBlocks: 0
; NumSGPRsForWavesPerEU: 1
; NumVGPRsForWavesPerEU: 1
; Occupancy: 16
; WaveLimiterHint : 0
; COMPUTE_PGM_RSRC2:SCRATCH_EN: 0
; COMPUTE_PGM_RSRC2:USER_SGPR: 6
; COMPUTE_PGM_RSRC2:TRAP_HANDLER: 0
; COMPUTE_PGM_RSRC2:TGID_X_EN: 1
; COMPUTE_PGM_RSRC2:TGID_Y_EN: 0
; COMPUTE_PGM_RSRC2:TGID_Z_EN: 0
; COMPUTE_PGM_RSRC2:TIDIG_COMP_CNT: 0
	.section	.text._ZN7rocprim17ROCPRIM_400000_NS6detail17trampoline_kernelINS0_14default_configENS1_35radix_sort_onesweep_config_selectorIiiEEZZNS1_29radix_sort_onesweep_iterationIS3_Lb1EN6thrust23THRUST_200600_302600_NS6detail15normal_iteratorINS8_10device_ptrIiEEEESD_SD_SD_jNS0_19identity_decomposerENS1_16block_id_wrapperIjLb1EEEEE10hipError_tT1_PNSt15iterator_traitsISI_E10value_typeET2_T3_PNSJ_ISO_E10value_typeET4_T5_PST_SU_PNS1_23onesweep_lookback_stateEbbT6_jjT7_P12ihipStream_tbENKUlT_T0_SI_SN_E_clISD_PiSD_S15_EEDaS11_S12_SI_SN_EUlS11_E_NS1_11comp_targetILNS1_3genE2ELNS1_11target_archE906ELNS1_3gpuE6ELNS1_3repE0EEENS1_47radix_sort_onesweep_sort_config_static_selectorELNS0_4arch9wavefront6targetE0EEEvSI_,"axG",@progbits,_ZN7rocprim17ROCPRIM_400000_NS6detail17trampoline_kernelINS0_14default_configENS1_35radix_sort_onesweep_config_selectorIiiEEZZNS1_29radix_sort_onesweep_iterationIS3_Lb1EN6thrust23THRUST_200600_302600_NS6detail15normal_iteratorINS8_10device_ptrIiEEEESD_SD_SD_jNS0_19identity_decomposerENS1_16block_id_wrapperIjLb1EEEEE10hipError_tT1_PNSt15iterator_traitsISI_E10value_typeET2_T3_PNSJ_ISO_E10value_typeET4_T5_PST_SU_PNS1_23onesweep_lookback_stateEbbT6_jjT7_P12ihipStream_tbENKUlT_T0_SI_SN_E_clISD_PiSD_S15_EEDaS11_S12_SI_SN_EUlS11_E_NS1_11comp_targetILNS1_3genE2ELNS1_11target_archE906ELNS1_3gpuE6ELNS1_3repE0EEENS1_47radix_sort_onesweep_sort_config_static_selectorELNS0_4arch9wavefront6targetE0EEEvSI_,comdat
	.protected	_ZN7rocprim17ROCPRIM_400000_NS6detail17trampoline_kernelINS0_14default_configENS1_35radix_sort_onesweep_config_selectorIiiEEZZNS1_29radix_sort_onesweep_iterationIS3_Lb1EN6thrust23THRUST_200600_302600_NS6detail15normal_iteratorINS8_10device_ptrIiEEEESD_SD_SD_jNS0_19identity_decomposerENS1_16block_id_wrapperIjLb1EEEEE10hipError_tT1_PNSt15iterator_traitsISI_E10value_typeET2_T3_PNSJ_ISO_E10value_typeET4_T5_PST_SU_PNS1_23onesweep_lookback_stateEbbT6_jjT7_P12ihipStream_tbENKUlT_T0_SI_SN_E_clISD_PiSD_S15_EEDaS11_S12_SI_SN_EUlS11_E_NS1_11comp_targetILNS1_3genE2ELNS1_11target_archE906ELNS1_3gpuE6ELNS1_3repE0EEENS1_47radix_sort_onesweep_sort_config_static_selectorELNS0_4arch9wavefront6targetE0EEEvSI_ ; -- Begin function _ZN7rocprim17ROCPRIM_400000_NS6detail17trampoline_kernelINS0_14default_configENS1_35radix_sort_onesweep_config_selectorIiiEEZZNS1_29radix_sort_onesweep_iterationIS3_Lb1EN6thrust23THRUST_200600_302600_NS6detail15normal_iteratorINS8_10device_ptrIiEEEESD_SD_SD_jNS0_19identity_decomposerENS1_16block_id_wrapperIjLb1EEEEE10hipError_tT1_PNSt15iterator_traitsISI_E10value_typeET2_T3_PNSJ_ISO_E10value_typeET4_T5_PST_SU_PNS1_23onesweep_lookback_stateEbbT6_jjT7_P12ihipStream_tbENKUlT_T0_SI_SN_E_clISD_PiSD_S15_EEDaS11_S12_SI_SN_EUlS11_E_NS1_11comp_targetILNS1_3genE2ELNS1_11target_archE906ELNS1_3gpuE6ELNS1_3repE0EEENS1_47radix_sort_onesweep_sort_config_static_selectorELNS0_4arch9wavefront6targetE0EEEvSI_
	.globl	_ZN7rocprim17ROCPRIM_400000_NS6detail17trampoline_kernelINS0_14default_configENS1_35radix_sort_onesweep_config_selectorIiiEEZZNS1_29radix_sort_onesweep_iterationIS3_Lb1EN6thrust23THRUST_200600_302600_NS6detail15normal_iteratorINS8_10device_ptrIiEEEESD_SD_SD_jNS0_19identity_decomposerENS1_16block_id_wrapperIjLb1EEEEE10hipError_tT1_PNSt15iterator_traitsISI_E10value_typeET2_T3_PNSJ_ISO_E10value_typeET4_T5_PST_SU_PNS1_23onesweep_lookback_stateEbbT6_jjT7_P12ihipStream_tbENKUlT_T0_SI_SN_E_clISD_PiSD_S15_EEDaS11_S12_SI_SN_EUlS11_E_NS1_11comp_targetILNS1_3genE2ELNS1_11target_archE906ELNS1_3gpuE6ELNS1_3repE0EEENS1_47radix_sort_onesweep_sort_config_static_selectorELNS0_4arch9wavefront6targetE0EEEvSI_
	.p2align	8
	.type	_ZN7rocprim17ROCPRIM_400000_NS6detail17trampoline_kernelINS0_14default_configENS1_35radix_sort_onesweep_config_selectorIiiEEZZNS1_29radix_sort_onesweep_iterationIS3_Lb1EN6thrust23THRUST_200600_302600_NS6detail15normal_iteratorINS8_10device_ptrIiEEEESD_SD_SD_jNS0_19identity_decomposerENS1_16block_id_wrapperIjLb1EEEEE10hipError_tT1_PNSt15iterator_traitsISI_E10value_typeET2_T3_PNSJ_ISO_E10value_typeET4_T5_PST_SU_PNS1_23onesweep_lookback_stateEbbT6_jjT7_P12ihipStream_tbENKUlT_T0_SI_SN_E_clISD_PiSD_S15_EEDaS11_S12_SI_SN_EUlS11_E_NS1_11comp_targetILNS1_3genE2ELNS1_11target_archE906ELNS1_3gpuE6ELNS1_3repE0EEENS1_47radix_sort_onesweep_sort_config_static_selectorELNS0_4arch9wavefront6targetE0EEEvSI_,@function
_ZN7rocprim17ROCPRIM_400000_NS6detail17trampoline_kernelINS0_14default_configENS1_35radix_sort_onesweep_config_selectorIiiEEZZNS1_29radix_sort_onesweep_iterationIS3_Lb1EN6thrust23THRUST_200600_302600_NS6detail15normal_iteratorINS8_10device_ptrIiEEEESD_SD_SD_jNS0_19identity_decomposerENS1_16block_id_wrapperIjLb1EEEEE10hipError_tT1_PNSt15iterator_traitsISI_E10value_typeET2_T3_PNSJ_ISO_E10value_typeET4_T5_PST_SU_PNS1_23onesweep_lookback_stateEbbT6_jjT7_P12ihipStream_tbENKUlT_T0_SI_SN_E_clISD_PiSD_S15_EEDaS11_S12_SI_SN_EUlS11_E_NS1_11comp_targetILNS1_3genE2ELNS1_11target_archE906ELNS1_3gpuE6ELNS1_3repE0EEENS1_47radix_sort_onesweep_sort_config_static_selectorELNS0_4arch9wavefront6targetE0EEEvSI_: ; @_ZN7rocprim17ROCPRIM_400000_NS6detail17trampoline_kernelINS0_14default_configENS1_35radix_sort_onesweep_config_selectorIiiEEZZNS1_29radix_sort_onesweep_iterationIS3_Lb1EN6thrust23THRUST_200600_302600_NS6detail15normal_iteratorINS8_10device_ptrIiEEEESD_SD_SD_jNS0_19identity_decomposerENS1_16block_id_wrapperIjLb1EEEEE10hipError_tT1_PNSt15iterator_traitsISI_E10value_typeET2_T3_PNSJ_ISO_E10value_typeET4_T5_PST_SU_PNS1_23onesweep_lookback_stateEbbT6_jjT7_P12ihipStream_tbENKUlT_T0_SI_SN_E_clISD_PiSD_S15_EEDaS11_S12_SI_SN_EUlS11_E_NS1_11comp_targetILNS1_3genE2ELNS1_11target_archE906ELNS1_3gpuE6ELNS1_3repE0EEENS1_47radix_sort_onesweep_sort_config_static_selectorELNS0_4arch9wavefront6targetE0EEEvSI_
; %bb.0:
	.section	.rodata,"a",@progbits
	.p2align	6, 0x0
	.amdhsa_kernel _ZN7rocprim17ROCPRIM_400000_NS6detail17trampoline_kernelINS0_14default_configENS1_35radix_sort_onesweep_config_selectorIiiEEZZNS1_29radix_sort_onesweep_iterationIS3_Lb1EN6thrust23THRUST_200600_302600_NS6detail15normal_iteratorINS8_10device_ptrIiEEEESD_SD_SD_jNS0_19identity_decomposerENS1_16block_id_wrapperIjLb1EEEEE10hipError_tT1_PNSt15iterator_traitsISI_E10value_typeET2_T3_PNSJ_ISO_E10value_typeET4_T5_PST_SU_PNS1_23onesweep_lookback_stateEbbT6_jjT7_P12ihipStream_tbENKUlT_T0_SI_SN_E_clISD_PiSD_S15_EEDaS11_S12_SI_SN_EUlS11_E_NS1_11comp_targetILNS1_3genE2ELNS1_11target_archE906ELNS1_3gpuE6ELNS1_3repE0EEENS1_47radix_sort_onesweep_sort_config_static_selectorELNS0_4arch9wavefront6targetE0EEEvSI_
		.amdhsa_group_segment_fixed_size 0
		.amdhsa_private_segment_fixed_size 0
		.amdhsa_kernarg_size 88
		.amdhsa_user_sgpr_count 6
		.amdhsa_user_sgpr_private_segment_buffer 1
		.amdhsa_user_sgpr_dispatch_ptr 0
		.amdhsa_user_sgpr_queue_ptr 0
		.amdhsa_user_sgpr_kernarg_segment_ptr 1
		.amdhsa_user_sgpr_dispatch_id 0
		.amdhsa_user_sgpr_flat_scratch_init 0
		.amdhsa_user_sgpr_private_segment_size 0
		.amdhsa_wavefront_size32 1
		.amdhsa_uses_dynamic_stack 0
		.amdhsa_system_sgpr_private_segment_wavefront_offset 0
		.amdhsa_system_sgpr_workgroup_id_x 1
		.amdhsa_system_sgpr_workgroup_id_y 0
		.amdhsa_system_sgpr_workgroup_id_z 0
		.amdhsa_system_sgpr_workgroup_info 0
		.amdhsa_system_vgpr_workitem_id 0
		.amdhsa_next_free_vgpr 1
		.amdhsa_next_free_sgpr 1
		.amdhsa_reserve_vcc 0
		.amdhsa_reserve_flat_scratch 0
		.amdhsa_float_round_mode_32 0
		.amdhsa_float_round_mode_16_64 0
		.amdhsa_float_denorm_mode_32 3
		.amdhsa_float_denorm_mode_16_64 3
		.amdhsa_dx10_clamp 1
		.amdhsa_ieee_mode 1
		.amdhsa_fp16_overflow 0
		.amdhsa_workgroup_processor_mode 1
		.amdhsa_memory_ordered 1
		.amdhsa_forward_progress 1
		.amdhsa_shared_vgpr_count 0
		.amdhsa_exception_fp_ieee_invalid_op 0
		.amdhsa_exception_fp_denorm_src 0
		.amdhsa_exception_fp_ieee_div_zero 0
		.amdhsa_exception_fp_ieee_overflow 0
		.amdhsa_exception_fp_ieee_underflow 0
		.amdhsa_exception_fp_ieee_inexact 0
		.amdhsa_exception_int_div_zero 0
	.end_amdhsa_kernel
	.section	.text._ZN7rocprim17ROCPRIM_400000_NS6detail17trampoline_kernelINS0_14default_configENS1_35radix_sort_onesweep_config_selectorIiiEEZZNS1_29radix_sort_onesweep_iterationIS3_Lb1EN6thrust23THRUST_200600_302600_NS6detail15normal_iteratorINS8_10device_ptrIiEEEESD_SD_SD_jNS0_19identity_decomposerENS1_16block_id_wrapperIjLb1EEEEE10hipError_tT1_PNSt15iterator_traitsISI_E10value_typeET2_T3_PNSJ_ISO_E10value_typeET4_T5_PST_SU_PNS1_23onesweep_lookback_stateEbbT6_jjT7_P12ihipStream_tbENKUlT_T0_SI_SN_E_clISD_PiSD_S15_EEDaS11_S12_SI_SN_EUlS11_E_NS1_11comp_targetILNS1_3genE2ELNS1_11target_archE906ELNS1_3gpuE6ELNS1_3repE0EEENS1_47radix_sort_onesweep_sort_config_static_selectorELNS0_4arch9wavefront6targetE0EEEvSI_,"axG",@progbits,_ZN7rocprim17ROCPRIM_400000_NS6detail17trampoline_kernelINS0_14default_configENS1_35radix_sort_onesweep_config_selectorIiiEEZZNS1_29radix_sort_onesweep_iterationIS3_Lb1EN6thrust23THRUST_200600_302600_NS6detail15normal_iteratorINS8_10device_ptrIiEEEESD_SD_SD_jNS0_19identity_decomposerENS1_16block_id_wrapperIjLb1EEEEE10hipError_tT1_PNSt15iterator_traitsISI_E10value_typeET2_T3_PNSJ_ISO_E10value_typeET4_T5_PST_SU_PNS1_23onesweep_lookback_stateEbbT6_jjT7_P12ihipStream_tbENKUlT_T0_SI_SN_E_clISD_PiSD_S15_EEDaS11_S12_SI_SN_EUlS11_E_NS1_11comp_targetILNS1_3genE2ELNS1_11target_archE906ELNS1_3gpuE6ELNS1_3repE0EEENS1_47radix_sort_onesweep_sort_config_static_selectorELNS0_4arch9wavefront6targetE0EEEvSI_,comdat
.Lfunc_end1011:
	.size	_ZN7rocprim17ROCPRIM_400000_NS6detail17trampoline_kernelINS0_14default_configENS1_35radix_sort_onesweep_config_selectorIiiEEZZNS1_29radix_sort_onesweep_iterationIS3_Lb1EN6thrust23THRUST_200600_302600_NS6detail15normal_iteratorINS8_10device_ptrIiEEEESD_SD_SD_jNS0_19identity_decomposerENS1_16block_id_wrapperIjLb1EEEEE10hipError_tT1_PNSt15iterator_traitsISI_E10value_typeET2_T3_PNSJ_ISO_E10value_typeET4_T5_PST_SU_PNS1_23onesweep_lookback_stateEbbT6_jjT7_P12ihipStream_tbENKUlT_T0_SI_SN_E_clISD_PiSD_S15_EEDaS11_S12_SI_SN_EUlS11_E_NS1_11comp_targetILNS1_3genE2ELNS1_11target_archE906ELNS1_3gpuE6ELNS1_3repE0EEENS1_47radix_sort_onesweep_sort_config_static_selectorELNS0_4arch9wavefront6targetE0EEEvSI_, .Lfunc_end1011-_ZN7rocprim17ROCPRIM_400000_NS6detail17trampoline_kernelINS0_14default_configENS1_35radix_sort_onesweep_config_selectorIiiEEZZNS1_29radix_sort_onesweep_iterationIS3_Lb1EN6thrust23THRUST_200600_302600_NS6detail15normal_iteratorINS8_10device_ptrIiEEEESD_SD_SD_jNS0_19identity_decomposerENS1_16block_id_wrapperIjLb1EEEEE10hipError_tT1_PNSt15iterator_traitsISI_E10value_typeET2_T3_PNSJ_ISO_E10value_typeET4_T5_PST_SU_PNS1_23onesweep_lookback_stateEbbT6_jjT7_P12ihipStream_tbENKUlT_T0_SI_SN_E_clISD_PiSD_S15_EEDaS11_S12_SI_SN_EUlS11_E_NS1_11comp_targetILNS1_3genE2ELNS1_11target_archE906ELNS1_3gpuE6ELNS1_3repE0EEENS1_47radix_sort_onesweep_sort_config_static_selectorELNS0_4arch9wavefront6targetE0EEEvSI_
                                        ; -- End function
	.set _ZN7rocprim17ROCPRIM_400000_NS6detail17trampoline_kernelINS0_14default_configENS1_35radix_sort_onesweep_config_selectorIiiEEZZNS1_29radix_sort_onesweep_iterationIS3_Lb1EN6thrust23THRUST_200600_302600_NS6detail15normal_iteratorINS8_10device_ptrIiEEEESD_SD_SD_jNS0_19identity_decomposerENS1_16block_id_wrapperIjLb1EEEEE10hipError_tT1_PNSt15iterator_traitsISI_E10value_typeET2_T3_PNSJ_ISO_E10value_typeET4_T5_PST_SU_PNS1_23onesweep_lookback_stateEbbT6_jjT7_P12ihipStream_tbENKUlT_T0_SI_SN_E_clISD_PiSD_S15_EEDaS11_S12_SI_SN_EUlS11_E_NS1_11comp_targetILNS1_3genE2ELNS1_11target_archE906ELNS1_3gpuE6ELNS1_3repE0EEENS1_47radix_sort_onesweep_sort_config_static_selectorELNS0_4arch9wavefront6targetE0EEEvSI_.num_vgpr, 0
	.set _ZN7rocprim17ROCPRIM_400000_NS6detail17trampoline_kernelINS0_14default_configENS1_35radix_sort_onesweep_config_selectorIiiEEZZNS1_29radix_sort_onesweep_iterationIS3_Lb1EN6thrust23THRUST_200600_302600_NS6detail15normal_iteratorINS8_10device_ptrIiEEEESD_SD_SD_jNS0_19identity_decomposerENS1_16block_id_wrapperIjLb1EEEEE10hipError_tT1_PNSt15iterator_traitsISI_E10value_typeET2_T3_PNSJ_ISO_E10value_typeET4_T5_PST_SU_PNS1_23onesweep_lookback_stateEbbT6_jjT7_P12ihipStream_tbENKUlT_T0_SI_SN_E_clISD_PiSD_S15_EEDaS11_S12_SI_SN_EUlS11_E_NS1_11comp_targetILNS1_3genE2ELNS1_11target_archE906ELNS1_3gpuE6ELNS1_3repE0EEENS1_47radix_sort_onesweep_sort_config_static_selectorELNS0_4arch9wavefront6targetE0EEEvSI_.num_agpr, 0
	.set _ZN7rocprim17ROCPRIM_400000_NS6detail17trampoline_kernelINS0_14default_configENS1_35radix_sort_onesweep_config_selectorIiiEEZZNS1_29radix_sort_onesweep_iterationIS3_Lb1EN6thrust23THRUST_200600_302600_NS6detail15normal_iteratorINS8_10device_ptrIiEEEESD_SD_SD_jNS0_19identity_decomposerENS1_16block_id_wrapperIjLb1EEEEE10hipError_tT1_PNSt15iterator_traitsISI_E10value_typeET2_T3_PNSJ_ISO_E10value_typeET4_T5_PST_SU_PNS1_23onesweep_lookback_stateEbbT6_jjT7_P12ihipStream_tbENKUlT_T0_SI_SN_E_clISD_PiSD_S15_EEDaS11_S12_SI_SN_EUlS11_E_NS1_11comp_targetILNS1_3genE2ELNS1_11target_archE906ELNS1_3gpuE6ELNS1_3repE0EEENS1_47radix_sort_onesweep_sort_config_static_selectorELNS0_4arch9wavefront6targetE0EEEvSI_.numbered_sgpr, 0
	.set _ZN7rocprim17ROCPRIM_400000_NS6detail17trampoline_kernelINS0_14default_configENS1_35radix_sort_onesweep_config_selectorIiiEEZZNS1_29radix_sort_onesweep_iterationIS3_Lb1EN6thrust23THRUST_200600_302600_NS6detail15normal_iteratorINS8_10device_ptrIiEEEESD_SD_SD_jNS0_19identity_decomposerENS1_16block_id_wrapperIjLb1EEEEE10hipError_tT1_PNSt15iterator_traitsISI_E10value_typeET2_T3_PNSJ_ISO_E10value_typeET4_T5_PST_SU_PNS1_23onesweep_lookback_stateEbbT6_jjT7_P12ihipStream_tbENKUlT_T0_SI_SN_E_clISD_PiSD_S15_EEDaS11_S12_SI_SN_EUlS11_E_NS1_11comp_targetILNS1_3genE2ELNS1_11target_archE906ELNS1_3gpuE6ELNS1_3repE0EEENS1_47radix_sort_onesweep_sort_config_static_selectorELNS0_4arch9wavefront6targetE0EEEvSI_.num_named_barrier, 0
	.set _ZN7rocprim17ROCPRIM_400000_NS6detail17trampoline_kernelINS0_14default_configENS1_35radix_sort_onesweep_config_selectorIiiEEZZNS1_29radix_sort_onesweep_iterationIS3_Lb1EN6thrust23THRUST_200600_302600_NS6detail15normal_iteratorINS8_10device_ptrIiEEEESD_SD_SD_jNS0_19identity_decomposerENS1_16block_id_wrapperIjLb1EEEEE10hipError_tT1_PNSt15iterator_traitsISI_E10value_typeET2_T3_PNSJ_ISO_E10value_typeET4_T5_PST_SU_PNS1_23onesweep_lookback_stateEbbT6_jjT7_P12ihipStream_tbENKUlT_T0_SI_SN_E_clISD_PiSD_S15_EEDaS11_S12_SI_SN_EUlS11_E_NS1_11comp_targetILNS1_3genE2ELNS1_11target_archE906ELNS1_3gpuE6ELNS1_3repE0EEENS1_47radix_sort_onesweep_sort_config_static_selectorELNS0_4arch9wavefront6targetE0EEEvSI_.private_seg_size, 0
	.set _ZN7rocprim17ROCPRIM_400000_NS6detail17trampoline_kernelINS0_14default_configENS1_35radix_sort_onesweep_config_selectorIiiEEZZNS1_29radix_sort_onesweep_iterationIS3_Lb1EN6thrust23THRUST_200600_302600_NS6detail15normal_iteratorINS8_10device_ptrIiEEEESD_SD_SD_jNS0_19identity_decomposerENS1_16block_id_wrapperIjLb1EEEEE10hipError_tT1_PNSt15iterator_traitsISI_E10value_typeET2_T3_PNSJ_ISO_E10value_typeET4_T5_PST_SU_PNS1_23onesweep_lookback_stateEbbT6_jjT7_P12ihipStream_tbENKUlT_T0_SI_SN_E_clISD_PiSD_S15_EEDaS11_S12_SI_SN_EUlS11_E_NS1_11comp_targetILNS1_3genE2ELNS1_11target_archE906ELNS1_3gpuE6ELNS1_3repE0EEENS1_47radix_sort_onesweep_sort_config_static_selectorELNS0_4arch9wavefront6targetE0EEEvSI_.uses_vcc, 0
	.set _ZN7rocprim17ROCPRIM_400000_NS6detail17trampoline_kernelINS0_14default_configENS1_35radix_sort_onesweep_config_selectorIiiEEZZNS1_29radix_sort_onesweep_iterationIS3_Lb1EN6thrust23THRUST_200600_302600_NS6detail15normal_iteratorINS8_10device_ptrIiEEEESD_SD_SD_jNS0_19identity_decomposerENS1_16block_id_wrapperIjLb1EEEEE10hipError_tT1_PNSt15iterator_traitsISI_E10value_typeET2_T3_PNSJ_ISO_E10value_typeET4_T5_PST_SU_PNS1_23onesweep_lookback_stateEbbT6_jjT7_P12ihipStream_tbENKUlT_T0_SI_SN_E_clISD_PiSD_S15_EEDaS11_S12_SI_SN_EUlS11_E_NS1_11comp_targetILNS1_3genE2ELNS1_11target_archE906ELNS1_3gpuE6ELNS1_3repE0EEENS1_47radix_sort_onesweep_sort_config_static_selectorELNS0_4arch9wavefront6targetE0EEEvSI_.uses_flat_scratch, 0
	.set _ZN7rocprim17ROCPRIM_400000_NS6detail17trampoline_kernelINS0_14default_configENS1_35radix_sort_onesweep_config_selectorIiiEEZZNS1_29radix_sort_onesweep_iterationIS3_Lb1EN6thrust23THRUST_200600_302600_NS6detail15normal_iteratorINS8_10device_ptrIiEEEESD_SD_SD_jNS0_19identity_decomposerENS1_16block_id_wrapperIjLb1EEEEE10hipError_tT1_PNSt15iterator_traitsISI_E10value_typeET2_T3_PNSJ_ISO_E10value_typeET4_T5_PST_SU_PNS1_23onesweep_lookback_stateEbbT6_jjT7_P12ihipStream_tbENKUlT_T0_SI_SN_E_clISD_PiSD_S15_EEDaS11_S12_SI_SN_EUlS11_E_NS1_11comp_targetILNS1_3genE2ELNS1_11target_archE906ELNS1_3gpuE6ELNS1_3repE0EEENS1_47radix_sort_onesweep_sort_config_static_selectorELNS0_4arch9wavefront6targetE0EEEvSI_.has_dyn_sized_stack, 0
	.set _ZN7rocprim17ROCPRIM_400000_NS6detail17trampoline_kernelINS0_14default_configENS1_35radix_sort_onesweep_config_selectorIiiEEZZNS1_29radix_sort_onesweep_iterationIS3_Lb1EN6thrust23THRUST_200600_302600_NS6detail15normal_iteratorINS8_10device_ptrIiEEEESD_SD_SD_jNS0_19identity_decomposerENS1_16block_id_wrapperIjLb1EEEEE10hipError_tT1_PNSt15iterator_traitsISI_E10value_typeET2_T3_PNSJ_ISO_E10value_typeET4_T5_PST_SU_PNS1_23onesweep_lookback_stateEbbT6_jjT7_P12ihipStream_tbENKUlT_T0_SI_SN_E_clISD_PiSD_S15_EEDaS11_S12_SI_SN_EUlS11_E_NS1_11comp_targetILNS1_3genE2ELNS1_11target_archE906ELNS1_3gpuE6ELNS1_3repE0EEENS1_47radix_sort_onesweep_sort_config_static_selectorELNS0_4arch9wavefront6targetE0EEEvSI_.has_recursion, 0
	.set _ZN7rocprim17ROCPRIM_400000_NS6detail17trampoline_kernelINS0_14default_configENS1_35radix_sort_onesweep_config_selectorIiiEEZZNS1_29radix_sort_onesweep_iterationIS3_Lb1EN6thrust23THRUST_200600_302600_NS6detail15normal_iteratorINS8_10device_ptrIiEEEESD_SD_SD_jNS0_19identity_decomposerENS1_16block_id_wrapperIjLb1EEEEE10hipError_tT1_PNSt15iterator_traitsISI_E10value_typeET2_T3_PNSJ_ISO_E10value_typeET4_T5_PST_SU_PNS1_23onesweep_lookback_stateEbbT6_jjT7_P12ihipStream_tbENKUlT_T0_SI_SN_E_clISD_PiSD_S15_EEDaS11_S12_SI_SN_EUlS11_E_NS1_11comp_targetILNS1_3genE2ELNS1_11target_archE906ELNS1_3gpuE6ELNS1_3repE0EEENS1_47radix_sort_onesweep_sort_config_static_selectorELNS0_4arch9wavefront6targetE0EEEvSI_.has_indirect_call, 0
	.section	.AMDGPU.csdata,"",@progbits
; Kernel info:
; codeLenInByte = 0
; TotalNumSgprs: 0
; NumVgprs: 0
; ScratchSize: 0
; MemoryBound: 0
; FloatMode: 240
; IeeeMode: 1
; LDSByteSize: 0 bytes/workgroup (compile time only)
; SGPRBlocks: 0
; VGPRBlocks: 0
; NumSGPRsForWavesPerEU: 1
; NumVGPRsForWavesPerEU: 1
; Occupancy: 16
; WaveLimiterHint : 0
; COMPUTE_PGM_RSRC2:SCRATCH_EN: 0
; COMPUTE_PGM_RSRC2:USER_SGPR: 6
; COMPUTE_PGM_RSRC2:TRAP_HANDLER: 0
; COMPUTE_PGM_RSRC2:TGID_X_EN: 1
; COMPUTE_PGM_RSRC2:TGID_Y_EN: 0
; COMPUTE_PGM_RSRC2:TGID_Z_EN: 0
; COMPUTE_PGM_RSRC2:TIDIG_COMP_CNT: 0
	.section	.text._ZN7rocprim17ROCPRIM_400000_NS6detail17trampoline_kernelINS0_14default_configENS1_35radix_sort_onesweep_config_selectorIiiEEZZNS1_29radix_sort_onesweep_iterationIS3_Lb1EN6thrust23THRUST_200600_302600_NS6detail15normal_iteratorINS8_10device_ptrIiEEEESD_SD_SD_jNS0_19identity_decomposerENS1_16block_id_wrapperIjLb1EEEEE10hipError_tT1_PNSt15iterator_traitsISI_E10value_typeET2_T3_PNSJ_ISO_E10value_typeET4_T5_PST_SU_PNS1_23onesweep_lookback_stateEbbT6_jjT7_P12ihipStream_tbENKUlT_T0_SI_SN_E_clISD_PiSD_S15_EEDaS11_S12_SI_SN_EUlS11_E_NS1_11comp_targetILNS1_3genE4ELNS1_11target_archE910ELNS1_3gpuE8ELNS1_3repE0EEENS1_47radix_sort_onesweep_sort_config_static_selectorELNS0_4arch9wavefront6targetE0EEEvSI_,"axG",@progbits,_ZN7rocprim17ROCPRIM_400000_NS6detail17trampoline_kernelINS0_14default_configENS1_35radix_sort_onesweep_config_selectorIiiEEZZNS1_29radix_sort_onesweep_iterationIS3_Lb1EN6thrust23THRUST_200600_302600_NS6detail15normal_iteratorINS8_10device_ptrIiEEEESD_SD_SD_jNS0_19identity_decomposerENS1_16block_id_wrapperIjLb1EEEEE10hipError_tT1_PNSt15iterator_traitsISI_E10value_typeET2_T3_PNSJ_ISO_E10value_typeET4_T5_PST_SU_PNS1_23onesweep_lookback_stateEbbT6_jjT7_P12ihipStream_tbENKUlT_T0_SI_SN_E_clISD_PiSD_S15_EEDaS11_S12_SI_SN_EUlS11_E_NS1_11comp_targetILNS1_3genE4ELNS1_11target_archE910ELNS1_3gpuE8ELNS1_3repE0EEENS1_47radix_sort_onesweep_sort_config_static_selectorELNS0_4arch9wavefront6targetE0EEEvSI_,comdat
	.protected	_ZN7rocprim17ROCPRIM_400000_NS6detail17trampoline_kernelINS0_14default_configENS1_35radix_sort_onesweep_config_selectorIiiEEZZNS1_29radix_sort_onesweep_iterationIS3_Lb1EN6thrust23THRUST_200600_302600_NS6detail15normal_iteratorINS8_10device_ptrIiEEEESD_SD_SD_jNS0_19identity_decomposerENS1_16block_id_wrapperIjLb1EEEEE10hipError_tT1_PNSt15iterator_traitsISI_E10value_typeET2_T3_PNSJ_ISO_E10value_typeET4_T5_PST_SU_PNS1_23onesweep_lookback_stateEbbT6_jjT7_P12ihipStream_tbENKUlT_T0_SI_SN_E_clISD_PiSD_S15_EEDaS11_S12_SI_SN_EUlS11_E_NS1_11comp_targetILNS1_3genE4ELNS1_11target_archE910ELNS1_3gpuE8ELNS1_3repE0EEENS1_47radix_sort_onesweep_sort_config_static_selectorELNS0_4arch9wavefront6targetE0EEEvSI_ ; -- Begin function _ZN7rocprim17ROCPRIM_400000_NS6detail17trampoline_kernelINS0_14default_configENS1_35radix_sort_onesweep_config_selectorIiiEEZZNS1_29radix_sort_onesweep_iterationIS3_Lb1EN6thrust23THRUST_200600_302600_NS6detail15normal_iteratorINS8_10device_ptrIiEEEESD_SD_SD_jNS0_19identity_decomposerENS1_16block_id_wrapperIjLb1EEEEE10hipError_tT1_PNSt15iterator_traitsISI_E10value_typeET2_T3_PNSJ_ISO_E10value_typeET4_T5_PST_SU_PNS1_23onesweep_lookback_stateEbbT6_jjT7_P12ihipStream_tbENKUlT_T0_SI_SN_E_clISD_PiSD_S15_EEDaS11_S12_SI_SN_EUlS11_E_NS1_11comp_targetILNS1_3genE4ELNS1_11target_archE910ELNS1_3gpuE8ELNS1_3repE0EEENS1_47radix_sort_onesweep_sort_config_static_selectorELNS0_4arch9wavefront6targetE0EEEvSI_
	.globl	_ZN7rocprim17ROCPRIM_400000_NS6detail17trampoline_kernelINS0_14default_configENS1_35radix_sort_onesweep_config_selectorIiiEEZZNS1_29radix_sort_onesweep_iterationIS3_Lb1EN6thrust23THRUST_200600_302600_NS6detail15normal_iteratorINS8_10device_ptrIiEEEESD_SD_SD_jNS0_19identity_decomposerENS1_16block_id_wrapperIjLb1EEEEE10hipError_tT1_PNSt15iterator_traitsISI_E10value_typeET2_T3_PNSJ_ISO_E10value_typeET4_T5_PST_SU_PNS1_23onesweep_lookback_stateEbbT6_jjT7_P12ihipStream_tbENKUlT_T0_SI_SN_E_clISD_PiSD_S15_EEDaS11_S12_SI_SN_EUlS11_E_NS1_11comp_targetILNS1_3genE4ELNS1_11target_archE910ELNS1_3gpuE8ELNS1_3repE0EEENS1_47radix_sort_onesweep_sort_config_static_selectorELNS0_4arch9wavefront6targetE0EEEvSI_
	.p2align	8
	.type	_ZN7rocprim17ROCPRIM_400000_NS6detail17trampoline_kernelINS0_14default_configENS1_35radix_sort_onesweep_config_selectorIiiEEZZNS1_29radix_sort_onesweep_iterationIS3_Lb1EN6thrust23THRUST_200600_302600_NS6detail15normal_iteratorINS8_10device_ptrIiEEEESD_SD_SD_jNS0_19identity_decomposerENS1_16block_id_wrapperIjLb1EEEEE10hipError_tT1_PNSt15iterator_traitsISI_E10value_typeET2_T3_PNSJ_ISO_E10value_typeET4_T5_PST_SU_PNS1_23onesweep_lookback_stateEbbT6_jjT7_P12ihipStream_tbENKUlT_T0_SI_SN_E_clISD_PiSD_S15_EEDaS11_S12_SI_SN_EUlS11_E_NS1_11comp_targetILNS1_3genE4ELNS1_11target_archE910ELNS1_3gpuE8ELNS1_3repE0EEENS1_47radix_sort_onesweep_sort_config_static_selectorELNS0_4arch9wavefront6targetE0EEEvSI_,@function
_ZN7rocprim17ROCPRIM_400000_NS6detail17trampoline_kernelINS0_14default_configENS1_35radix_sort_onesweep_config_selectorIiiEEZZNS1_29radix_sort_onesweep_iterationIS3_Lb1EN6thrust23THRUST_200600_302600_NS6detail15normal_iteratorINS8_10device_ptrIiEEEESD_SD_SD_jNS0_19identity_decomposerENS1_16block_id_wrapperIjLb1EEEEE10hipError_tT1_PNSt15iterator_traitsISI_E10value_typeET2_T3_PNSJ_ISO_E10value_typeET4_T5_PST_SU_PNS1_23onesweep_lookback_stateEbbT6_jjT7_P12ihipStream_tbENKUlT_T0_SI_SN_E_clISD_PiSD_S15_EEDaS11_S12_SI_SN_EUlS11_E_NS1_11comp_targetILNS1_3genE4ELNS1_11target_archE910ELNS1_3gpuE8ELNS1_3repE0EEENS1_47radix_sort_onesweep_sort_config_static_selectorELNS0_4arch9wavefront6targetE0EEEvSI_: ; @_ZN7rocprim17ROCPRIM_400000_NS6detail17trampoline_kernelINS0_14default_configENS1_35radix_sort_onesweep_config_selectorIiiEEZZNS1_29radix_sort_onesweep_iterationIS3_Lb1EN6thrust23THRUST_200600_302600_NS6detail15normal_iteratorINS8_10device_ptrIiEEEESD_SD_SD_jNS0_19identity_decomposerENS1_16block_id_wrapperIjLb1EEEEE10hipError_tT1_PNSt15iterator_traitsISI_E10value_typeET2_T3_PNSJ_ISO_E10value_typeET4_T5_PST_SU_PNS1_23onesweep_lookback_stateEbbT6_jjT7_P12ihipStream_tbENKUlT_T0_SI_SN_E_clISD_PiSD_S15_EEDaS11_S12_SI_SN_EUlS11_E_NS1_11comp_targetILNS1_3genE4ELNS1_11target_archE910ELNS1_3gpuE8ELNS1_3repE0EEENS1_47radix_sort_onesweep_sort_config_static_selectorELNS0_4arch9wavefront6targetE0EEEvSI_
; %bb.0:
	.section	.rodata,"a",@progbits
	.p2align	6, 0x0
	.amdhsa_kernel _ZN7rocprim17ROCPRIM_400000_NS6detail17trampoline_kernelINS0_14default_configENS1_35radix_sort_onesweep_config_selectorIiiEEZZNS1_29radix_sort_onesweep_iterationIS3_Lb1EN6thrust23THRUST_200600_302600_NS6detail15normal_iteratorINS8_10device_ptrIiEEEESD_SD_SD_jNS0_19identity_decomposerENS1_16block_id_wrapperIjLb1EEEEE10hipError_tT1_PNSt15iterator_traitsISI_E10value_typeET2_T3_PNSJ_ISO_E10value_typeET4_T5_PST_SU_PNS1_23onesweep_lookback_stateEbbT6_jjT7_P12ihipStream_tbENKUlT_T0_SI_SN_E_clISD_PiSD_S15_EEDaS11_S12_SI_SN_EUlS11_E_NS1_11comp_targetILNS1_3genE4ELNS1_11target_archE910ELNS1_3gpuE8ELNS1_3repE0EEENS1_47radix_sort_onesweep_sort_config_static_selectorELNS0_4arch9wavefront6targetE0EEEvSI_
		.amdhsa_group_segment_fixed_size 0
		.amdhsa_private_segment_fixed_size 0
		.amdhsa_kernarg_size 88
		.amdhsa_user_sgpr_count 6
		.amdhsa_user_sgpr_private_segment_buffer 1
		.amdhsa_user_sgpr_dispatch_ptr 0
		.amdhsa_user_sgpr_queue_ptr 0
		.amdhsa_user_sgpr_kernarg_segment_ptr 1
		.amdhsa_user_sgpr_dispatch_id 0
		.amdhsa_user_sgpr_flat_scratch_init 0
		.amdhsa_user_sgpr_private_segment_size 0
		.amdhsa_wavefront_size32 1
		.amdhsa_uses_dynamic_stack 0
		.amdhsa_system_sgpr_private_segment_wavefront_offset 0
		.amdhsa_system_sgpr_workgroup_id_x 1
		.amdhsa_system_sgpr_workgroup_id_y 0
		.amdhsa_system_sgpr_workgroup_id_z 0
		.amdhsa_system_sgpr_workgroup_info 0
		.amdhsa_system_vgpr_workitem_id 0
		.amdhsa_next_free_vgpr 1
		.amdhsa_next_free_sgpr 1
		.amdhsa_reserve_vcc 0
		.amdhsa_reserve_flat_scratch 0
		.amdhsa_float_round_mode_32 0
		.amdhsa_float_round_mode_16_64 0
		.amdhsa_float_denorm_mode_32 3
		.amdhsa_float_denorm_mode_16_64 3
		.amdhsa_dx10_clamp 1
		.amdhsa_ieee_mode 1
		.amdhsa_fp16_overflow 0
		.amdhsa_workgroup_processor_mode 1
		.amdhsa_memory_ordered 1
		.amdhsa_forward_progress 1
		.amdhsa_shared_vgpr_count 0
		.amdhsa_exception_fp_ieee_invalid_op 0
		.amdhsa_exception_fp_denorm_src 0
		.amdhsa_exception_fp_ieee_div_zero 0
		.amdhsa_exception_fp_ieee_overflow 0
		.amdhsa_exception_fp_ieee_underflow 0
		.amdhsa_exception_fp_ieee_inexact 0
		.amdhsa_exception_int_div_zero 0
	.end_amdhsa_kernel
	.section	.text._ZN7rocprim17ROCPRIM_400000_NS6detail17trampoline_kernelINS0_14default_configENS1_35radix_sort_onesweep_config_selectorIiiEEZZNS1_29radix_sort_onesweep_iterationIS3_Lb1EN6thrust23THRUST_200600_302600_NS6detail15normal_iteratorINS8_10device_ptrIiEEEESD_SD_SD_jNS0_19identity_decomposerENS1_16block_id_wrapperIjLb1EEEEE10hipError_tT1_PNSt15iterator_traitsISI_E10value_typeET2_T3_PNSJ_ISO_E10value_typeET4_T5_PST_SU_PNS1_23onesweep_lookback_stateEbbT6_jjT7_P12ihipStream_tbENKUlT_T0_SI_SN_E_clISD_PiSD_S15_EEDaS11_S12_SI_SN_EUlS11_E_NS1_11comp_targetILNS1_3genE4ELNS1_11target_archE910ELNS1_3gpuE8ELNS1_3repE0EEENS1_47radix_sort_onesweep_sort_config_static_selectorELNS0_4arch9wavefront6targetE0EEEvSI_,"axG",@progbits,_ZN7rocprim17ROCPRIM_400000_NS6detail17trampoline_kernelINS0_14default_configENS1_35radix_sort_onesweep_config_selectorIiiEEZZNS1_29radix_sort_onesweep_iterationIS3_Lb1EN6thrust23THRUST_200600_302600_NS6detail15normal_iteratorINS8_10device_ptrIiEEEESD_SD_SD_jNS0_19identity_decomposerENS1_16block_id_wrapperIjLb1EEEEE10hipError_tT1_PNSt15iterator_traitsISI_E10value_typeET2_T3_PNSJ_ISO_E10value_typeET4_T5_PST_SU_PNS1_23onesweep_lookback_stateEbbT6_jjT7_P12ihipStream_tbENKUlT_T0_SI_SN_E_clISD_PiSD_S15_EEDaS11_S12_SI_SN_EUlS11_E_NS1_11comp_targetILNS1_3genE4ELNS1_11target_archE910ELNS1_3gpuE8ELNS1_3repE0EEENS1_47radix_sort_onesweep_sort_config_static_selectorELNS0_4arch9wavefront6targetE0EEEvSI_,comdat
.Lfunc_end1012:
	.size	_ZN7rocprim17ROCPRIM_400000_NS6detail17trampoline_kernelINS0_14default_configENS1_35radix_sort_onesweep_config_selectorIiiEEZZNS1_29radix_sort_onesweep_iterationIS3_Lb1EN6thrust23THRUST_200600_302600_NS6detail15normal_iteratorINS8_10device_ptrIiEEEESD_SD_SD_jNS0_19identity_decomposerENS1_16block_id_wrapperIjLb1EEEEE10hipError_tT1_PNSt15iterator_traitsISI_E10value_typeET2_T3_PNSJ_ISO_E10value_typeET4_T5_PST_SU_PNS1_23onesweep_lookback_stateEbbT6_jjT7_P12ihipStream_tbENKUlT_T0_SI_SN_E_clISD_PiSD_S15_EEDaS11_S12_SI_SN_EUlS11_E_NS1_11comp_targetILNS1_3genE4ELNS1_11target_archE910ELNS1_3gpuE8ELNS1_3repE0EEENS1_47radix_sort_onesweep_sort_config_static_selectorELNS0_4arch9wavefront6targetE0EEEvSI_, .Lfunc_end1012-_ZN7rocprim17ROCPRIM_400000_NS6detail17trampoline_kernelINS0_14default_configENS1_35radix_sort_onesweep_config_selectorIiiEEZZNS1_29radix_sort_onesweep_iterationIS3_Lb1EN6thrust23THRUST_200600_302600_NS6detail15normal_iteratorINS8_10device_ptrIiEEEESD_SD_SD_jNS0_19identity_decomposerENS1_16block_id_wrapperIjLb1EEEEE10hipError_tT1_PNSt15iterator_traitsISI_E10value_typeET2_T3_PNSJ_ISO_E10value_typeET4_T5_PST_SU_PNS1_23onesweep_lookback_stateEbbT6_jjT7_P12ihipStream_tbENKUlT_T0_SI_SN_E_clISD_PiSD_S15_EEDaS11_S12_SI_SN_EUlS11_E_NS1_11comp_targetILNS1_3genE4ELNS1_11target_archE910ELNS1_3gpuE8ELNS1_3repE0EEENS1_47radix_sort_onesweep_sort_config_static_selectorELNS0_4arch9wavefront6targetE0EEEvSI_
                                        ; -- End function
	.set _ZN7rocprim17ROCPRIM_400000_NS6detail17trampoline_kernelINS0_14default_configENS1_35radix_sort_onesweep_config_selectorIiiEEZZNS1_29radix_sort_onesweep_iterationIS3_Lb1EN6thrust23THRUST_200600_302600_NS6detail15normal_iteratorINS8_10device_ptrIiEEEESD_SD_SD_jNS0_19identity_decomposerENS1_16block_id_wrapperIjLb1EEEEE10hipError_tT1_PNSt15iterator_traitsISI_E10value_typeET2_T3_PNSJ_ISO_E10value_typeET4_T5_PST_SU_PNS1_23onesweep_lookback_stateEbbT6_jjT7_P12ihipStream_tbENKUlT_T0_SI_SN_E_clISD_PiSD_S15_EEDaS11_S12_SI_SN_EUlS11_E_NS1_11comp_targetILNS1_3genE4ELNS1_11target_archE910ELNS1_3gpuE8ELNS1_3repE0EEENS1_47radix_sort_onesweep_sort_config_static_selectorELNS0_4arch9wavefront6targetE0EEEvSI_.num_vgpr, 0
	.set _ZN7rocprim17ROCPRIM_400000_NS6detail17trampoline_kernelINS0_14default_configENS1_35radix_sort_onesweep_config_selectorIiiEEZZNS1_29radix_sort_onesweep_iterationIS3_Lb1EN6thrust23THRUST_200600_302600_NS6detail15normal_iteratorINS8_10device_ptrIiEEEESD_SD_SD_jNS0_19identity_decomposerENS1_16block_id_wrapperIjLb1EEEEE10hipError_tT1_PNSt15iterator_traitsISI_E10value_typeET2_T3_PNSJ_ISO_E10value_typeET4_T5_PST_SU_PNS1_23onesweep_lookback_stateEbbT6_jjT7_P12ihipStream_tbENKUlT_T0_SI_SN_E_clISD_PiSD_S15_EEDaS11_S12_SI_SN_EUlS11_E_NS1_11comp_targetILNS1_3genE4ELNS1_11target_archE910ELNS1_3gpuE8ELNS1_3repE0EEENS1_47radix_sort_onesweep_sort_config_static_selectorELNS0_4arch9wavefront6targetE0EEEvSI_.num_agpr, 0
	.set _ZN7rocprim17ROCPRIM_400000_NS6detail17trampoline_kernelINS0_14default_configENS1_35radix_sort_onesweep_config_selectorIiiEEZZNS1_29radix_sort_onesweep_iterationIS3_Lb1EN6thrust23THRUST_200600_302600_NS6detail15normal_iteratorINS8_10device_ptrIiEEEESD_SD_SD_jNS0_19identity_decomposerENS1_16block_id_wrapperIjLb1EEEEE10hipError_tT1_PNSt15iterator_traitsISI_E10value_typeET2_T3_PNSJ_ISO_E10value_typeET4_T5_PST_SU_PNS1_23onesweep_lookback_stateEbbT6_jjT7_P12ihipStream_tbENKUlT_T0_SI_SN_E_clISD_PiSD_S15_EEDaS11_S12_SI_SN_EUlS11_E_NS1_11comp_targetILNS1_3genE4ELNS1_11target_archE910ELNS1_3gpuE8ELNS1_3repE0EEENS1_47radix_sort_onesweep_sort_config_static_selectorELNS0_4arch9wavefront6targetE0EEEvSI_.numbered_sgpr, 0
	.set _ZN7rocprim17ROCPRIM_400000_NS6detail17trampoline_kernelINS0_14default_configENS1_35radix_sort_onesweep_config_selectorIiiEEZZNS1_29radix_sort_onesweep_iterationIS3_Lb1EN6thrust23THRUST_200600_302600_NS6detail15normal_iteratorINS8_10device_ptrIiEEEESD_SD_SD_jNS0_19identity_decomposerENS1_16block_id_wrapperIjLb1EEEEE10hipError_tT1_PNSt15iterator_traitsISI_E10value_typeET2_T3_PNSJ_ISO_E10value_typeET4_T5_PST_SU_PNS1_23onesweep_lookback_stateEbbT6_jjT7_P12ihipStream_tbENKUlT_T0_SI_SN_E_clISD_PiSD_S15_EEDaS11_S12_SI_SN_EUlS11_E_NS1_11comp_targetILNS1_3genE4ELNS1_11target_archE910ELNS1_3gpuE8ELNS1_3repE0EEENS1_47radix_sort_onesweep_sort_config_static_selectorELNS0_4arch9wavefront6targetE0EEEvSI_.num_named_barrier, 0
	.set _ZN7rocprim17ROCPRIM_400000_NS6detail17trampoline_kernelINS0_14default_configENS1_35radix_sort_onesweep_config_selectorIiiEEZZNS1_29radix_sort_onesweep_iterationIS3_Lb1EN6thrust23THRUST_200600_302600_NS6detail15normal_iteratorINS8_10device_ptrIiEEEESD_SD_SD_jNS0_19identity_decomposerENS1_16block_id_wrapperIjLb1EEEEE10hipError_tT1_PNSt15iterator_traitsISI_E10value_typeET2_T3_PNSJ_ISO_E10value_typeET4_T5_PST_SU_PNS1_23onesweep_lookback_stateEbbT6_jjT7_P12ihipStream_tbENKUlT_T0_SI_SN_E_clISD_PiSD_S15_EEDaS11_S12_SI_SN_EUlS11_E_NS1_11comp_targetILNS1_3genE4ELNS1_11target_archE910ELNS1_3gpuE8ELNS1_3repE0EEENS1_47radix_sort_onesweep_sort_config_static_selectorELNS0_4arch9wavefront6targetE0EEEvSI_.private_seg_size, 0
	.set _ZN7rocprim17ROCPRIM_400000_NS6detail17trampoline_kernelINS0_14default_configENS1_35radix_sort_onesweep_config_selectorIiiEEZZNS1_29radix_sort_onesweep_iterationIS3_Lb1EN6thrust23THRUST_200600_302600_NS6detail15normal_iteratorINS8_10device_ptrIiEEEESD_SD_SD_jNS0_19identity_decomposerENS1_16block_id_wrapperIjLb1EEEEE10hipError_tT1_PNSt15iterator_traitsISI_E10value_typeET2_T3_PNSJ_ISO_E10value_typeET4_T5_PST_SU_PNS1_23onesweep_lookback_stateEbbT6_jjT7_P12ihipStream_tbENKUlT_T0_SI_SN_E_clISD_PiSD_S15_EEDaS11_S12_SI_SN_EUlS11_E_NS1_11comp_targetILNS1_3genE4ELNS1_11target_archE910ELNS1_3gpuE8ELNS1_3repE0EEENS1_47radix_sort_onesweep_sort_config_static_selectorELNS0_4arch9wavefront6targetE0EEEvSI_.uses_vcc, 0
	.set _ZN7rocprim17ROCPRIM_400000_NS6detail17trampoline_kernelINS0_14default_configENS1_35radix_sort_onesweep_config_selectorIiiEEZZNS1_29radix_sort_onesweep_iterationIS3_Lb1EN6thrust23THRUST_200600_302600_NS6detail15normal_iteratorINS8_10device_ptrIiEEEESD_SD_SD_jNS0_19identity_decomposerENS1_16block_id_wrapperIjLb1EEEEE10hipError_tT1_PNSt15iterator_traitsISI_E10value_typeET2_T3_PNSJ_ISO_E10value_typeET4_T5_PST_SU_PNS1_23onesweep_lookback_stateEbbT6_jjT7_P12ihipStream_tbENKUlT_T0_SI_SN_E_clISD_PiSD_S15_EEDaS11_S12_SI_SN_EUlS11_E_NS1_11comp_targetILNS1_3genE4ELNS1_11target_archE910ELNS1_3gpuE8ELNS1_3repE0EEENS1_47radix_sort_onesweep_sort_config_static_selectorELNS0_4arch9wavefront6targetE0EEEvSI_.uses_flat_scratch, 0
	.set _ZN7rocprim17ROCPRIM_400000_NS6detail17trampoline_kernelINS0_14default_configENS1_35radix_sort_onesweep_config_selectorIiiEEZZNS1_29radix_sort_onesweep_iterationIS3_Lb1EN6thrust23THRUST_200600_302600_NS6detail15normal_iteratorINS8_10device_ptrIiEEEESD_SD_SD_jNS0_19identity_decomposerENS1_16block_id_wrapperIjLb1EEEEE10hipError_tT1_PNSt15iterator_traitsISI_E10value_typeET2_T3_PNSJ_ISO_E10value_typeET4_T5_PST_SU_PNS1_23onesweep_lookback_stateEbbT6_jjT7_P12ihipStream_tbENKUlT_T0_SI_SN_E_clISD_PiSD_S15_EEDaS11_S12_SI_SN_EUlS11_E_NS1_11comp_targetILNS1_3genE4ELNS1_11target_archE910ELNS1_3gpuE8ELNS1_3repE0EEENS1_47radix_sort_onesweep_sort_config_static_selectorELNS0_4arch9wavefront6targetE0EEEvSI_.has_dyn_sized_stack, 0
	.set _ZN7rocprim17ROCPRIM_400000_NS6detail17trampoline_kernelINS0_14default_configENS1_35radix_sort_onesweep_config_selectorIiiEEZZNS1_29radix_sort_onesweep_iterationIS3_Lb1EN6thrust23THRUST_200600_302600_NS6detail15normal_iteratorINS8_10device_ptrIiEEEESD_SD_SD_jNS0_19identity_decomposerENS1_16block_id_wrapperIjLb1EEEEE10hipError_tT1_PNSt15iterator_traitsISI_E10value_typeET2_T3_PNSJ_ISO_E10value_typeET4_T5_PST_SU_PNS1_23onesweep_lookback_stateEbbT6_jjT7_P12ihipStream_tbENKUlT_T0_SI_SN_E_clISD_PiSD_S15_EEDaS11_S12_SI_SN_EUlS11_E_NS1_11comp_targetILNS1_3genE4ELNS1_11target_archE910ELNS1_3gpuE8ELNS1_3repE0EEENS1_47radix_sort_onesweep_sort_config_static_selectorELNS0_4arch9wavefront6targetE0EEEvSI_.has_recursion, 0
	.set _ZN7rocprim17ROCPRIM_400000_NS6detail17trampoline_kernelINS0_14default_configENS1_35radix_sort_onesweep_config_selectorIiiEEZZNS1_29radix_sort_onesweep_iterationIS3_Lb1EN6thrust23THRUST_200600_302600_NS6detail15normal_iteratorINS8_10device_ptrIiEEEESD_SD_SD_jNS0_19identity_decomposerENS1_16block_id_wrapperIjLb1EEEEE10hipError_tT1_PNSt15iterator_traitsISI_E10value_typeET2_T3_PNSJ_ISO_E10value_typeET4_T5_PST_SU_PNS1_23onesweep_lookback_stateEbbT6_jjT7_P12ihipStream_tbENKUlT_T0_SI_SN_E_clISD_PiSD_S15_EEDaS11_S12_SI_SN_EUlS11_E_NS1_11comp_targetILNS1_3genE4ELNS1_11target_archE910ELNS1_3gpuE8ELNS1_3repE0EEENS1_47radix_sort_onesweep_sort_config_static_selectorELNS0_4arch9wavefront6targetE0EEEvSI_.has_indirect_call, 0
	.section	.AMDGPU.csdata,"",@progbits
; Kernel info:
; codeLenInByte = 0
; TotalNumSgprs: 0
; NumVgprs: 0
; ScratchSize: 0
; MemoryBound: 0
; FloatMode: 240
; IeeeMode: 1
; LDSByteSize: 0 bytes/workgroup (compile time only)
; SGPRBlocks: 0
; VGPRBlocks: 0
; NumSGPRsForWavesPerEU: 1
; NumVGPRsForWavesPerEU: 1
; Occupancy: 16
; WaveLimiterHint : 0
; COMPUTE_PGM_RSRC2:SCRATCH_EN: 0
; COMPUTE_PGM_RSRC2:USER_SGPR: 6
; COMPUTE_PGM_RSRC2:TRAP_HANDLER: 0
; COMPUTE_PGM_RSRC2:TGID_X_EN: 1
; COMPUTE_PGM_RSRC2:TGID_Y_EN: 0
; COMPUTE_PGM_RSRC2:TGID_Z_EN: 0
; COMPUTE_PGM_RSRC2:TIDIG_COMP_CNT: 0
	.section	.text._ZN7rocprim17ROCPRIM_400000_NS6detail17trampoline_kernelINS0_14default_configENS1_35radix_sort_onesweep_config_selectorIiiEEZZNS1_29radix_sort_onesweep_iterationIS3_Lb1EN6thrust23THRUST_200600_302600_NS6detail15normal_iteratorINS8_10device_ptrIiEEEESD_SD_SD_jNS0_19identity_decomposerENS1_16block_id_wrapperIjLb1EEEEE10hipError_tT1_PNSt15iterator_traitsISI_E10value_typeET2_T3_PNSJ_ISO_E10value_typeET4_T5_PST_SU_PNS1_23onesweep_lookback_stateEbbT6_jjT7_P12ihipStream_tbENKUlT_T0_SI_SN_E_clISD_PiSD_S15_EEDaS11_S12_SI_SN_EUlS11_E_NS1_11comp_targetILNS1_3genE3ELNS1_11target_archE908ELNS1_3gpuE7ELNS1_3repE0EEENS1_47radix_sort_onesweep_sort_config_static_selectorELNS0_4arch9wavefront6targetE0EEEvSI_,"axG",@progbits,_ZN7rocprim17ROCPRIM_400000_NS6detail17trampoline_kernelINS0_14default_configENS1_35radix_sort_onesweep_config_selectorIiiEEZZNS1_29radix_sort_onesweep_iterationIS3_Lb1EN6thrust23THRUST_200600_302600_NS6detail15normal_iteratorINS8_10device_ptrIiEEEESD_SD_SD_jNS0_19identity_decomposerENS1_16block_id_wrapperIjLb1EEEEE10hipError_tT1_PNSt15iterator_traitsISI_E10value_typeET2_T3_PNSJ_ISO_E10value_typeET4_T5_PST_SU_PNS1_23onesweep_lookback_stateEbbT6_jjT7_P12ihipStream_tbENKUlT_T0_SI_SN_E_clISD_PiSD_S15_EEDaS11_S12_SI_SN_EUlS11_E_NS1_11comp_targetILNS1_3genE3ELNS1_11target_archE908ELNS1_3gpuE7ELNS1_3repE0EEENS1_47radix_sort_onesweep_sort_config_static_selectorELNS0_4arch9wavefront6targetE0EEEvSI_,comdat
	.protected	_ZN7rocprim17ROCPRIM_400000_NS6detail17trampoline_kernelINS0_14default_configENS1_35radix_sort_onesweep_config_selectorIiiEEZZNS1_29radix_sort_onesweep_iterationIS3_Lb1EN6thrust23THRUST_200600_302600_NS6detail15normal_iteratorINS8_10device_ptrIiEEEESD_SD_SD_jNS0_19identity_decomposerENS1_16block_id_wrapperIjLb1EEEEE10hipError_tT1_PNSt15iterator_traitsISI_E10value_typeET2_T3_PNSJ_ISO_E10value_typeET4_T5_PST_SU_PNS1_23onesweep_lookback_stateEbbT6_jjT7_P12ihipStream_tbENKUlT_T0_SI_SN_E_clISD_PiSD_S15_EEDaS11_S12_SI_SN_EUlS11_E_NS1_11comp_targetILNS1_3genE3ELNS1_11target_archE908ELNS1_3gpuE7ELNS1_3repE0EEENS1_47radix_sort_onesweep_sort_config_static_selectorELNS0_4arch9wavefront6targetE0EEEvSI_ ; -- Begin function _ZN7rocprim17ROCPRIM_400000_NS6detail17trampoline_kernelINS0_14default_configENS1_35radix_sort_onesweep_config_selectorIiiEEZZNS1_29radix_sort_onesweep_iterationIS3_Lb1EN6thrust23THRUST_200600_302600_NS6detail15normal_iteratorINS8_10device_ptrIiEEEESD_SD_SD_jNS0_19identity_decomposerENS1_16block_id_wrapperIjLb1EEEEE10hipError_tT1_PNSt15iterator_traitsISI_E10value_typeET2_T3_PNSJ_ISO_E10value_typeET4_T5_PST_SU_PNS1_23onesweep_lookback_stateEbbT6_jjT7_P12ihipStream_tbENKUlT_T0_SI_SN_E_clISD_PiSD_S15_EEDaS11_S12_SI_SN_EUlS11_E_NS1_11comp_targetILNS1_3genE3ELNS1_11target_archE908ELNS1_3gpuE7ELNS1_3repE0EEENS1_47radix_sort_onesweep_sort_config_static_selectorELNS0_4arch9wavefront6targetE0EEEvSI_
	.globl	_ZN7rocprim17ROCPRIM_400000_NS6detail17trampoline_kernelINS0_14default_configENS1_35radix_sort_onesweep_config_selectorIiiEEZZNS1_29radix_sort_onesweep_iterationIS3_Lb1EN6thrust23THRUST_200600_302600_NS6detail15normal_iteratorINS8_10device_ptrIiEEEESD_SD_SD_jNS0_19identity_decomposerENS1_16block_id_wrapperIjLb1EEEEE10hipError_tT1_PNSt15iterator_traitsISI_E10value_typeET2_T3_PNSJ_ISO_E10value_typeET4_T5_PST_SU_PNS1_23onesweep_lookback_stateEbbT6_jjT7_P12ihipStream_tbENKUlT_T0_SI_SN_E_clISD_PiSD_S15_EEDaS11_S12_SI_SN_EUlS11_E_NS1_11comp_targetILNS1_3genE3ELNS1_11target_archE908ELNS1_3gpuE7ELNS1_3repE0EEENS1_47radix_sort_onesweep_sort_config_static_selectorELNS0_4arch9wavefront6targetE0EEEvSI_
	.p2align	8
	.type	_ZN7rocprim17ROCPRIM_400000_NS6detail17trampoline_kernelINS0_14default_configENS1_35radix_sort_onesweep_config_selectorIiiEEZZNS1_29radix_sort_onesweep_iterationIS3_Lb1EN6thrust23THRUST_200600_302600_NS6detail15normal_iteratorINS8_10device_ptrIiEEEESD_SD_SD_jNS0_19identity_decomposerENS1_16block_id_wrapperIjLb1EEEEE10hipError_tT1_PNSt15iterator_traitsISI_E10value_typeET2_T3_PNSJ_ISO_E10value_typeET4_T5_PST_SU_PNS1_23onesweep_lookback_stateEbbT6_jjT7_P12ihipStream_tbENKUlT_T0_SI_SN_E_clISD_PiSD_S15_EEDaS11_S12_SI_SN_EUlS11_E_NS1_11comp_targetILNS1_3genE3ELNS1_11target_archE908ELNS1_3gpuE7ELNS1_3repE0EEENS1_47radix_sort_onesweep_sort_config_static_selectorELNS0_4arch9wavefront6targetE0EEEvSI_,@function
_ZN7rocprim17ROCPRIM_400000_NS6detail17trampoline_kernelINS0_14default_configENS1_35radix_sort_onesweep_config_selectorIiiEEZZNS1_29radix_sort_onesweep_iterationIS3_Lb1EN6thrust23THRUST_200600_302600_NS6detail15normal_iteratorINS8_10device_ptrIiEEEESD_SD_SD_jNS0_19identity_decomposerENS1_16block_id_wrapperIjLb1EEEEE10hipError_tT1_PNSt15iterator_traitsISI_E10value_typeET2_T3_PNSJ_ISO_E10value_typeET4_T5_PST_SU_PNS1_23onesweep_lookback_stateEbbT6_jjT7_P12ihipStream_tbENKUlT_T0_SI_SN_E_clISD_PiSD_S15_EEDaS11_S12_SI_SN_EUlS11_E_NS1_11comp_targetILNS1_3genE3ELNS1_11target_archE908ELNS1_3gpuE7ELNS1_3repE0EEENS1_47radix_sort_onesweep_sort_config_static_selectorELNS0_4arch9wavefront6targetE0EEEvSI_: ; @_ZN7rocprim17ROCPRIM_400000_NS6detail17trampoline_kernelINS0_14default_configENS1_35radix_sort_onesweep_config_selectorIiiEEZZNS1_29radix_sort_onesweep_iterationIS3_Lb1EN6thrust23THRUST_200600_302600_NS6detail15normal_iteratorINS8_10device_ptrIiEEEESD_SD_SD_jNS0_19identity_decomposerENS1_16block_id_wrapperIjLb1EEEEE10hipError_tT1_PNSt15iterator_traitsISI_E10value_typeET2_T3_PNSJ_ISO_E10value_typeET4_T5_PST_SU_PNS1_23onesweep_lookback_stateEbbT6_jjT7_P12ihipStream_tbENKUlT_T0_SI_SN_E_clISD_PiSD_S15_EEDaS11_S12_SI_SN_EUlS11_E_NS1_11comp_targetILNS1_3genE3ELNS1_11target_archE908ELNS1_3gpuE7ELNS1_3repE0EEENS1_47radix_sort_onesweep_sort_config_static_selectorELNS0_4arch9wavefront6targetE0EEEvSI_
; %bb.0:
	.section	.rodata,"a",@progbits
	.p2align	6, 0x0
	.amdhsa_kernel _ZN7rocprim17ROCPRIM_400000_NS6detail17trampoline_kernelINS0_14default_configENS1_35radix_sort_onesweep_config_selectorIiiEEZZNS1_29radix_sort_onesweep_iterationIS3_Lb1EN6thrust23THRUST_200600_302600_NS6detail15normal_iteratorINS8_10device_ptrIiEEEESD_SD_SD_jNS0_19identity_decomposerENS1_16block_id_wrapperIjLb1EEEEE10hipError_tT1_PNSt15iterator_traitsISI_E10value_typeET2_T3_PNSJ_ISO_E10value_typeET4_T5_PST_SU_PNS1_23onesweep_lookback_stateEbbT6_jjT7_P12ihipStream_tbENKUlT_T0_SI_SN_E_clISD_PiSD_S15_EEDaS11_S12_SI_SN_EUlS11_E_NS1_11comp_targetILNS1_3genE3ELNS1_11target_archE908ELNS1_3gpuE7ELNS1_3repE0EEENS1_47radix_sort_onesweep_sort_config_static_selectorELNS0_4arch9wavefront6targetE0EEEvSI_
		.amdhsa_group_segment_fixed_size 0
		.amdhsa_private_segment_fixed_size 0
		.amdhsa_kernarg_size 88
		.amdhsa_user_sgpr_count 6
		.amdhsa_user_sgpr_private_segment_buffer 1
		.amdhsa_user_sgpr_dispatch_ptr 0
		.amdhsa_user_sgpr_queue_ptr 0
		.amdhsa_user_sgpr_kernarg_segment_ptr 1
		.amdhsa_user_sgpr_dispatch_id 0
		.amdhsa_user_sgpr_flat_scratch_init 0
		.amdhsa_user_sgpr_private_segment_size 0
		.amdhsa_wavefront_size32 1
		.amdhsa_uses_dynamic_stack 0
		.amdhsa_system_sgpr_private_segment_wavefront_offset 0
		.amdhsa_system_sgpr_workgroup_id_x 1
		.amdhsa_system_sgpr_workgroup_id_y 0
		.amdhsa_system_sgpr_workgroup_id_z 0
		.amdhsa_system_sgpr_workgroup_info 0
		.amdhsa_system_vgpr_workitem_id 0
		.amdhsa_next_free_vgpr 1
		.amdhsa_next_free_sgpr 1
		.amdhsa_reserve_vcc 0
		.amdhsa_reserve_flat_scratch 0
		.amdhsa_float_round_mode_32 0
		.amdhsa_float_round_mode_16_64 0
		.amdhsa_float_denorm_mode_32 3
		.amdhsa_float_denorm_mode_16_64 3
		.amdhsa_dx10_clamp 1
		.amdhsa_ieee_mode 1
		.amdhsa_fp16_overflow 0
		.amdhsa_workgroup_processor_mode 1
		.amdhsa_memory_ordered 1
		.amdhsa_forward_progress 1
		.amdhsa_shared_vgpr_count 0
		.amdhsa_exception_fp_ieee_invalid_op 0
		.amdhsa_exception_fp_denorm_src 0
		.amdhsa_exception_fp_ieee_div_zero 0
		.amdhsa_exception_fp_ieee_overflow 0
		.amdhsa_exception_fp_ieee_underflow 0
		.amdhsa_exception_fp_ieee_inexact 0
		.amdhsa_exception_int_div_zero 0
	.end_amdhsa_kernel
	.section	.text._ZN7rocprim17ROCPRIM_400000_NS6detail17trampoline_kernelINS0_14default_configENS1_35radix_sort_onesweep_config_selectorIiiEEZZNS1_29radix_sort_onesweep_iterationIS3_Lb1EN6thrust23THRUST_200600_302600_NS6detail15normal_iteratorINS8_10device_ptrIiEEEESD_SD_SD_jNS0_19identity_decomposerENS1_16block_id_wrapperIjLb1EEEEE10hipError_tT1_PNSt15iterator_traitsISI_E10value_typeET2_T3_PNSJ_ISO_E10value_typeET4_T5_PST_SU_PNS1_23onesweep_lookback_stateEbbT6_jjT7_P12ihipStream_tbENKUlT_T0_SI_SN_E_clISD_PiSD_S15_EEDaS11_S12_SI_SN_EUlS11_E_NS1_11comp_targetILNS1_3genE3ELNS1_11target_archE908ELNS1_3gpuE7ELNS1_3repE0EEENS1_47radix_sort_onesweep_sort_config_static_selectorELNS0_4arch9wavefront6targetE0EEEvSI_,"axG",@progbits,_ZN7rocprim17ROCPRIM_400000_NS6detail17trampoline_kernelINS0_14default_configENS1_35radix_sort_onesweep_config_selectorIiiEEZZNS1_29radix_sort_onesweep_iterationIS3_Lb1EN6thrust23THRUST_200600_302600_NS6detail15normal_iteratorINS8_10device_ptrIiEEEESD_SD_SD_jNS0_19identity_decomposerENS1_16block_id_wrapperIjLb1EEEEE10hipError_tT1_PNSt15iterator_traitsISI_E10value_typeET2_T3_PNSJ_ISO_E10value_typeET4_T5_PST_SU_PNS1_23onesweep_lookback_stateEbbT6_jjT7_P12ihipStream_tbENKUlT_T0_SI_SN_E_clISD_PiSD_S15_EEDaS11_S12_SI_SN_EUlS11_E_NS1_11comp_targetILNS1_3genE3ELNS1_11target_archE908ELNS1_3gpuE7ELNS1_3repE0EEENS1_47radix_sort_onesweep_sort_config_static_selectorELNS0_4arch9wavefront6targetE0EEEvSI_,comdat
.Lfunc_end1013:
	.size	_ZN7rocprim17ROCPRIM_400000_NS6detail17trampoline_kernelINS0_14default_configENS1_35radix_sort_onesweep_config_selectorIiiEEZZNS1_29radix_sort_onesweep_iterationIS3_Lb1EN6thrust23THRUST_200600_302600_NS6detail15normal_iteratorINS8_10device_ptrIiEEEESD_SD_SD_jNS0_19identity_decomposerENS1_16block_id_wrapperIjLb1EEEEE10hipError_tT1_PNSt15iterator_traitsISI_E10value_typeET2_T3_PNSJ_ISO_E10value_typeET4_T5_PST_SU_PNS1_23onesweep_lookback_stateEbbT6_jjT7_P12ihipStream_tbENKUlT_T0_SI_SN_E_clISD_PiSD_S15_EEDaS11_S12_SI_SN_EUlS11_E_NS1_11comp_targetILNS1_3genE3ELNS1_11target_archE908ELNS1_3gpuE7ELNS1_3repE0EEENS1_47radix_sort_onesweep_sort_config_static_selectorELNS0_4arch9wavefront6targetE0EEEvSI_, .Lfunc_end1013-_ZN7rocprim17ROCPRIM_400000_NS6detail17trampoline_kernelINS0_14default_configENS1_35radix_sort_onesweep_config_selectorIiiEEZZNS1_29radix_sort_onesweep_iterationIS3_Lb1EN6thrust23THRUST_200600_302600_NS6detail15normal_iteratorINS8_10device_ptrIiEEEESD_SD_SD_jNS0_19identity_decomposerENS1_16block_id_wrapperIjLb1EEEEE10hipError_tT1_PNSt15iterator_traitsISI_E10value_typeET2_T3_PNSJ_ISO_E10value_typeET4_T5_PST_SU_PNS1_23onesweep_lookback_stateEbbT6_jjT7_P12ihipStream_tbENKUlT_T0_SI_SN_E_clISD_PiSD_S15_EEDaS11_S12_SI_SN_EUlS11_E_NS1_11comp_targetILNS1_3genE3ELNS1_11target_archE908ELNS1_3gpuE7ELNS1_3repE0EEENS1_47radix_sort_onesweep_sort_config_static_selectorELNS0_4arch9wavefront6targetE0EEEvSI_
                                        ; -- End function
	.set _ZN7rocprim17ROCPRIM_400000_NS6detail17trampoline_kernelINS0_14default_configENS1_35radix_sort_onesweep_config_selectorIiiEEZZNS1_29radix_sort_onesweep_iterationIS3_Lb1EN6thrust23THRUST_200600_302600_NS6detail15normal_iteratorINS8_10device_ptrIiEEEESD_SD_SD_jNS0_19identity_decomposerENS1_16block_id_wrapperIjLb1EEEEE10hipError_tT1_PNSt15iterator_traitsISI_E10value_typeET2_T3_PNSJ_ISO_E10value_typeET4_T5_PST_SU_PNS1_23onesweep_lookback_stateEbbT6_jjT7_P12ihipStream_tbENKUlT_T0_SI_SN_E_clISD_PiSD_S15_EEDaS11_S12_SI_SN_EUlS11_E_NS1_11comp_targetILNS1_3genE3ELNS1_11target_archE908ELNS1_3gpuE7ELNS1_3repE0EEENS1_47radix_sort_onesweep_sort_config_static_selectorELNS0_4arch9wavefront6targetE0EEEvSI_.num_vgpr, 0
	.set _ZN7rocprim17ROCPRIM_400000_NS6detail17trampoline_kernelINS0_14default_configENS1_35radix_sort_onesweep_config_selectorIiiEEZZNS1_29radix_sort_onesweep_iterationIS3_Lb1EN6thrust23THRUST_200600_302600_NS6detail15normal_iteratorINS8_10device_ptrIiEEEESD_SD_SD_jNS0_19identity_decomposerENS1_16block_id_wrapperIjLb1EEEEE10hipError_tT1_PNSt15iterator_traitsISI_E10value_typeET2_T3_PNSJ_ISO_E10value_typeET4_T5_PST_SU_PNS1_23onesweep_lookback_stateEbbT6_jjT7_P12ihipStream_tbENKUlT_T0_SI_SN_E_clISD_PiSD_S15_EEDaS11_S12_SI_SN_EUlS11_E_NS1_11comp_targetILNS1_3genE3ELNS1_11target_archE908ELNS1_3gpuE7ELNS1_3repE0EEENS1_47radix_sort_onesweep_sort_config_static_selectorELNS0_4arch9wavefront6targetE0EEEvSI_.num_agpr, 0
	.set _ZN7rocprim17ROCPRIM_400000_NS6detail17trampoline_kernelINS0_14default_configENS1_35radix_sort_onesweep_config_selectorIiiEEZZNS1_29radix_sort_onesweep_iterationIS3_Lb1EN6thrust23THRUST_200600_302600_NS6detail15normal_iteratorINS8_10device_ptrIiEEEESD_SD_SD_jNS0_19identity_decomposerENS1_16block_id_wrapperIjLb1EEEEE10hipError_tT1_PNSt15iterator_traitsISI_E10value_typeET2_T3_PNSJ_ISO_E10value_typeET4_T5_PST_SU_PNS1_23onesweep_lookback_stateEbbT6_jjT7_P12ihipStream_tbENKUlT_T0_SI_SN_E_clISD_PiSD_S15_EEDaS11_S12_SI_SN_EUlS11_E_NS1_11comp_targetILNS1_3genE3ELNS1_11target_archE908ELNS1_3gpuE7ELNS1_3repE0EEENS1_47radix_sort_onesweep_sort_config_static_selectorELNS0_4arch9wavefront6targetE0EEEvSI_.numbered_sgpr, 0
	.set _ZN7rocprim17ROCPRIM_400000_NS6detail17trampoline_kernelINS0_14default_configENS1_35radix_sort_onesweep_config_selectorIiiEEZZNS1_29radix_sort_onesweep_iterationIS3_Lb1EN6thrust23THRUST_200600_302600_NS6detail15normal_iteratorINS8_10device_ptrIiEEEESD_SD_SD_jNS0_19identity_decomposerENS1_16block_id_wrapperIjLb1EEEEE10hipError_tT1_PNSt15iterator_traitsISI_E10value_typeET2_T3_PNSJ_ISO_E10value_typeET4_T5_PST_SU_PNS1_23onesweep_lookback_stateEbbT6_jjT7_P12ihipStream_tbENKUlT_T0_SI_SN_E_clISD_PiSD_S15_EEDaS11_S12_SI_SN_EUlS11_E_NS1_11comp_targetILNS1_3genE3ELNS1_11target_archE908ELNS1_3gpuE7ELNS1_3repE0EEENS1_47radix_sort_onesweep_sort_config_static_selectorELNS0_4arch9wavefront6targetE0EEEvSI_.num_named_barrier, 0
	.set _ZN7rocprim17ROCPRIM_400000_NS6detail17trampoline_kernelINS0_14default_configENS1_35radix_sort_onesweep_config_selectorIiiEEZZNS1_29radix_sort_onesweep_iterationIS3_Lb1EN6thrust23THRUST_200600_302600_NS6detail15normal_iteratorINS8_10device_ptrIiEEEESD_SD_SD_jNS0_19identity_decomposerENS1_16block_id_wrapperIjLb1EEEEE10hipError_tT1_PNSt15iterator_traitsISI_E10value_typeET2_T3_PNSJ_ISO_E10value_typeET4_T5_PST_SU_PNS1_23onesweep_lookback_stateEbbT6_jjT7_P12ihipStream_tbENKUlT_T0_SI_SN_E_clISD_PiSD_S15_EEDaS11_S12_SI_SN_EUlS11_E_NS1_11comp_targetILNS1_3genE3ELNS1_11target_archE908ELNS1_3gpuE7ELNS1_3repE0EEENS1_47radix_sort_onesweep_sort_config_static_selectorELNS0_4arch9wavefront6targetE0EEEvSI_.private_seg_size, 0
	.set _ZN7rocprim17ROCPRIM_400000_NS6detail17trampoline_kernelINS0_14default_configENS1_35radix_sort_onesweep_config_selectorIiiEEZZNS1_29radix_sort_onesweep_iterationIS3_Lb1EN6thrust23THRUST_200600_302600_NS6detail15normal_iteratorINS8_10device_ptrIiEEEESD_SD_SD_jNS0_19identity_decomposerENS1_16block_id_wrapperIjLb1EEEEE10hipError_tT1_PNSt15iterator_traitsISI_E10value_typeET2_T3_PNSJ_ISO_E10value_typeET4_T5_PST_SU_PNS1_23onesweep_lookback_stateEbbT6_jjT7_P12ihipStream_tbENKUlT_T0_SI_SN_E_clISD_PiSD_S15_EEDaS11_S12_SI_SN_EUlS11_E_NS1_11comp_targetILNS1_3genE3ELNS1_11target_archE908ELNS1_3gpuE7ELNS1_3repE0EEENS1_47radix_sort_onesweep_sort_config_static_selectorELNS0_4arch9wavefront6targetE0EEEvSI_.uses_vcc, 0
	.set _ZN7rocprim17ROCPRIM_400000_NS6detail17trampoline_kernelINS0_14default_configENS1_35radix_sort_onesweep_config_selectorIiiEEZZNS1_29radix_sort_onesweep_iterationIS3_Lb1EN6thrust23THRUST_200600_302600_NS6detail15normal_iteratorINS8_10device_ptrIiEEEESD_SD_SD_jNS0_19identity_decomposerENS1_16block_id_wrapperIjLb1EEEEE10hipError_tT1_PNSt15iterator_traitsISI_E10value_typeET2_T3_PNSJ_ISO_E10value_typeET4_T5_PST_SU_PNS1_23onesweep_lookback_stateEbbT6_jjT7_P12ihipStream_tbENKUlT_T0_SI_SN_E_clISD_PiSD_S15_EEDaS11_S12_SI_SN_EUlS11_E_NS1_11comp_targetILNS1_3genE3ELNS1_11target_archE908ELNS1_3gpuE7ELNS1_3repE0EEENS1_47radix_sort_onesweep_sort_config_static_selectorELNS0_4arch9wavefront6targetE0EEEvSI_.uses_flat_scratch, 0
	.set _ZN7rocprim17ROCPRIM_400000_NS6detail17trampoline_kernelINS0_14default_configENS1_35radix_sort_onesweep_config_selectorIiiEEZZNS1_29radix_sort_onesweep_iterationIS3_Lb1EN6thrust23THRUST_200600_302600_NS6detail15normal_iteratorINS8_10device_ptrIiEEEESD_SD_SD_jNS0_19identity_decomposerENS1_16block_id_wrapperIjLb1EEEEE10hipError_tT1_PNSt15iterator_traitsISI_E10value_typeET2_T3_PNSJ_ISO_E10value_typeET4_T5_PST_SU_PNS1_23onesweep_lookback_stateEbbT6_jjT7_P12ihipStream_tbENKUlT_T0_SI_SN_E_clISD_PiSD_S15_EEDaS11_S12_SI_SN_EUlS11_E_NS1_11comp_targetILNS1_3genE3ELNS1_11target_archE908ELNS1_3gpuE7ELNS1_3repE0EEENS1_47radix_sort_onesweep_sort_config_static_selectorELNS0_4arch9wavefront6targetE0EEEvSI_.has_dyn_sized_stack, 0
	.set _ZN7rocprim17ROCPRIM_400000_NS6detail17trampoline_kernelINS0_14default_configENS1_35radix_sort_onesweep_config_selectorIiiEEZZNS1_29radix_sort_onesweep_iterationIS3_Lb1EN6thrust23THRUST_200600_302600_NS6detail15normal_iteratorINS8_10device_ptrIiEEEESD_SD_SD_jNS0_19identity_decomposerENS1_16block_id_wrapperIjLb1EEEEE10hipError_tT1_PNSt15iterator_traitsISI_E10value_typeET2_T3_PNSJ_ISO_E10value_typeET4_T5_PST_SU_PNS1_23onesweep_lookback_stateEbbT6_jjT7_P12ihipStream_tbENKUlT_T0_SI_SN_E_clISD_PiSD_S15_EEDaS11_S12_SI_SN_EUlS11_E_NS1_11comp_targetILNS1_3genE3ELNS1_11target_archE908ELNS1_3gpuE7ELNS1_3repE0EEENS1_47radix_sort_onesweep_sort_config_static_selectorELNS0_4arch9wavefront6targetE0EEEvSI_.has_recursion, 0
	.set _ZN7rocprim17ROCPRIM_400000_NS6detail17trampoline_kernelINS0_14default_configENS1_35radix_sort_onesweep_config_selectorIiiEEZZNS1_29radix_sort_onesweep_iterationIS3_Lb1EN6thrust23THRUST_200600_302600_NS6detail15normal_iteratorINS8_10device_ptrIiEEEESD_SD_SD_jNS0_19identity_decomposerENS1_16block_id_wrapperIjLb1EEEEE10hipError_tT1_PNSt15iterator_traitsISI_E10value_typeET2_T3_PNSJ_ISO_E10value_typeET4_T5_PST_SU_PNS1_23onesweep_lookback_stateEbbT6_jjT7_P12ihipStream_tbENKUlT_T0_SI_SN_E_clISD_PiSD_S15_EEDaS11_S12_SI_SN_EUlS11_E_NS1_11comp_targetILNS1_3genE3ELNS1_11target_archE908ELNS1_3gpuE7ELNS1_3repE0EEENS1_47radix_sort_onesweep_sort_config_static_selectorELNS0_4arch9wavefront6targetE0EEEvSI_.has_indirect_call, 0
	.section	.AMDGPU.csdata,"",@progbits
; Kernel info:
; codeLenInByte = 0
; TotalNumSgprs: 0
; NumVgprs: 0
; ScratchSize: 0
; MemoryBound: 0
; FloatMode: 240
; IeeeMode: 1
; LDSByteSize: 0 bytes/workgroup (compile time only)
; SGPRBlocks: 0
; VGPRBlocks: 0
; NumSGPRsForWavesPerEU: 1
; NumVGPRsForWavesPerEU: 1
; Occupancy: 16
; WaveLimiterHint : 0
; COMPUTE_PGM_RSRC2:SCRATCH_EN: 0
; COMPUTE_PGM_RSRC2:USER_SGPR: 6
; COMPUTE_PGM_RSRC2:TRAP_HANDLER: 0
; COMPUTE_PGM_RSRC2:TGID_X_EN: 1
; COMPUTE_PGM_RSRC2:TGID_Y_EN: 0
; COMPUTE_PGM_RSRC2:TGID_Z_EN: 0
; COMPUTE_PGM_RSRC2:TIDIG_COMP_CNT: 0
	.section	.text._ZN7rocprim17ROCPRIM_400000_NS6detail17trampoline_kernelINS0_14default_configENS1_35radix_sort_onesweep_config_selectorIiiEEZZNS1_29radix_sort_onesweep_iterationIS3_Lb1EN6thrust23THRUST_200600_302600_NS6detail15normal_iteratorINS8_10device_ptrIiEEEESD_SD_SD_jNS0_19identity_decomposerENS1_16block_id_wrapperIjLb1EEEEE10hipError_tT1_PNSt15iterator_traitsISI_E10value_typeET2_T3_PNSJ_ISO_E10value_typeET4_T5_PST_SU_PNS1_23onesweep_lookback_stateEbbT6_jjT7_P12ihipStream_tbENKUlT_T0_SI_SN_E_clISD_PiSD_S15_EEDaS11_S12_SI_SN_EUlS11_E_NS1_11comp_targetILNS1_3genE10ELNS1_11target_archE1201ELNS1_3gpuE5ELNS1_3repE0EEENS1_47radix_sort_onesweep_sort_config_static_selectorELNS0_4arch9wavefront6targetE0EEEvSI_,"axG",@progbits,_ZN7rocprim17ROCPRIM_400000_NS6detail17trampoline_kernelINS0_14default_configENS1_35radix_sort_onesweep_config_selectorIiiEEZZNS1_29radix_sort_onesweep_iterationIS3_Lb1EN6thrust23THRUST_200600_302600_NS6detail15normal_iteratorINS8_10device_ptrIiEEEESD_SD_SD_jNS0_19identity_decomposerENS1_16block_id_wrapperIjLb1EEEEE10hipError_tT1_PNSt15iterator_traitsISI_E10value_typeET2_T3_PNSJ_ISO_E10value_typeET4_T5_PST_SU_PNS1_23onesweep_lookback_stateEbbT6_jjT7_P12ihipStream_tbENKUlT_T0_SI_SN_E_clISD_PiSD_S15_EEDaS11_S12_SI_SN_EUlS11_E_NS1_11comp_targetILNS1_3genE10ELNS1_11target_archE1201ELNS1_3gpuE5ELNS1_3repE0EEENS1_47radix_sort_onesweep_sort_config_static_selectorELNS0_4arch9wavefront6targetE0EEEvSI_,comdat
	.protected	_ZN7rocprim17ROCPRIM_400000_NS6detail17trampoline_kernelINS0_14default_configENS1_35radix_sort_onesweep_config_selectorIiiEEZZNS1_29radix_sort_onesweep_iterationIS3_Lb1EN6thrust23THRUST_200600_302600_NS6detail15normal_iteratorINS8_10device_ptrIiEEEESD_SD_SD_jNS0_19identity_decomposerENS1_16block_id_wrapperIjLb1EEEEE10hipError_tT1_PNSt15iterator_traitsISI_E10value_typeET2_T3_PNSJ_ISO_E10value_typeET4_T5_PST_SU_PNS1_23onesweep_lookback_stateEbbT6_jjT7_P12ihipStream_tbENKUlT_T0_SI_SN_E_clISD_PiSD_S15_EEDaS11_S12_SI_SN_EUlS11_E_NS1_11comp_targetILNS1_3genE10ELNS1_11target_archE1201ELNS1_3gpuE5ELNS1_3repE0EEENS1_47radix_sort_onesweep_sort_config_static_selectorELNS0_4arch9wavefront6targetE0EEEvSI_ ; -- Begin function _ZN7rocprim17ROCPRIM_400000_NS6detail17trampoline_kernelINS0_14default_configENS1_35radix_sort_onesweep_config_selectorIiiEEZZNS1_29radix_sort_onesweep_iterationIS3_Lb1EN6thrust23THRUST_200600_302600_NS6detail15normal_iteratorINS8_10device_ptrIiEEEESD_SD_SD_jNS0_19identity_decomposerENS1_16block_id_wrapperIjLb1EEEEE10hipError_tT1_PNSt15iterator_traitsISI_E10value_typeET2_T3_PNSJ_ISO_E10value_typeET4_T5_PST_SU_PNS1_23onesweep_lookback_stateEbbT6_jjT7_P12ihipStream_tbENKUlT_T0_SI_SN_E_clISD_PiSD_S15_EEDaS11_S12_SI_SN_EUlS11_E_NS1_11comp_targetILNS1_3genE10ELNS1_11target_archE1201ELNS1_3gpuE5ELNS1_3repE0EEENS1_47radix_sort_onesweep_sort_config_static_selectorELNS0_4arch9wavefront6targetE0EEEvSI_
	.globl	_ZN7rocprim17ROCPRIM_400000_NS6detail17trampoline_kernelINS0_14default_configENS1_35radix_sort_onesweep_config_selectorIiiEEZZNS1_29radix_sort_onesweep_iterationIS3_Lb1EN6thrust23THRUST_200600_302600_NS6detail15normal_iteratorINS8_10device_ptrIiEEEESD_SD_SD_jNS0_19identity_decomposerENS1_16block_id_wrapperIjLb1EEEEE10hipError_tT1_PNSt15iterator_traitsISI_E10value_typeET2_T3_PNSJ_ISO_E10value_typeET4_T5_PST_SU_PNS1_23onesweep_lookback_stateEbbT6_jjT7_P12ihipStream_tbENKUlT_T0_SI_SN_E_clISD_PiSD_S15_EEDaS11_S12_SI_SN_EUlS11_E_NS1_11comp_targetILNS1_3genE10ELNS1_11target_archE1201ELNS1_3gpuE5ELNS1_3repE0EEENS1_47radix_sort_onesweep_sort_config_static_selectorELNS0_4arch9wavefront6targetE0EEEvSI_
	.p2align	8
	.type	_ZN7rocprim17ROCPRIM_400000_NS6detail17trampoline_kernelINS0_14default_configENS1_35radix_sort_onesweep_config_selectorIiiEEZZNS1_29radix_sort_onesweep_iterationIS3_Lb1EN6thrust23THRUST_200600_302600_NS6detail15normal_iteratorINS8_10device_ptrIiEEEESD_SD_SD_jNS0_19identity_decomposerENS1_16block_id_wrapperIjLb1EEEEE10hipError_tT1_PNSt15iterator_traitsISI_E10value_typeET2_T3_PNSJ_ISO_E10value_typeET4_T5_PST_SU_PNS1_23onesweep_lookback_stateEbbT6_jjT7_P12ihipStream_tbENKUlT_T0_SI_SN_E_clISD_PiSD_S15_EEDaS11_S12_SI_SN_EUlS11_E_NS1_11comp_targetILNS1_3genE10ELNS1_11target_archE1201ELNS1_3gpuE5ELNS1_3repE0EEENS1_47radix_sort_onesweep_sort_config_static_selectorELNS0_4arch9wavefront6targetE0EEEvSI_,@function
_ZN7rocprim17ROCPRIM_400000_NS6detail17trampoline_kernelINS0_14default_configENS1_35radix_sort_onesweep_config_selectorIiiEEZZNS1_29radix_sort_onesweep_iterationIS3_Lb1EN6thrust23THRUST_200600_302600_NS6detail15normal_iteratorINS8_10device_ptrIiEEEESD_SD_SD_jNS0_19identity_decomposerENS1_16block_id_wrapperIjLb1EEEEE10hipError_tT1_PNSt15iterator_traitsISI_E10value_typeET2_T3_PNSJ_ISO_E10value_typeET4_T5_PST_SU_PNS1_23onesweep_lookback_stateEbbT6_jjT7_P12ihipStream_tbENKUlT_T0_SI_SN_E_clISD_PiSD_S15_EEDaS11_S12_SI_SN_EUlS11_E_NS1_11comp_targetILNS1_3genE10ELNS1_11target_archE1201ELNS1_3gpuE5ELNS1_3repE0EEENS1_47radix_sort_onesweep_sort_config_static_selectorELNS0_4arch9wavefront6targetE0EEEvSI_: ; @_ZN7rocprim17ROCPRIM_400000_NS6detail17trampoline_kernelINS0_14default_configENS1_35radix_sort_onesweep_config_selectorIiiEEZZNS1_29radix_sort_onesweep_iterationIS3_Lb1EN6thrust23THRUST_200600_302600_NS6detail15normal_iteratorINS8_10device_ptrIiEEEESD_SD_SD_jNS0_19identity_decomposerENS1_16block_id_wrapperIjLb1EEEEE10hipError_tT1_PNSt15iterator_traitsISI_E10value_typeET2_T3_PNSJ_ISO_E10value_typeET4_T5_PST_SU_PNS1_23onesweep_lookback_stateEbbT6_jjT7_P12ihipStream_tbENKUlT_T0_SI_SN_E_clISD_PiSD_S15_EEDaS11_S12_SI_SN_EUlS11_E_NS1_11comp_targetILNS1_3genE10ELNS1_11target_archE1201ELNS1_3gpuE5ELNS1_3repE0EEENS1_47radix_sort_onesweep_sort_config_static_selectorELNS0_4arch9wavefront6targetE0EEEvSI_
; %bb.0:
	.section	.rodata,"a",@progbits
	.p2align	6, 0x0
	.amdhsa_kernel _ZN7rocprim17ROCPRIM_400000_NS6detail17trampoline_kernelINS0_14default_configENS1_35radix_sort_onesweep_config_selectorIiiEEZZNS1_29radix_sort_onesweep_iterationIS3_Lb1EN6thrust23THRUST_200600_302600_NS6detail15normal_iteratorINS8_10device_ptrIiEEEESD_SD_SD_jNS0_19identity_decomposerENS1_16block_id_wrapperIjLb1EEEEE10hipError_tT1_PNSt15iterator_traitsISI_E10value_typeET2_T3_PNSJ_ISO_E10value_typeET4_T5_PST_SU_PNS1_23onesweep_lookback_stateEbbT6_jjT7_P12ihipStream_tbENKUlT_T0_SI_SN_E_clISD_PiSD_S15_EEDaS11_S12_SI_SN_EUlS11_E_NS1_11comp_targetILNS1_3genE10ELNS1_11target_archE1201ELNS1_3gpuE5ELNS1_3repE0EEENS1_47radix_sort_onesweep_sort_config_static_selectorELNS0_4arch9wavefront6targetE0EEEvSI_
		.amdhsa_group_segment_fixed_size 0
		.amdhsa_private_segment_fixed_size 0
		.amdhsa_kernarg_size 88
		.amdhsa_user_sgpr_count 6
		.amdhsa_user_sgpr_private_segment_buffer 1
		.amdhsa_user_sgpr_dispatch_ptr 0
		.amdhsa_user_sgpr_queue_ptr 0
		.amdhsa_user_sgpr_kernarg_segment_ptr 1
		.amdhsa_user_sgpr_dispatch_id 0
		.amdhsa_user_sgpr_flat_scratch_init 0
		.amdhsa_user_sgpr_private_segment_size 0
		.amdhsa_wavefront_size32 1
		.amdhsa_uses_dynamic_stack 0
		.amdhsa_system_sgpr_private_segment_wavefront_offset 0
		.amdhsa_system_sgpr_workgroup_id_x 1
		.amdhsa_system_sgpr_workgroup_id_y 0
		.amdhsa_system_sgpr_workgroup_id_z 0
		.amdhsa_system_sgpr_workgroup_info 0
		.amdhsa_system_vgpr_workitem_id 0
		.amdhsa_next_free_vgpr 1
		.amdhsa_next_free_sgpr 1
		.amdhsa_reserve_vcc 0
		.amdhsa_reserve_flat_scratch 0
		.amdhsa_float_round_mode_32 0
		.amdhsa_float_round_mode_16_64 0
		.amdhsa_float_denorm_mode_32 3
		.amdhsa_float_denorm_mode_16_64 3
		.amdhsa_dx10_clamp 1
		.amdhsa_ieee_mode 1
		.amdhsa_fp16_overflow 0
		.amdhsa_workgroup_processor_mode 1
		.amdhsa_memory_ordered 1
		.amdhsa_forward_progress 1
		.amdhsa_shared_vgpr_count 0
		.amdhsa_exception_fp_ieee_invalid_op 0
		.amdhsa_exception_fp_denorm_src 0
		.amdhsa_exception_fp_ieee_div_zero 0
		.amdhsa_exception_fp_ieee_overflow 0
		.amdhsa_exception_fp_ieee_underflow 0
		.amdhsa_exception_fp_ieee_inexact 0
		.amdhsa_exception_int_div_zero 0
	.end_amdhsa_kernel
	.section	.text._ZN7rocprim17ROCPRIM_400000_NS6detail17trampoline_kernelINS0_14default_configENS1_35radix_sort_onesweep_config_selectorIiiEEZZNS1_29radix_sort_onesweep_iterationIS3_Lb1EN6thrust23THRUST_200600_302600_NS6detail15normal_iteratorINS8_10device_ptrIiEEEESD_SD_SD_jNS0_19identity_decomposerENS1_16block_id_wrapperIjLb1EEEEE10hipError_tT1_PNSt15iterator_traitsISI_E10value_typeET2_T3_PNSJ_ISO_E10value_typeET4_T5_PST_SU_PNS1_23onesweep_lookback_stateEbbT6_jjT7_P12ihipStream_tbENKUlT_T0_SI_SN_E_clISD_PiSD_S15_EEDaS11_S12_SI_SN_EUlS11_E_NS1_11comp_targetILNS1_3genE10ELNS1_11target_archE1201ELNS1_3gpuE5ELNS1_3repE0EEENS1_47radix_sort_onesweep_sort_config_static_selectorELNS0_4arch9wavefront6targetE0EEEvSI_,"axG",@progbits,_ZN7rocprim17ROCPRIM_400000_NS6detail17trampoline_kernelINS0_14default_configENS1_35radix_sort_onesweep_config_selectorIiiEEZZNS1_29radix_sort_onesweep_iterationIS3_Lb1EN6thrust23THRUST_200600_302600_NS6detail15normal_iteratorINS8_10device_ptrIiEEEESD_SD_SD_jNS0_19identity_decomposerENS1_16block_id_wrapperIjLb1EEEEE10hipError_tT1_PNSt15iterator_traitsISI_E10value_typeET2_T3_PNSJ_ISO_E10value_typeET4_T5_PST_SU_PNS1_23onesweep_lookback_stateEbbT6_jjT7_P12ihipStream_tbENKUlT_T0_SI_SN_E_clISD_PiSD_S15_EEDaS11_S12_SI_SN_EUlS11_E_NS1_11comp_targetILNS1_3genE10ELNS1_11target_archE1201ELNS1_3gpuE5ELNS1_3repE0EEENS1_47radix_sort_onesweep_sort_config_static_selectorELNS0_4arch9wavefront6targetE0EEEvSI_,comdat
.Lfunc_end1014:
	.size	_ZN7rocprim17ROCPRIM_400000_NS6detail17trampoline_kernelINS0_14default_configENS1_35radix_sort_onesweep_config_selectorIiiEEZZNS1_29radix_sort_onesweep_iterationIS3_Lb1EN6thrust23THRUST_200600_302600_NS6detail15normal_iteratorINS8_10device_ptrIiEEEESD_SD_SD_jNS0_19identity_decomposerENS1_16block_id_wrapperIjLb1EEEEE10hipError_tT1_PNSt15iterator_traitsISI_E10value_typeET2_T3_PNSJ_ISO_E10value_typeET4_T5_PST_SU_PNS1_23onesweep_lookback_stateEbbT6_jjT7_P12ihipStream_tbENKUlT_T0_SI_SN_E_clISD_PiSD_S15_EEDaS11_S12_SI_SN_EUlS11_E_NS1_11comp_targetILNS1_3genE10ELNS1_11target_archE1201ELNS1_3gpuE5ELNS1_3repE0EEENS1_47radix_sort_onesweep_sort_config_static_selectorELNS0_4arch9wavefront6targetE0EEEvSI_, .Lfunc_end1014-_ZN7rocprim17ROCPRIM_400000_NS6detail17trampoline_kernelINS0_14default_configENS1_35radix_sort_onesweep_config_selectorIiiEEZZNS1_29radix_sort_onesweep_iterationIS3_Lb1EN6thrust23THRUST_200600_302600_NS6detail15normal_iteratorINS8_10device_ptrIiEEEESD_SD_SD_jNS0_19identity_decomposerENS1_16block_id_wrapperIjLb1EEEEE10hipError_tT1_PNSt15iterator_traitsISI_E10value_typeET2_T3_PNSJ_ISO_E10value_typeET4_T5_PST_SU_PNS1_23onesweep_lookback_stateEbbT6_jjT7_P12ihipStream_tbENKUlT_T0_SI_SN_E_clISD_PiSD_S15_EEDaS11_S12_SI_SN_EUlS11_E_NS1_11comp_targetILNS1_3genE10ELNS1_11target_archE1201ELNS1_3gpuE5ELNS1_3repE0EEENS1_47radix_sort_onesweep_sort_config_static_selectorELNS0_4arch9wavefront6targetE0EEEvSI_
                                        ; -- End function
	.set _ZN7rocprim17ROCPRIM_400000_NS6detail17trampoline_kernelINS0_14default_configENS1_35radix_sort_onesweep_config_selectorIiiEEZZNS1_29radix_sort_onesweep_iterationIS3_Lb1EN6thrust23THRUST_200600_302600_NS6detail15normal_iteratorINS8_10device_ptrIiEEEESD_SD_SD_jNS0_19identity_decomposerENS1_16block_id_wrapperIjLb1EEEEE10hipError_tT1_PNSt15iterator_traitsISI_E10value_typeET2_T3_PNSJ_ISO_E10value_typeET4_T5_PST_SU_PNS1_23onesweep_lookback_stateEbbT6_jjT7_P12ihipStream_tbENKUlT_T0_SI_SN_E_clISD_PiSD_S15_EEDaS11_S12_SI_SN_EUlS11_E_NS1_11comp_targetILNS1_3genE10ELNS1_11target_archE1201ELNS1_3gpuE5ELNS1_3repE0EEENS1_47radix_sort_onesweep_sort_config_static_selectorELNS0_4arch9wavefront6targetE0EEEvSI_.num_vgpr, 0
	.set _ZN7rocprim17ROCPRIM_400000_NS6detail17trampoline_kernelINS0_14default_configENS1_35radix_sort_onesweep_config_selectorIiiEEZZNS1_29radix_sort_onesweep_iterationIS3_Lb1EN6thrust23THRUST_200600_302600_NS6detail15normal_iteratorINS8_10device_ptrIiEEEESD_SD_SD_jNS0_19identity_decomposerENS1_16block_id_wrapperIjLb1EEEEE10hipError_tT1_PNSt15iterator_traitsISI_E10value_typeET2_T3_PNSJ_ISO_E10value_typeET4_T5_PST_SU_PNS1_23onesweep_lookback_stateEbbT6_jjT7_P12ihipStream_tbENKUlT_T0_SI_SN_E_clISD_PiSD_S15_EEDaS11_S12_SI_SN_EUlS11_E_NS1_11comp_targetILNS1_3genE10ELNS1_11target_archE1201ELNS1_3gpuE5ELNS1_3repE0EEENS1_47radix_sort_onesweep_sort_config_static_selectorELNS0_4arch9wavefront6targetE0EEEvSI_.num_agpr, 0
	.set _ZN7rocprim17ROCPRIM_400000_NS6detail17trampoline_kernelINS0_14default_configENS1_35radix_sort_onesweep_config_selectorIiiEEZZNS1_29radix_sort_onesweep_iterationIS3_Lb1EN6thrust23THRUST_200600_302600_NS6detail15normal_iteratorINS8_10device_ptrIiEEEESD_SD_SD_jNS0_19identity_decomposerENS1_16block_id_wrapperIjLb1EEEEE10hipError_tT1_PNSt15iterator_traitsISI_E10value_typeET2_T3_PNSJ_ISO_E10value_typeET4_T5_PST_SU_PNS1_23onesweep_lookback_stateEbbT6_jjT7_P12ihipStream_tbENKUlT_T0_SI_SN_E_clISD_PiSD_S15_EEDaS11_S12_SI_SN_EUlS11_E_NS1_11comp_targetILNS1_3genE10ELNS1_11target_archE1201ELNS1_3gpuE5ELNS1_3repE0EEENS1_47radix_sort_onesweep_sort_config_static_selectorELNS0_4arch9wavefront6targetE0EEEvSI_.numbered_sgpr, 0
	.set _ZN7rocprim17ROCPRIM_400000_NS6detail17trampoline_kernelINS0_14default_configENS1_35radix_sort_onesweep_config_selectorIiiEEZZNS1_29radix_sort_onesweep_iterationIS3_Lb1EN6thrust23THRUST_200600_302600_NS6detail15normal_iteratorINS8_10device_ptrIiEEEESD_SD_SD_jNS0_19identity_decomposerENS1_16block_id_wrapperIjLb1EEEEE10hipError_tT1_PNSt15iterator_traitsISI_E10value_typeET2_T3_PNSJ_ISO_E10value_typeET4_T5_PST_SU_PNS1_23onesweep_lookback_stateEbbT6_jjT7_P12ihipStream_tbENKUlT_T0_SI_SN_E_clISD_PiSD_S15_EEDaS11_S12_SI_SN_EUlS11_E_NS1_11comp_targetILNS1_3genE10ELNS1_11target_archE1201ELNS1_3gpuE5ELNS1_3repE0EEENS1_47radix_sort_onesweep_sort_config_static_selectorELNS0_4arch9wavefront6targetE0EEEvSI_.num_named_barrier, 0
	.set _ZN7rocprim17ROCPRIM_400000_NS6detail17trampoline_kernelINS0_14default_configENS1_35radix_sort_onesweep_config_selectorIiiEEZZNS1_29radix_sort_onesweep_iterationIS3_Lb1EN6thrust23THRUST_200600_302600_NS6detail15normal_iteratorINS8_10device_ptrIiEEEESD_SD_SD_jNS0_19identity_decomposerENS1_16block_id_wrapperIjLb1EEEEE10hipError_tT1_PNSt15iterator_traitsISI_E10value_typeET2_T3_PNSJ_ISO_E10value_typeET4_T5_PST_SU_PNS1_23onesweep_lookback_stateEbbT6_jjT7_P12ihipStream_tbENKUlT_T0_SI_SN_E_clISD_PiSD_S15_EEDaS11_S12_SI_SN_EUlS11_E_NS1_11comp_targetILNS1_3genE10ELNS1_11target_archE1201ELNS1_3gpuE5ELNS1_3repE0EEENS1_47radix_sort_onesweep_sort_config_static_selectorELNS0_4arch9wavefront6targetE0EEEvSI_.private_seg_size, 0
	.set _ZN7rocprim17ROCPRIM_400000_NS6detail17trampoline_kernelINS0_14default_configENS1_35radix_sort_onesweep_config_selectorIiiEEZZNS1_29radix_sort_onesweep_iterationIS3_Lb1EN6thrust23THRUST_200600_302600_NS6detail15normal_iteratorINS8_10device_ptrIiEEEESD_SD_SD_jNS0_19identity_decomposerENS1_16block_id_wrapperIjLb1EEEEE10hipError_tT1_PNSt15iterator_traitsISI_E10value_typeET2_T3_PNSJ_ISO_E10value_typeET4_T5_PST_SU_PNS1_23onesweep_lookback_stateEbbT6_jjT7_P12ihipStream_tbENKUlT_T0_SI_SN_E_clISD_PiSD_S15_EEDaS11_S12_SI_SN_EUlS11_E_NS1_11comp_targetILNS1_3genE10ELNS1_11target_archE1201ELNS1_3gpuE5ELNS1_3repE0EEENS1_47radix_sort_onesweep_sort_config_static_selectorELNS0_4arch9wavefront6targetE0EEEvSI_.uses_vcc, 0
	.set _ZN7rocprim17ROCPRIM_400000_NS6detail17trampoline_kernelINS0_14default_configENS1_35radix_sort_onesweep_config_selectorIiiEEZZNS1_29radix_sort_onesweep_iterationIS3_Lb1EN6thrust23THRUST_200600_302600_NS6detail15normal_iteratorINS8_10device_ptrIiEEEESD_SD_SD_jNS0_19identity_decomposerENS1_16block_id_wrapperIjLb1EEEEE10hipError_tT1_PNSt15iterator_traitsISI_E10value_typeET2_T3_PNSJ_ISO_E10value_typeET4_T5_PST_SU_PNS1_23onesweep_lookback_stateEbbT6_jjT7_P12ihipStream_tbENKUlT_T0_SI_SN_E_clISD_PiSD_S15_EEDaS11_S12_SI_SN_EUlS11_E_NS1_11comp_targetILNS1_3genE10ELNS1_11target_archE1201ELNS1_3gpuE5ELNS1_3repE0EEENS1_47radix_sort_onesweep_sort_config_static_selectorELNS0_4arch9wavefront6targetE0EEEvSI_.uses_flat_scratch, 0
	.set _ZN7rocprim17ROCPRIM_400000_NS6detail17trampoline_kernelINS0_14default_configENS1_35radix_sort_onesweep_config_selectorIiiEEZZNS1_29radix_sort_onesweep_iterationIS3_Lb1EN6thrust23THRUST_200600_302600_NS6detail15normal_iteratorINS8_10device_ptrIiEEEESD_SD_SD_jNS0_19identity_decomposerENS1_16block_id_wrapperIjLb1EEEEE10hipError_tT1_PNSt15iterator_traitsISI_E10value_typeET2_T3_PNSJ_ISO_E10value_typeET4_T5_PST_SU_PNS1_23onesweep_lookback_stateEbbT6_jjT7_P12ihipStream_tbENKUlT_T0_SI_SN_E_clISD_PiSD_S15_EEDaS11_S12_SI_SN_EUlS11_E_NS1_11comp_targetILNS1_3genE10ELNS1_11target_archE1201ELNS1_3gpuE5ELNS1_3repE0EEENS1_47radix_sort_onesweep_sort_config_static_selectorELNS0_4arch9wavefront6targetE0EEEvSI_.has_dyn_sized_stack, 0
	.set _ZN7rocprim17ROCPRIM_400000_NS6detail17trampoline_kernelINS0_14default_configENS1_35radix_sort_onesweep_config_selectorIiiEEZZNS1_29radix_sort_onesweep_iterationIS3_Lb1EN6thrust23THRUST_200600_302600_NS6detail15normal_iteratorINS8_10device_ptrIiEEEESD_SD_SD_jNS0_19identity_decomposerENS1_16block_id_wrapperIjLb1EEEEE10hipError_tT1_PNSt15iterator_traitsISI_E10value_typeET2_T3_PNSJ_ISO_E10value_typeET4_T5_PST_SU_PNS1_23onesweep_lookback_stateEbbT6_jjT7_P12ihipStream_tbENKUlT_T0_SI_SN_E_clISD_PiSD_S15_EEDaS11_S12_SI_SN_EUlS11_E_NS1_11comp_targetILNS1_3genE10ELNS1_11target_archE1201ELNS1_3gpuE5ELNS1_3repE0EEENS1_47radix_sort_onesweep_sort_config_static_selectorELNS0_4arch9wavefront6targetE0EEEvSI_.has_recursion, 0
	.set _ZN7rocprim17ROCPRIM_400000_NS6detail17trampoline_kernelINS0_14default_configENS1_35radix_sort_onesweep_config_selectorIiiEEZZNS1_29radix_sort_onesweep_iterationIS3_Lb1EN6thrust23THRUST_200600_302600_NS6detail15normal_iteratorINS8_10device_ptrIiEEEESD_SD_SD_jNS0_19identity_decomposerENS1_16block_id_wrapperIjLb1EEEEE10hipError_tT1_PNSt15iterator_traitsISI_E10value_typeET2_T3_PNSJ_ISO_E10value_typeET4_T5_PST_SU_PNS1_23onesweep_lookback_stateEbbT6_jjT7_P12ihipStream_tbENKUlT_T0_SI_SN_E_clISD_PiSD_S15_EEDaS11_S12_SI_SN_EUlS11_E_NS1_11comp_targetILNS1_3genE10ELNS1_11target_archE1201ELNS1_3gpuE5ELNS1_3repE0EEENS1_47radix_sort_onesweep_sort_config_static_selectorELNS0_4arch9wavefront6targetE0EEEvSI_.has_indirect_call, 0
	.section	.AMDGPU.csdata,"",@progbits
; Kernel info:
; codeLenInByte = 0
; TotalNumSgprs: 0
; NumVgprs: 0
; ScratchSize: 0
; MemoryBound: 0
; FloatMode: 240
; IeeeMode: 1
; LDSByteSize: 0 bytes/workgroup (compile time only)
; SGPRBlocks: 0
; VGPRBlocks: 0
; NumSGPRsForWavesPerEU: 1
; NumVGPRsForWavesPerEU: 1
; Occupancy: 16
; WaveLimiterHint : 0
; COMPUTE_PGM_RSRC2:SCRATCH_EN: 0
; COMPUTE_PGM_RSRC2:USER_SGPR: 6
; COMPUTE_PGM_RSRC2:TRAP_HANDLER: 0
; COMPUTE_PGM_RSRC2:TGID_X_EN: 1
; COMPUTE_PGM_RSRC2:TGID_Y_EN: 0
; COMPUTE_PGM_RSRC2:TGID_Z_EN: 0
; COMPUTE_PGM_RSRC2:TIDIG_COMP_CNT: 0
	.section	.text._ZN7rocprim17ROCPRIM_400000_NS6detail17trampoline_kernelINS0_14default_configENS1_35radix_sort_onesweep_config_selectorIiiEEZZNS1_29radix_sort_onesweep_iterationIS3_Lb1EN6thrust23THRUST_200600_302600_NS6detail15normal_iteratorINS8_10device_ptrIiEEEESD_SD_SD_jNS0_19identity_decomposerENS1_16block_id_wrapperIjLb1EEEEE10hipError_tT1_PNSt15iterator_traitsISI_E10value_typeET2_T3_PNSJ_ISO_E10value_typeET4_T5_PST_SU_PNS1_23onesweep_lookback_stateEbbT6_jjT7_P12ihipStream_tbENKUlT_T0_SI_SN_E_clISD_PiSD_S15_EEDaS11_S12_SI_SN_EUlS11_E_NS1_11comp_targetILNS1_3genE9ELNS1_11target_archE1100ELNS1_3gpuE3ELNS1_3repE0EEENS1_47radix_sort_onesweep_sort_config_static_selectorELNS0_4arch9wavefront6targetE0EEEvSI_,"axG",@progbits,_ZN7rocprim17ROCPRIM_400000_NS6detail17trampoline_kernelINS0_14default_configENS1_35radix_sort_onesweep_config_selectorIiiEEZZNS1_29radix_sort_onesweep_iterationIS3_Lb1EN6thrust23THRUST_200600_302600_NS6detail15normal_iteratorINS8_10device_ptrIiEEEESD_SD_SD_jNS0_19identity_decomposerENS1_16block_id_wrapperIjLb1EEEEE10hipError_tT1_PNSt15iterator_traitsISI_E10value_typeET2_T3_PNSJ_ISO_E10value_typeET4_T5_PST_SU_PNS1_23onesweep_lookback_stateEbbT6_jjT7_P12ihipStream_tbENKUlT_T0_SI_SN_E_clISD_PiSD_S15_EEDaS11_S12_SI_SN_EUlS11_E_NS1_11comp_targetILNS1_3genE9ELNS1_11target_archE1100ELNS1_3gpuE3ELNS1_3repE0EEENS1_47radix_sort_onesweep_sort_config_static_selectorELNS0_4arch9wavefront6targetE0EEEvSI_,comdat
	.protected	_ZN7rocprim17ROCPRIM_400000_NS6detail17trampoline_kernelINS0_14default_configENS1_35radix_sort_onesweep_config_selectorIiiEEZZNS1_29radix_sort_onesweep_iterationIS3_Lb1EN6thrust23THRUST_200600_302600_NS6detail15normal_iteratorINS8_10device_ptrIiEEEESD_SD_SD_jNS0_19identity_decomposerENS1_16block_id_wrapperIjLb1EEEEE10hipError_tT1_PNSt15iterator_traitsISI_E10value_typeET2_T3_PNSJ_ISO_E10value_typeET4_T5_PST_SU_PNS1_23onesweep_lookback_stateEbbT6_jjT7_P12ihipStream_tbENKUlT_T0_SI_SN_E_clISD_PiSD_S15_EEDaS11_S12_SI_SN_EUlS11_E_NS1_11comp_targetILNS1_3genE9ELNS1_11target_archE1100ELNS1_3gpuE3ELNS1_3repE0EEENS1_47radix_sort_onesweep_sort_config_static_selectorELNS0_4arch9wavefront6targetE0EEEvSI_ ; -- Begin function _ZN7rocprim17ROCPRIM_400000_NS6detail17trampoline_kernelINS0_14default_configENS1_35radix_sort_onesweep_config_selectorIiiEEZZNS1_29radix_sort_onesweep_iterationIS3_Lb1EN6thrust23THRUST_200600_302600_NS6detail15normal_iteratorINS8_10device_ptrIiEEEESD_SD_SD_jNS0_19identity_decomposerENS1_16block_id_wrapperIjLb1EEEEE10hipError_tT1_PNSt15iterator_traitsISI_E10value_typeET2_T3_PNSJ_ISO_E10value_typeET4_T5_PST_SU_PNS1_23onesweep_lookback_stateEbbT6_jjT7_P12ihipStream_tbENKUlT_T0_SI_SN_E_clISD_PiSD_S15_EEDaS11_S12_SI_SN_EUlS11_E_NS1_11comp_targetILNS1_3genE9ELNS1_11target_archE1100ELNS1_3gpuE3ELNS1_3repE0EEENS1_47radix_sort_onesweep_sort_config_static_selectorELNS0_4arch9wavefront6targetE0EEEvSI_
	.globl	_ZN7rocprim17ROCPRIM_400000_NS6detail17trampoline_kernelINS0_14default_configENS1_35radix_sort_onesweep_config_selectorIiiEEZZNS1_29radix_sort_onesweep_iterationIS3_Lb1EN6thrust23THRUST_200600_302600_NS6detail15normal_iteratorINS8_10device_ptrIiEEEESD_SD_SD_jNS0_19identity_decomposerENS1_16block_id_wrapperIjLb1EEEEE10hipError_tT1_PNSt15iterator_traitsISI_E10value_typeET2_T3_PNSJ_ISO_E10value_typeET4_T5_PST_SU_PNS1_23onesweep_lookback_stateEbbT6_jjT7_P12ihipStream_tbENKUlT_T0_SI_SN_E_clISD_PiSD_S15_EEDaS11_S12_SI_SN_EUlS11_E_NS1_11comp_targetILNS1_3genE9ELNS1_11target_archE1100ELNS1_3gpuE3ELNS1_3repE0EEENS1_47radix_sort_onesweep_sort_config_static_selectorELNS0_4arch9wavefront6targetE0EEEvSI_
	.p2align	8
	.type	_ZN7rocprim17ROCPRIM_400000_NS6detail17trampoline_kernelINS0_14default_configENS1_35radix_sort_onesweep_config_selectorIiiEEZZNS1_29radix_sort_onesweep_iterationIS3_Lb1EN6thrust23THRUST_200600_302600_NS6detail15normal_iteratorINS8_10device_ptrIiEEEESD_SD_SD_jNS0_19identity_decomposerENS1_16block_id_wrapperIjLb1EEEEE10hipError_tT1_PNSt15iterator_traitsISI_E10value_typeET2_T3_PNSJ_ISO_E10value_typeET4_T5_PST_SU_PNS1_23onesweep_lookback_stateEbbT6_jjT7_P12ihipStream_tbENKUlT_T0_SI_SN_E_clISD_PiSD_S15_EEDaS11_S12_SI_SN_EUlS11_E_NS1_11comp_targetILNS1_3genE9ELNS1_11target_archE1100ELNS1_3gpuE3ELNS1_3repE0EEENS1_47radix_sort_onesweep_sort_config_static_selectorELNS0_4arch9wavefront6targetE0EEEvSI_,@function
_ZN7rocprim17ROCPRIM_400000_NS6detail17trampoline_kernelINS0_14default_configENS1_35radix_sort_onesweep_config_selectorIiiEEZZNS1_29radix_sort_onesweep_iterationIS3_Lb1EN6thrust23THRUST_200600_302600_NS6detail15normal_iteratorINS8_10device_ptrIiEEEESD_SD_SD_jNS0_19identity_decomposerENS1_16block_id_wrapperIjLb1EEEEE10hipError_tT1_PNSt15iterator_traitsISI_E10value_typeET2_T3_PNSJ_ISO_E10value_typeET4_T5_PST_SU_PNS1_23onesweep_lookback_stateEbbT6_jjT7_P12ihipStream_tbENKUlT_T0_SI_SN_E_clISD_PiSD_S15_EEDaS11_S12_SI_SN_EUlS11_E_NS1_11comp_targetILNS1_3genE9ELNS1_11target_archE1100ELNS1_3gpuE3ELNS1_3repE0EEENS1_47radix_sort_onesweep_sort_config_static_selectorELNS0_4arch9wavefront6targetE0EEEvSI_: ; @_ZN7rocprim17ROCPRIM_400000_NS6detail17trampoline_kernelINS0_14default_configENS1_35radix_sort_onesweep_config_selectorIiiEEZZNS1_29radix_sort_onesweep_iterationIS3_Lb1EN6thrust23THRUST_200600_302600_NS6detail15normal_iteratorINS8_10device_ptrIiEEEESD_SD_SD_jNS0_19identity_decomposerENS1_16block_id_wrapperIjLb1EEEEE10hipError_tT1_PNSt15iterator_traitsISI_E10value_typeET2_T3_PNSJ_ISO_E10value_typeET4_T5_PST_SU_PNS1_23onesweep_lookback_stateEbbT6_jjT7_P12ihipStream_tbENKUlT_T0_SI_SN_E_clISD_PiSD_S15_EEDaS11_S12_SI_SN_EUlS11_E_NS1_11comp_targetILNS1_3genE9ELNS1_11target_archE1100ELNS1_3gpuE3ELNS1_3repE0EEENS1_47radix_sort_onesweep_sort_config_static_selectorELNS0_4arch9wavefront6targetE0EEEvSI_
; %bb.0:
	.section	.rodata,"a",@progbits
	.p2align	6, 0x0
	.amdhsa_kernel _ZN7rocprim17ROCPRIM_400000_NS6detail17trampoline_kernelINS0_14default_configENS1_35radix_sort_onesweep_config_selectorIiiEEZZNS1_29radix_sort_onesweep_iterationIS3_Lb1EN6thrust23THRUST_200600_302600_NS6detail15normal_iteratorINS8_10device_ptrIiEEEESD_SD_SD_jNS0_19identity_decomposerENS1_16block_id_wrapperIjLb1EEEEE10hipError_tT1_PNSt15iterator_traitsISI_E10value_typeET2_T3_PNSJ_ISO_E10value_typeET4_T5_PST_SU_PNS1_23onesweep_lookback_stateEbbT6_jjT7_P12ihipStream_tbENKUlT_T0_SI_SN_E_clISD_PiSD_S15_EEDaS11_S12_SI_SN_EUlS11_E_NS1_11comp_targetILNS1_3genE9ELNS1_11target_archE1100ELNS1_3gpuE3ELNS1_3repE0EEENS1_47radix_sort_onesweep_sort_config_static_selectorELNS0_4arch9wavefront6targetE0EEEvSI_
		.amdhsa_group_segment_fixed_size 0
		.amdhsa_private_segment_fixed_size 0
		.amdhsa_kernarg_size 88
		.amdhsa_user_sgpr_count 6
		.amdhsa_user_sgpr_private_segment_buffer 1
		.amdhsa_user_sgpr_dispatch_ptr 0
		.amdhsa_user_sgpr_queue_ptr 0
		.amdhsa_user_sgpr_kernarg_segment_ptr 1
		.amdhsa_user_sgpr_dispatch_id 0
		.amdhsa_user_sgpr_flat_scratch_init 0
		.amdhsa_user_sgpr_private_segment_size 0
		.amdhsa_wavefront_size32 1
		.amdhsa_uses_dynamic_stack 0
		.amdhsa_system_sgpr_private_segment_wavefront_offset 0
		.amdhsa_system_sgpr_workgroup_id_x 1
		.amdhsa_system_sgpr_workgroup_id_y 0
		.amdhsa_system_sgpr_workgroup_id_z 0
		.amdhsa_system_sgpr_workgroup_info 0
		.amdhsa_system_vgpr_workitem_id 0
		.amdhsa_next_free_vgpr 1
		.amdhsa_next_free_sgpr 1
		.amdhsa_reserve_vcc 0
		.amdhsa_reserve_flat_scratch 0
		.amdhsa_float_round_mode_32 0
		.amdhsa_float_round_mode_16_64 0
		.amdhsa_float_denorm_mode_32 3
		.amdhsa_float_denorm_mode_16_64 3
		.amdhsa_dx10_clamp 1
		.amdhsa_ieee_mode 1
		.amdhsa_fp16_overflow 0
		.amdhsa_workgroup_processor_mode 1
		.amdhsa_memory_ordered 1
		.amdhsa_forward_progress 1
		.amdhsa_shared_vgpr_count 0
		.amdhsa_exception_fp_ieee_invalid_op 0
		.amdhsa_exception_fp_denorm_src 0
		.amdhsa_exception_fp_ieee_div_zero 0
		.amdhsa_exception_fp_ieee_overflow 0
		.amdhsa_exception_fp_ieee_underflow 0
		.amdhsa_exception_fp_ieee_inexact 0
		.amdhsa_exception_int_div_zero 0
	.end_amdhsa_kernel
	.section	.text._ZN7rocprim17ROCPRIM_400000_NS6detail17trampoline_kernelINS0_14default_configENS1_35radix_sort_onesweep_config_selectorIiiEEZZNS1_29radix_sort_onesweep_iterationIS3_Lb1EN6thrust23THRUST_200600_302600_NS6detail15normal_iteratorINS8_10device_ptrIiEEEESD_SD_SD_jNS0_19identity_decomposerENS1_16block_id_wrapperIjLb1EEEEE10hipError_tT1_PNSt15iterator_traitsISI_E10value_typeET2_T3_PNSJ_ISO_E10value_typeET4_T5_PST_SU_PNS1_23onesweep_lookback_stateEbbT6_jjT7_P12ihipStream_tbENKUlT_T0_SI_SN_E_clISD_PiSD_S15_EEDaS11_S12_SI_SN_EUlS11_E_NS1_11comp_targetILNS1_3genE9ELNS1_11target_archE1100ELNS1_3gpuE3ELNS1_3repE0EEENS1_47radix_sort_onesweep_sort_config_static_selectorELNS0_4arch9wavefront6targetE0EEEvSI_,"axG",@progbits,_ZN7rocprim17ROCPRIM_400000_NS6detail17trampoline_kernelINS0_14default_configENS1_35radix_sort_onesweep_config_selectorIiiEEZZNS1_29radix_sort_onesweep_iterationIS3_Lb1EN6thrust23THRUST_200600_302600_NS6detail15normal_iteratorINS8_10device_ptrIiEEEESD_SD_SD_jNS0_19identity_decomposerENS1_16block_id_wrapperIjLb1EEEEE10hipError_tT1_PNSt15iterator_traitsISI_E10value_typeET2_T3_PNSJ_ISO_E10value_typeET4_T5_PST_SU_PNS1_23onesweep_lookback_stateEbbT6_jjT7_P12ihipStream_tbENKUlT_T0_SI_SN_E_clISD_PiSD_S15_EEDaS11_S12_SI_SN_EUlS11_E_NS1_11comp_targetILNS1_3genE9ELNS1_11target_archE1100ELNS1_3gpuE3ELNS1_3repE0EEENS1_47radix_sort_onesweep_sort_config_static_selectorELNS0_4arch9wavefront6targetE0EEEvSI_,comdat
.Lfunc_end1015:
	.size	_ZN7rocprim17ROCPRIM_400000_NS6detail17trampoline_kernelINS0_14default_configENS1_35radix_sort_onesweep_config_selectorIiiEEZZNS1_29radix_sort_onesweep_iterationIS3_Lb1EN6thrust23THRUST_200600_302600_NS6detail15normal_iteratorINS8_10device_ptrIiEEEESD_SD_SD_jNS0_19identity_decomposerENS1_16block_id_wrapperIjLb1EEEEE10hipError_tT1_PNSt15iterator_traitsISI_E10value_typeET2_T3_PNSJ_ISO_E10value_typeET4_T5_PST_SU_PNS1_23onesweep_lookback_stateEbbT6_jjT7_P12ihipStream_tbENKUlT_T0_SI_SN_E_clISD_PiSD_S15_EEDaS11_S12_SI_SN_EUlS11_E_NS1_11comp_targetILNS1_3genE9ELNS1_11target_archE1100ELNS1_3gpuE3ELNS1_3repE0EEENS1_47radix_sort_onesweep_sort_config_static_selectorELNS0_4arch9wavefront6targetE0EEEvSI_, .Lfunc_end1015-_ZN7rocprim17ROCPRIM_400000_NS6detail17trampoline_kernelINS0_14default_configENS1_35radix_sort_onesweep_config_selectorIiiEEZZNS1_29radix_sort_onesweep_iterationIS3_Lb1EN6thrust23THRUST_200600_302600_NS6detail15normal_iteratorINS8_10device_ptrIiEEEESD_SD_SD_jNS0_19identity_decomposerENS1_16block_id_wrapperIjLb1EEEEE10hipError_tT1_PNSt15iterator_traitsISI_E10value_typeET2_T3_PNSJ_ISO_E10value_typeET4_T5_PST_SU_PNS1_23onesweep_lookback_stateEbbT6_jjT7_P12ihipStream_tbENKUlT_T0_SI_SN_E_clISD_PiSD_S15_EEDaS11_S12_SI_SN_EUlS11_E_NS1_11comp_targetILNS1_3genE9ELNS1_11target_archE1100ELNS1_3gpuE3ELNS1_3repE0EEENS1_47radix_sort_onesweep_sort_config_static_selectorELNS0_4arch9wavefront6targetE0EEEvSI_
                                        ; -- End function
	.set _ZN7rocprim17ROCPRIM_400000_NS6detail17trampoline_kernelINS0_14default_configENS1_35radix_sort_onesweep_config_selectorIiiEEZZNS1_29radix_sort_onesweep_iterationIS3_Lb1EN6thrust23THRUST_200600_302600_NS6detail15normal_iteratorINS8_10device_ptrIiEEEESD_SD_SD_jNS0_19identity_decomposerENS1_16block_id_wrapperIjLb1EEEEE10hipError_tT1_PNSt15iterator_traitsISI_E10value_typeET2_T3_PNSJ_ISO_E10value_typeET4_T5_PST_SU_PNS1_23onesweep_lookback_stateEbbT6_jjT7_P12ihipStream_tbENKUlT_T0_SI_SN_E_clISD_PiSD_S15_EEDaS11_S12_SI_SN_EUlS11_E_NS1_11comp_targetILNS1_3genE9ELNS1_11target_archE1100ELNS1_3gpuE3ELNS1_3repE0EEENS1_47radix_sort_onesweep_sort_config_static_selectorELNS0_4arch9wavefront6targetE0EEEvSI_.num_vgpr, 0
	.set _ZN7rocprim17ROCPRIM_400000_NS6detail17trampoline_kernelINS0_14default_configENS1_35radix_sort_onesweep_config_selectorIiiEEZZNS1_29radix_sort_onesweep_iterationIS3_Lb1EN6thrust23THRUST_200600_302600_NS6detail15normal_iteratorINS8_10device_ptrIiEEEESD_SD_SD_jNS0_19identity_decomposerENS1_16block_id_wrapperIjLb1EEEEE10hipError_tT1_PNSt15iterator_traitsISI_E10value_typeET2_T3_PNSJ_ISO_E10value_typeET4_T5_PST_SU_PNS1_23onesweep_lookback_stateEbbT6_jjT7_P12ihipStream_tbENKUlT_T0_SI_SN_E_clISD_PiSD_S15_EEDaS11_S12_SI_SN_EUlS11_E_NS1_11comp_targetILNS1_3genE9ELNS1_11target_archE1100ELNS1_3gpuE3ELNS1_3repE0EEENS1_47radix_sort_onesweep_sort_config_static_selectorELNS0_4arch9wavefront6targetE0EEEvSI_.num_agpr, 0
	.set _ZN7rocprim17ROCPRIM_400000_NS6detail17trampoline_kernelINS0_14default_configENS1_35radix_sort_onesweep_config_selectorIiiEEZZNS1_29radix_sort_onesweep_iterationIS3_Lb1EN6thrust23THRUST_200600_302600_NS6detail15normal_iteratorINS8_10device_ptrIiEEEESD_SD_SD_jNS0_19identity_decomposerENS1_16block_id_wrapperIjLb1EEEEE10hipError_tT1_PNSt15iterator_traitsISI_E10value_typeET2_T3_PNSJ_ISO_E10value_typeET4_T5_PST_SU_PNS1_23onesweep_lookback_stateEbbT6_jjT7_P12ihipStream_tbENKUlT_T0_SI_SN_E_clISD_PiSD_S15_EEDaS11_S12_SI_SN_EUlS11_E_NS1_11comp_targetILNS1_3genE9ELNS1_11target_archE1100ELNS1_3gpuE3ELNS1_3repE0EEENS1_47radix_sort_onesweep_sort_config_static_selectorELNS0_4arch9wavefront6targetE0EEEvSI_.numbered_sgpr, 0
	.set _ZN7rocprim17ROCPRIM_400000_NS6detail17trampoline_kernelINS0_14default_configENS1_35radix_sort_onesweep_config_selectorIiiEEZZNS1_29radix_sort_onesweep_iterationIS3_Lb1EN6thrust23THRUST_200600_302600_NS6detail15normal_iteratorINS8_10device_ptrIiEEEESD_SD_SD_jNS0_19identity_decomposerENS1_16block_id_wrapperIjLb1EEEEE10hipError_tT1_PNSt15iterator_traitsISI_E10value_typeET2_T3_PNSJ_ISO_E10value_typeET4_T5_PST_SU_PNS1_23onesweep_lookback_stateEbbT6_jjT7_P12ihipStream_tbENKUlT_T0_SI_SN_E_clISD_PiSD_S15_EEDaS11_S12_SI_SN_EUlS11_E_NS1_11comp_targetILNS1_3genE9ELNS1_11target_archE1100ELNS1_3gpuE3ELNS1_3repE0EEENS1_47radix_sort_onesweep_sort_config_static_selectorELNS0_4arch9wavefront6targetE0EEEvSI_.num_named_barrier, 0
	.set _ZN7rocprim17ROCPRIM_400000_NS6detail17trampoline_kernelINS0_14default_configENS1_35radix_sort_onesweep_config_selectorIiiEEZZNS1_29radix_sort_onesweep_iterationIS3_Lb1EN6thrust23THRUST_200600_302600_NS6detail15normal_iteratorINS8_10device_ptrIiEEEESD_SD_SD_jNS0_19identity_decomposerENS1_16block_id_wrapperIjLb1EEEEE10hipError_tT1_PNSt15iterator_traitsISI_E10value_typeET2_T3_PNSJ_ISO_E10value_typeET4_T5_PST_SU_PNS1_23onesweep_lookback_stateEbbT6_jjT7_P12ihipStream_tbENKUlT_T0_SI_SN_E_clISD_PiSD_S15_EEDaS11_S12_SI_SN_EUlS11_E_NS1_11comp_targetILNS1_3genE9ELNS1_11target_archE1100ELNS1_3gpuE3ELNS1_3repE0EEENS1_47radix_sort_onesweep_sort_config_static_selectorELNS0_4arch9wavefront6targetE0EEEvSI_.private_seg_size, 0
	.set _ZN7rocprim17ROCPRIM_400000_NS6detail17trampoline_kernelINS0_14default_configENS1_35radix_sort_onesweep_config_selectorIiiEEZZNS1_29radix_sort_onesweep_iterationIS3_Lb1EN6thrust23THRUST_200600_302600_NS6detail15normal_iteratorINS8_10device_ptrIiEEEESD_SD_SD_jNS0_19identity_decomposerENS1_16block_id_wrapperIjLb1EEEEE10hipError_tT1_PNSt15iterator_traitsISI_E10value_typeET2_T3_PNSJ_ISO_E10value_typeET4_T5_PST_SU_PNS1_23onesweep_lookback_stateEbbT6_jjT7_P12ihipStream_tbENKUlT_T0_SI_SN_E_clISD_PiSD_S15_EEDaS11_S12_SI_SN_EUlS11_E_NS1_11comp_targetILNS1_3genE9ELNS1_11target_archE1100ELNS1_3gpuE3ELNS1_3repE0EEENS1_47radix_sort_onesweep_sort_config_static_selectorELNS0_4arch9wavefront6targetE0EEEvSI_.uses_vcc, 0
	.set _ZN7rocprim17ROCPRIM_400000_NS6detail17trampoline_kernelINS0_14default_configENS1_35radix_sort_onesweep_config_selectorIiiEEZZNS1_29radix_sort_onesweep_iterationIS3_Lb1EN6thrust23THRUST_200600_302600_NS6detail15normal_iteratorINS8_10device_ptrIiEEEESD_SD_SD_jNS0_19identity_decomposerENS1_16block_id_wrapperIjLb1EEEEE10hipError_tT1_PNSt15iterator_traitsISI_E10value_typeET2_T3_PNSJ_ISO_E10value_typeET4_T5_PST_SU_PNS1_23onesweep_lookback_stateEbbT6_jjT7_P12ihipStream_tbENKUlT_T0_SI_SN_E_clISD_PiSD_S15_EEDaS11_S12_SI_SN_EUlS11_E_NS1_11comp_targetILNS1_3genE9ELNS1_11target_archE1100ELNS1_3gpuE3ELNS1_3repE0EEENS1_47radix_sort_onesweep_sort_config_static_selectorELNS0_4arch9wavefront6targetE0EEEvSI_.uses_flat_scratch, 0
	.set _ZN7rocprim17ROCPRIM_400000_NS6detail17trampoline_kernelINS0_14default_configENS1_35radix_sort_onesweep_config_selectorIiiEEZZNS1_29radix_sort_onesweep_iterationIS3_Lb1EN6thrust23THRUST_200600_302600_NS6detail15normal_iteratorINS8_10device_ptrIiEEEESD_SD_SD_jNS0_19identity_decomposerENS1_16block_id_wrapperIjLb1EEEEE10hipError_tT1_PNSt15iterator_traitsISI_E10value_typeET2_T3_PNSJ_ISO_E10value_typeET4_T5_PST_SU_PNS1_23onesweep_lookback_stateEbbT6_jjT7_P12ihipStream_tbENKUlT_T0_SI_SN_E_clISD_PiSD_S15_EEDaS11_S12_SI_SN_EUlS11_E_NS1_11comp_targetILNS1_3genE9ELNS1_11target_archE1100ELNS1_3gpuE3ELNS1_3repE0EEENS1_47radix_sort_onesweep_sort_config_static_selectorELNS0_4arch9wavefront6targetE0EEEvSI_.has_dyn_sized_stack, 0
	.set _ZN7rocprim17ROCPRIM_400000_NS6detail17trampoline_kernelINS0_14default_configENS1_35radix_sort_onesweep_config_selectorIiiEEZZNS1_29radix_sort_onesweep_iterationIS3_Lb1EN6thrust23THRUST_200600_302600_NS6detail15normal_iteratorINS8_10device_ptrIiEEEESD_SD_SD_jNS0_19identity_decomposerENS1_16block_id_wrapperIjLb1EEEEE10hipError_tT1_PNSt15iterator_traitsISI_E10value_typeET2_T3_PNSJ_ISO_E10value_typeET4_T5_PST_SU_PNS1_23onesweep_lookback_stateEbbT6_jjT7_P12ihipStream_tbENKUlT_T0_SI_SN_E_clISD_PiSD_S15_EEDaS11_S12_SI_SN_EUlS11_E_NS1_11comp_targetILNS1_3genE9ELNS1_11target_archE1100ELNS1_3gpuE3ELNS1_3repE0EEENS1_47radix_sort_onesweep_sort_config_static_selectorELNS0_4arch9wavefront6targetE0EEEvSI_.has_recursion, 0
	.set _ZN7rocprim17ROCPRIM_400000_NS6detail17trampoline_kernelINS0_14default_configENS1_35radix_sort_onesweep_config_selectorIiiEEZZNS1_29radix_sort_onesweep_iterationIS3_Lb1EN6thrust23THRUST_200600_302600_NS6detail15normal_iteratorINS8_10device_ptrIiEEEESD_SD_SD_jNS0_19identity_decomposerENS1_16block_id_wrapperIjLb1EEEEE10hipError_tT1_PNSt15iterator_traitsISI_E10value_typeET2_T3_PNSJ_ISO_E10value_typeET4_T5_PST_SU_PNS1_23onesweep_lookback_stateEbbT6_jjT7_P12ihipStream_tbENKUlT_T0_SI_SN_E_clISD_PiSD_S15_EEDaS11_S12_SI_SN_EUlS11_E_NS1_11comp_targetILNS1_3genE9ELNS1_11target_archE1100ELNS1_3gpuE3ELNS1_3repE0EEENS1_47radix_sort_onesweep_sort_config_static_selectorELNS0_4arch9wavefront6targetE0EEEvSI_.has_indirect_call, 0
	.section	.AMDGPU.csdata,"",@progbits
; Kernel info:
; codeLenInByte = 0
; TotalNumSgprs: 0
; NumVgprs: 0
; ScratchSize: 0
; MemoryBound: 0
; FloatMode: 240
; IeeeMode: 1
; LDSByteSize: 0 bytes/workgroup (compile time only)
; SGPRBlocks: 0
; VGPRBlocks: 0
; NumSGPRsForWavesPerEU: 1
; NumVGPRsForWavesPerEU: 1
; Occupancy: 16
; WaveLimiterHint : 0
; COMPUTE_PGM_RSRC2:SCRATCH_EN: 0
; COMPUTE_PGM_RSRC2:USER_SGPR: 6
; COMPUTE_PGM_RSRC2:TRAP_HANDLER: 0
; COMPUTE_PGM_RSRC2:TGID_X_EN: 1
; COMPUTE_PGM_RSRC2:TGID_Y_EN: 0
; COMPUTE_PGM_RSRC2:TGID_Z_EN: 0
; COMPUTE_PGM_RSRC2:TIDIG_COMP_CNT: 0
	.section	.text._ZN7rocprim17ROCPRIM_400000_NS6detail17trampoline_kernelINS0_14default_configENS1_35radix_sort_onesweep_config_selectorIiiEEZZNS1_29radix_sort_onesweep_iterationIS3_Lb1EN6thrust23THRUST_200600_302600_NS6detail15normal_iteratorINS8_10device_ptrIiEEEESD_SD_SD_jNS0_19identity_decomposerENS1_16block_id_wrapperIjLb1EEEEE10hipError_tT1_PNSt15iterator_traitsISI_E10value_typeET2_T3_PNSJ_ISO_E10value_typeET4_T5_PST_SU_PNS1_23onesweep_lookback_stateEbbT6_jjT7_P12ihipStream_tbENKUlT_T0_SI_SN_E_clISD_PiSD_S15_EEDaS11_S12_SI_SN_EUlS11_E_NS1_11comp_targetILNS1_3genE8ELNS1_11target_archE1030ELNS1_3gpuE2ELNS1_3repE0EEENS1_47radix_sort_onesweep_sort_config_static_selectorELNS0_4arch9wavefront6targetE0EEEvSI_,"axG",@progbits,_ZN7rocprim17ROCPRIM_400000_NS6detail17trampoline_kernelINS0_14default_configENS1_35radix_sort_onesweep_config_selectorIiiEEZZNS1_29radix_sort_onesweep_iterationIS3_Lb1EN6thrust23THRUST_200600_302600_NS6detail15normal_iteratorINS8_10device_ptrIiEEEESD_SD_SD_jNS0_19identity_decomposerENS1_16block_id_wrapperIjLb1EEEEE10hipError_tT1_PNSt15iterator_traitsISI_E10value_typeET2_T3_PNSJ_ISO_E10value_typeET4_T5_PST_SU_PNS1_23onesweep_lookback_stateEbbT6_jjT7_P12ihipStream_tbENKUlT_T0_SI_SN_E_clISD_PiSD_S15_EEDaS11_S12_SI_SN_EUlS11_E_NS1_11comp_targetILNS1_3genE8ELNS1_11target_archE1030ELNS1_3gpuE2ELNS1_3repE0EEENS1_47radix_sort_onesweep_sort_config_static_selectorELNS0_4arch9wavefront6targetE0EEEvSI_,comdat
	.protected	_ZN7rocprim17ROCPRIM_400000_NS6detail17trampoline_kernelINS0_14default_configENS1_35radix_sort_onesweep_config_selectorIiiEEZZNS1_29radix_sort_onesweep_iterationIS3_Lb1EN6thrust23THRUST_200600_302600_NS6detail15normal_iteratorINS8_10device_ptrIiEEEESD_SD_SD_jNS0_19identity_decomposerENS1_16block_id_wrapperIjLb1EEEEE10hipError_tT1_PNSt15iterator_traitsISI_E10value_typeET2_T3_PNSJ_ISO_E10value_typeET4_T5_PST_SU_PNS1_23onesweep_lookback_stateEbbT6_jjT7_P12ihipStream_tbENKUlT_T0_SI_SN_E_clISD_PiSD_S15_EEDaS11_S12_SI_SN_EUlS11_E_NS1_11comp_targetILNS1_3genE8ELNS1_11target_archE1030ELNS1_3gpuE2ELNS1_3repE0EEENS1_47radix_sort_onesweep_sort_config_static_selectorELNS0_4arch9wavefront6targetE0EEEvSI_ ; -- Begin function _ZN7rocprim17ROCPRIM_400000_NS6detail17trampoline_kernelINS0_14default_configENS1_35radix_sort_onesweep_config_selectorIiiEEZZNS1_29radix_sort_onesweep_iterationIS3_Lb1EN6thrust23THRUST_200600_302600_NS6detail15normal_iteratorINS8_10device_ptrIiEEEESD_SD_SD_jNS0_19identity_decomposerENS1_16block_id_wrapperIjLb1EEEEE10hipError_tT1_PNSt15iterator_traitsISI_E10value_typeET2_T3_PNSJ_ISO_E10value_typeET4_T5_PST_SU_PNS1_23onesweep_lookback_stateEbbT6_jjT7_P12ihipStream_tbENKUlT_T0_SI_SN_E_clISD_PiSD_S15_EEDaS11_S12_SI_SN_EUlS11_E_NS1_11comp_targetILNS1_3genE8ELNS1_11target_archE1030ELNS1_3gpuE2ELNS1_3repE0EEENS1_47radix_sort_onesweep_sort_config_static_selectorELNS0_4arch9wavefront6targetE0EEEvSI_
	.globl	_ZN7rocprim17ROCPRIM_400000_NS6detail17trampoline_kernelINS0_14default_configENS1_35radix_sort_onesweep_config_selectorIiiEEZZNS1_29radix_sort_onesweep_iterationIS3_Lb1EN6thrust23THRUST_200600_302600_NS6detail15normal_iteratorINS8_10device_ptrIiEEEESD_SD_SD_jNS0_19identity_decomposerENS1_16block_id_wrapperIjLb1EEEEE10hipError_tT1_PNSt15iterator_traitsISI_E10value_typeET2_T3_PNSJ_ISO_E10value_typeET4_T5_PST_SU_PNS1_23onesweep_lookback_stateEbbT6_jjT7_P12ihipStream_tbENKUlT_T0_SI_SN_E_clISD_PiSD_S15_EEDaS11_S12_SI_SN_EUlS11_E_NS1_11comp_targetILNS1_3genE8ELNS1_11target_archE1030ELNS1_3gpuE2ELNS1_3repE0EEENS1_47radix_sort_onesweep_sort_config_static_selectorELNS0_4arch9wavefront6targetE0EEEvSI_
	.p2align	8
	.type	_ZN7rocprim17ROCPRIM_400000_NS6detail17trampoline_kernelINS0_14default_configENS1_35radix_sort_onesweep_config_selectorIiiEEZZNS1_29radix_sort_onesweep_iterationIS3_Lb1EN6thrust23THRUST_200600_302600_NS6detail15normal_iteratorINS8_10device_ptrIiEEEESD_SD_SD_jNS0_19identity_decomposerENS1_16block_id_wrapperIjLb1EEEEE10hipError_tT1_PNSt15iterator_traitsISI_E10value_typeET2_T3_PNSJ_ISO_E10value_typeET4_T5_PST_SU_PNS1_23onesweep_lookback_stateEbbT6_jjT7_P12ihipStream_tbENKUlT_T0_SI_SN_E_clISD_PiSD_S15_EEDaS11_S12_SI_SN_EUlS11_E_NS1_11comp_targetILNS1_3genE8ELNS1_11target_archE1030ELNS1_3gpuE2ELNS1_3repE0EEENS1_47radix_sort_onesweep_sort_config_static_selectorELNS0_4arch9wavefront6targetE0EEEvSI_,@function
_ZN7rocprim17ROCPRIM_400000_NS6detail17trampoline_kernelINS0_14default_configENS1_35radix_sort_onesweep_config_selectorIiiEEZZNS1_29radix_sort_onesweep_iterationIS3_Lb1EN6thrust23THRUST_200600_302600_NS6detail15normal_iteratorINS8_10device_ptrIiEEEESD_SD_SD_jNS0_19identity_decomposerENS1_16block_id_wrapperIjLb1EEEEE10hipError_tT1_PNSt15iterator_traitsISI_E10value_typeET2_T3_PNSJ_ISO_E10value_typeET4_T5_PST_SU_PNS1_23onesweep_lookback_stateEbbT6_jjT7_P12ihipStream_tbENKUlT_T0_SI_SN_E_clISD_PiSD_S15_EEDaS11_S12_SI_SN_EUlS11_E_NS1_11comp_targetILNS1_3genE8ELNS1_11target_archE1030ELNS1_3gpuE2ELNS1_3repE0EEENS1_47radix_sort_onesweep_sort_config_static_selectorELNS0_4arch9wavefront6targetE0EEEvSI_: ; @_ZN7rocprim17ROCPRIM_400000_NS6detail17trampoline_kernelINS0_14default_configENS1_35radix_sort_onesweep_config_selectorIiiEEZZNS1_29radix_sort_onesweep_iterationIS3_Lb1EN6thrust23THRUST_200600_302600_NS6detail15normal_iteratorINS8_10device_ptrIiEEEESD_SD_SD_jNS0_19identity_decomposerENS1_16block_id_wrapperIjLb1EEEEE10hipError_tT1_PNSt15iterator_traitsISI_E10value_typeET2_T3_PNSJ_ISO_E10value_typeET4_T5_PST_SU_PNS1_23onesweep_lookback_stateEbbT6_jjT7_P12ihipStream_tbENKUlT_T0_SI_SN_E_clISD_PiSD_S15_EEDaS11_S12_SI_SN_EUlS11_E_NS1_11comp_targetILNS1_3genE8ELNS1_11target_archE1030ELNS1_3gpuE2ELNS1_3repE0EEENS1_47radix_sort_onesweep_sort_config_static_selectorELNS0_4arch9wavefront6targetE0EEEvSI_
; %bb.0:
	s_clause 0x2
	s_load_dwordx4 s[28:31], s[4:5], 0x28
	s_load_dwordx2 s[26:27], s[4:5], 0x38
	s_load_dwordx4 s[44:47], s[4:5], 0x44
	s_add_u32 s0, s0, s7
	v_cmp_eq_u32_e64 s7, 0, v0
	s_addc_u32 s1, s1, 0
	s_and_saveexec_b32 s8, s7
	s_cbranch_execz .LBB1016_4
; %bb.1:
	s_mov_b32 s10, exec_lo
	s_mov_b32 s9, exec_lo
	v_mbcnt_lo_u32_b32 v3, s10, 0
                                        ; implicit-def: $vgpr4
	v_cmpx_eq_u32_e32 0, v3
	s_cbranch_execz .LBB1016_3
; %bb.2:
	s_load_dwordx2 s[12:13], s[4:5], 0x50
	s_bcnt1_i32_b32 s10, s10
	v_mov_b32_e32 v4, 0
	v_mov_b32_e32 v5, s10
	s_waitcnt lgkmcnt(0)
	global_atomic_add v4, v4, v5, s[12:13] glc
.LBB1016_3:
	s_or_b32 exec_lo, exec_lo, s9
	s_waitcnt vmcnt(0)
	v_readfirstlane_b32 s9, v4
	v_mov_b32_e32 v4, 0
	v_add_nc_u32_e32 v3, s9, v3
	ds_write_b32 v4, v3 offset:36992
.LBB1016_4:
	s_or_b32 exec_lo, exec_lo, s8
	v_mov_b32_e32 v3, 0
	s_clause 0x1
	s_load_dwordx8 s[36:43], s[4:5], 0x0
	s_load_dword s8, s[4:5], 0x20
	s_waitcnt lgkmcnt(0)
	s_barrier
	buffer_gl0_inv
	ds_read_b32 v3, v3 offset:36992
	v_mbcnt_lo_u32_b32 v11, -1, 0
	v_and_b32_e32 v12, 0x3e0, v0
	s_mov_b32 s9, -1
	s_waitcnt lgkmcnt(0)
	s_barrier
	buffer_gl0_inv
	v_readfirstlane_b32 s33, v3
	v_cmp_le_u32_e32 vcc_lo, s46, v3
	s_mul_i32 s34, s33, 0x3000
	s_cbranch_vccz .LBB1016_136
; %bb.5:
	s_mov_b32 s35, 0
	s_mul_i32 s48, s46, 0xffffd000
	v_mul_u32_u24_e32 v3, 12, v12
	v_lshlrev_b32_e32 v13, 2, v11
	s_lshl_b64 s[46:47], s[34:35], 2
	s_add_i32 s48, s48, s8
	s_add_u32 s8, s36, s46
	s_addc_u32 s9, s37, s47
	v_lshlrev_b32_e32 v14, 2, v3
	v_add_co_u32 v4, s8, s8, v13
	v_add_co_ci_u32_e64 v6, null, s9, 0, s8
	v_or_b32_e32 v5, v11, v3
	v_add_co_u32 v3, vcc_lo, v4, v14
	v_mov_b32_e32 v15, -1
	v_add_co_ci_u32_e64 v4, null, 0, v6, vcc_lo
	v_cmp_gt_u32_e64 s8, s48, v5
	v_mov_b32_e32 v16, -1
	s_and_saveexec_b32 s9, s8
	s_cbranch_execz .LBB1016_7
; %bb.6:
	global_load_dword v6, v[3:4], off
	s_waitcnt vmcnt(0)
	v_xor_b32_e32 v16, 0x7fffffff, v6
.LBB1016_7:
	s_or_b32 exec_lo, exec_lo, s9
	v_or_b32_e32 v6, 32, v5
	v_cmp_gt_u32_e64 s9, s48, v6
	s_and_saveexec_b32 s10, s9
	s_cbranch_execz .LBB1016_9
; %bb.8:
	global_load_dword v6, v[3:4], off offset:128
	s_waitcnt vmcnt(0)
	v_xor_b32_e32 v15, 0x7fffffff, v6
.LBB1016_9:
	s_or_b32 exec_lo, exec_lo, s10
	v_or_b32_e32 v6, 64, v5
	v_mov_b32_e32 v17, -1
	v_mov_b32_e32 v18, -1
	v_cmp_gt_u32_e64 s10, s48, v6
	s_and_saveexec_b32 s11, s10
	s_cbranch_execz .LBB1016_11
; %bb.10:
	global_load_dword v6, v[3:4], off offset:256
	s_waitcnt vmcnt(0)
	v_xor_b32_e32 v18, 0x7fffffff, v6
.LBB1016_11:
	s_or_b32 exec_lo, exec_lo, s11
	v_or_b32_e32 v6, 0x60, v5
	v_cmp_gt_u32_e64 s11, s48, v6
	s_and_saveexec_b32 s12, s11
	s_cbranch_execz .LBB1016_13
; %bb.12:
	global_load_dword v6, v[3:4], off offset:384
	s_waitcnt vmcnt(0)
	v_xor_b32_e32 v17, 0x7fffffff, v6
.LBB1016_13:
	s_or_b32 exec_lo, exec_lo, s12
	v_add_nc_u32_e32 v6, 0x80, v5
	v_mov_b32_e32 v19, -1
	v_mov_b32_e32 v20, -1
	v_cmp_gt_u32_e64 s12, s48, v6
	s_and_saveexec_b32 s13, s12
	s_cbranch_execz .LBB1016_15
; %bb.14:
	global_load_dword v6, v[3:4], off offset:512
	s_waitcnt vmcnt(0)
	v_xor_b32_e32 v20, 0x7fffffff, v6
.LBB1016_15:
	s_or_b32 exec_lo, exec_lo, s13
	v_add_nc_u32_e32 v6, 0xa0, v5
	v_cmp_gt_u32_e64 s13, s48, v6
	s_and_saveexec_b32 s14, s13
	s_cbranch_execz .LBB1016_17
; %bb.16:
	global_load_dword v6, v[3:4], off offset:640
	s_waitcnt vmcnt(0)
	v_xor_b32_e32 v19, 0x7fffffff, v6
.LBB1016_17:
	s_or_b32 exec_lo, exec_lo, s14
	v_add_nc_u32_e32 v6, 0xc0, v5
	v_mov_b32_e32 v21, -1
	v_mov_b32_e32 v22, -1
	v_cmp_gt_u32_e64 s14, s48, v6
	s_and_saveexec_b32 s15, s14
	s_cbranch_execz .LBB1016_19
; %bb.18:
	global_load_dword v6, v[3:4], off offset:768
	s_waitcnt vmcnt(0)
	v_xor_b32_e32 v22, 0x7fffffff, v6
.LBB1016_19:
	s_or_b32 exec_lo, exec_lo, s15
	v_add_nc_u32_e32 v6, 0xe0, v5
	;; [unrolled: 22-line block ×4, first 2 shown]
	v_cmp_gt_u32_e64 s19, s48, v5
	s_and_saveexec_b32 s20, s19
	s_cbranch_execz .LBB1016_29
; %bb.28:
	global_load_dword v3, v[3:4], off offset:1408
	s_waitcnt vmcnt(0)
	v_xor_b32_e32 v25, 0x7fffffff, v3
.LBB1016_29:
	s_or_b32 exec_lo, exec_lo, s20
	s_clause 0x1
	s_load_dword s20, s[4:5], 0x64
	s_load_dword s35, s[4:5], 0x58
	s_add_u32 s21, s4, 0x58
	s_addc_u32 s22, s5, 0
	v_mov_b32_e32 v5, 0
	v_lshrrev_b32_e32 v4, s44, v16
	s_waitcnt lgkmcnt(0)
	s_lshr_b32 s23, s20, 16
	s_cmp_lt_u32 s6, s35
	s_cselect_b32 s20, 12, 18
	s_add_u32 s20, s21, s20
	s_addc_u32 s21, s22, 0
	global_load_ushort v3, v5, s[20:21]
	s_lshl_b32 s20, -1, s45
	s_not_b32 s49, s20
	v_and_b32_e32 v6, s49, v4
	v_and_b32_e32 v4, 1, v6
	v_lshlrev_b32_e32 v7, 30, v6
	v_lshlrev_b32_e32 v8, 29, v6
	;; [unrolled: 1-line block ×4, first 2 shown]
	v_add_co_u32 v4, s20, v4, -1
	v_cndmask_b32_e64 v10, 0, 1, s20
	v_not_b32_e32 v30, v7
	v_cmp_gt_i32_e64 s20, 0, v7
	v_not_b32_e32 v7, v8
	v_lshlrev_b32_e32 v28, 26, v6
	v_cmp_ne_u32_e32 vcc_lo, 0, v10
	v_ashrrev_i32_e32 v30, 31, v30
	v_lshlrev_b32_e32 v29, 25, v6
	v_ashrrev_i32_e32 v7, 31, v7
	v_lshlrev_b32_e32 v10, 24, v6
	v_xor_b32_e32 v4, vcc_lo, v4
	v_cmp_gt_i32_e32 vcc_lo, 0, v8
	v_not_b32_e32 v8, v9
	v_xor_b32_e32 v30, s20, v30
	v_cmp_gt_i32_e64 s20, 0, v9
	v_and_b32_e32 v4, exec_lo, v4
	v_not_b32_e32 v9, v27
	v_ashrrev_i32_e32 v8, 31, v8
	v_xor_b32_e32 v7, vcc_lo, v7
	v_cmp_gt_i32_e32 vcc_lo, 0, v27
	v_and_b32_e32 v4, v4, v30
	v_not_b32_e32 v27, v28
	v_ashrrev_i32_e32 v9, 31, v9
	v_xor_b32_e32 v8, s20, v8
	v_cmp_gt_i32_e64 s20, 0, v28
	v_and_b32_e32 v4, v4, v7
	v_not_b32_e32 v7, v29
	v_ashrrev_i32_e32 v27, 31, v27
	v_xor_b32_e32 v9, vcc_lo, v9
	v_cmp_gt_i32_e32 vcc_lo, 0, v29
	v_and_b32_e32 v4, v4, v8
	v_not_b32_e32 v8, v10
	v_ashrrev_i32_e32 v7, 31, v7
	v_xor_b32_e32 v27, s20, v27
	v_cmp_gt_i32_e64 s20, 0, v10
	v_and_b32_e32 v4, v4, v9
	v_ashrrev_i32_e32 v8, 31, v8
	v_xor_b32_e32 v7, vcc_lo, v7
	v_mad_u32_u24 v9, v2, s23, v1
	v_mul_lo_u32 v6, 0x84, v6
	v_and_b32_e32 v4, v4, v27
	v_xor_b32_e32 v8, s20, v8
	v_mul_u32_u24_e32 v30, 36, v0
	ds_write2_b32 v30, v5, v5 offset0:32 offset1:33
	ds_write2_b32 v30, v5, v5 offset0:34 offset1:35
	;; [unrolled: 1-line block ×3, first 2 shown]
	v_and_b32_e32 v7, v4, v7
	ds_write2_b32 v30, v5, v5 offset0:38 offset1:39
	ds_write_b32 v30, v5 offset:160
	s_waitcnt vmcnt(0) lgkmcnt(0)
	s_barrier
	buffer_gl0_inv
	; wave barrier
	v_mad_u64_u32 v[3:4], null, v9, v3, v[0:1]
	v_and_b32_e32 v4, v7, v8
	v_mbcnt_lo_u32_b32 v27, v4, 0
	v_lshrrev_b32_e32 v3, 5, v3
	v_cmp_ne_u32_e64 s20, 0, v4
	v_cmp_eq_u32_e32 vcc_lo, 0, v27
	v_lshl_add_u32 v31, v3, 2, v6
	s_and_b32 s21, s20, vcc_lo
	s_and_saveexec_b32 s20, s21
; %bb.30:
	v_bcnt_u32_b32 v4, v4, 0
	ds_write_b32 v31, v4 offset:128
; %bb.31:
	s_or_b32 exec_lo, exec_lo, s20
	v_lshrrev_b32_e32 v4, s44, v15
	; wave barrier
	v_and_b32_e32 v4, s49, v4
	v_and_b32_e32 v6, 1, v4
	v_lshlrev_b32_e32 v7, 30, v4
	v_lshlrev_b32_e32 v8, 29, v4
	;; [unrolled: 1-line block ×4, first 2 shown]
	v_add_co_u32 v6, s20, v6, -1
	v_cndmask_b32_e64 v10, 0, 1, s20
	v_not_b32_e32 v33, v7
	v_cmp_gt_i32_e64 s20, 0, v7
	v_not_b32_e32 v7, v8
	v_lshlrev_b32_e32 v29, 26, v4
	v_cmp_ne_u32_e32 vcc_lo, 0, v10
	v_ashrrev_i32_e32 v10, 31, v33
	v_lshlrev_b32_e32 v32, 25, v4
	v_ashrrev_i32_e32 v7, 31, v7
	v_mul_lo_u32 v5, 0x84, v4
	v_xor_b32_e32 v6, vcc_lo, v6
	v_cmp_gt_i32_e32 vcc_lo, 0, v8
	v_not_b32_e32 v8, v9
	v_xor_b32_e32 v10, s20, v10
	v_cmp_gt_i32_e64 s20, 0, v9
	v_and_b32_e32 v6, exec_lo, v6
	v_not_b32_e32 v9, v28
	v_ashrrev_i32_e32 v8, 31, v8
	v_xor_b32_e32 v7, vcc_lo, v7
	v_cmp_gt_i32_e32 vcc_lo, 0, v28
	v_and_b32_e32 v6, v6, v10
	v_not_b32_e32 v10, v29
	v_ashrrev_i32_e32 v9, 31, v9
	v_xor_b32_e32 v8, s20, v8
	v_lshlrev_b32_e32 v4, 24, v4
	v_and_b32_e32 v6, v6, v7
	v_cmp_gt_i32_e64 s20, 0, v29
	v_not_b32_e32 v7, v32
	v_ashrrev_i32_e32 v10, 31, v10
	v_xor_b32_e32 v9, vcc_lo, v9
	v_and_b32_e32 v6, v6, v8
	v_cmp_gt_i32_e32 vcc_lo, 0, v32
	v_not_b32_e32 v8, v4
	v_ashrrev_i32_e32 v7, 31, v7
	v_xor_b32_e32 v10, s20, v10
	v_and_b32_e32 v6, v6, v9
	v_cmp_gt_i32_e64 s20, 0, v4
	v_ashrrev_i32_e32 v4, 31, v8
	v_xor_b32_e32 v7, vcc_lo, v7
	v_lshl_add_u32 v34, v3, 2, v5
	v_and_b32_e32 v6, v6, v10
	v_xor_b32_e32 v4, s20, v4
	ds_read_b32 v28, v34 offset:128
	v_and_b32_e32 v5, v6, v7
	; wave barrier
	v_and_b32_e32 v4, v5, v4
	v_mbcnt_lo_u32_b32 v29, v4, 0
	v_cmp_ne_u32_e64 s20, 0, v4
	v_cmp_eq_u32_e32 vcc_lo, 0, v29
	s_and_b32 s21, s20, vcc_lo
	s_and_saveexec_b32 s20, s21
	s_cbranch_execz .LBB1016_33
; %bb.32:
	s_waitcnt lgkmcnt(0)
	v_bcnt_u32_b32 v4, v4, v28
	ds_write_b32 v34, v4 offset:128
.LBB1016_33:
	s_or_b32 exec_lo, exec_lo, s20
	v_lshrrev_b32_e32 v4, s44, v18
	; wave barrier
	v_and_b32_e32 v4, s49, v4
	v_and_b32_e32 v6, 1, v4
	v_lshlrev_b32_e32 v7, 30, v4
	v_lshlrev_b32_e32 v8, 29, v4
	;; [unrolled: 1-line block ×4, first 2 shown]
	v_add_co_u32 v6, s20, v6, -1
	v_cndmask_b32_e64 v10, 0, 1, s20
	v_not_b32_e32 v36, v7
	v_cmp_gt_i32_e64 s20, 0, v7
	v_not_b32_e32 v7, v8
	v_lshlrev_b32_e32 v33, 26, v4
	v_cmp_ne_u32_e32 vcc_lo, 0, v10
	v_ashrrev_i32_e32 v10, 31, v36
	v_lshlrev_b32_e32 v35, 25, v4
	v_ashrrev_i32_e32 v7, 31, v7
	v_mul_lo_u32 v5, 0x84, v4
	v_xor_b32_e32 v6, vcc_lo, v6
	v_cmp_gt_i32_e32 vcc_lo, 0, v8
	v_not_b32_e32 v8, v9
	v_xor_b32_e32 v10, s20, v10
	v_cmp_gt_i32_e64 s20, 0, v9
	v_and_b32_e32 v6, exec_lo, v6
	v_not_b32_e32 v9, v32
	v_ashrrev_i32_e32 v8, 31, v8
	v_xor_b32_e32 v7, vcc_lo, v7
	v_cmp_gt_i32_e32 vcc_lo, 0, v32
	v_and_b32_e32 v6, v6, v10
	v_not_b32_e32 v10, v33
	v_ashrrev_i32_e32 v9, 31, v9
	v_xor_b32_e32 v8, s20, v8
	v_lshlrev_b32_e32 v4, 24, v4
	v_and_b32_e32 v6, v6, v7
	v_cmp_gt_i32_e64 s20, 0, v33
	v_not_b32_e32 v7, v35
	v_ashrrev_i32_e32 v10, 31, v10
	v_xor_b32_e32 v9, vcc_lo, v9
	v_and_b32_e32 v6, v6, v8
	v_cmp_gt_i32_e32 vcc_lo, 0, v35
	v_not_b32_e32 v8, v4
	v_ashrrev_i32_e32 v7, 31, v7
	v_xor_b32_e32 v10, s20, v10
	v_and_b32_e32 v6, v6, v9
	v_cmp_gt_i32_e64 s20, 0, v4
	v_ashrrev_i32_e32 v4, 31, v8
	v_xor_b32_e32 v7, vcc_lo, v7
	v_lshl_add_u32 v37, v3, 2, v5
	v_and_b32_e32 v6, v6, v10
	v_xor_b32_e32 v4, s20, v4
	ds_read_b32 v32, v37 offset:128
	v_and_b32_e32 v5, v6, v7
	; wave barrier
	v_and_b32_e32 v4, v5, v4
	v_mbcnt_lo_u32_b32 v33, v4, 0
	v_cmp_ne_u32_e64 s20, 0, v4
	v_cmp_eq_u32_e32 vcc_lo, 0, v33
	s_and_b32 s21, s20, vcc_lo
	s_and_saveexec_b32 s20, s21
	s_cbranch_execz .LBB1016_35
; %bb.34:
	s_waitcnt lgkmcnt(0)
	v_bcnt_u32_b32 v4, v4, v32
	ds_write_b32 v37, v4 offset:128
.LBB1016_35:
	s_or_b32 exec_lo, exec_lo, s20
	v_lshrrev_b32_e32 v4, s44, v17
	; wave barrier
	v_and_b32_e32 v4, s49, v4
	v_and_b32_e32 v6, 1, v4
	v_lshlrev_b32_e32 v7, 30, v4
	v_lshlrev_b32_e32 v8, 29, v4
	;; [unrolled: 1-line block ×4, first 2 shown]
	v_add_co_u32 v6, s20, v6, -1
	v_cndmask_b32_e64 v10, 0, 1, s20
	v_not_b32_e32 v39, v7
	v_cmp_gt_i32_e64 s20, 0, v7
	v_not_b32_e32 v7, v8
	v_lshlrev_b32_e32 v36, 26, v4
	v_cmp_ne_u32_e32 vcc_lo, 0, v10
	v_ashrrev_i32_e32 v10, 31, v39
	v_lshlrev_b32_e32 v38, 25, v4
	v_ashrrev_i32_e32 v7, 31, v7
	v_mul_lo_u32 v5, 0x84, v4
	v_xor_b32_e32 v6, vcc_lo, v6
	v_cmp_gt_i32_e32 vcc_lo, 0, v8
	v_not_b32_e32 v8, v9
	v_xor_b32_e32 v10, s20, v10
	v_cmp_gt_i32_e64 s20, 0, v9
	v_and_b32_e32 v6, exec_lo, v6
	v_not_b32_e32 v9, v35
	v_ashrrev_i32_e32 v8, 31, v8
	v_xor_b32_e32 v7, vcc_lo, v7
	v_cmp_gt_i32_e32 vcc_lo, 0, v35
	v_and_b32_e32 v6, v6, v10
	v_not_b32_e32 v10, v36
	v_ashrrev_i32_e32 v9, 31, v9
	v_xor_b32_e32 v8, s20, v8
	v_lshlrev_b32_e32 v4, 24, v4
	v_and_b32_e32 v6, v6, v7
	v_cmp_gt_i32_e64 s20, 0, v36
	v_not_b32_e32 v7, v38
	v_ashrrev_i32_e32 v10, 31, v10
	v_xor_b32_e32 v9, vcc_lo, v9
	v_and_b32_e32 v6, v6, v8
	v_cmp_gt_i32_e32 vcc_lo, 0, v38
	v_not_b32_e32 v8, v4
	v_ashrrev_i32_e32 v7, 31, v7
	v_xor_b32_e32 v10, s20, v10
	v_and_b32_e32 v6, v6, v9
	v_cmp_gt_i32_e64 s20, 0, v4
	v_ashrrev_i32_e32 v4, 31, v8
	v_xor_b32_e32 v7, vcc_lo, v7
	v_lshl_add_u32 v40, v3, 2, v5
	v_and_b32_e32 v6, v6, v10
	v_xor_b32_e32 v4, s20, v4
	ds_read_b32 v35, v40 offset:128
	v_and_b32_e32 v5, v6, v7
	; wave barrier
	v_and_b32_e32 v4, v5, v4
	v_mbcnt_lo_u32_b32 v36, v4, 0
	v_cmp_ne_u32_e64 s20, 0, v4
	v_cmp_eq_u32_e32 vcc_lo, 0, v36
	s_and_b32 s21, s20, vcc_lo
	s_and_saveexec_b32 s20, s21
	s_cbranch_execz .LBB1016_37
; %bb.36:
	s_waitcnt lgkmcnt(0)
	v_bcnt_u32_b32 v4, v4, v35
	ds_write_b32 v40, v4 offset:128
.LBB1016_37:
	s_or_b32 exec_lo, exec_lo, s20
	v_lshrrev_b32_e32 v4, s44, v20
	; wave barrier
	v_and_b32_e32 v4, s49, v4
	v_and_b32_e32 v6, 1, v4
	v_lshlrev_b32_e32 v7, 30, v4
	v_lshlrev_b32_e32 v8, 29, v4
	;; [unrolled: 1-line block ×4, first 2 shown]
	v_add_co_u32 v6, s20, v6, -1
	v_cndmask_b32_e64 v10, 0, 1, s20
	v_not_b32_e32 v42, v7
	v_cmp_gt_i32_e64 s20, 0, v7
	v_not_b32_e32 v7, v8
	v_lshlrev_b32_e32 v39, 26, v4
	v_cmp_ne_u32_e32 vcc_lo, 0, v10
	v_ashrrev_i32_e32 v10, 31, v42
	v_lshlrev_b32_e32 v41, 25, v4
	v_ashrrev_i32_e32 v7, 31, v7
	v_mul_lo_u32 v5, 0x84, v4
	v_xor_b32_e32 v6, vcc_lo, v6
	v_cmp_gt_i32_e32 vcc_lo, 0, v8
	v_not_b32_e32 v8, v9
	v_xor_b32_e32 v10, s20, v10
	v_cmp_gt_i32_e64 s20, 0, v9
	v_and_b32_e32 v6, exec_lo, v6
	v_not_b32_e32 v9, v38
	v_ashrrev_i32_e32 v8, 31, v8
	v_xor_b32_e32 v7, vcc_lo, v7
	v_cmp_gt_i32_e32 vcc_lo, 0, v38
	v_and_b32_e32 v6, v6, v10
	v_not_b32_e32 v10, v39
	v_ashrrev_i32_e32 v9, 31, v9
	v_xor_b32_e32 v8, s20, v8
	v_lshlrev_b32_e32 v4, 24, v4
	v_and_b32_e32 v6, v6, v7
	v_cmp_gt_i32_e64 s20, 0, v39
	v_not_b32_e32 v7, v41
	v_ashrrev_i32_e32 v10, 31, v10
	v_xor_b32_e32 v9, vcc_lo, v9
	v_and_b32_e32 v6, v6, v8
	v_cmp_gt_i32_e32 vcc_lo, 0, v41
	v_not_b32_e32 v8, v4
	v_ashrrev_i32_e32 v7, 31, v7
	v_xor_b32_e32 v10, s20, v10
	v_and_b32_e32 v6, v6, v9
	v_cmp_gt_i32_e64 s20, 0, v4
	v_ashrrev_i32_e32 v4, 31, v8
	v_xor_b32_e32 v7, vcc_lo, v7
	v_lshl_add_u32 v43, v3, 2, v5
	v_and_b32_e32 v6, v6, v10
	v_xor_b32_e32 v4, s20, v4
	ds_read_b32 v38, v43 offset:128
	v_and_b32_e32 v5, v6, v7
	; wave barrier
	v_and_b32_e32 v4, v5, v4
	v_mbcnt_lo_u32_b32 v39, v4, 0
	v_cmp_ne_u32_e64 s20, 0, v4
	v_cmp_eq_u32_e32 vcc_lo, 0, v39
	s_and_b32 s21, s20, vcc_lo
	s_and_saveexec_b32 s20, s21
	s_cbranch_execz .LBB1016_39
; %bb.38:
	s_waitcnt lgkmcnt(0)
	v_bcnt_u32_b32 v4, v4, v38
	ds_write_b32 v43, v4 offset:128
.LBB1016_39:
	s_or_b32 exec_lo, exec_lo, s20
	v_lshrrev_b32_e32 v4, s44, v19
	; wave barrier
	v_and_b32_e32 v4, s49, v4
	v_and_b32_e32 v6, 1, v4
	v_lshlrev_b32_e32 v7, 30, v4
	v_lshlrev_b32_e32 v8, 29, v4
	;; [unrolled: 1-line block ×4, first 2 shown]
	v_add_co_u32 v6, s20, v6, -1
	v_cndmask_b32_e64 v10, 0, 1, s20
	v_not_b32_e32 v45, v7
	v_cmp_gt_i32_e64 s20, 0, v7
	v_not_b32_e32 v7, v8
	v_lshlrev_b32_e32 v42, 26, v4
	v_cmp_ne_u32_e32 vcc_lo, 0, v10
	v_ashrrev_i32_e32 v10, 31, v45
	v_lshlrev_b32_e32 v44, 25, v4
	v_ashrrev_i32_e32 v7, 31, v7
	v_mul_lo_u32 v5, 0x84, v4
	v_xor_b32_e32 v6, vcc_lo, v6
	v_cmp_gt_i32_e32 vcc_lo, 0, v8
	v_not_b32_e32 v8, v9
	v_xor_b32_e32 v10, s20, v10
	v_cmp_gt_i32_e64 s20, 0, v9
	v_and_b32_e32 v6, exec_lo, v6
	v_not_b32_e32 v9, v41
	v_ashrrev_i32_e32 v8, 31, v8
	v_xor_b32_e32 v7, vcc_lo, v7
	v_cmp_gt_i32_e32 vcc_lo, 0, v41
	v_and_b32_e32 v6, v6, v10
	v_not_b32_e32 v10, v42
	v_ashrrev_i32_e32 v9, 31, v9
	v_xor_b32_e32 v8, s20, v8
	v_lshlrev_b32_e32 v4, 24, v4
	v_and_b32_e32 v6, v6, v7
	v_cmp_gt_i32_e64 s20, 0, v42
	v_not_b32_e32 v7, v44
	v_ashrrev_i32_e32 v10, 31, v10
	v_xor_b32_e32 v9, vcc_lo, v9
	v_and_b32_e32 v6, v6, v8
	v_cmp_gt_i32_e32 vcc_lo, 0, v44
	v_not_b32_e32 v8, v4
	v_ashrrev_i32_e32 v7, 31, v7
	v_xor_b32_e32 v10, s20, v10
	v_and_b32_e32 v6, v6, v9
	v_cmp_gt_i32_e64 s20, 0, v4
	v_ashrrev_i32_e32 v4, 31, v8
	v_xor_b32_e32 v7, vcc_lo, v7
	v_lshl_add_u32 v46, v3, 2, v5
	v_and_b32_e32 v6, v6, v10
	v_xor_b32_e32 v4, s20, v4
	ds_read_b32 v41, v46 offset:128
	v_and_b32_e32 v5, v6, v7
	; wave barrier
	v_and_b32_e32 v4, v5, v4
	v_mbcnt_lo_u32_b32 v42, v4, 0
	v_cmp_ne_u32_e64 s20, 0, v4
	v_cmp_eq_u32_e32 vcc_lo, 0, v42
	s_and_b32 s21, s20, vcc_lo
	s_and_saveexec_b32 s20, s21
	s_cbranch_execz .LBB1016_41
; %bb.40:
	s_waitcnt lgkmcnt(0)
	v_bcnt_u32_b32 v4, v4, v41
	ds_write_b32 v46, v4 offset:128
.LBB1016_41:
	s_or_b32 exec_lo, exec_lo, s20
	v_lshrrev_b32_e32 v4, s44, v22
	; wave barrier
	v_and_b32_e32 v4, s49, v4
	v_and_b32_e32 v6, 1, v4
	v_lshlrev_b32_e32 v7, 30, v4
	v_lshlrev_b32_e32 v8, 29, v4
	;; [unrolled: 1-line block ×4, first 2 shown]
	v_add_co_u32 v6, s20, v6, -1
	v_cndmask_b32_e64 v10, 0, 1, s20
	v_not_b32_e32 v48, v7
	v_cmp_gt_i32_e64 s20, 0, v7
	v_not_b32_e32 v7, v8
	v_lshlrev_b32_e32 v45, 26, v4
	v_cmp_ne_u32_e32 vcc_lo, 0, v10
	v_ashrrev_i32_e32 v10, 31, v48
	v_lshlrev_b32_e32 v47, 25, v4
	v_ashrrev_i32_e32 v7, 31, v7
	v_mul_lo_u32 v5, 0x84, v4
	v_xor_b32_e32 v6, vcc_lo, v6
	v_cmp_gt_i32_e32 vcc_lo, 0, v8
	v_not_b32_e32 v8, v9
	v_xor_b32_e32 v10, s20, v10
	v_cmp_gt_i32_e64 s20, 0, v9
	v_and_b32_e32 v6, exec_lo, v6
	v_not_b32_e32 v9, v44
	v_ashrrev_i32_e32 v8, 31, v8
	v_xor_b32_e32 v7, vcc_lo, v7
	v_cmp_gt_i32_e32 vcc_lo, 0, v44
	v_and_b32_e32 v6, v6, v10
	v_not_b32_e32 v10, v45
	v_ashrrev_i32_e32 v9, 31, v9
	v_xor_b32_e32 v8, s20, v8
	v_lshlrev_b32_e32 v4, 24, v4
	v_and_b32_e32 v6, v6, v7
	v_cmp_gt_i32_e64 s20, 0, v45
	v_not_b32_e32 v7, v47
	v_ashrrev_i32_e32 v10, 31, v10
	v_xor_b32_e32 v9, vcc_lo, v9
	v_and_b32_e32 v6, v6, v8
	v_cmp_gt_i32_e32 vcc_lo, 0, v47
	v_not_b32_e32 v8, v4
	v_ashrrev_i32_e32 v7, 31, v7
	v_xor_b32_e32 v10, s20, v10
	v_and_b32_e32 v6, v6, v9
	v_cmp_gt_i32_e64 s20, 0, v4
	v_ashrrev_i32_e32 v4, 31, v8
	v_xor_b32_e32 v7, vcc_lo, v7
	v_lshl_add_u32 v49, v3, 2, v5
	v_and_b32_e32 v6, v6, v10
	v_xor_b32_e32 v4, s20, v4
	ds_read_b32 v44, v49 offset:128
	v_and_b32_e32 v5, v6, v7
	; wave barrier
	v_and_b32_e32 v4, v5, v4
	v_mbcnt_lo_u32_b32 v45, v4, 0
	v_cmp_ne_u32_e64 s20, 0, v4
	v_cmp_eq_u32_e32 vcc_lo, 0, v45
	s_and_b32 s21, s20, vcc_lo
	s_and_saveexec_b32 s20, s21
	s_cbranch_execz .LBB1016_43
; %bb.42:
	s_waitcnt lgkmcnt(0)
	v_bcnt_u32_b32 v4, v4, v44
	ds_write_b32 v49, v4 offset:128
.LBB1016_43:
	s_or_b32 exec_lo, exec_lo, s20
	v_lshrrev_b32_e32 v4, s44, v21
	; wave barrier
	v_and_b32_e32 v4, s49, v4
	v_and_b32_e32 v6, 1, v4
	v_lshlrev_b32_e32 v7, 30, v4
	v_lshlrev_b32_e32 v8, 29, v4
	;; [unrolled: 1-line block ×4, first 2 shown]
	v_add_co_u32 v6, s20, v6, -1
	v_cndmask_b32_e64 v10, 0, 1, s20
	v_not_b32_e32 v51, v7
	v_cmp_gt_i32_e64 s20, 0, v7
	v_not_b32_e32 v7, v8
	v_lshlrev_b32_e32 v48, 26, v4
	v_cmp_ne_u32_e32 vcc_lo, 0, v10
	v_ashrrev_i32_e32 v10, 31, v51
	v_lshlrev_b32_e32 v50, 25, v4
	v_ashrrev_i32_e32 v7, 31, v7
	v_mul_lo_u32 v5, 0x84, v4
	v_xor_b32_e32 v6, vcc_lo, v6
	v_cmp_gt_i32_e32 vcc_lo, 0, v8
	v_not_b32_e32 v8, v9
	v_xor_b32_e32 v10, s20, v10
	v_cmp_gt_i32_e64 s20, 0, v9
	v_and_b32_e32 v6, exec_lo, v6
	v_not_b32_e32 v9, v47
	v_ashrrev_i32_e32 v8, 31, v8
	v_xor_b32_e32 v7, vcc_lo, v7
	v_cmp_gt_i32_e32 vcc_lo, 0, v47
	v_and_b32_e32 v6, v6, v10
	v_not_b32_e32 v10, v48
	v_ashrrev_i32_e32 v9, 31, v9
	v_xor_b32_e32 v8, s20, v8
	v_lshlrev_b32_e32 v4, 24, v4
	v_and_b32_e32 v6, v6, v7
	v_cmp_gt_i32_e64 s20, 0, v48
	v_not_b32_e32 v7, v50
	v_ashrrev_i32_e32 v10, 31, v10
	v_xor_b32_e32 v9, vcc_lo, v9
	v_and_b32_e32 v6, v6, v8
	v_cmp_gt_i32_e32 vcc_lo, 0, v50
	v_not_b32_e32 v8, v4
	v_ashrrev_i32_e32 v7, 31, v7
	v_xor_b32_e32 v10, s20, v10
	v_and_b32_e32 v6, v6, v9
	v_cmp_gt_i32_e64 s20, 0, v4
	v_ashrrev_i32_e32 v4, 31, v8
	v_xor_b32_e32 v7, vcc_lo, v7
	v_lshl_add_u32 v52, v3, 2, v5
	v_and_b32_e32 v6, v6, v10
	v_xor_b32_e32 v4, s20, v4
	ds_read_b32 v47, v52 offset:128
	v_and_b32_e32 v5, v6, v7
	; wave barrier
	v_and_b32_e32 v4, v5, v4
	v_mbcnt_lo_u32_b32 v48, v4, 0
	v_cmp_ne_u32_e64 s20, 0, v4
	v_cmp_eq_u32_e32 vcc_lo, 0, v48
	s_and_b32 s21, s20, vcc_lo
	s_and_saveexec_b32 s20, s21
	s_cbranch_execz .LBB1016_45
; %bb.44:
	s_waitcnt lgkmcnt(0)
	v_bcnt_u32_b32 v4, v4, v47
	ds_write_b32 v52, v4 offset:128
.LBB1016_45:
	s_or_b32 exec_lo, exec_lo, s20
	v_lshrrev_b32_e32 v4, s44, v24
	; wave barrier
	v_and_b32_e32 v4, s49, v4
	v_and_b32_e32 v6, 1, v4
	v_lshlrev_b32_e32 v7, 30, v4
	v_lshlrev_b32_e32 v8, 29, v4
	v_lshlrev_b32_e32 v9, 28, v4
	v_lshlrev_b32_e32 v50, 27, v4
	v_add_co_u32 v6, s20, v6, -1
	v_cndmask_b32_e64 v10, 0, 1, s20
	v_not_b32_e32 v54, v7
	v_cmp_gt_i32_e64 s20, 0, v7
	v_not_b32_e32 v7, v8
	v_lshlrev_b32_e32 v51, 26, v4
	v_cmp_ne_u32_e32 vcc_lo, 0, v10
	v_ashrrev_i32_e32 v10, 31, v54
	v_lshlrev_b32_e32 v53, 25, v4
	v_ashrrev_i32_e32 v7, 31, v7
	v_mul_lo_u32 v5, 0x84, v4
	v_xor_b32_e32 v6, vcc_lo, v6
	v_cmp_gt_i32_e32 vcc_lo, 0, v8
	v_not_b32_e32 v8, v9
	v_xor_b32_e32 v10, s20, v10
	v_cmp_gt_i32_e64 s20, 0, v9
	v_and_b32_e32 v6, exec_lo, v6
	v_not_b32_e32 v9, v50
	v_ashrrev_i32_e32 v8, 31, v8
	v_xor_b32_e32 v7, vcc_lo, v7
	v_cmp_gt_i32_e32 vcc_lo, 0, v50
	v_and_b32_e32 v6, v6, v10
	v_not_b32_e32 v10, v51
	v_ashrrev_i32_e32 v9, 31, v9
	v_xor_b32_e32 v8, s20, v8
	v_lshlrev_b32_e32 v4, 24, v4
	v_and_b32_e32 v6, v6, v7
	v_cmp_gt_i32_e64 s20, 0, v51
	v_not_b32_e32 v7, v53
	v_ashrrev_i32_e32 v10, 31, v10
	v_xor_b32_e32 v9, vcc_lo, v9
	v_and_b32_e32 v6, v6, v8
	v_cmp_gt_i32_e32 vcc_lo, 0, v53
	v_not_b32_e32 v8, v4
	v_ashrrev_i32_e32 v7, 31, v7
	v_xor_b32_e32 v10, s20, v10
	v_and_b32_e32 v6, v6, v9
	v_cmp_gt_i32_e64 s20, 0, v4
	v_ashrrev_i32_e32 v4, 31, v8
	v_xor_b32_e32 v7, vcc_lo, v7
	v_lshl_add_u32 v55, v3, 2, v5
	v_and_b32_e32 v6, v6, v10
	v_xor_b32_e32 v4, s20, v4
	ds_read_b32 v50, v55 offset:128
	v_and_b32_e32 v5, v6, v7
	; wave barrier
	v_and_b32_e32 v4, v5, v4
	v_mbcnt_lo_u32_b32 v51, v4, 0
	v_cmp_ne_u32_e64 s20, 0, v4
	v_cmp_eq_u32_e32 vcc_lo, 0, v51
	s_and_b32 s21, s20, vcc_lo
	s_and_saveexec_b32 s20, s21
	s_cbranch_execz .LBB1016_47
; %bb.46:
	s_waitcnt lgkmcnt(0)
	v_bcnt_u32_b32 v4, v4, v50
	ds_write_b32 v55, v4 offset:128
.LBB1016_47:
	s_or_b32 exec_lo, exec_lo, s20
	v_lshrrev_b32_e32 v4, s44, v23
	; wave barrier
	v_and_b32_e32 v4, s49, v4
	v_and_b32_e32 v6, 1, v4
	v_lshlrev_b32_e32 v7, 30, v4
	v_lshlrev_b32_e32 v8, 29, v4
	;; [unrolled: 1-line block ×4, first 2 shown]
	v_add_co_u32 v6, s20, v6, -1
	v_cndmask_b32_e64 v10, 0, 1, s20
	v_not_b32_e32 v57, v7
	v_cmp_gt_i32_e64 s20, 0, v7
	v_not_b32_e32 v7, v8
	v_lshlrev_b32_e32 v54, 26, v4
	v_cmp_ne_u32_e32 vcc_lo, 0, v10
	v_ashrrev_i32_e32 v10, 31, v57
	v_lshlrev_b32_e32 v56, 25, v4
	v_ashrrev_i32_e32 v7, 31, v7
	v_mul_lo_u32 v5, 0x84, v4
	v_xor_b32_e32 v6, vcc_lo, v6
	v_cmp_gt_i32_e32 vcc_lo, 0, v8
	v_not_b32_e32 v8, v9
	v_xor_b32_e32 v10, s20, v10
	v_cmp_gt_i32_e64 s20, 0, v9
	v_and_b32_e32 v6, exec_lo, v6
	v_not_b32_e32 v9, v53
	v_ashrrev_i32_e32 v8, 31, v8
	v_xor_b32_e32 v7, vcc_lo, v7
	v_cmp_gt_i32_e32 vcc_lo, 0, v53
	v_and_b32_e32 v6, v6, v10
	v_not_b32_e32 v10, v54
	v_ashrrev_i32_e32 v9, 31, v9
	v_xor_b32_e32 v8, s20, v8
	v_lshlrev_b32_e32 v4, 24, v4
	v_and_b32_e32 v6, v6, v7
	v_cmp_gt_i32_e64 s20, 0, v54
	v_not_b32_e32 v7, v56
	v_ashrrev_i32_e32 v10, 31, v10
	v_xor_b32_e32 v9, vcc_lo, v9
	v_and_b32_e32 v6, v6, v8
	v_cmp_gt_i32_e32 vcc_lo, 0, v56
	v_not_b32_e32 v8, v4
	v_ashrrev_i32_e32 v7, 31, v7
	v_xor_b32_e32 v10, s20, v10
	v_and_b32_e32 v6, v6, v9
	v_cmp_gt_i32_e64 s20, 0, v4
	v_ashrrev_i32_e32 v4, 31, v8
	v_xor_b32_e32 v7, vcc_lo, v7
	v_lshl_add_u32 v58, v3, 2, v5
	v_and_b32_e32 v6, v6, v10
	v_xor_b32_e32 v4, s20, v4
	ds_read_b32 v53, v58 offset:128
	v_and_b32_e32 v5, v6, v7
	; wave barrier
	v_and_b32_e32 v4, v5, v4
	v_mbcnt_lo_u32_b32 v54, v4, 0
	v_cmp_ne_u32_e64 s20, 0, v4
	v_cmp_eq_u32_e32 vcc_lo, 0, v54
	s_and_b32 s21, s20, vcc_lo
	s_and_saveexec_b32 s20, s21
	s_cbranch_execz .LBB1016_49
; %bb.48:
	s_waitcnt lgkmcnt(0)
	v_bcnt_u32_b32 v4, v4, v53
	ds_write_b32 v58, v4 offset:128
.LBB1016_49:
	s_or_b32 exec_lo, exec_lo, s20
	v_lshrrev_b32_e32 v4, s44, v26
	; wave barrier
	v_and_b32_e32 v4, s49, v4
	v_and_b32_e32 v6, 1, v4
	v_lshlrev_b32_e32 v7, 30, v4
	v_lshlrev_b32_e32 v8, 29, v4
	;; [unrolled: 1-line block ×4, first 2 shown]
	v_add_co_u32 v6, s20, v6, -1
	v_cndmask_b32_e64 v10, 0, 1, s20
	v_not_b32_e32 v60, v7
	v_cmp_gt_i32_e64 s20, 0, v7
	v_not_b32_e32 v7, v8
	v_lshlrev_b32_e32 v57, 26, v4
	v_cmp_ne_u32_e32 vcc_lo, 0, v10
	v_ashrrev_i32_e32 v10, 31, v60
	v_lshlrev_b32_e32 v59, 25, v4
	v_ashrrev_i32_e32 v7, 31, v7
	v_mul_lo_u32 v5, 0x84, v4
	v_xor_b32_e32 v6, vcc_lo, v6
	v_cmp_gt_i32_e32 vcc_lo, 0, v8
	v_not_b32_e32 v8, v9
	v_xor_b32_e32 v10, s20, v10
	v_cmp_gt_i32_e64 s20, 0, v9
	v_and_b32_e32 v6, exec_lo, v6
	v_not_b32_e32 v9, v56
	v_ashrrev_i32_e32 v8, 31, v8
	v_xor_b32_e32 v7, vcc_lo, v7
	v_cmp_gt_i32_e32 vcc_lo, 0, v56
	v_and_b32_e32 v6, v6, v10
	v_not_b32_e32 v10, v57
	v_ashrrev_i32_e32 v9, 31, v9
	v_xor_b32_e32 v8, s20, v8
	v_lshlrev_b32_e32 v4, 24, v4
	v_and_b32_e32 v6, v6, v7
	v_cmp_gt_i32_e64 s20, 0, v57
	v_not_b32_e32 v7, v59
	v_ashrrev_i32_e32 v10, 31, v10
	v_xor_b32_e32 v9, vcc_lo, v9
	v_and_b32_e32 v6, v6, v8
	v_cmp_gt_i32_e32 vcc_lo, 0, v59
	v_not_b32_e32 v8, v4
	v_ashrrev_i32_e32 v7, 31, v7
	v_xor_b32_e32 v10, s20, v10
	v_and_b32_e32 v6, v6, v9
	v_cmp_gt_i32_e64 s20, 0, v4
	v_ashrrev_i32_e32 v4, 31, v8
	v_xor_b32_e32 v7, vcc_lo, v7
	v_lshl_add_u32 v61, v3, 2, v5
	v_and_b32_e32 v6, v6, v10
	v_xor_b32_e32 v4, s20, v4
	ds_read_b32 v56, v61 offset:128
	v_and_b32_e32 v5, v6, v7
	; wave barrier
	v_and_b32_e32 v4, v5, v4
	v_mbcnt_lo_u32_b32 v57, v4, 0
	v_cmp_ne_u32_e64 s20, 0, v4
	v_cmp_eq_u32_e32 vcc_lo, 0, v57
	s_and_b32 s21, s20, vcc_lo
	s_and_saveexec_b32 s20, s21
	s_cbranch_execz .LBB1016_51
; %bb.50:
	s_waitcnt lgkmcnt(0)
	v_bcnt_u32_b32 v4, v4, v56
	ds_write_b32 v61, v4 offset:128
.LBB1016_51:
	s_or_b32 exec_lo, exec_lo, s20
	v_lshrrev_b32_e32 v4, s44, v25
	; wave barrier
	v_and_b32_e32 v4, s49, v4
	v_and_b32_e32 v6, 1, v4
	v_lshlrev_b32_e32 v7, 30, v4
	v_lshlrev_b32_e32 v8, 29, v4
	;; [unrolled: 1-line block ×4, first 2 shown]
	v_add_co_u32 v6, s20, v6, -1
	v_cndmask_b32_e64 v10, 0, 1, s20
	v_not_b32_e32 v63, v7
	v_cmp_gt_i32_e64 s20, 0, v7
	v_not_b32_e32 v7, v8
	v_lshlrev_b32_e32 v60, 26, v4
	v_cmp_ne_u32_e32 vcc_lo, 0, v10
	v_ashrrev_i32_e32 v10, 31, v63
	v_lshlrev_b32_e32 v62, 25, v4
	v_ashrrev_i32_e32 v7, 31, v7
	v_mul_lo_u32 v5, 0x84, v4
	v_xor_b32_e32 v6, vcc_lo, v6
	v_cmp_gt_i32_e32 vcc_lo, 0, v8
	v_not_b32_e32 v8, v9
	v_xor_b32_e32 v10, s20, v10
	v_cmp_gt_i32_e64 s20, 0, v9
	v_and_b32_e32 v6, exec_lo, v6
	v_not_b32_e32 v9, v59
	v_ashrrev_i32_e32 v8, 31, v8
	v_xor_b32_e32 v7, vcc_lo, v7
	v_cmp_gt_i32_e32 vcc_lo, 0, v59
	v_and_b32_e32 v6, v6, v10
	v_not_b32_e32 v10, v60
	v_ashrrev_i32_e32 v9, 31, v9
	v_xor_b32_e32 v8, s20, v8
	v_lshlrev_b32_e32 v4, 24, v4
	v_and_b32_e32 v6, v6, v7
	v_cmp_gt_i32_e64 s20, 0, v60
	v_not_b32_e32 v7, v62
	v_ashrrev_i32_e32 v10, 31, v10
	v_xor_b32_e32 v9, vcc_lo, v9
	v_and_b32_e32 v6, v6, v8
	v_cmp_gt_i32_e32 vcc_lo, 0, v62
	v_not_b32_e32 v8, v4
	v_ashrrev_i32_e32 v7, 31, v7
	v_xor_b32_e32 v10, s20, v10
	v_and_b32_e32 v6, v6, v9
	v_cmp_gt_i32_e64 s20, 0, v4
	v_ashrrev_i32_e32 v4, 31, v8
	v_xor_b32_e32 v7, vcc_lo, v7
	v_lshl_add_u32 v62, v3, 2, v5
	v_and_b32_e32 v6, v6, v10
	v_xor_b32_e32 v3, s20, v4
	ds_read_b32 v59, v62 offset:128
	v_and_b32_e32 v4, v6, v7
	; wave barrier
	v_and_b32_e32 v3, v4, v3
	v_mbcnt_lo_u32_b32 v60, v3, 0
	v_cmp_ne_u32_e64 s20, 0, v3
	v_cmp_eq_u32_e32 vcc_lo, 0, v60
	s_and_b32 s21, s20, vcc_lo
	s_and_saveexec_b32 s20, s21
	s_cbranch_execz .LBB1016_53
; %bb.52:
	s_waitcnt lgkmcnt(0)
	v_bcnt_u32_b32 v3, v3, v59
	ds_write_b32 v62, v3 offset:128
.LBB1016_53:
	s_or_b32 exec_lo, exec_lo, s20
	; wave barrier
	s_waitcnt lgkmcnt(0)
	s_barrier
	buffer_gl0_inv
	ds_read2_b32 v[9:10], v30 offset0:32 offset1:33
	ds_read2_b32 v[7:8], v30 offset0:34 offset1:35
	;; [unrolled: 1-line block ×4, first 2 shown]
	ds_read_b32 v63, v30 offset:160
	v_and_b32_e32 v66, 16, v11
	v_and_b32_e32 v67, 31, v0
	s_mov_b32 s25, exec_lo
	v_cmp_eq_u32_e64 s23, 0, v66
	s_waitcnt lgkmcnt(3)
	v_add3_u32 v64, v10, v9, v7
	s_waitcnt lgkmcnt(2)
	v_add3_u32 v64, v64, v8, v5
	;; [unrolled: 2-line block ×4, first 2 shown]
	v_and_b32_e32 v64, 15, v11
	v_mov_b32_dpp v65, v63 row_shr:1 row_mask:0xf bank_mask:0xf
	v_cmp_eq_u32_e32 vcc_lo, 0, v64
	v_cmp_lt_u32_e64 s20, 1, v64
	v_cmp_lt_u32_e64 s21, 3, v64
	;; [unrolled: 1-line block ×3, first 2 shown]
	v_cndmask_b32_e64 v65, v65, 0, vcc_lo
	v_add_nc_u32_e32 v63, v65, v63
	v_mov_b32_dpp v65, v63 row_shr:2 row_mask:0xf bank_mask:0xf
	v_cndmask_b32_e64 v65, 0, v65, s20
	v_add_nc_u32_e32 v63, v63, v65
	v_mov_b32_dpp v65, v63 row_shr:4 row_mask:0xf bank_mask:0xf
	v_cndmask_b32_e64 v65, 0, v65, s21
	;; [unrolled: 3-line block ×3, first 2 shown]
	v_bfe_i32 v65, v11, 4, 1
	v_add_nc_u32_e32 v63, v63, v64
	ds_swizzle_b32 v64, v63 offset:swizzle(BROADCAST,32,15)
	s_waitcnt lgkmcnt(0)
	v_and_b32_e32 v65, v65, v64
	v_lshrrev_b32_e32 v64, 5, v0
	v_add_nc_u32_e32 v63, v63, v65
	v_cmpx_eq_u32_e32 31, v67
; %bb.54:
	v_lshlrev_b32_e32 v65, 2, v64
	ds_write_b32 v65, v63
; %bb.55:
	s_or_b32 exec_lo, exec_lo, s25
	v_cmp_lt_u32_e64 s24, 31, v0
	s_mov_b32 s50, exec_lo
	s_waitcnt lgkmcnt(0)
	s_barrier
	buffer_gl0_inv
	v_cmpx_gt_u32_e32 32, v0
	s_cbranch_execz .LBB1016_57
; %bb.56:
	v_lshlrev_b32_e32 v65, 2, v0
	ds_read_b32 v66, v65
	s_waitcnt lgkmcnt(0)
	v_mov_b32_dpp v67, v66 row_shr:1 row_mask:0xf bank_mask:0xf
	v_cndmask_b32_e64 v67, v67, 0, vcc_lo
	v_add_nc_u32_e32 v66, v67, v66
	v_mov_b32_dpp v67, v66 row_shr:2 row_mask:0xf bank_mask:0xf
	v_cndmask_b32_e64 v67, 0, v67, s20
	v_add_nc_u32_e32 v66, v66, v67
	v_mov_b32_dpp v67, v66 row_shr:4 row_mask:0xf bank_mask:0xf
	v_cndmask_b32_e64 v67, 0, v67, s21
	;; [unrolled: 3-line block ×3, first 2 shown]
	v_add_nc_u32_e32 v66, v66, v67
	ds_swizzle_b32 v67, v66 offset:swizzle(BROADCAST,32,15)
	s_waitcnt lgkmcnt(0)
	v_cndmask_b32_e64 v67, v67, 0, s23
	v_add_nc_u32_e32 v66, v66, v67
	ds_write_b32 v65, v66
.LBB1016_57:
	s_or_b32 exec_lo, exec_lo, s50
	v_mov_b32_e32 v65, 0
	s_waitcnt lgkmcnt(0)
	s_barrier
	buffer_gl0_inv
	s_and_saveexec_b32 s20, s24
; %bb.58:
	v_lshl_add_u32 v64, v64, 2, -4
	ds_read_b32 v65, v64
; %bb.59:
	s_or_b32 exec_lo, exec_lo, s20
	v_sub_co_u32 v64, vcc_lo, v11, 1
	s_waitcnt lgkmcnt(0)
	v_add_nc_u32_e32 v63, v65, v63
	v_cmp_gt_i32_e64 s20, 0, v64
	v_cndmask_b32_e64 v64, v64, v11, s20
	v_cmp_lt_u32_e64 s20, 0xff, v0
	v_lshlrev_b32_e32 v64, 2, v64
	ds_bpermute_b32 v63, v64, v63
	s_waitcnt lgkmcnt(0)
	v_cndmask_b32_e32 v63, v63, v65, vcc_lo
	v_cmp_gt_u32_e32 vcc_lo, 0x100, v0
	v_cndmask_b32_e64 v63, v63, 0, s7
	v_add_nc_u32_e32 v9, v63, v9
	v_add_nc_u32_e32 v10, v9, v10
	v_add_nc_u32_e32 v7, v10, v7
	v_add_nc_u32_e32 v8, v7, v8
	v_add_nc_u32_e32 v5, v8, v5
	v_add_nc_u32_e32 v6, v5, v6
	v_add_nc_u32_e32 v3, v6, v3
	v_add_nc_u32_e32 v4, v3, v4
	ds_write2_b32 v30, v63, v9 offset0:32 offset1:33
	ds_write2_b32 v30, v10, v7 offset0:34 offset1:35
	;; [unrolled: 1-line block ×4, first 2 shown]
	ds_write_b32 v30, v4 offset:160
	s_waitcnt lgkmcnt(0)
	s_barrier
	buffer_gl0_inv
	ds_read_b32 v31, v31 offset:128
	ds_read_b32 v34, v34 offset:128
	;; [unrolled: 1-line block ×12, first 2 shown]
                                        ; implicit-def: $vgpr9
                                        ; implicit-def: $vgpr10
	s_and_saveexec_b32 s22, vcc_lo
	s_cbranch_execz .LBB1016_63
; %bb.60:
	v_mul_u32_u24_e32 v3, 0x84, v0
	v_add_nc_u32_e32 v4, 1, v0
	s_mov_b32 s23, exec_lo
	ds_read_b32 v9, v3 offset:128
	v_mov_b32_e32 v3, 0x3000
	v_cmpx_ne_u32_e32 0x100, v4
; %bb.61:
	v_mul_u32_u24_e32 v3, 0x84, v4
	ds_read_b32 v3, v3 offset:128
; %bb.62:
	s_or_b32 exec_lo, exec_lo, s23
	s_waitcnt lgkmcnt(0)
	v_sub_nc_u32_e32 v10, v3, v9
.LBB1016_63:
	s_or_b32 exec_lo, exec_lo, s22
	v_mov_b32_e32 v4, 0
	v_lshlrev_b32_e32 v30, 2, v0
	s_waitcnt lgkmcnt(0)
	s_barrier
	buffer_gl0_inv
	s_and_saveexec_b32 s21, vcc_lo
	s_cbranch_execz .LBB1016_73
; %bb.64:
	v_lshl_add_u32 v3, s33, 8, v0
	v_mov_b32_e32 v63, 0
	s_mov_b32 s22, 0
	s_mov_b32 s23, s33
                                        ; implicit-def: $sgpr24
	v_lshlrev_b64 v[5:6], 2, v[3:4]
	v_or_b32_e32 v3, 2.0, v10
	v_add_co_u32 v5, vcc_lo, s26, v5
	v_add_co_ci_u32_e64 v6, null, s27, v6, vcc_lo
	global_store_dword v[5:6], v3, off
	s_branch .LBB1016_67
	.p2align	6
.LBB1016_65:                            ;   in Loop: Header=BB1016_67 Depth=1
	s_or_b32 exec_lo, exec_lo, s25
.LBB1016_66:                            ;   in Loop: Header=BB1016_67 Depth=1
	s_or_b32 exec_lo, exec_lo, s24
	v_and_b32_e32 v7, 0x3fffffff, v3
	v_cmp_gt_i32_e64 s24, -2.0, v3
	v_add_nc_u32_e32 v63, v7, v63
	s_and_b32 s25, exec_lo, s24
	s_or_b32 s22, s25, s22
	s_andn2_b32 exec_lo, exec_lo, s22
	s_cbranch_execz .LBB1016_72
.LBB1016_67:                            ; =>This Loop Header: Depth=1
                                        ;     Child Loop BB1016_70 Depth 2
	s_or_b32 s24, s24, exec_lo
	s_cmp_eq_u32 s23, 0
	s_cbranch_scc1 .LBB1016_71
; %bb.68:                               ;   in Loop: Header=BB1016_67 Depth=1
	s_add_i32 s23, s23, -1
	s_mov_b32 s24, exec_lo
	v_lshl_or_b32 v3, s23, 8, v0
	v_lshlrev_b64 v[7:8], 2, v[3:4]
	v_add_co_u32 v7, vcc_lo, s26, v7
	v_add_co_ci_u32_e64 v8, null, s27, v8, vcc_lo
	global_load_dword v3, v[7:8], off glc dlc
	s_waitcnt vmcnt(0)
	v_cmpx_gt_u32_e32 2.0, v3
	s_cbranch_execz .LBB1016_66
; %bb.69:                               ;   in Loop: Header=BB1016_67 Depth=1
	s_mov_b32 s25, 0
.LBB1016_70:                            ;   Parent Loop BB1016_67 Depth=1
                                        ; =>  This Inner Loop Header: Depth=2
	global_load_dword v3, v[7:8], off glc dlc
	s_waitcnt vmcnt(0)
	v_cmp_lt_u32_e32 vcc_lo, 0x3fffffff, v3
	s_or_b32 s25, vcc_lo, s25
	s_andn2_b32 exec_lo, exec_lo, s25
	s_cbranch_execnz .LBB1016_70
	s_branch .LBB1016_65
.LBB1016_71:                            ;   in Loop: Header=BB1016_67 Depth=1
                                        ; implicit-def: $sgpr23
	s_and_b32 s25, exec_lo, s24
	s_or_b32 s22, s25, s22
	s_andn2_b32 exec_lo, exec_lo, s22
	s_cbranch_execnz .LBB1016_67
.LBB1016_72:
	s_or_b32 exec_lo, exec_lo, s22
	v_add_nc_u32_e32 v3, v63, v10
	v_sub_nc_u32_e32 v4, v63, v9
	v_or_b32_e32 v3, 0x80000000, v3
	global_store_dword v[5:6], v3, off
	global_load_dword v3, v30, s[28:29]
	s_waitcnt vmcnt(0)
	v_add_nc_u32_e32 v3, v4, v3
	ds_write_b32 v30, v3
.LBB1016_73:
	s_or_b32 exec_lo, exec_lo, s21
	v_add_nc_u32_e32 v5, v31, v27
	v_add3_u32 v6, v29, v28, v34
	v_add3_u32 v7, v33, v32, v37
	;; [unrolled: 1-line block ×11, first 2 shown]
	v_mov_b32_e32 v4, 0
	v_mov_b32_e32 v36, v5
	v_mov_b32_e32 v37, v6
	v_mov_b32_e32 v38, v7
	v_mov_b32_e32 v39, v8
	v_mov_b32_e32 v40, v27
	v_mov_b32_e32 v41, v28
	v_mov_b32_e32 v42, v29
	v_mov_b32_e32 v43, v31
	v_mov_b32_e32 v44, v32
	v_mov_b32_e32 v45, v33
	v_mov_b32_e32 v46, v34
	v_mov_b32_e32 v47, v35
	v_mov_b32_e32 v48, v0
	s_mov_b32 s21, 32
	s_mov_b32 s23, 0
	s_mov_b32 s22, -1
	s_branch .LBB1016_75
.LBB1016_74:                            ;   in Loop: Header=BB1016_75 Depth=1
	s_or_b32 exec_lo, exec_lo, s24
	v_add_nc_u32_e32 v48, 0x2000, v48
	v_add_nc_u32_e32 v47, 0xffffe000, v47
	;; [unrolled: 1-line block ×13, first 2 shown]
	s_xor_b32 s23, s22, -1
	s_mov_b32 s22, 0
	s_and_b32 vcc_lo, exec_lo, s23
	s_mov_b32 s23, s21
	s_waitcnt_vscnt null, 0x0
	s_barrier
	buffer_gl0_inv
	s_cbranch_vccnz .LBB1016_91
.LBB1016_75:                            ; =>This Inner Loop Header: Depth=1
	v_min_u32_e32 v3, 0x2000, v36
	v_min_u32_e32 v49, 0x2000, v37
	;; [unrolled: 1-line block ×5, first 2 shown]
	v_lshlrev_b32_e32 v3, 2, v3
	v_lshlrev_b32_e32 v49, 2, v49
	v_min_u32_e32 v53, 0x2000, v41
	v_lshlrev_b32_e32 v50, 2, v50
	s_mov_b32 s24, exec_lo
	ds_write_b32 v3, v16 offset:1024
	ds_write_b32 v49, v15 offset:1024
	v_min_u32_e32 v3, 0x2000, v42
	v_lshlrev_b32_e32 v49, 2, v51
	v_lshlrev_b32_e32 v51, 2, v52
	;; [unrolled: 1-line block ×3, first 2 shown]
	ds_write_b32 v50, v18 offset:1024
	v_lshlrev_b32_e32 v3, 2, v3
	ds_write_b32 v49, v17 offset:1024
	ds_write_b32 v51, v20 offset:1024
	;; [unrolled: 1-line block ×3, first 2 shown]
	v_min_u32_e32 v49, 0x2000, v43
	v_min_u32_e32 v50, 0x2000, v45
	;; [unrolled: 1-line block ×3, first 2 shown]
	ds_write_b32 v3, v22 offset:1024
	v_min_u32_e32 v3, 0x2000, v44
	v_lshlrev_b32_e32 v49, 2, v49
	v_min_u32_e32 v52, 0x2000, v47
	v_lshlrev_b32_e32 v50, 2, v50
	v_lshlrev_b32_e32 v51, 2, v51
	;; [unrolled: 1-line block ×3, first 2 shown]
	ds_write_b32 v49, v21 offset:1024
	v_lshlrev_b32_e32 v49, 2, v52
	ds_write_b32 v3, v24 offset:1024
	ds_write_b32 v50, v23 offset:1024
	;; [unrolled: 1-line block ×4, first 2 shown]
	s_waitcnt lgkmcnt(0)
	s_waitcnt_vscnt null, 0x0
	s_barrier
	buffer_gl0_inv
	v_cmpx_gt_u32_e64 s48, v48
	s_cbranch_execz .LBB1016_77
; %bb.76:                               ;   in Loop: Header=BB1016_75 Depth=1
	ds_read_b32 v51, v30 offset:1024
	s_waitcnt lgkmcnt(0)
	v_lshrrev_b32_e32 v3, s44, v51
	v_and_b32_e32 v52, s49, v3
	v_lshlrev_b32_e32 v3, 2, v52
	ds_read_b32 v3, v3
	s_waitcnt lgkmcnt(0)
	v_add_nc_u32_e32 v3, v48, v3
	v_lshlrev_b64 v[49:50], 2, v[3:4]
	v_xor_b32_e32 v3, 0x7fffffff, v51
	v_mov_b32_e32 v51, s23
	v_add_co_u32 v49, vcc_lo, s38, v49
	v_add_co_ci_u32_e64 v50, null, s39, v50, vcc_lo
	buffer_store_dword v52, v51, s[0:3], 0 offen
	global_store_dword v[49:50], v3, off
.LBB1016_77:                            ;   in Loop: Header=BB1016_75 Depth=1
	s_or_b32 exec_lo, exec_lo, s24
	v_add_nc_u32_e32 v3, 0x400, v48
	s_mov_b32 s24, exec_lo
	v_cmpx_gt_u32_e64 s48, v3
	s_cbranch_execz .LBB1016_79
; %bb.78:                               ;   in Loop: Header=BB1016_75 Depth=1
	ds_read_b32 v51, v30 offset:5120
	s_waitcnt lgkmcnt(0)
	v_lshrrev_b32_e32 v3, s44, v51
	v_and_b32_e32 v52, s49, v3
	v_lshlrev_b32_e32 v3, 2, v52
	ds_read_b32 v3, v3
	s_waitcnt lgkmcnt(0)
	v_add3_u32 v3, v48, v3, 0x400
	v_lshlrev_b64 v[49:50], 2, v[3:4]
	v_xor_b32_e32 v3, 0x7fffffff, v51
	v_mov_b32_e32 v51, s23
	v_add_co_u32 v49, vcc_lo, s38, v49
	v_add_co_ci_u32_e64 v50, null, s39, v50, vcc_lo
	buffer_store_dword v52, v51, s[0:3], 0 offen offset:4
	global_store_dword v[49:50], v3, off
.LBB1016_79:                            ;   in Loop: Header=BB1016_75 Depth=1
	s_or_b32 exec_lo, exec_lo, s24
	v_add_nc_u32_e32 v3, 0x800, v48
	s_mov_b32 s24, exec_lo
	v_cmpx_gt_u32_e64 s48, v3
	s_cbranch_execz .LBB1016_81
; %bb.80:                               ;   in Loop: Header=BB1016_75 Depth=1
	ds_read_b32 v51, v30 offset:9216
	s_waitcnt lgkmcnt(0)
	v_lshrrev_b32_e32 v3, s44, v51
	v_and_b32_e32 v52, s49, v3
	v_lshlrev_b32_e32 v3, 2, v52
	ds_read_b32 v3, v3
	s_waitcnt lgkmcnt(0)
	v_add3_u32 v3, v48, v3, 0x800
	v_lshlrev_b64 v[49:50], 2, v[3:4]
	v_xor_b32_e32 v3, 0x7fffffff, v51
	v_mov_b32_e32 v51, s23
	v_add_co_u32 v49, vcc_lo, s38, v49
	v_add_co_ci_u32_e64 v50, null, s39, v50, vcc_lo
	buffer_store_dword v52, v51, s[0:3], 0 offen offset:8
	global_store_dword v[49:50], v3, off
.LBB1016_81:                            ;   in Loop: Header=BB1016_75 Depth=1
	;; [unrolled: 22-line block ×6, first 2 shown]
	s_or_b32 exec_lo, exec_lo, s24
	v_add_nc_u32_e32 v3, 0x1c00, v48
	s_mov_b32 s24, exec_lo
	v_cmpx_gt_u32_e64 s48, v3
	s_cbranch_execz .LBB1016_74
; %bb.90:                               ;   in Loop: Header=BB1016_75 Depth=1
	ds_read_b32 v51, v30 offset:29696
	s_waitcnt lgkmcnt(0)
	v_lshrrev_b32_e32 v3, s44, v51
	v_and_b32_e32 v52, s49, v3
	v_lshlrev_b32_e32 v3, 2, v52
	ds_read_b32 v3, v3
	s_waitcnt lgkmcnt(0)
	v_add3_u32 v3, v48, v3, 0x1c00
	v_lshlrev_b64 v[49:50], 2, v[3:4]
	v_xor_b32_e32 v3, 0x7fffffff, v51
	v_mov_b32_e32 v51, s23
	v_add_co_u32 v49, vcc_lo, s38, v49
	v_add_co_ci_u32_e64 v50, null, s39, v50, vcc_lo
	buffer_store_dword v52, v51, s[0:3], 0 offen offset:28
	global_store_dword v[49:50], v3, off
	s_branch .LBB1016_74
.LBB1016_91:
	s_add_u32 s22, s40, s46
	s_addc_u32 s23, s41, s47
	v_add_co_u32 v3, s22, s22, v13
	v_add_co_ci_u32_e64 v4, null, s23, 0, s22
                                        ; implicit-def: $vgpr13
	v_add_co_u32 v3, vcc_lo, v3, v14
	v_add_co_ci_u32_e64 v4, null, 0, v4, vcc_lo
	s_and_saveexec_b32 s22, s8
	s_cbranch_execz .LBB1016_103
; %bb.92:
	global_load_dword v13, v[3:4], off
	s_or_b32 exec_lo, exec_lo, s22
                                        ; implicit-def: $vgpr14
	s_and_saveexec_b32 s8, s9
	s_cbranch_execnz .LBB1016_104
.LBB1016_93:
	s_or_b32 exec_lo, exec_lo, s8
                                        ; implicit-def: $vgpr15
	s_and_saveexec_b32 s8, s10
	s_cbranch_execz .LBB1016_105
.LBB1016_94:
	global_load_dword v15, v[3:4], off offset:256
	s_or_b32 exec_lo, exec_lo, s8
                                        ; implicit-def: $vgpr16
	s_and_saveexec_b32 s8, s11
	s_cbranch_execnz .LBB1016_106
.LBB1016_95:
	s_or_b32 exec_lo, exec_lo, s8
                                        ; implicit-def: $vgpr17
	s_and_saveexec_b32 s8, s12
	s_cbranch_execz .LBB1016_107
.LBB1016_96:
	global_load_dword v17, v[3:4], off offset:512
	s_or_b32 exec_lo, exec_lo, s8
                                        ; implicit-def: $vgpr18
	s_and_saveexec_b32 s8, s13
	s_cbranch_execnz .LBB1016_108
.LBB1016_97:
	s_or_b32 exec_lo, exec_lo, s8
                                        ; implicit-def: $vgpr19
	s_and_saveexec_b32 s8, s14
	s_cbranch_execz .LBB1016_109
.LBB1016_98:
	global_load_dword v19, v[3:4], off offset:768
	s_or_b32 exec_lo, exec_lo, s8
                                        ; implicit-def: $vgpr20
	s_and_saveexec_b32 s8, s15
	s_cbranch_execnz .LBB1016_110
.LBB1016_99:
	s_or_b32 exec_lo, exec_lo, s8
                                        ; implicit-def: $vgpr21
	s_and_saveexec_b32 s8, s16
	s_cbranch_execz .LBB1016_111
.LBB1016_100:
	global_load_dword v21, v[3:4], off offset:1024
	s_or_b32 exec_lo, exec_lo, s8
                                        ; implicit-def: $vgpr22
	s_and_saveexec_b32 s8, s17
	s_cbranch_execnz .LBB1016_112
.LBB1016_101:
	s_or_b32 exec_lo, exec_lo, s8
                                        ; implicit-def: $vgpr23
	s_and_saveexec_b32 s8, s18
	s_cbranch_execz .LBB1016_113
.LBB1016_102:
	global_load_dword v23, v[3:4], off offset:1280
	s_or_b32 exec_lo, exec_lo, s8
                                        ; implicit-def: $vgpr24
	s_and_saveexec_b32 s8, s19
	s_cbranch_execnz .LBB1016_114
	s_branch .LBB1016_115
.LBB1016_103:
	s_or_b32 exec_lo, exec_lo, s22
                                        ; implicit-def: $vgpr14
	s_and_saveexec_b32 s8, s9
	s_cbranch_execz .LBB1016_93
.LBB1016_104:
	global_load_dword v14, v[3:4], off offset:128
	s_or_b32 exec_lo, exec_lo, s8
                                        ; implicit-def: $vgpr15
	s_and_saveexec_b32 s8, s10
	s_cbranch_execnz .LBB1016_94
.LBB1016_105:
	s_or_b32 exec_lo, exec_lo, s8
                                        ; implicit-def: $vgpr16
	s_and_saveexec_b32 s8, s11
	s_cbranch_execz .LBB1016_95
.LBB1016_106:
	global_load_dword v16, v[3:4], off offset:384
	s_or_b32 exec_lo, exec_lo, s8
                                        ; implicit-def: $vgpr17
	s_and_saveexec_b32 s8, s12
	s_cbranch_execnz .LBB1016_96
.LBB1016_107:
	s_or_b32 exec_lo, exec_lo, s8
                                        ; implicit-def: $vgpr18
	s_and_saveexec_b32 s8, s13
	s_cbranch_execz .LBB1016_97
.LBB1016_108:
	global_load_dword v18, v[3:4], off offset:640
	s_or_b32 exec_lo, exec_lo, s8
                                        ; implicit-def: $vgpr19
	s_and_saveexec_b32 s8, s14
	s_cbranch_execnz .LBB1016_98
.LBB1016_109:
	s_or_b32 exec_lo, exec_lo, s8
                                        ; implicit-def: $vgpr20
	s_and_saveexec_b32 s8, s15
	s_cbranch_execz .LBB1016_99
.LBB1016_110:
	global_load_dword v20, v[3:4], off offset:896
	s_or_b32 exec_lo, exec_lo, s8
                                        ; implicit-def: $vgpr21
	s_and_saveexec_b32 s8, s16
	s_cbranch_execnz .LBB1016_100
.LBB1016_111:
	s_or_b32 exec_lo, exec_lo, s8
                                        ; implicit-def: $vgpr22
	s_and_saveexec_b32 s8, s17
	s_cbranch_execz .LBB1016_101
.LBB1016_112:
	global_load_dword v22, v[3:4], off offset:1152
	s_or_b32 exec_lo, exec_lo, s8
                                        ; implicit-def: $vgpr23
	s_and_saveexec_b32 s8, s18
	s_cbranch_execnz .LBB1016_102
.LBB1016_113:
	s_or_b32 exec_lo, exec_lo, s8
                                        ; implicit-def: $vgpr24
	s_and_saveexec_b32 s8, s19
	s_cbranch_execz .LBB1016_115
.LBB1016_114:
	global_load_dword v24, v[3:4], off offset:1408
.LBB1016_115:
	s_or_b32 exec_lo, exec_lo, s8
	v_mov_b32_e32 v4, 0
	v_mov_b32_e32 v25, v0
	s_mov_b32 s9, 0
	s_mov_b32 s8, -1
	s_branch .LBB1016_117
.LBB1016_116:                           ;   in Loop: Header=BB1016_117 Depth=1
	s_or_b32 exec_lo, exec_lo, s10
	v_add_nc_u32_e32 v25, 0x2000, v25
	v_add_nc_u32_e32 v35, 0xffffe000, v35
	;; [unrolled: 1-line block ×13, first 2 shown]
	s_xor_b32 s9, s8, -1
	s_mov_b32 s8, 0
	s_and_b32 vcc_lo, exec_lo, s9
	s_mov_b32 s9, s21
	s_waitcnt_vscnt null, 0x0
	s_barrier
	buffer_gl0_inv
	s_cbranch_vccnz .LBB1016_133
.LBB1016_117:                           ; =>This Inner Loop Header: Depth=1
	v_min_u32_e32 v3, 0x2000, v5
	v_min_u32_e32 v26, 0x2000, v6
	;; [unrolled: 1-line block ×5, first 2 shown]
	v_lshlrev_b32_e32 v3, 2, v3
	v_lshlrev_b32_e32 v26, 2, v26
	v_min_u32_e32 v39, 0x2000, v28
	v_lshlrev_b32_e32 v36, 2, v36
	s_mov_b32 s10, exec_lo
	s_waitcnt vmcnt(0)
	ds_write_b32 v3, v13 offset:1024
	ds_write_b32 v26, v14 offset:1024
	v_min_u32_e32 v3, 0x2000, v29
	v_lshlrev_b32_e32 v26, 2, v37
	v_lshlrev_b32_e32 v37, 2, v38
	;; [unrolled: 1-line block ×3, first 2 shown]
	ds_write_b32 v36, v15 offset:1024
	v_lshlrev_b32_e32 v3, 2, v3
	ds_write_b32 v26, v16 offset:1024
	ds_write_b32 v37, v17 offset:1024
	;; [unrolled: 1-line block ×3, first 2 shown]
	v_min_u32_e32 v26, 0x2000, v31
	v_min_u32_e32 v36, 0x2000, v33
	;; [unrolled: 1-line block ×3, first 2 shown]
	ds_write_b32 v3, v19 offset:1024
	v_min_u32_e32 v3, 0x2000, v32
	v_lshlrev_b32_e32 v26, 2, v26
	v_min_u32_e32 v38, 0x2000, v35
	v_lshlrev_b32_e32 v36, 2, v36
	v_lshlrev_b32_e32 v37, 2, v37
	;; [unrolled: 1-line block ×3, first 2 shown]
	ds_write_b32 v26, v20 offset:1024
	v_lshlrev_b32_e32 v26, 2, v38
	ds_write_b32 v3, v21 offset:1024
	ds_write_b32 v36, v22 offset:1024
	;; [unrolled: 1-line block ×4, first 2 shown]
	s_waitcnt lgkmcnt(0)
	s_barrier
	buffer_gl0_inv
	v_cmpx_gt_u32_e64 s48, v25
	s_cbranch_execz .LBB1016_119
; %bb.118:                              ;   in Loop: Header=BB1016_117 Depth=1
	v_mov_b32_e32 v3, s9
	buffer_load_dword v3, v3, s[0:3], 0 offen
	s_waitcnt vmcnt(0)
	v_lshlrev_b32_e32 v3, 2, v3
	ds_read_b32 v3, v3
	ds_read_b32 v26, v30 offset:1024
	s_waitcnt lgkmcnt(1)
	v_add_nc_u32_e32 v3, v25, v3
	v_lshlrev_b64 v[36:37], 2, v[3:4]
	v_add_co_u32 v36, vcc_lo, s42, v36
	v_add_co_ci_u32_e64 v37, null, s43, v37, vcc_lo
	s_waitcnt lgkmcnt(0)
	global_store_dword v[36:37], v26, off
.LBB1016_119:                           ;   in Loop: Header=BB1016_117 Depth=1
	s_or_b32 exec_lo, exec_lo, s10
	v_add_nc_u32_e32 v3, 0x400, v25
	s_mov_b32 s10, exec_lo
	v_cmpx_gt_u32_e64 s48, v3
	s_cbranch_execz .LBB1016_121
; %bb.120:                              ;   in Loop: Header=BB1016_117 Depth=1
	v_mov_b32_e32 v3, s9
	buffer_load_dword v3, v3, s[0:3], 0 offen offset:4
	s_waitcnt vmcnt(0)
	v_lshlrev_b32_e32 v3, 2, v3
	ds_read_b32 v3, v3
	ds_read_b32 v26, v30 offset:5120
	s_waitcnt lgkmcnt(1)
	v_add3_u32 v3, v25, v3, 0x400
	v_lshlrev_b64 v[36:37], 2, v[3:4]
	v_add_co_u32 v36, vcc_lo, s42, v36
	v_add_co_ci_u32_e64 v37, null, s43, v37, vcc_lo
	s_waitcnt lgkmcnt(0)
	global_store_dword v[36:37], v26, off
.LBB1016_121:                           ;   in Loop: Header=BB1016_117 Depth=1
	s_or_b32 exec_lo, exec_lo, s10
	v_add_nc_u32_e32 v3, 0x800, v25
	s_mov_b32 s10, exec_lo
	v_cmpx_gt_u32_e64 s48, v3
	s_cbranch_execz .LBB1016_123
; %bb.122:                              ;   in Loop: Header=BB1016_117 Depth=1
	v_mov_b32_e32 v3, s9
	buffer_load_dword v3, v3, s[0:3], 0 offen offset:8
	s_waitcnt vmcnt(0)
	v_lshlrev_b32_e32 v3, 2, v3
	ds_read_b32 v3, v3
	ds_read_b32 v26, v30 offset:9216
	s_waitcnt lgkmcnt(1)
	v_add3_u32 v3, v25, v3, 0x800
	v_lshlrev_b64 v[36:37], 2, v[3:4]
	v_add_co_u32 v36, vcc_lo, s42, v36
	v_add_co_ci_u32_e64 v37, null, s43, v37, vcc_lo
	s_waitcnt lgkmcnt(0)
	global_store_dword v[36:37], v26, off
.LBB1016_123:                           ;   in Loop: Header=BB1016_117 Depth=1
	;; [unrolled: 20-line block ×6, first 2 shown]
	s_or_b32 exec_lo, exec_lo, s10
	v_add_nc_u32_e32 v3, 0x1c00, v25
	s_mov_b32 s10, exec_lo
	v_cmpx_gt_u32_e64 s48, v3
	s_cbranch_execz .LBB1016_116
; %bb.132:                              ;   in Loop: Header=BB1016_117 Depth=1
	v_mov_b32_e32 v3, s9
	buffer_load_dword v3, v3, s[0:3], 0 offen offset:28
	s_waitcnt vmcnt(0)
	v_lshlrev_b32_e32 v3, 2, v3
	ds_read_b32 v3, v3
	ds_read_b32 v26, v30 offset:29696
	s_waitcnt lgkmcnt(1)
	v_add3_u32 v3, v25, v3, 0x1c00
	v_lshlrev_b64 v[36:37], 2, v[3:4]
	v_add_co_u32 v36, vcc_lo, s42, v36
	v_add_co_ci_u32_e64 v37, null, s43, v37, vcc_lo
	s_waitcnt lgkmcnt(0)
	global_store_dword v[36:37], v26, off
	s_branch .LBB1016_116
.LBB1016_133:
	s_add_i32 s35, s35, -1
	s_cmp_eq_u32 s33, s35
	s_cselect_b32 s8, -1, 0
	s_xor_b32 s9, s20, -1
	s_and_b32 s9, s9, s8
	s_and_saveexec_b32 s8, s9
	s_cbranch_execz .LBB1016_135
; %bb.134:
	ds_read_b32 v3, v30
	s_waitcnt lgkmcnt(0)
	v_add3_u32 v3, v9, v10, v3
	global_store_dword v30, v3, s[30:31]
.LBB1016_135:
	s_or_b32 exec_lo, exec_lo, s8
	s_mov_b32 s9, 0
.LBB1016_136:
	s_and_b32 vcc_lo, exec_lo, s9
	s_cbranch_vccz .LBB1016_203
; %bb.137:
	s_mov_b32 s35, 0
	v_mul_u32_u24_e32 v3, 12, v12
	v_lshlrev_b32_e32 v9, 2, v11
	s_lshl_b64 s[12:13], s[34:35], 2
	v_mov_b32_e32 v22, 0
	s_add_u32 s8, s36, s12
	s_addc_u32 s9, s37, s13
	v_lshlrev_b32_e32 v10, 2, v3
	v_add_co_u32 v3, s8, s8, v9
	v_add_co_ci_u32_e64 v4, null, s9, 0, s8
	v_add_co_u32 v18, vcc_lo, v3, v10
	v_add_co_ci_u32_e64 v19, null, 0, v4, vcc_lo
	global_load_dword v12, v[18:19], off
	s_clause 0x1
	s_load_dword s8, s[4:5], 0x64
	s_load_dword s11, s[4:5], 0x58
	s_add_u32 s4, s4, 0x58
	s_addc_u32 s5, s5, 0
	s_waitcnt lgkmcnt(0)
	s_lshr_b32 s8, s8, 16
	s_cmp_lt_u32 s6, s11
	v_mad_u32_u24 v1, v2, s8, v1
	s_cselect_b32 s6, 12, 18
	s_add_u32 s4, s4, s6
	s_addc_u32 s5, s5, 0
	global_load_ushort v16, v22, s[4:5]
	s_clause 0xa
	global_load_dword v13, v[18:19], off offset:128
	global_load_dword v14, v[18:19], off offset:256
	;; [unrolled: 1-line block ×11, first 2 shown]
	s_lshl_b32 s4, -1, s45
	s_not_b32 s14, s4
	s_waitcnt vmcnt(12)
	v_xor_b32_e32 v12, 0x7fffffff, v12
	v_lshrrev_b32_e32 v18, s44, v12
	v_and_b32_e32 v18, s14, v18
	v_and_b32_e32 v19, 1, v18
	v_lshlrev_b32_e32 v21, 30, v18
	v_lshlrev_b32_e32 v23, 29, v18
	;; [unrolled: 1-line block ×4, first 2 shown]
	v_add_co_u32 v19, s4, v19, -1
	v_cndmask_b32_e64 v25, 0, 1, s4
	v_not_b32_e32 v29, v21
	v_cmp_gt_i32_e64 s4, 0, v21
	v_not_b32_e32 v21, v23
	v_lshlrev_b32_e32 v27, 26, v18
	v_cmp_ne_u32_e32 vcc_lo, 0, v25
	v_ashrrev_i32_e32 v29, 31, v29
	v_lshlrev_b32_e32 v28, 25, v18
	v_ashrrev_i32_e32 v21, 31, v21
	v_lshlrev_b32_e32 v25, 24, v18
	v_xor_b32_e32 v19, vcc_lo, v19
	v_cmp_gt_i32_e32 vcc_lo, 0, v23
	v_not_b32_e32 v23, v24
	v_xor_b32_e32 v29, s4, v29
	v_cmp_gt_i32_e64 s4, 0, v24
	v_and_b32_e32 v19, exec_lo, v19
	v_not_b32_e32 v24, v26
	v_ashrrev_i32_e32 v23, 31, v23
	v_xor_b32_e32 v21, vcc_lo, v21
	v_cmp_gt_i32_e32 vcc_lo, 0, v26
	v_and_b32_e32 v19, v19, v29
	v_not_b32_e32 v26, v27
	v_ashrrev_i32_e32 v24, 31, v24
	v_xor_b32_e32 v23, s4, v23
	v_cmp_gt_i32_e64 s4, 0, v27
	v_and_b32_e32 v19, v19, v21
	v_not_b32_e32 v21, v28
	v_ashrrev_i32_e32 v26, 31, v26
	v_xor_b32_e32 v24, vcc_lo, v24
	v_cmp_gt_i32_e32 vcc_lo, 0, v28
	v_and_b32_e32 v19, v19, v23
	v_not_b32_e32 v23, v25
	v_ashrrev_i32_e32 v21, 31, v21
	v_xor_b32_e32 v26, s4, v26
	v_cmp_gt_i32_e64 s4, 0, v25
	v_and_b32_e32 v19, v19, v24
	v_ashrrev_i32_e32 v23, 31, v23
	v_xor_b32_e32 v21, vcc_lo, v21
	s_waitcnt vmcnt(11)
	v_mad_u64_u32 v[1:2], null, v1, v16, v[0:1]
	v_and_b32_e32 v19, v19, v26
	v_xor_b32_e32 v23, s4, v23
	v_mul_lo_u32 v18, 0x84, v18
	v_and_b32_e32 v19, v19, v21
	v_mul_u32_u24_e32 v21, 36, v0
	v_lshrrev_b32_e32 v1, 5, v1
	ds_write2_b32 v21, v22, v22 offset0:32 offset1:33
	ds_write2_b32 v21, v22, v22 offset0:34 offset1:35
	;; [unrolled: 1-line block ×3, first 2 shown]
	v_and_b32_e32 v2, v19, v23
	ds_write2_b32 v21, v22, v22 offset0:38 offset1:39
	ds_write_b32 v21, v22 offset:160
	v_lshl_add_u32 v22, v1, 2, v18
	s_waitcnt vmcnt(0) lgkmcnt(0)
	s_waitcnt_vscnt null, 0x0
	s_barrier
	v_mbcnt_lo_u32_b32 v16, v2, 0
	v_cmp_ne_u32_e64 s4, 0, v2
	buffer_gl0_inv
	; wave barrier
	v_cmp_eq_u32_e32 vcc_lo, 0, v16
	s_and_b32 s5, s4, vcc_lo
	s_and_saveexec_b32 s4, s5
; %bb.138:
	v_bcnt_u32_b32 v2, v2, 0
	ds_write_b32 v22, v2 offset:128
; %bb.139:
	s_or_b32 exec_lo, exec_lo, s4
	v_xor_b32_e32 v13, 0x7fffffff, v13
	; wave barrier
	v_lshrrev_b32_e32 v2, s44, v13
	v_and_b32_e32 v2, s14, v2
	v_and_b32_e32 v19, 1, v2
	v_lshlrev_b32_e32 v23, 30, v2
	v_lshlrev_b32_e32 v24, 29, v2
	;; [unrolled: 1-line block ×4, first 2 shown]
	v_add_co_u32 v19, s4, v19, -1
	v_cndmask_b32_e64 v26, 0, 1, s4
	v_not_b32_e32 v30, v23
	v_cmp_gt_i32_e64 s4, 0, v23
	v_not_b32_e32 v23, v24
	v_lshlrev_b32_e32 v28, 26, v2
	v_cmp_ne_u32_e32 vcc_lo, 0, v26
	v_ashrrev_i32_e32 v26, 31, v30
	v_lshlrev_b32_e32 v29, 25, v2
	v_ashrrev_i32_e32 v23, 31, v23
	v_mul_lo_u32 v18, 0x84, v2
	v_xor_b32_e32 v19, vcc_lo, v19
	v_cmp_gt_i32_e32 vcc_lo, 0, v24
	v_not_b32_e32 v24, v25
	v_xor_b32_e32 v26, s4, v26
	v_cmp_gt_i32_e64 s4, 0, v25
	v_and_b32_e32 v19, exec_lo, v19
	v_not_b32_e32 v25, v27
	v_ashrrev_i32_e32 v24, 31, v24
	v_xor_b32_e32 v23, vcc_lo, v23
	v_cmp_gt_i32_e32 vcc_lo, 0, v27
	v_and_b32_e32 v19, v19, v26
	v_not_b32_e32 v26, v28
	v_ashrrev_i32_e32 v25, 31, v25
	v_xor_b32_e32 v24, s4, v24
	v_lshlrev_b32_e32 v2, 24, v2
	v_and_b32_e32 v19, v19, v23
	v_cmp_gt_i32_e64 s4, 0, v28
	v_not_b32_e32 v23, v29
	v_ashrrev_i32_e32 v26, 31, v26
	v_xor_b32_e32 v25, vcc_lo, v25
	v_and_b32_e32 v19, v19, v24
	v_cmp_gt_i32_e32 vcc_lo, 0, v29
	v_not_b32_e32 v24, v2
	v_ashrrev_i32_e32 v23, 31, v23
	v_xor_b32_e32 v26, s4, v26
	v_and_b32_e32 v19, v19, v25
	v_cmp_gt_i32_e64 s4, 0, v2
	v_ashrrev_i32_e32 v2, 31, v24
	v_xor_b32_e32 v23, vcc_lo, v23
	v_and_b32_e32 v19, v19, v26
	v_lshl_add_u32 v26, v1, 2, v18
	v_xor_b32_e32 v2, s4, v2
	v_and_b32_e32 v19, v19, v23
	ds_read_b32 v18, v26 offset:128
	; wave barrier
	v_and_b32_e32 v2, v19, v2
	v_mbcnt_lo_u32_b32 v19, v2, 0
	v_cmp_ne_u32_e64 s4, 0, v2
	v_cmp_eq_u32_e32 vcc_lo, 0, v19
	s_and_b32 s5, s4, vcc_lo
	s_and_saveexec_b32 s4, s5
	s_cbranch_execz .LBB1016_141
; %bb.140:
	s_waitcnt lgkmcnt(0)
	v_bcnt_u32_b32 v2, v2, v18
	ds_write_b32 v26, v2 offset:128
.LBB1016_141:
	s_or_b32 exec_lo, exec_lo, s4
	v_xor_b32_e32 v14, 0x7fffffff, v14
	; wave barrier
	v_lshrrev_b32_e32 v2, s44, v14
	v_and_b32_e32 v2, s14, v2
	v_and_b32_e32 v24, 1, v2
	v_lshlrev_b32_e32 v25, 30, v2
	v_lshlrev_b32_e32 v27, 29, v2
	;; [unrolled: 1-line block ×4, first 2 shown]
	v_add_co_u32 v24, s4, v24, -1
	v_cndmask_b32_e64 v29, 0, 1, s4
	v_not_b32_e32 v33, v25
	v_cmp_gt_i32_e64 s4, 0, v25
	v_not_b32_e32 v25, v27
	v_lshlrev_b32_e32 v31, 26, v2
	v_cmp_ne_u32_e32 vcc_lo, 0, v29
	v_ashrrev_i32_e32 v29, 31, v33
	v_lshlrev_b32_e32 v32, 25, v2
	v_ashrrev_i32_e32 v25, 31, v25
	v_mul_lo_u32 v23, 0x84, v2
	v_xor_b32_e32 v24, vcc_lo, v24
	v_cmp_gt_i32_e32 vcc_lo, 0, v27
	v_not_b32_e32 v27, v28
	v_xor_b32_e32 v29, s4, v29
	v_cmp_gt_i32_e64 s4, 0, v28
	v_and_b32_e32 v24, exec_lo, v24
	v_not_b32_e32 v28, v30
	v_ashrrev_i32_e32 v27, 31, v27
	v_xor_b32_e32 v25, vcc_lo, v25
	v_cmp_gt_i32_e32 vcc_lo, 0, v30
	v_and_b32_e32 v24, v24, v29
	v_not_b32_e32 v29, v31
	v_ashrrev_i32_e32 v28, 31, v28
	v_xor_b32_e32 v27, s4, v27
	v_lshlrev_b32_e32 v2, 24, v2
	v_and_b32_e32 v24, v24, v25
	v_cmp_gt_i32_e64 s4, 0, v31
	v_not_b32_e32 v25, v32
	v_ashrrev_i32_e32 v29, 31, v29
	v_xor_b32_e32 v28, vcc_lo, v28
	v_and_b32_e32 v24, v24, v27
	v_cmp_gt_i32_e32 vcc_lo, 0, v32
	v_not_b32_e32 v27, v2
	v_ashrrev_i32_e32 v25, 31, v25
	v_xor_b32_e32 v29, s4, v29
	v_and_b32_e32 v24, v24, v28
	v_cmp_gt_i32_e64 s4, 0, v2
	v_ashrrev_i32_e32 v2, 31, v27
	v_xor_b32_e32 v25, vcc_lo, v25
	v_lshl_add_u32 v30, v1, 2, v23
	v_and_b32_e32 v24, v24, v29
	v_xor_b32_e32 v2, s4, v2
	ds_read_b32 v23, v30 offset:128
	v_and_b32_e32 v24, v24, v25
	; wave barrier
	v_and_b32_e32 v2, v24, v2
	v_mbcnt_lo_u32_b32 v24, v2, 0
	v_cmp_ne_u32_e64 s4, 0, v2
	v_cmp_eq_u32_e32 vcc_lo, 0, v24
	s_and_b32 s5, s4, vcc_lo
	s_and_saveexec_b32 s4, s5
	s_cbranch_execz .LBB1016_143
; %bb.142:
	s_waitcnt lgkmcnt(0)
	v_bcnt_u32_b32 v2, v2, v23
	ds_write_b32 v30, v2 offset:128
.LBB1016_143:
	s_or_b32 exec_lo, exec_lo, s4
	v_xor_b32_e32 v15, 0x7fffffff, v15
	; wave barrier
	v_lshrrev_b32_e32 v2, s44, v15
	v_and_b32_e32 v2, s14, v2
	v_and_b32_e32 v27, 1, v2
	v_lshlrev_b32_e32 v28, 30, v2
	v_lshlrev_b32_e32 v29, 29, v2
	;; [unrolled: 1-line block ×4, first 2 shown]
	v_add_co_u32 v27, s4, v27, -1
	v_cndmask_b32_e64 v32, 0, 1, s4
	v_not_b32_e32 v36, v28
	v_cmp_gt_i32_e64 s4, 0, v28
	v_not_b32_e32 v28, v29
	v_lshlrev_b32_e32 v34, 26, v2
	v_cmp_ne_u32_e32 vcc_lo, 0, v32
	v_ashrrev_i32_e32 v32, 31, v36
	v_lshlrev_b32_e32 v35, 25, v2
	v_ashrrev_i32_e32 v28, 31, v28
	v_mul_lo_u32 v25, 0x84, v2
	v_xor_b32_e32 v27, vcc_lo, v27
	v_cmp_gt_i32_e32 vcc_lo, 0, v29
	v_not_b32_e32 v29, v31
	v_xor_b32_e32 v32, s4, v32
	v_cmp_gt_i32_e64 s4, 0, v31
	v_and_b32_e32 v27, exec_lo, v27
	v_not_b32_e32 v31, v33
	v_ashrrev_i32_e32 v29, 31, v29
	v_xor_b32_e32 v28, vcc_lo, v28
	v_cmp_gt_i32_e32 vcc_lo, 0, v33
	v_and_b32_e32 v27, v27, v32
	v_not_b32_e32 v32, v34
	v_ashrrev_i32_e32 v31, 31, v31
	v_xor_b32_e32 v29, s4, v29
	v_lshlrev_b32_e32 v2, 24, v2
	v_and_b32_e32 v27, v27, v28
	v_cmp_gt_i32_e64 s4, 0, v34
	v_not_b32_e32 v28, v35
	v_ashrrev_i32_e32 v32, 31, v32
	v_xor_b32_e32 v31, vcc_lo, v31
	v_and_b32_e32 v27, v27, v29
	v_cmp_gt_i32_e32 vcc_lo, 0, v35
	v_not_b32_e32 v29, v2
	v_ashrrev_i32_e32 v28, 31, v28
	v_xor_b32_e32 v32, s4, v32
	v_and_b32_e32 v27, v27, v31
	v_cmp_gt_i32_e64 s4, 0, v2
	v_ashrrev_i32_e32 v2, 31, v29
	v_xor_b32_e32 v28, vcc_lo, v28
	v_lshl_add_u32 v34, v1, 2, v25
	v_and_b32_e32 v27, v27, v32
	v_xor_b32_e32 v2, s4, v2
	v_and_b32_e32 v25, v27, v28
	ds_read_b32 v27, v34 offset:128
	; wave barrier
	v_and_b32_e32 v2, v25, v2
	v_mbcnt_lo_u32_b32 v28, v2, 0
	v_cmp_ne_u32_e64 s4, 0, v2
	v_cmp_eq_u32_e32 vcc_lo, 0, v28
	s_and_b32 s5, s4, vcc_lo
	s_and_saveexec_b32 s4, s5
	s_cbranch_execz .LBB1016_145
; %bb.144:
	s_waitcnt lgkmcnt(0)
	v_bcnt_u32_b32 v2, v2, v27
	ds_write_b32 v34, v2 offset:128
.LBB1016_145:
	s_or_b32 exec_lo, exec_lo, s4
	v_xor_b32_e32 v17, 0x7fffffff, v17
	; wave barrier
	v_lshrrev_b32_e32 v2, s44, v17
	v_and_b32_e32 v2, s14, v2
	v_and_b32_e32 v29, 1, v2
	v_lshlrev_b32_e32 v31, 30, v2
	v_lshlrev_b32_e32 v32, 29, v2
	;; [unrolled: 1-line block ×4, first 2 shown]
	v_add_co_u32 v29, s4, v29, -1
	v_cndmask_b32_e64 v35, 0, 1, s4
	v_not_b32_e32 v39, v31
	v_cmp_gt_i32_e64 s4, 0, v31
	v_not_b32_e32 v31, v32
	v_lshlrev_b32_e32 v37, 26, v2
	v_cmp_ne_u32_e32 vcc_lo, 0, v35
	v_ashrrev_i32_e32 v35, 31, v39
	v_lshlrev_b32_e32 v38, 25, v2
	v_ashrrev_i32_e32 v31, 31, v31
	v_mul_lo_u32 v25, 0x84, v2
	v_xor_b32_e32 v29, vcc_lo, v29
	v_cmp_gt_i32_e32 vcc_lo, 0, v32
	v_not_b32_e32 v32, v33
	v_xor_b32_e32 v35, s4, v35
	v_cmp_gt_i32_e64 s4, 0, v33
	v_and_b32_e32 v29, exec_lo, v29
	v_not_b32_e32 v33, v36
	v_ashrrev_i32_e32 v32, 31, v32
	v_xor_b32_e32 v31, vcc_lo, v31
	v_cmp_gt_i32_e32 vcc_lo, 0, v36
	v_and_b32_e32 v29, v29, v35
	v_not_b32_e32 v35, v37
	v_ashrrev_i32_e32 v33, 31, v33
	v_xor_b32_e32 v32, s4, v32
	v_lshlrev_b32_e32 v2, 24, v2
	v_and_b32_e32 v29, v29, v31
	v_cmp_gt_i32_e64 s4, 0, v37
	v_not_b32_e32 v31, v38
	v_ashrrev_i32_e32 v35, 31, v35
	v_xor_b32_e32 v33, vcc_lo, v33
	v_and_b32_e32 v29, v29, v32
	v_cmp_gt_i32_e32 vcc_lo, 0, v38
	v_not_b32_e32 v32, v2
	v_ashrrev_i32_e32 v31, 31, v31
	v_xor_b32_e32 v35, s4, v35
	v_and_b32_e32 v29, v29, v33
	v_cmp_gt_i32_e64 s4, 0, v2
	v_ashrrev_i32_e32 v2, 31, v32
	v_xor_b32_e32 v31, vcc_lo, v31
	v_lshl_add_u32 v38, v1, 2, v25
	v_and_b32_e32 v29, v29, v35
	v_xor_b32_e32 v2, s4, v2
	v_and_b32_e32 v25, v29, v31
	ds_read_b32 v31, v38 offset:128
	; wave barrier
	v_and_b32_e32 v2, v25, v2
	v_mbcnt_lo_u32_b32 v32, v2, 0
	v_cmp_ne_u32_e64 s4, 0, v2
	v_cmp_eq_u32_e32 vcc_lo, 0, v32
	s_and_b32 s5, s4, vcc_lo
	s_and_saveexec_b32 s4, s5
	s_cbranch_execz .LBB1016_147
; %bb.146:
	s_waitcnt lgkmcnt(0)
	v_bcnt_u32_b32 v2, v2, v31
	ds_write_b32 v38, v2 offset:128
.LBB1016_147:
	s_or_b32 exec_lo, exec_lo, s4
	v_xor_b32_e32 v20, 0x7fffffff, v20
	; wave barrier
	v_lshrrev_b32_e32 v2, s44, v20
	v_and_b32_e32 v2, s14, v2
	v_and_b32_e32 v29, 1, v2
	v_lshlrev_b32_e32 v33, 30, v2
	v_lshlrev_b32_e32 v35, 29, v2
	;; [unrolled: 1-line block ×4, first 2 shown]
	v_add_co_u32 v29, s4, v29, -1
	v_cndmask_b32_e64 v37, 0, 1, s4
	v_not_b32_e32 v42, v33
	v_cmp_gt_i32_e64 s4, 0, v33
	v_not_b32_e32 v33, v35
	v_lshlrev_b32_e32 v40, 26, v2
	v_cmp_ne_u32_e32 vcc_lo, 0, v37
	v_ashrrev_i32_e32 v37, 31, v42
	v_lshlrev_b32_e32 v41, 25, v2
	v_ashrrev_i32_e32 v33, 31, v33
	v_mul_lo_u32 v25, 0x84, v2
	v_xor_b32_e32 v29, vcc_lo, v29
	v_cmp_gt_i32_e32 vcc_lo, 0, v35
	v_not_b32_e32 v35, v36
	v_xor_b32_e32 v37, s4, v37
	v_cmp_gt_i32_e64 s4, 0, v36
	v_and_b32_e32 v29, exec_lo, v29
	v_not_b32_e32 v36, v39
	v_ashrrev_i32_e32 v35, 31, v35
	v_xor_b32_e32 v33, vcc_lo, v33
	v_cmp_gt_i32_e32 vcc_lo, 0, v39
	v_and_b32_e32 v29, v29, v37
	v_not_b32_e32 v37, v40
	v_ashrrev_i32_e32 v36, 31, v36
	v_xor_b32_e32 v35, s4, v35
	v_lshlrev_b32_e32 v2, 24, v2
	v_and_b32_e32 v29, v29, v33
	v_cmp_gt_i32_e64 s4, 0, v40
	v_not_b32_e32 v33, v41
	v_ashrrev_i32_e32 v37, 31, v37
	v_xor_b32_e32 v36, vcc_lo, v36
	v_and_b32_e32 v29, v29, v35
	v_cmp_gt_i32_e32 vcc_lo, 0, v41
	v_not_b32_e32 v35, v2
	v_ashrrev_i32_e32 v33, 31, v33
	v_xor_b32_e32 v37, s4, v37
	v_and_b32_e32 v29, v29, v36
	v_cmp_gt_i32_e64 s4, 0, v2
	v_ashrrev_i32_e32 v2, 31, v35
	v_xor_b32_e32 v33, vcc_lo, v33
	v_lshl_add_u32 v43, v1, 2, v25
	v_and_b32_e32 v29, v29, v37
	v_xor_b32_e32 v2, s4, v2
	ds_read_b32 v35, v43 offset:128
	v_and_b32_e32 v25, v29, v33
	; wave barrier
	v_and_b32_e32 v2, v25, v2
	v_mbcnt_lo_u32_b32 v36, v2, 0
	v_cmp_ne_u32_e64 s4, 0, v2
	v_cmp_eq_u32_e32 vcc_lo, 0, v36
	s_and_b32 s5, s4, vcc_lo
	s_and_saveexec_b32 s4, s5
	s_cbranch_execz .LBB1016_149
; %bb.148:
	s_waitcnt lgkmcnt(0)
	v_bcnt_u32_b32 v2, v2, v35
	ds_write_b32 v43, v2 offset:128
.LBB1016_149:
	s_or_b32 exec_lo, exec_lo, s4
	v_xor_b32_e32 v25, 0x7fffffff, v8
	; wave barrier
	v_lshrrev_b32_e32 v2, s44, v25
	v_and_b32_e32 v2, s14, v2
	v_and_b32_e32 v29, 1, v2
	v_lshlrev_b32_e32 v33, 30, v2
	v_lshlrev_b32_e32 v37, 29, v2
	;; [unrolled: 1-line block ×4, first 2 shown]
	v_add_co_u32 v29, s4, v29, -1
	v_cndmask_b32_e64 v40, 0, 1, s4
	v_not_b32_e32 v45, v33
	v_cmp_gt_i32_e64 s4, 0, v33
	v_not_b32_e32 v33, v37
	v_lshlrev_b32_e32 v42, 26, v2
	v_cmp_ne_u32_e32 vcc_lo, 0, v40
	v_ashrrev_i32_e32 v40, 31, v45
	v_lshlrev_b32_e32 v44, 25, v2
	v_ashrrev_i32_e32 v33, 31, v33
	v_mul_lo_u32 v8, 0x84, v2
	v_xor_b32_e32 v29, vcc_lo, v29
	v_cmp_gt_i32_e32 vcc_lo, 0, v37
	v_not_b32_e32 v37, v39
	v_xor_b32_e32 v40, s4, v40
	v_cmp_gt_i32_e64 s4, 0, v39
	v_and_b32_e32 v29, exec_lo, v29
	v_not_b32_e32 v39, v41
	v_ashrrev_i32_e32 v37, 31, v37
	v_xor_b32_e32 v33, vcc_lo, v33
	v_cmp_gt_i32_e32 vcc_lo, 0, v41
	v_and_b32_e32 v29, v29, v40
	v_not_b32_e32 v40, v42
	v_ashrrev_i32_e32 v39, 31, v39
	v_xor_b32_e32 v37, s4, v37
	v_lshlrev_b32_e32 v2, 24, v2
	v_and_b32_e32 v29, v29, v33
	v_cmp_gt_i32_e64 s4, 0, v42
	v_not_b32_e32 v33, v44
	v_ashrrev_i32_e32 v40, 31, v40
	v_xor_b32_e32 v39, vcc_lo, v39
	v_and_b32_e32 v29, v29, v37
	v_cmp_gt_i32_e32 vcc_lo, 0, v44
	v_not_b32_e32 v37, v2
	v_ashrrev_i32_e32 v33, 31, v33
	v_xor_b32_e32 v40, s4, v40
	v_and_b32_e32 v29, v29, v39
	v_cmp_gt_i32_e64 s4, 0, v2
	v_ashrrev_i32_e32 v2, 31, v37
	v_xor_b32_e32 v33, vcc_lo, v33
	v_lshl_add_u32 v47, v1, 2, v8
	v_and_b32_e32 v29, v29, v40
	v_xor_b32_e32 v2, s4, v2
	ds_read_b32 v39, v47 offset:128
	v_and_b32_e32 v8, v29, v33
	; wave barrier
	v_and_b32_e32 v2, v8, v2
	v_mbcnt_lo_u32_b32 v41, v2, 0
	v_cmp_ne_u32_e64 s4, 0, v2
	v_cmp_eq_u32_e32 vcc_lo, 0, v41
	s_and_b32 s5, s4, vcc_lo
	s_and_saveexec_b32 s4, s5
	s_cbranch_execz .LBB1016_151
; %bb.150:
	s_waitcnt lgkmcnt(0)
	v_bcnt_u32_b32 v2, v2, v39
	ds_write_b32 v47, v2 offset:128
.LBB1016_151:
	s_or_b32 exec_lo, exec_lo, s4
	v_xor_b32_e32 v29, 0x7fffffff, v7
	; wave barrier
	v_lshrrev_b32_e32 v2, s44, v29
	v_and_b32_e32 v2, s14, v2
	v_and_b32_e32 v8, 1, v2
	v_lshlrev_b32_e32 v33, 30, v2
	v_lshlrev_b32_e32 v37, 29, v2
	;; [unrolled: 1-line block ×4, first 2 shown]
	v_add_co_u32 v8, s4, v8, -1
	v_cndmask_b32_e64 v42, 0, 1, s4
	v_not_b32_e32 v48, v33
	v_cmp_gt_i32_e64 s4, 0, v33
	v_not_b32_e32 v33, v37
	v_lshlrev_b32_e32 v45, 26, v2
	v_cmp_ne_u32_e32 vcc_lo, 0, v42
	v_ashrrev_i32_e32 v42, 31, v48
	v_lshlrev_b32_e32 v46, 25, v2
	v_ashrrev_i32_e32 v33, 31, v33
	v_mul_lo_u32 v7, 0x84, v2
	v_xor_b32_e32 v8, vcc_lo, v8
	v_cmp_gt_i32_e32 vcc_lo, 0, v37
	v_not_b32_e32 v37, v40
	v_xor_b32_e32 v42, s4, v42
	v_cmp_gt_i32_e64 s4, 0, v40
	v_and_b32_e32 v8, exec_lo, v8
	v_not_b32_e32 v40, v44
	v_ashrrev_i32_e32 v37, 31, v37
	v_xor_b32_e32 v33, vcc_lo, v33
	v_cmp_gt_i32_e32 vcc_lo, 0, v44
	v_and_b32_e32 v8, v8, v42
	v_not_b32_e32 v42, v45
	v_ashrrev_i32_e32 v40, 31, v40
	v_xor_b32_e32 v37, s4, v37
	v_lshlrev_b32_e32 v2, 24, v2
	v_and_b32_e32 v8, v8, v33
	v_cmp_gt_i32_e64 s4, 0, v45
	v_not_b32_e32 v33, v46
	v_ashrrev_i32_e32 v42, 31, v42
	v_xor_b32_e32 v40, vcc_lo, v40
	v_and_b32_e32 v8, v8, v37
	v_cmp_gt_i32_e32 vcc_lo, 0, v46
	v_not_b32_e32 v37, v2
	v_ashrrev_i32_e32 v33, 31, v33
	v_xor_b32_e32 v42, s4, v42
	v_and_b32_e32 v8, v8, v40
	v_cmp_gt_i32_e64 s4, 0, v2
	v_ashrrev_i32_e32 v2, 31, v37
	v_xor_b32_e32 v33, vcc_lo, v33
	v_lshl_add_u32 v50, v1, 2, v7
	v_and_b32_e32 v8, v8, v42
	v_xor_b32_e32 v2, s4, v2
	ds_read_b32 v44, v50 offset:128
	v_and_b32_e32 v7, v8, v33
	; wave barrier
	v_and_b32_e32 v2, v7, v2
	v_mbcnt_lo_u32_b32 v45, v2, 0
	v_cmp_ne_u32_e64 s4, 0, v2
	v_cmp_eq_u32_e32 vcc_lo, 0, v45
	s_and_b32 s5, s4, vcc_lo
	s_and_saveexec_b32 s4, s5
	s_cbranch_execz .LBB1016_153
; %bb.152:
	s_waitcnt lgkmcnt(0)
	v_bcnt_u32_b32 v2, v2, v44
	ds_write_b32 v50, v2 offset:128
.LBB1016_153:
	s_or_b32 exec_lo, exec_lo, s4
	v_xor_b32_e32 v33, 0x7fffffff, v6
	; wave barrier
	v_lshrrev_b32_e32 v2, s44, v33
	v_and_b32_e32 v2, s14, v2
	v_and_b32_e32 v7, 1, v2
	v_lshlrev_b32_e32 v8, 30, v2
	v_lshlrev_b32_e32 v37, 29, v2
	;; [unrolled: 1-line block ×4, first 2 shown]
	v_add_co_u32 v7, s4, v7, -1
	v_cndmask_b32_e64 v42, 0, 1, s4
	v_not_b32_e32 v51, v8
	v_cmp_gt_i32_e64 s4, 0, v8
	v_not_b32_e32 v8, v37
	v_lshlrev_b32_e32 v48, 26, v2
	v_cmp_ne_u32_e32 vcc_lo, 0, v42
	v_ashrrev_i32_e32 v42, 31, v51
	v_lshlrev_b32_e32 v49, 25, v2
	v_ashrrev_i32_e32 v8, 31, v8
	v_mul_lo_u32 v6, 0x84, v2
	v_xor_b32_e32 v7, vcc_lo, v7
	v_cmp_gt_i32_e32 vcc_lo, 0, v37
	v_not_b32_e32 v37, v40
	v_xor_b32_e32 v42, s4, v42
	v_cmp_gt_i32_e64 s4, 0, v40
	v_and_b32_e32 v7, exec_lo, v7
	v_not_b32_e32 v40, v46
	v_ashrrev_i32_e32 v37, 31, v37
	v_xor_b32_e32 v8, vcc_lo, v8
	v_cmp_gt_i32_e32 vcc_lo, 0, v46
	v_and_b32_e32 v7, v7, v42
	v_not_b32_e32 v42, v48
	v_ashrrev_i32_e32 v40, 31, v40
	v_xor_b32_e32 v37, s4, v37
	v_lshlrev_b32_e32 v2, 24, v2
	v_and_b32_e32 v7, v7, v8
	v_cmp_gt_i32_e64 s4, 0, v48
	v_not_b32_e32 v8, v49
	v_ashrrev_i32_e32 v42, 31, v42
	v_xor_b32_e32 v40, vcc_lo, v40
	v_and_b32_e32 v7, v7, v37
	v_cmp_gt_i32_e32 vcc_lo, 0, v49
	v_not_b32_e32 v37, v2
	v_ashrrev_i32_e32 v8, 31, v8
	v_xor_b32_e32 v42, s4, v42
	v_and_b32_e32 v7, v7, v40
	v_cmp_gt_i32_e64 s4, 0, v2
	v_ashrrev_i32_e32 v2, 31, v37
	v_xor_b32_e32 v8, vcc_lo, v8
	v_lshl_add_u32 v53, v1, 2, v6
	v_and_b32_e32 v7, v7, v42
	v_xor_b32_e32 v2, s4, v2
	ds_read_b32 v48, v53 offset:128
	v_and_b32_e32 v6, v7, v8
	; wave barrier
	v_and_b32_e32 v2, v6, v2
	v_mbcnt_lo_u32_b32 v49, v2, 0
	v_cmp_ne_u32_e64 s4, 0, v2
	v_cmp_eq_u32_e32 vcc_lo, 0, v49
	s_and_b32 s5, s4, vcc_lo
	s_and_saveexec_b32 s4, s5
	s_cbranch_execz .LBB1016_155
; %bb.154:
	s_waitcnt lgkmcnt(0)
	v_bcnt_u32_b32 v2, v2, v48
	ds_write_b32 v53, v2 offset:128
.LBB1016_155:
	s_or_b32 exec_lo, exec_lo, s4
	v_xor_b32_e32 v37, 0x7fffffff, v5
	; wave barrier
	v_lshrrev_b32_e32 v2, s44, v37
	v_and_b32_e32 v2, s14, v2
	v_and_b32_e32 v6, 1, v2
	v_lshlrev_b32_e32 v7, 30, v2
	v_lshlrev_b32_e32 v8, 29, v2
	;; [unrolled: 1-line block ×4, first 2 shown]
	v_add_co_u32 v6, s4, v6, -1
	v_cndmask_b32_e64 v42, 0, 1, s4
	v_not_b32_e32 v54, v7
	v_cmp_gt_i32_e64 s4, 0, v7
	v_not_b32_e32 v7, v8
	v_lshlrev_b32_e32 v51, 26, v2
	v_cmp_ne_u32_e32 vcc_lo, 0, v42
	v_ashrrev_i32_e32 v42, 31, v54
	v_lshlrev_b32_e32 v52, 25, v2
	v_ashrrev_i32_e32 v7, 31, v7
	v_mul_lo_u32 v5, 0x84, v2
	v_xor_b32_e32 v6, vcc_lo, v6
	v_cmp_gt_i32_e32 vcc_lo, 0, v8
	v_not_b32_e32 v8, v40
	v_xor_b32_e32 v42, s4, v42
	v_cmp_gt_i32_e64 s4, 0, v40
	v_and_b32_e32 v6, exec_lo, v6
	v_not_b32_e32 v40, v46
	v_ashrrev_i32_e32 v8, 31, v8
	v_xor_b32_e32 v7, vcc_lo, v7
	v_cmp_gt_i32_e32 vcc_lo, 0, v46
	v_and_b32_e32 v6, v6, v42
	v_not_b32_e32 v42, v51
	v_ashrrev_i32_e32 v40, 31, v40
	v_xor_b32_e32 v8, s4, v8
	v_lshlrev_b32_e32 v2, 24, v2
	v_and_b32_e32 v6, v6, v7
	v_cmp_gt_i32_e64 s4, 0, v51
	v_not_b32_e32 v7, v52
	v_ashrrev_i32_e32 v42, 31, v42
	v_xor_b32_e32 v40, vcc_lo, v40
	v_and_b32_e32 v6, v6, v8
	v_cmp_gt_i32_e32 vcc_lo, 0, v52
	v_not_b32_e32 v8, v2
	v_ashrrev_i32_e32 v7, 31, v7
	v_xor_b32_e32 v42, s4, v42
	v_and_b32_e32 v6, v6, v40
	v_cmp_gt_i32_e64 s4, 0, v2
	v_ashrrev_i32_e32 v2, 31, v8
	v_xor_b32_e32 v7, vcc_lo, v7
	v_lshl_add_u32 v56, v1, 2, v5
	v_and_b32_e32 v6, v6, v42
	v_xor_b32_e32 v2, s4, v2
	ds_read_b32 v51, v56 offset:128
	v_and_b32_e32 v5, v6, v7
	; wave barrier
	v_and_b32_e32 v2, v5, v2
	v_mbcnt_lo_u32_b32 v52, v2, 0
	v_cmp_ne_u32_e64 s4, 0, v2
	v_cmp_eq_u32_e32 vcc_lo, 0, v52
	s_and_b32 s5, s4, vcc_lo
	s_and_saveexec_b32 s4, s5
	s_cbranch_execz .LBB1016_157
; %bb.156:
	s_waitcnt lgkmcnt(0)
	v_bcnt_u32_b32 v2, v2, v51
	ds_write_b32 v56, v2 offset:128
.LBB1016_157:
	s_or_b32 exec_lo, exec_lo, s4
	v_xor_b32_e32 v42, 0x7fffffff, v4
	; wave barrier
	v_lshrrev_b32_e32 v2, s44, v42
	v_and_b32_e32 v2, s14, v2
	v_and_b32_e32 v5, 1, v2
	v_lshlrev_b32_e32 v6, 30, v2
	v_lshlrev_b32_e32 v7, 29, v2
	;; [unrolled: 1-line block ×4, first 2 shown]
	v_add_co_u32 v5, s4, v5, -1
	v_cndmask_b32_e64 v40, 0, 1, s4
	v_not_b32_e32 v57, v6
	v_cmp_gt_i32_e64 s4, 0, v6
	v_not_b32_e32 v6, v7
	v_lshlrev_b32_e32 v54, 26, v2
	v_cmp_ne_u32_e32 vcc_lo, 0, v40
	v_ashrrev_i32_e32 v40, 31, v57
	v_lshlrev_b32_e32 v55, 25, v2
	v_ashrrev_i32_e32 v6, 31, v6
	v_mul_lo_u32 v4, 0x84, v2
	v_xor_b32_e32 v5, vcc_lo, v5
	v_cmp_gt_i32_e32 vcc_lo, 0, v7
	v_not_b32_e32 v7, v8
	v_xor_b32_e32 v40, s4, v40
	v_cmp_gt_i32_e64 s4, 0, v8
	v_and_b32_e32 v5, exec_lo, v5
	v_not_b32_e32 v8, v46
	v_ashrrev_i32_e32 v7, 31, v7
	v_xor_b32_e32 v6, vcc_lo, v6
	v_cmp_gt_i32_e32 vcc_lo, 0, v46
	v_and_b32_e32 v5, v5, v40
	v_not_b32_e32 v40, v54
	v_ashrrev_i32_e32 v8, 31, v8
	v_xor_b32_e32 v7, s4, v7
	v_lshlrev_b32_e32 v2, 24, v2
	v_and_b32_e32 v5, v5, v6
	v_cmp_gt_i32_e64 s4, 0, v54
	v_not_b32_e32 v6, v55
	v_ashrrev_i32_e32 v40, 31, v40
	v_xor_b32_e32 v8, vcc_lo, v8
	v_and_b32_e32 v5, v5, v7
	v_cmp_gt_i32_e32 vcc_lo, 0, v55
	v_not_b32_e32 v7, v2
	v_ashrrev_i32_e32 v6, 31, v6
	v_xor_b32_e32 v40, s4, v40
	v_and_b32_e32 v5, v5, v8
	v_cmp_gt_i32_e64 s4, 0, v2
	v_ashrrev_i32_e32 v2, 31, v7
	v_xor_b32_e32 v6, vcc_lo, v6
	v_lshl_add_u32 v59, v1, 2, v4
	v_and_b32_e32 v5, v5, v40
	v_xor_b32_e32 v2, s4, v2
	ds_read_b32 v54, v59 offset:128
	v_and_b32_e32 v4, v5, v6
	; wave barrier
	v_and_b32_e32 v2, v4, v2
	v_mbcnt_lo_u32_b32 v55, v2, 0
	v_cmp_ne_u32_e64 s4, 0, v2
	v_cmp_eq_u32_e32 vcc_lo, 0, v55
	s_and_b32 s5, s4, vcc_lo
	s_and_saveexec_b32 s4, s5
	s_cbranch_execz .LBB1016_159
; %bb.158:
	s_waitcnt lgkmcnt(0)
	v_bcnt_u32_b32 v2, v2, v54
	ds_write_b32 v59, v2 offset:128
.LBB1016_159:
	s_or_b32 exec_lo, exec_lo, s4
	v_xor_b32_e32 v46, 0x7fffffff, v3
	; wave barrier
	v_lshrrev_b32_e32 v2, s44, v46
	v_and_b32_e32 v2, s14, v2
	v_and_b32_e32 v4, 1, v2
	v_lshlrev_b32_e32 v5, 30, v2
	v_lshlrev_b32_e32 v6, 29, v2
	;; [unrolled: 1-line block ×4, first 2 shown]
	v_add_co_u32 v4, s4, v4, -1
	v_cndmask_b32_e64 v8, 0, 1, s4
	v_not_b32_e32 v60, v5
	v_cmp_gt_i32_e64 s4, 0, v5
	v_not_b32_e32 v5, v6
	v_lshlrev_b32_e32 v57, 26, v2
	v_cmp_ne_u32_e32 vcc_lo, 0, v8
	v_ashrrev_i32_e32 v8, 31, v60
	v_lshlrev_b32_e32 v58, 25, v2
	v_ashrrev_i32_e32 v5, 31, v5
	v_mul_lo_u32 v3, 0x84, v2
	v_xor_b32_e32 v4, vcc_lo, v4
	v_cmp_gt_i32_e32 vcc_lo, 0, v6
	v_not_b32_e32 v6, v7
	v_xor_b32_e32 v8, s4, v8
	v_cmp_gt_i32_e64 s4, 0, v7
	v_and_b32_e32 v4, exec_lo, v4
	v_not_b32_e32 v7, v40
	v_ashrrev_i32_e32 v6, 31, v6
	v_xor_b32_e32 v5, vcc_lo, v5
	v_cmp_gt_i32_e32 vcc_lo, 0, v40
	v_and_b32_e32 v4, v4, v8
	v_not_b32_e32 v8, v57
	v_ashrrev_i32_e32 v7, 31, v7
	v_xor_b32_e32 v6, s4, v6
	v_lshlrev_b32_e32 v2, 24, v2
	v_and_b32_e32 v4, v4, v5
	v_cmp_gt_i32_e64 s4, 0, v57
	v_not_b32_e32 v5, v58
	v_ashrrev_i32_e32 v8, 31, v8
	v_xor_b32_e32 v7, vcc_lo, v7
	v_and_b32_e32 v4, v4, v6
	v_cmp_gt_i32_e32 vcc_lo, 0, v58
	v_not_b32_e32 v6, v2
	v_ashrrev_i32_e32 v5, 31, v5
	v_xor_b32_e32 v8, s4, v8
	v_and_b32_e32 v4, v4, v7
	v_cmp_gt_i32_e64 s4, 0, v2
	v_ashrrev_i32_e32 v2, 31, v6
	v_xor_b32_e32 v5, vcc_lo, v5
	v_lshl_add_u32 v60, v1, 2, v3
	v_and_b32_e32 v4, v4, v8
	v_xor_b32_e32 v1, s4, v2
	ds_read_b32 v57, v60 offset:128
	v_and_b32_e32 v2, v4, v5
	; wave barrier
	v_and_b32_e32 v1, v2, v1
	v_mbcnt_lo_u32_b32 v58, v1, 0
	v_cmp_ne_u32_e64 s4, 0, v1
	v_cmp_eq_u32_e32 vcc_lo, 0, v58
	s_and_b32 s5, s4, vcc_lo
	s_and_saveexec_b32 s4, s5
	s_cbranch_execz .LBB1016_161
; %bb.160:
	s_waitcnt lgkmcnt(0)
	v_bcnt_u32_b32 v1, v1, v57
	ds_write_b32 v60, v1 offset:128
.LBB1016_161:
	s_or_b32 exec_lo, exec_lo, s4
	; wave barrier
	s_waitcnt lgkmcnt(0)
	s_barrier
	buffer_gl0_inv
	ds_read2_b32 v[7:8], v21 offset0:32 offset1:33
	ds_read2_b32 v[5:6], v21 offset0:34 offset1:35
	;; [unrolled: 1-line block ×4, first 2 shown]
	ds_read_b32 v40, v21 offset:160
	v_and_b32_e32 v63, 16, v11
	v_and_b32_e32 v64, 31, v0
	s_mov_b32 s10, exec_lo
	v_cmp_eq_u32_e64 s8, 0, v63
	s_waitcnt lgkmcnt(3)
	v_add3_u32 v61, v8, v7, v5
	s_waitcnt lgkmcnt(2)
	v_add3_u32 v61, v61, v6, v3
	;; [unrolled: 2-line block ×4, first 2 shown]
	v_and_b32_e32 v61, 15, v11
	v_mov_b32_dpp v62, v40 row_shr:1 row_mask:0xf bank_mask:0xf
	v_cmp_eq_u32_e32 vcc_lo, 0, v61
	v_cmp_lt_u32_e64 s4, 1, v61
	v_cmp_lt_u32_e64 s5, 3, v61
	;; [unrolled: 1-line block ×3, first 2 shown]
	v_cndmask_b32_e64 v62, v62, 0, vcc_lo
	v_add_nc_u32_e32 v40, v62, v40
	v_mov_b32_dpp v62, v40 row_shr:2 row_mask:0xf bank_mask:0xf
	v_cndmask_b32_e64 v62, 0, v62, s4
	v_add_nc_u32_e32 v40, v40, v62
	v_mov_b32_dpp v62, v40 row_shr:4 row_mask:0xf bank_mask:0xf
	v_cndmask_b32_e64 v62, 0, v62, s5
	;; [unrolled: 3-line block ×3, first 2 shown]
	v_bfe_i32 v62, v11, 4, 1
	v_add_nc_u32_e32 v40, v40, v61
	ds_swizzle_b32 v61, v40 offset:swizzle(BROADCAST,32,15)
	s_waitcnt lgkmcnt(0)
	v_and_b32_e32 v61, v62, v61
	v_lshrrev_b32_e32 v62, 5, v0
	v_add_nc_u32_e32 v61, v40, v61
	v_cmpx_eq_u32_e32 31, v64
; %bb.162:
	v_lshlrev_b32_e32 v40, 2, v62
	ds_write_b32 v40, v61
; %bb.163:
	s_or_b32 exec_lo, exec_lo, s10
	v_cmp_lt_u32_e64 s9, 31, v0
	v_lshlrev_b32_e32 v40, 2, v0
	s_mov_b32 s15, exec_lo
	s_waitcnt lgkmcnt(0)
	s_barrier
	buffer_gl0_inv
	v_cmpx_gt_u32_e32 32, v0
	s_cbranch_execz .LBB1016_165
; %bb.164:
	ds_read_b32 v63, v40
	s_waitcnt lgkmcnt(0)
	v_mov_b32_dpp v64, v63 row_shr:1 row_mask:0xf bank_mask:0xf
	v_cndmask_b32_e64 v64, v64, 0, vcc_lo
	v_add_nc_u32_e32 v63, v64, v63
	v_mov_b32_dpp v64, v63 row_shr:2 row_mask:0xf bank_mask:0xf
	v_cndmask_b32_e64 v64, 0, v64, s4
	v_add_nc_u32_e32 v63, v63, v64
	v_mov_b32_dpp v64, v63 row_shr:4 row_mask:0xf bank_mask:0xf
	v_cndmask_b32_e64 v64, 0, v64, s5
	;; [unrolled: 3-line block ×3, first 2 shown]
	v_add_nc_u32_e32 v63, v63, v64
	ds_swizzle_b32 v64, v63 offset:swizzle(BROADCAST,32,15)
	s_waitcnt lgkmcnt(0)
	v_cndmask_b32_e64 v64, v64, 0, s8
	v_add_nc_u32_e32 v63, v63, v64
	ds_write_b32 v40, v63
.LBB1016_165:
	s_or_b32 exec_lo, exec_lo, s15
	v_mov_b32_e32 v63, 0
	s_waitcnt lgkmcnt(0)
	s_barrier
	buffer_gl0_inv
	s_and_saveexec_b32 s4, s9
; %bb.166:
	v_lshl_add_u32 v62, v62, 2, -4
	ds_read_b32 v63, v62
; %bb.167:
	s_or_b32 exec_lo, exec_lo, s4
	v_sub_co_u32 v62, vcc_lo, v11, 1
	s_waitcnt lgkmcnt(0)
	v_add_nc_u32_e32 v61, v63, v61
	v_cmp_gt_i32_e64 s4, 0, v62
	v_cndmask_b32_e64 v11, v62, v11, s4
	v_cmp_lt_u32_e64 s4, 0xff, v0
	v_lshlrev_b32_e32 v11, 2, v11
	ds_bpermute_b32 v11, v11, v61
	s_waitcnt lgkmcnt(0)
	v_cndmask_b32_e32 v11, v11, v63, vcc_lo
	v_cmp_gt_u32_e32 vcc_lo, 0x100, v0
	v_cndmask_b32_e64 v11, v11, 0, s7
	v_add_nc_u32_e32 v7, v11, v7
	v_add_nc_u32_e32 v8, v7, v8
	;; [unrolled: 1-line block ×8, first 2 shown]
	ds_write2_b32 v21, v11, v7 offset0:32 offset1:33
	ds_write2_b32 v21, v8, v5 offset0:34 offset1:35
	;; [unrolled: 1-line block ×4, first 2 shown]
	ds_write_b32 v21, v2 offset:160
	s_waitcnt lgkmcnt(0)
	s_barrier
	buffer_gl0_inv
	ds_read_b32 v11, v22 offset:128
	ds_read_b32 v21, v26 offset:128
	;; [unrolled: 1-line block ×12, first 2 shown]
                                        ; implicit-def: $vgpr7
                                        ; implicit-def: $vgpr8
	s_and_saveexec_b32 s6, vcc_lo
	s_cbranch_execz .LBB1016_171
; %bb.168:
	v_mul_u32_u24_e32 v1, 0x84, v0
	v_add_nc_u32_e32 v2, 1, v0
	s_mov_b32 s7, exec_lo
	ds_read_b32 v7, v1 offset:128
	v_mov_b32_e32 v1, 0x3000
	v_cmpx_ne_u32_e32 0x100, v2
; %bb.169:
	v_mul_u32_u24_e32 v1, 0x84, v2
	ds_read_b32 v1, v1 offset:128
; %bb.170:
	s_or_b32 exec_lo, exec_lo, s7
	s_waitcnt lgkmcnt(0)
	v_sub_nc_u32_e32 v8, v1, v7
.LBB1016_171:
	s_or_b32 exec_lo, exec_lo, s6
	v_mov_b32_e32 v2, 0
	s_waitcnt lgkmcnt(0)
	s_barrier
	buffer_gl0_inv
	s_and_saveexec_b32 s5, vcc_lo
	s_cbranch_execz .LBB1016_181
; %bb.172:
	v_lshl_add_u32 v1, s33, 8, v0
	v_mov_b32_e32 v59, 0
	s_mov_b32 s6, 0
	s_mov_b32 s7, s33
                                        ; implicit-def: $sgpr8
	v_lshlrev_b64 v[3:4], 2, v[1:2]
	v_or_b32_e32 v1, 2.0, v8
	v_add_co_u32 v3, vcc_lo, s26, v3
	v_add_co_ci_u32_e64 v4, null, s27, v4, vcc_lo
	global_store_dword v[3:4], v1, off
	s_branch .LBB1016_175
	.p2align	6
.LBB1016_173:                           ;   in Loop: Header=BB1016_175 Depth=1
	s_or_b32 exec_lo, exec_lo, s9
.LBB1016_174:                           ;   in Loop: Header=BB1016_175 Depth=1
	s_or_b32 exec_lo, exec_lo, s8
	v_and_b32_e32 v5, 0x3fffffff, v1
	v_cmp_gt_i32_e64 s8, -2.0, v1
	v_add_nc_u32_e32 v59, v5, v59
	s_and_b32 s9, exec_lo, s8
	s_or_b32 s6, s9, s6
	s_andn2_b32 exec_lo, exec_lo, s6
	s_cbranch_execz .LBB1016_180
.LBB1016_175:                           ; =>This Loop Header: Depth=1
                                        ;     Child Loop BB1016_178 Depth 2
	s_or_b32 s8, s8, exec_lo
	s_cmp_eq_u32 s7, 0
	s_cbranch_scc1 .LBB1016_179
; %bb.176:                              ;   in Loop: Header=BB1016_175 Depth=1
	s_add_i32 s7, s7, -1
	s_mov_b32 s8, exec_lo
	v_lshl_or_b32 v1, s7, 8, v0
	v_lshlrev_b64 v[5:6], 2, v[1:2]
	v_add_co_u32 v5, vcc_lo, s26, v5
	v_add_co_ci_u32_e64 v6, null, s27, v6, vcc_lo
	global_load_dword v1, v[5:6], off glc dlc
	s_waitcnt vmcnt(0)
	v_cmpx_gt_u32_e32 2.0, v1
	s_cbranch_execz .LBB1016_174
; %bb.177:                              ;   in Loop: Header=BB1016_175 Depth=1
	s_mov_b32 s9, 0
.LBB1016_178:                           ;   Parent Loop BB1016_175 Depth=1
                                        ; =>  This Inner Loop Header: Depth=2
	global_load_dword v1, v[5:6], off glc dlc
	s_waitcnt vmcnt(0)
	v_cmp_lt_u32_e32 vcc_lo, 0x3fffffff, v1
	s_or_b32 s9, vcc_lo, s9
	s_andn2_b32 exec_lo, exec_lo, s9
	s_cbranch_execnz .LBB1016_178
	s_branch .LBB1016_173
.LBB1016_179:                           ;   in Loop: Header=BB1016_175 Depth=1
                                        ; implicit-def: $sgpr7
	s_and_b32 s9, exec_lo, s8
	s_or_b32 s6, s9, s6
	s_andn2_b32 exec_lo, exec_lo, s6
	s_cbranch_execnz .LBB1016_175
.LBB1016_180:
	s_or_b32 exec_lo, exec_lo, s6
	v_add_nc_u32_e32 v1, v59, v8
	v_sub_nc_u32_e32 v2, v59, v7
	v_or_b32_e32 v1, 0x80000000, v1
	global_store_dword v[3:4], v1, off
	global_load_dword v1, v40, s[28:29]
	s_waitcnt vmcnt(0)
	v_add_nc_u32_e32 v1, v2, v1
	ds_write_b32 v40, v1
.LBB1016_181:
	s_or_b32 exec_lo, exec_lo, s5
	v_add_nc_u32_e32 v3, v11, v16
	v_add3_u32 v4, v19, v18, v21
	v_add3_u32 v5, v24, v23, v22
	;; [unrolled: 1-line block ×11, first 2 shown]
	v_mov_b32_e32 v2, 0
	v_mov_b32_e32 v26, v3
	;; [unrolled: 1-line block ×13, first 2 shown]
	s_mov_b32 s5, 32
	s_mov_b32 s8, 0
	;; [unrolled: 1-line block ×3, first 2 shown]
	s_mov_b32 s7, -1
	s_branch .LBB1016_183
.LBB1016_182:                           ;   in Loop: Header=BB1016_183 Depth=1
	v_add_nc_u32_e32 v41, 0xffffe000, v41
	v_add_nc_u32_e32 v39, 0xffffe000, v39
	;; [unrolled: 1-line block ×12, first 2 shown]
	s_xor_b32 s8, s7, -1
	s_addk_i32 s6, 0x2000
	s_mov_b32 s7, 0
	s_and_b32 vcc_lo, exec_lo, s8
	s_mov_b32 s8, s5
	s_waitcnt_vscnt null, 0x0
	s_barrier
	buffer_gl0_inv
	s_cbranch_vccnz .LBB1016_191
.LBB1016_183:                           ; =>This Inner Loop Header: Depth=1
	v_min_u32_e32 v1, 0x2000, v26
	v_min_u32_e32 v43, 0x2000, v27
	;; [unrolled: 1-line block ×5, first 2 shown]
	v_lshlrev_b32_e32 v1, 2, v1
	v_lshlrev_b32_e32 v43, 2, v43
	v_min_u32_e32 v48, 0x2000, v32
	v_min_u32_e32 v49, 0x2000, v34
	v_mov_b32_e32 v57, s8
	ds_write_b32 v1, v12 offset:1024
	ds_write_b32 v43, v13 offset:1024
	v_lshlrev_b32_e32 v1, 2, v44
	v_lshlrev_b32_e32 v43, 2, v45
	;; [unrolled: 1-line block ×5, first 2 shown]
	ds_write_b32 v1, v14 offset:1024
	ds_write_b32 v43, v15 offset:1024
	;; [unrolled: 1-line block ×5, first 2 shown]
	v_min_u32_e32 v1, 0x2000, v35
	v_min_u32_e32 v43, 0x2000, v36
	;; [unrolled: 1-line block ×5, first 2 shown]
	v_lshlrev_b32_e32 v1, 2, v1
	v_lshlrev_b32_e32 v43, 2, v43
	;; [unrolled: 1-line block ×5, first 2 shown]
	ds_write_b32 v1, v29 offset:1024
	ds_write_b32 v43, v33 offset:1024
	;; [unrolled: 1-line block ×5, first 2 shown]
	s_waitcnt lgkmcnt(0)
	s_waitcnt_vscnt null, 0x0
	s_barrier
	buffer_gl0_inv
	ds_read2st64_b32 v[44:45], v40 offset0:4 offset1:20
	ds_read2st64_b32 v[47:48], v40 offset0:36 offset1:52
	s_add_i32 s9, s6, 0x1000
	s_cmpk_lt_u32 s9, 0x3000
	s_waitcnt lgkmcnt(1)
	v_lshrrev_b32_e32 v1, s44, v44
	v_xor_b32_e32 v58, 0x7fffffff, v44
	v_xor_b32_e32 v59, 0x7fffffff, v45
	s_waitcnt lgkmcnt(0)
	v_xor_b32_e32 v60, 0x7fffffff, v47
	v_xor_b32_e32 v61, 0x7fffffff, v48
	v_and_b32_e32 v49, s14, v1
	v_lshrrev_b32_e32 v1, s44, v45
	v_lshlrev_b32_e32 v43, 2, v49
	v_and_b32_e32 v50, s14, v1
	v_lshrrev_b32_e32 v1, s44, v47
	ds_read_b32 v51, v43
	v_and_b32_e32 v53, s14, v1
	v_lshrrev_b32_e32 v1, s44, v48
	v_and_b32_e32 v54, s14, v1
	v_lshlrev_b32_e32 v1, 2, v54
	ds_read_b32 v56, v1
	v_lshlrev_b32_e32 v43, 2, v50
	ds_read_b32 v52, v43
	v_lshlrev_b32_e32 v43, 2, v53
	ds_read_b32 v55, v43
	v_add_nc_u32_e32 v43, s6, v0
	buffer_store_dword v49, v57, s[0:3], 0 offen
	buffer_store_dword v50, v57, s[0:3], 0 offen offset:4
	buffer_store_dword v53, v57, s[0:3], 0 offen offset:8
	s_waitcnt lgkmcnt(3)
	v_add_nc_u32_e32 v1, v43, v51
	v_lshlrev_b64 v[44:45], 2, v[1:2]
	s_waitcnt lgkmcnt(1)
	v_add3_u32 v1, v43, v52, 0x400
	v_add_co_u32 v44, vcc_lo, s38, v44
	v_lshlrev_b64 v[47:48], 2, v[1:2]
	s_waitcnt lgkmcnt(0)
	v_add3_u32 v1, v43, v55, 0x800
	v_add_co_ci_u32_e64 v45, null, s39, v45, vcc_lo
	v_lshlrev_b64 v[49:50], 2, v[1:2]
	v_add3_u32 v1, v43, v56, 0xc00
	v_add_co_u32 v47, vcc_lo, s38, v47
	v_add_co_ci_u32_e64 v48, null, s39, v48, vcc_lo
	v_lshlrev_b64 v[51:52], 2, v[1:2]
	v_add_co_u32 v49, vcc_lo, s38, v49
	v_add_co_ci_u32_e64 v50, null, s39, v50, vcc_lo
	v_add_co_u32 v51, vcc_lo, s38, v51
	v_add_co_ci_u32_e64 v52, null, s39, v52, vcc_lo
	global_store_dword v[44:45], v58, off
	global_store_dword v[47:48], v59, off
	;; [unrolled: 1-line block ×4, first 2 shown]
	buffer_store_dword v54, v57, s[0:3], 0 offen offset:12
	s_cbranch_scc0 .LBB1016_187
; %bb.184:                              ;   in Loop: Header=BB1016_183 Depth=1
	ds_read_b32 v47, v40 offset:17408
	s_waitcnt lgkmcnt(0)
	v_lshrrev_b32_e32 v1, s44, v47
	v_and_b32_e32 v48, s14, v1
	v_lshlrev_b32_e32 v1, 2, v48
	ds_read_b32 v1, v1
	s_waitcnt lgkmcnt(0)
	v_add3_u32 v1, v43, v1, 0x1000
	v_lshlrev_b64 v[44:45], 2, v[1:2]
	v_xor_b32_e32 v1, 0x7fffffff, v47
	v_mov_b32_e32 v47, s8
	v_add_co_u32 v44, vcc_lo, s38, v44
	v_add_co_ci_u32_e64 v45, null, s39, v45, vcc_lo
	buffer_store_dword v48, v47, s[0:3], 0 offen offset:16
	global_store_dword v[44:45], v1, off
	s_add_i32 s9, s6, 0x1400
	s_cmpk_gt_u32 s9, 0x2fff
	s_cbranch_scc0 .LBB1016_188
.LBB1016_185:                           ;   in Loop: Header=BB1016_183 Depth=1
	s_add_i32 s9, s6, 0x1800
	s_cmpk_gt_u32 s9, 0x2fff
	s_cbranch_scc1 .LBB1016_189
.LBB1016_186:                           ;   in Loop: Header=BB1016_183 Depth=1
	ds_read_b32 v47, v40 offset:25600
	s_waitcnt lgkmcnt(0)
	v_lshrrev_b32_e32 v1, s44, v47
	v_and_b32_e32 v48, s14, v1
	v_lshlrev_b32_e32 v1, 2, v48
	ds_read_b32 v1, v1
	s_waitcnt lgkmcnt(0)
	v_add3_u32 v1, v43, v1, 0x1800
	v_lshlrev_b64 v[44:45], 2, v[1:2]
	v_xor_b32_e32 v1, 0x7fffffff, v47
	v_mov_b32_e32 v47, s8
	v_add_co_u32 v44, vcc_lo, s38, v44
	v_add_co_ci_u32_e64 v45, null, s39, v45, vcc_lo
	buffer_store_dword v48, v47, s[0:3], 0 offen offset:24
	global_store_dword v[44:45], v1, off
	s_add_i32 s9, s6, 0x1c00
	s_cmpk_gt_u32 s9, 0x2fff
	s_cbranch_scc1 .LBB1016_182
	s_branch .LBB1016_190
.LBB1016_187:                           ;   in Loop: Header=BB1016_183 Depth=1
	s_add_i32 s9, s6, 0x1400
	s_cmpk_gt_u32 s9, 0x2fff
	s_cbranch_scc1 .LBB1016_185
.LBB1016_188:                           ;   in Loop: Header=BB1016_183 Depth=1
	ds_read_b32 v47, v40 offset:21504
	s_waitcnt lgkmcnt(0)
	v_lshrrev_b32_e32 v1, s44, v47
	v_and_b32_e32 v48, s14, v1
	v_lshlrev_b32_e32 v1, 2, v48
	ds_read_b32 v1, v1
	s_waitcnt lgkmcnt(0)
	v_add3_u32 v1, v43, v1, 0x1400
	v_lshlrev_b64 v[44:45], 2, v[1:2]
	v_xor_b32_e32 v1, 0x7fffffff, v47
	v_mov_b32_e32 v47, s8
	v_add_co_u32 v44, vcc_lo, s38, v44
	v_add_co_ci_u32_e64 v45, null, s39, v45, vcc_lo
	buffer_store_dword v48, v47, s[0:3], 0 offen offset:20
	global_store_dword v[44:45], v1, off
	s_add_i32 s9, s6, 0x1800
	s_cmpk_gt_u32 s9, 0x2fff
	s_cbranch_scc0 .LBB1016_186
.LBB1016_189:                           ;   in Loop: Header=BB1016_183 Depth=1
	s_add_i32 s9, s6, 0x1c00
	s_cmpk_gt_u32 s9, 0x2fff
	s_cbranch_scc1 .LBB1016_182
.LBB1016_190:                           ;   in Loop: Header=BB1016_183 Depth=1
	ds_read_b32 v45, v40 offset:29696
	s_waitcnt lgkmcnt(0)
	v_lshrrev_b32_e32 v1, s44, v45
	v_and_b32_e32 v47, s14, v1
	v_lshlrev_b32_e32 v1, 2, v47
	ds_read_b32 v1, v1
	s_waitcnt lgkmcnt(0)
	v_add3_u32 v1, v43, v1, 0x1c00
	v_lshlrev_b64 v[43:44], 2, v[1:2]
	v_xor_b32_e32 v1, 0x7fffffff, v45
	v_mov_b32_e32 v45, s8
	v_add_co_u32 v43, vcc_lo, s38, v43
	v_add_co_ci_u32_e64 v44, null, s39, v44, vcc_lo
	buffer_store_dword v47, v45, s[0:3], 0 offen offset:28
	global_store_dword v[43:44], v1, off
	s_branch .LBB1016_182
.LBB1016_191:
	s_add_u32 s6, s40, s12
	s_addc_u32 s7, s41, s13
	v_add_co_u32 v1, s6, s6, v9
	v_add_co_ci_u32_e64 v2, null, s7, 0, s6
	s_mov_b32 s8, 0
	v_add_co_u32 v1, vcc_lo, v1, v10
	v_add_co_ci_u32_e64 v2, null, 0, v2, vcc_lo
	s_mov_b32 s7, -1
	s_mov_b32 s6, 0
	s_clause 0xb
	global_load_dword v9, v[1:2], off
	global_load_dword v10, v[1:2], off offset:128
	global_load_dword v12, v[1:2], off offset:256
	global_load_dword v13, v[1:2], off offset:384
	global_load_dword v14, v[1:2], off offset:512
	global_load_dword v15, v[1:2], off offset:640
	global_load_dword v17, v[1:2], off offset:768
	global_load_dword v20, v[1:2], off offset:896
	global_load_dword v25, v[1:2], off offset:1024
	global_load_dword v26, v[1:2], off offset:1152
	global_load_dword v27, v[1:2], off offset:1280
	global_load_dword v28, v[1:2], off offset:1408
	v_mov_b32_e32 v2, 0
	s_branch .LBB1016_193
.LBB1016_192:                           ;   in Loop: Header=BB1016_193 Depth=1
	v_add_nc_u32_e32 v24, 0xffffe000, v24
	v_add_nc_u32_e32 v23, 0xffffe000, v23
	;; [unrolled: 1-line block ×12, first 2 shown]
	s_xor_b32 s8, s7, -1
	s_addk_i32 s6, 0x2000
	s_mov_b32 s7, 0
	s_and_b32 vcc_lo, exec_lo, s8
	s_mov_b32 s8, s5
	s_waitcnt_vscnt null, 0x0
	s_barrier
	buffer_gl0_inv
	s_cbranch_vccnz .LBB1016_201
.LBB1016_193:                           ; =>This Inner Loop Header: Depth=1
	v_min_u32_e32 v1, 0x2000, v3
	v_min_u32_e32 v29, 0x2000, v4
	;; [unrolled: 1-line block ×5, first 2 shown]
	v_lshlrev_b32_e32 v1, 2, v1
	v_lshlrev_b32_e32 v29, 2, v29
	v_min_u32_e32 v33, 0x2000, v16
	v_lshlrev_b32_e32 v30, 2, v30
	s_add_i32 s9, s6, 0x1000
	s_waitcnt vmcnt(11)
	ds_write_b32 v1, v9 offset:1024
	s_waitcnt vmcnt(10)
	ds_write_b32 v29, v10 offset:1024
	v_min_u32_e32 v1, 0x2000, v18
	v_lshlrev_b32_e32 v29, 2, v31
	v_lshlrev_b32_e32 v31, 2, v32
	;; [unrolled: 1-line block ×3, first 2 shown]
	s_waitcnt vmcnt(9)
	ds_write_b32 v30, v12 offset:1024
	v_lshlrev_b32_e32 v1, 2, v1
	s_waitcnt vmcnt(8)
	ds_write_b32 v29, v13 offset:1024
	s_waitcnt vmcnt(7)
	ds_write_b32 v31, v14 offset:1024
	;; [unrolled: 2-line block ×3, first 2 shown]
	v_min_u32_e32 v29, 0x2000, v19
	v_min_u32_e32 v30, 0x2000, v22
	;; [unrolled: 1-line block ×3, first 2 shown]
	s_waitcnt vmcnt(5)
	ds_write_b32 v1, v17 offset:1024
	v_min_u32_e32 v1, 0x2000, v21
	v_lshlrev_b32_e32 v29, 2, v29
	v_min_u32_e32 v32, 0x2000, v24
	v_lshlrev_b32_e32 v30, 2, v30
	v_lshlrev_b32_e32 v31, 2, v31
	;; [unrolled: 1-line block ×3, first 2 shown]
	s_waitcnt vmcnt(4)
	ds_write_b32 v29, v20 offset:1024
	v_lshlrev_b32_e32 v29, 2, v32
	s_waitcnt vmcnt(3)
	ds_write_b32 v1, v25 offset:1024
	s_waitcnt vmcnt(2)
	ds_write_b32 v30, v26 offset:1024
	;; [unrolled: 2-line block ×3, first 2 shown]
	v_mov_b32_e32 v1, s8
	s_waitcnt vmcnt(0)
	ds_write_b32 v29, v28 offset:1024
	s_waitcnt lgkmcnt(0)
	s_barrier
	buffer_gl0_inv
	s_clause 0x3
	buffer_load_dword v29, v1, s[0:3], 0 offen
	buffer_load_dword v30, v1, s[0:3], 0 offen offset:4
	buffer_load_dword v31, v1, s[0:3], 0 offen offset:8
	;; [unrolled: 1-line block ×3, first 2 shown]
	s_cmpk_lt_u32 s9, 0x3000
	s_waitcnt vmcnt(3)
	v_lshlrev_b32_e32 v29, 2, v29
	s_waitcnt vmcnt(0)
	v_lshlrev_b32_e32 v1, 2, v1
	ds_read_b32 v32, v29
	ds_read_b32 v41, v1
	v_lshlrev_b32_e32 v29, 2, v30
	ds_read_b32 v34, v29
	v_lshlrev_b32_e32 v29, 2, v31
	ds_read2st64_b32 v[30:31], v40 offset0:4 offset1:20
	ds_read_b32 v36, v29
	v_add_nc_u32_e32 v29, s6, v0
	s_waitcnt lgkmcnt(4)
	v_add_nc_u32_e32 v1, v29, v32
	v_lshlrev_b64 v[32:33], 2, v[1:2]
	s_waitcnt lgkmcnt(2)
	v_add3_u32 v1, v29, v34, 0x400
	v_add_co_u32 v32, vcc_lo, s42, v32
	v_lshlrev_b64 v[34:35], 2, v[1:2]
	s_waitcnt lgkmcnt(0)
	v_add3_u32 v1, v29, v36, 0x800
	ds_read2st64_b32 v[36:37], v40 offset0:36 offset1:52
	v_add_co_ci_u32_e64 v33, null, s43, v33, vcc_lo
	v_lshlrev_b64 v[38:39], 2, v[1:2]
	v_add3_u32 v1, v29, v41, 0xc00
	global_store_dword v[32:33], v30, off
	v_add_co_u32 v32, vcc_lo, s42, v34
	v_add_co_ci_u32_e64 v33, null, s43, v35, vcc_lo
	v_lshlrev_b64 v[34:35], 2, v[1:2]
	v_add_co_u32 v38, vcc_lo, s42, v38
	v_add_co_ci_u32_e64 v39, null, s43, v39, vcc_lo
	global_store_dword v[32:33], v31, off
	v_add_co_u32 v34, vcc_lo, s42, v34
	v_add_co_ci_u32_e64 v35, null, s43, v35, vcc_lo
	s_waitcnt lgkmcnt(0)
	global_store_dword v[38:39], v36, off
	global_store_dword v[34:35], v37, off
	s_cbranch_scc0 .LBB1016_197
; %bb.194:                              ;   in Loop: Header=BB1016_193 Depth=1
	v_mov_b32_e32 v1, s8
	buffer_load_dword v1, v1, s[0:3], 0 offen offset:16
	s_waitcnt vmcnt(0)
	v_lshlrev_b32_e32 v1, 2, v1
	ds_read_b32 v1, v1
	ds_read_b32 v32, v40 offset:17408
	s_waitcnt lgkmcnt(1)
	v_add3_u32 v1, v29, v1, 0x1000
	v_lshlrev_b64 v[30:31], 2, v[1:2]
	v_add_co_u32 v30, vcc_lo, s42, v30
	v_add_co_ci_u32_e64 v31, null, s43, v31, vcc_lo
	s_waitcnt lgkmcnt(0)
	global_store_dword v[30:31], v32, off
	s_add_i32 s9, s6, 0x1400
	s_cmpk_gt_u32 s9, 0x2fff
	s_cbranch_scc0 .LBB1016_198
.LBB1016_195:                           ;   in Loop: Header=BB1016_193 Depth=1
	s_add_i32 s9, s6, 0x1800
	s_cmpk_gt_u32 s9, 0x2fff
	s_cbranch_scc1 .LBB1016_199
.LBB1016_196:                           ;   in Loop: Header=BB1016_193 Depth=1
	v_mov_b32_e32 v1, s8
	buffer_load_dword v1, v1, s[0:3], 0 offen offset:24
	s_waitcnt vmcnt(0)
	v_lshlrev_b32_e32 v1, 2, v1
	ds_read_b32 v1, v1
	ds_read_b32 v32, v40 offset:25600
	s_waitcnt lgkmcnt(1)
	v_add3_u32 v1, v29, v1, 0x1800
	v_lshlrev_b64 v[30:31], 2, v[1:2]
	v_add_co_u32 v30, vcc_lo, s42, v30
	v_add_co_ci_u32_e64 v31, null, s43, v31, vcc_lo
	s_waitcnt lgkmcnt(0)
	global_store_dword v[30:31], v32, off
	s_add_i32 s9, s6, 0x1c00
	s_cmpk_gt_u32 s9, 0x2fff
	s_cbranch_scc1 .LBB1016_192
	s_branch .LBB1016_200
.LBB1016_197:                           ;   in Loop: Header=BB1016_193 Depth=1
	s_add_i32 s9, s6, 0x1400
	s_cmpk_gt_u32 s9, 0x2fff
	s_cbranch_scc1 .LBB1016_195
.LBB1016_198:                           ;   in Loop: Header=BB1016_193 Depth=1
	v_mov_b32_e32 v1, s8
	buffer_load_dword v1, v1, s[0:3], 0 offen offset:20
	s_waitcnt vmcnt(0)
	v_lshlrev_b32_e32 v1, 2, v1
	ds_read_b32 v1, v1
	ds_read_b32 v32, v40 offset:21504
	s_waitcnt lgkmcnt(1)
	v_add3_u32 v1, v29, v1, 0x1400
	v_lshlrev_b64 v[30:31], 2, v[1:2]
	v_add_co_u32 v30, vcc_lo, s42, v30
	v_add_co_ci_u32_e64 v31, null, s43, v31, vcc_lo
	s_waitcnt lgkmcnt(0)
	global_store_dword v[30:31], v32, off
	s_add_i32 s9, s6, 0x1800
	s_cmpk_gt_u32 s9, 0x2fff
	s_cbranch_scc0 .LBB1016_196
.LBB1016_199:                           ;   in Loop: Header=BB1016_193 Depth=1
	s_add_i32 s9, s6, 0x1c00
	s_cmpk_gt_u32 s9, 0x2fff
	s_cbranch_scc1 .LBB1016_192
.LBB1016_200:                           ;   in Loop: Header=BB1016_193 Depth=1
	v_mov_b32_e32 v1, s8
	buffer_load_dword v1, v1, s[0:3], 0 offen offset:28
	s_waitcnt vmcnt(0)
	v_lshlrev_b32_e32 v1, 2, v1
	ds_read_b32 v1, v1
	ds_read_b32 v31, v40 offset:29696
	s_waitcnt lgkmcnt(1)
	v_add3_u32 v1, v29, v1, 0x1c00
	v_lshlrev_b64 v[29:30], 2, v[1:2]
	v_add_co_u32 v29, vcc_lo, s42, v29
	v_add_co_ci_u32_e64 v30, null, s43, v30, vcc_lo
	s_waitcnt lgkmcnt(0)
	global_store_dword v[29:30], v31, off
	s_branch .LBB1016_192
.LBB1016_201:
	s_add_i32 s11, s11, -1
	s_cmp_eq_u32 s33, s11
	s_cselect_b32 s5, -1, 0
	s_xor_b32 s4, s4, -1
	s_and_b32 s4, s4, s5
	s_and_saveexec_b32 s5, s4
	s_cbranch_execz .LBB1016_203
; %bb.202:
	ds_read_b32 v0, v40
	s_waitcnt lgkmcnt(0)
	v_add3_u32 v0, v7, v8, v0
	global_store_dword v40, v0, s[30:31]
.LBB1016_203:
	s_endpgm
	.section	.rodata,"a",@progbits
	.p2align	6, 0x0
	.amdhsa_kernel _ZN7rocprim17ROCPRIM_400000_NS6detail17trampoline_kernelINS0_14default_configENS1_35radix_sort_onesweep_config_selectorIiiEEZZNS1_29radix_sort_onesweep_iterationIS3_Lb1EN6thrust23THRUST_200600_302600_NS6detail15normal_iteratorINS8_10device_ptrIiEEEESD_SD_SD_jNS0_19identity_decomposerENS1_16block_id_wrapperIjLb1EEEEE10hipError_tT1_PNSt15iterator_traitsISI_E10value_typeET2_T3_PNSJ_ISO_E10value_typeET4_T5_PST_SU_PNS1_23onesweep_lookback_stateEbbT6_jjT7_P12ihipStream_tbENKUlT_T0_SI_SN_E_clISD_PiSD_S15_EEDaS11_S12_SI_SN_EUlS11_E_NS1_11comp_targetILNS1_3genE8ELNS1_11target_archE1030ELNS1_3gpuE2ELNS1_3repE0EEENS1_47radix_sort_onesweep_sort_config_static_selectorELNS0_4arch9wavefront6targetE0EEEvSI_
		.amdhsa_group_segment_fixed_size 37000
		.amdhsa_private_segment_fixed_size 64
		.amdhsa_kernarg_size 344
		.amdhsa_user_sgpr_count 6
		.amdhsa_user_sgpr_private_segment_buffer 1
		.amdhsa_user_sgpr_dispatch_ptr 0
		.amdhsa_user_sgpr_queue_ptr 0
		.amdhsa_user_sgpr_kernarg_segment_ptr 1
		.amdhsa_user_sgpr_dispatch_id 0
		.amdhsa_user_sgpr_flat_scratch_init 0
		.amdhsa_user_sgpr_private_segment_size 0
		.amdhsa_wavefront_size32 1
		.amdhsa_uses_dynamic_stack 0
		.amdhsa_system_sgpr_private_segment_wavefront_offset 1
		.amdhsa_system_sgpr_workgroup_id_x 1
		.amdhsa_system_sgpr_workgroup_id_y 0
		.amdhsa_system_sgpr_workgroup_id_z 0
		.amdhsa_system_sgpr_workgroup_info 0
		.amdhsa_system_vgpr_workitem_id 2
		.amdhsa_next_free_vgpr 68
		.amdhsa_next_free_sgpr 51
		.amdhsa_reserve_vcc 1
		.amdhsa_reserve_flat_scratch 0
		.amdhsa_float_round_mode_32 0
		.amdhsa_float_round_mode_16_64 0
		.amdhsa_float_denorm_mode_32 3
		.amdhsa_float_denorm_mode_16_64 3
		.amdhsa_dx10_clamp 1
		.amdhsa_ieee_mode 1
		.amdhsa_fp16_overflow 0
		.amdhsa_workgroup_processor_mode 1
		.amdhsa_memory_ordered 1
		.amdhsa_forward_progress 1
		.amdhsa_shared_vgpr_count 0
		.amdhsa_exception_fp_ieee_invalid_op 0
		.amdhsa_exception_fp_denorm_src 0
		.amdhsa_exception_fp_ieee_div_zero 0
		.amdhsa_exception_fp_ieee_overflow 0
		.amdhsa_exception_fp_ieee_underflow 0
		.amdhsa_exception_fp_ieee_inexact 0
		.amdhsa_exception_int_div_zero 0
	.end_amdhsa_kernel
	.section	.text._ZN7rocprim17ROCPRIM_400000_NS6detail17trampoline_kernelINS0_14default_configENS1_35radix_sort_onesweep_config_selectorIiiEEZZNS1_29radix_sort_onesweep_iterationIS3_Lb1EN6thrust23THRUST_200600_302600_NS6detail15normal_iteratorINS8_10device_ptrIiEEEESD_SD_SD_jNS0_19identity_decomposerENS1_16block_id_wrapperIjLb1EEEEE10hipError_tT1_PNSt15iterator_traitsISI_E10value_typeET2_T3_PNSJ_ISO_E10value_typeET4_T5_PST_SU_PNS1_23onesweep_lookback_stateEbbT6_jjT7_P12ihipStream_tbENKUlT_T0_SI_SN_E_clISD_PiSD_S15_EEDaS11_S12_SI_SN_EUlS11_E_NS1_11comp_targetILNS1_3genE8ELNS1_11target_archE1030ELNS1_3gpuE2ELNS1_3repE0EEENS1_47radix_sort_onesweep_sort_config_static_selectorELNS0_4arch9wavefront6targetE0EEEvSI_,"axG",@progbits,_ZN7rocprim17ROCPRIM_400000_NS6detail17trampoline_kernelINS0_14default_configENS1_35radix_sort_onesweep_config_selectorIiiEEZZNS1_29radix_sort_onesweep_iterationIS3_Lb1EN6thrust23THRUST_200600_302600_NS6detail15normal_iteratorINS8_10device_ptrIiEEEESD_SD_SD_jNS0_19identity_decomposerENS1_16block_id_wrapperIjLb1EEEEE10hipError_tT1_PNSt15iterator_traitsISI_E10value_typeET2_T3_PNSJ_ISO_E10value_typeET4_T5_PST_SU_PNS1_23onesweep_lookback_stateEbbT6_jjT7_P12ihipStream_tbENKUlT_T0_SI_SN_E_clISD_PiSD_S15_EEDaS11_S12_SI_SN_EUlS11_E_NS1_11comp_targetILNS1_3genE8ELNS1_11target_archE1030ELNS1_3gpuE2ELNS1_3repE0EEENS1_47radix_sort_onesweep_sort_config_static_selectorELNS0_4arch9wavefront6targetE0EEEvSI_,comdat
.Lfunc_end1016:
	.size	_ZN7rocprim17ROCPRIM_400000_NS6detail17trampoline_kernelINS0_14default_configENS1_35radix_sort_onesweep_config_selectorIiiEEZZNS1_29radix_sort_onesweep_iterationIS3_Lb1EN6thrust23THRUST_200600_302600_NS6detail15normal_iteratorINS8_10device_ptrIiEEEESD_SD_SD_jNS0_19identity_decomposerENS1_16block_id_wrapperIjLb1EEEEE10hipError_tT1_PNSt15iterator_traitsISI_E10value_typeET2_T3_PNSJ_ISO_E10value_typeET4_T5_PST_SU_PNS1_23onesweep_lookback_stateEbbT6_jjT7_P12ihipStream_tbENKUlT_T0_SI_SN_E_clISD_PiSD_S15_EEDaS11_S12_SI_SN_EUlS11_E_NS1_11comp_targetILNS1_3genE8ELNS1_11target_archE1030ELNS1_3gpuE2ELNS1_3repE0EEENS1_47radix_sort_onesweep_sort_config_static_selectorELNS0_4arch9wavefront6targetE0EEEvSI_, .Lfunc_end1016-_ZN7rocprim17ROCPRIM_400000_NS6detail17trampoline_kernelINS0_14default_configENS1_35radix_sort_onesweep_config_selectorIiiEEZZNS1_29radix_sort_onesweep_iterationIS3_Lb1EN6thrust23THRUST_200600_302600_NS6detail15normal_iteratorINS8_10device_ptrIiEEEESD_SD_SD_jNS0_19identity_decomposerENS1_16block_id_wrapperIjLb1EEEEE10hipError_tT1_PNSt15iterator_traitsISI_E10value_typeET2_T3_PNSJ_ISO_E10value_typeET4_T5_PST_SU_PNS1_23onesweep_lookback_stateEbbT6_jjT7_P12ihipStream_tbENKUlT_T0_SI_SN_E_clISD_PiSD_S15_EEDaS11_S12_SI_SN_EUlS11_E_NS1_11comp_targetILNS1_3genE8ELNS1_11target_archE1030ELNS1_3gpuE2ELNS1_3repE0EEENS1_47radix_sort_onesweep_sort_config_static_selectorELNS0_4arch9wavefront6targetE0EEEvSI_
                                        ; -- End function
	.set _ZN7rocprim17ROCPRIM_400000_NS6detail17trampoline_kernelINS0_14default_configENS1_35radix_sort_onesweep_config_selectorIiiEEZZNS1_29radix_sort_onesweep_iterationIS3_Lb1EN6thrust23THRUST_200600_302600_NS6detail15normal_iteratorINS8_10device_ptrIiEEEESD_SD_SD_jNS0_19identity_decomposerENS1_16block_id_wrapperIjLb1EEEEE10hipError_tT1_PNSt15iterator_traitsISI_E10value_typeET2_T3_PNSJ_ISO_E10value_typeET4_T5_PST_SU_PNS1_23onesweep_lookback_stateEbbT6_jjT7_P12ihipStream_tbENKUlT_T0_SI_SN_E_clISD_PiSD_S15_EEDaS11_S12_SI_SN_EUlS11_E_NS1_11comp_targetILNS1_3genE8ELNS1_11target_archE1030ELNS1_3gpuE2ELNS1_3repE0EEENS1_47radix_sort_onesweep_sort_config_static_selectorELNS0_4arch9wavefront6targetE0EEEvSI_.num_vgpr, 68
	.set _ZN7rocprim17ROCPRIM_400000_NS6detail17trampoline_kernelINS0_14default_configENS1_35radix_sort_onesweep_config_selectorIiiEEZZNS1_29radix_sort_onesweep_iterationIS3_Lb1EN6thrust23THRUST_200600_302600_NS6detail15normal_iteratorINS8_10device_ptrIiEEEESD_SD_SD_jNS0_19identity_decomposerENS1_16block_id_wrapperIjLb1EEEEE10hipError_tT1_PNSt15iterator_traitsISI_E10value_typeET2_T3_PNSJ_ISO_E10value_typeET4_T5_PST_SU_PNS1_23onesweep_lookback_stateEbbT6_jjT7_P12ihipStream_tbENKUlT_T0_SI_SN_E_clISD_PiSD_S15_EEDaS11_S12_SI_SN_EUlS11_E_NS1_11comp_targetILNS1_3genE8ELNS1_11target_archE1030ELNS1_3gpuE2ELNS1_3repE0EEENS1_47radix_sort_onesweep_sort_config_static_selectorELNS0_4arch9wavefront6targetE0EEEvSI_.num_agpr, 0
	.set _ZN7rocprim17ROCPRIM_400000_NS6detail17trampoline_kernelINS0_14default_configENS1_35radix_sort_onesweep_config_selectorIiiEEZZNS1_29radix_sort_onesweep_iterationIS3_Lb1EN6thrust23THRUST_200600_302600_NS6detail15normal_iteratorINS8_10device_ptrIiEEEESD_SD_SD_jNS0_19identity_decomposerENS1_16block_id_wrapperIjLb1EEEEE10hipError_tT1_PNSt15iterator_traitsISI_E10value_typeET2_T3_PNSJ_ISO_E10value_typeET4_T5_PST_SU_PNS1_23onesweep_lookback_stateEbbT6_jjT7_P12ihipStream_tbENKUlT_T0_SI_SN_E_clISD_PiSD_S15_EEDaS11_S12_SI_SN_EUlS11_E_NS1_11comp_targetILNS1_3genE8ELNS1_11target_archE1030ELNS1_3gpuE2ELNS1_3repE0EEENS1_47radix_sort_onesweep_sort_config_static_selectorELNS0_4arch9wavefront6targetE0EEEvSI_.numbered_sgpr, 51
	.set _ZN7rocprim17ROCPRIM_400000_NS6detail17trampoline_kernelINS0_14default_configENS1_35radix_sort_onesweep_config_selectorIiiEEZZNS1_29radix_sort_onesweep_iterationIS3_Lb1EN6thrust23THRUST_200600_302600_NS6detail15normal_iteratorINS8_10device_ptrIiEEEESD_SD_SD_jNS0_19identity_decomposerENS1_16block_id_wrapperIjLb1EEEEE10hipError_tT1_PNSt15iterator_traitsISI_E10value_typeET2_T3_PNSJ_ISO_E10value_typeET4_T5_PST_SU_PNS1_23onesweep_lookback_stateEbbT6_jjT7_P12ihipStream_tbENKUlT_T0_SI_SN_E_clISD_PiSD_S15_EEDaS11_S12_SI_SN_EUlS11_E_NS1_11comp_targetILNS1_3genE8ELNS1_11target_archE1030ELNS1_3gpuE2ELNS1_3repE0EEENS1_47radix_sort_onesweep_sort_config_static_selectorELNS0_4arch9wavefront6targetE0EEEvSI_.num_named_barrier, 0
	.set _ZN7rocprim17ROCPRIM_400000_NS6detail17trampoline_kernelINS0_14default_configENS1_35radix_sort_onesweep_config_selectorIiiEEZZNS1_29radix_sort_onesweep_iterationIS3_Lb1EN6thrust23THRUST_200600_302600_NS6detail15normal_iteratorINS8_10device_ptrIiEEEESD_SD_SD_jNS0_19identity_decomposerENS1_16block_id_wrapperIjLb1EEEEE10hipError_tT1_PNSt15iterator_traitsISI_E10value_typeET2_T3_PNSJ_ISO_E10value_typeET4_T5_PST_SU_PNS1_23onesweep_lookback_stateEbbT6_jjT7_P12ihipStream_tbENKUlT_T0_SI_SN_E_clISD_PiSD_S15_EEDaS11_S12_SI_SN_EUlS11_E_NS1_11comp_targetILNS1_3genE8ELNS1_11target_archE1030ELNS1_3gpuE2ELNS1_3repE0EEENS1_47radix_sort_onesweep_sort_config_static_selectorELNS0_4arch9wavefront6targetE0EEEvSI_.private_seg_size, 64
	.set _ZN7rocprim17ROCPRIM_400000_NS6detail17trampoline_kernelINS0_14default_configENS1_35radix_sort_onesweep_config_selectorIiiEEZZNS1_29radix_sort_onesweep_iterationIS3_Lb1EN6thrust23THRUST_200600_302600_NS6detail15normal_iteratorINS8_10device_ptrIiEEEESD_SD_SD_jNS0_19identity_decomposerENS1_16block_id_wrapperIjLb1EEEEE10hipError_tT1_PNSt15iterator_traitsISI_E10value_typeET2_T3_PNSJ_ISO_E10value_typeET4_T5_PST_SU_PNS1_23onesweep_lookback_stateEbbT6_jjT7_P12ihipStream_tbENKUlT_T0_SI_SN_E_clISD_PiSD_S15_EEDaS11_S12_SI_SN_EUlS11_E_NS1_11comp_targetILNS1_3genE8ELNS1_11target_archE1030ELNS1_3gpuE2ELNS1_3repE0EEENS1_47radix_sort_onesweep_sort_config_static_selectorELNS0_4arch9wavefront6targetE0EEEvSI_.uses_vcc, 1
	.set _ZN7rocprim17ROCPRIM_400000_NS6detail17trampoline_kernelINS0_14default_configENS1_35radix_sort_onesweep_config_selectorIiiEEZZNS1_29radix_sort_onesweep_iterationIS3_Lb1EN6thrust23THRUST_200600_302600_NS6detail15normal_iteratorINS8_10device_ptrIiEEEESD_SD_SD_jNS0_19identity_decomposerENS1_16block_id_wrapperIjLb1EEEEE10hipError_tT1_PNSt15iterator_traitsISI_E10value_typeET2_T3_PNSJ_ISO_E10value_typeET4_T5_PST_SU_PNS1_23onesweep_lookback_stateEbbT6_jjT7_P12ihipStream_tbENKUlT_T0_SI_SN_E_clISD_PiSD_S15_EEDaS11_S12_SI_SN_EUlS11_E_NS1_11comp_targetILNS1_3genE8ELNS1_11target_archE1030ELNS1_3gpuE2ELNS1_3repE0EEENS1_47radix_sort_onesweep_sort_config_static_selectorELNS0_4arch9wavefront6targetE0EEEvSI_.uses_flat_scratch, 0
	.set _ZN7rocprim17ROCPRIM_400000_NS6detail17trampoline_kernelINS0_14default_configENS1_35radix_sort_onesweep_config_selectorIiiEEZZNS1_29radix_sort_onesweep_iterationIS3_Lb1EN6thrust23THRUST_200600_302600_NS6detail15normal_iteratorINS8_10device_ptrIiEEEESD_SD_SD_jNS0_19identity_decomposerENS1_16block_id_wrapperIjLb1EEEEE10hipError_tT1_PNSt15iterator_traitsISI_E10value_typeET2_T3_PNSJ_ISO_E10value_typeET4_T5_PST_SU_PNS1_23onesweep_lookback_stateEbbT6_jjT7_P12ihipStream_tbENKUlT_T0_SI_SN_E_clISD_PiSD_S15_EEDaS11_S12_SI_SN_EUlS11_E_NS1_11comp_targetILNS1_3genE8ELNS1_11target_archE1030ELNS1_3gpuE2ELNS1_3repE0EEENS1_47radix_sort_onesweep_sort_config_static_selectorELNS0_4arch9wavefront6targetE0EEEvSI_.has_dyn_sized_stack, 0
	.set _ZN7rocprim17ROCPRIM_400000_NS6detail17trampoline_kernelINS0_14default_configENS1_35radix_sort_onesweep_config_selectorIiiEEZZNS1_29radix_sort_onesweep_iterationIS3_Lb1EN6thrust23THRUST_200600_302600_NS6detail15normal_iteratorINS8_10device_ptrIiEEEESD_SD_SD_jNS0_19identity_decomposerENS1_16block_id_wrapperIjLb1EEEEE10hipError_tT1_PNSt15iterator_traitsISI_E10value_typeET2_T3_PNSJ_ISO_E10value_typeET4_T5_PST_SU_PNS1_23onesweep_lookback_stateEbbT6_jjT7_P12ihipStream_tbENKUlT_T0_SI_SN_E_clISD_PiSD_S15_EEDaS11_S12_SI_SN_EUlS11_E_NS1_11comp_targetILNS1_3genE8ELNS1_11target_archE1030ELNS1_3gpuE2ELNS1_3repE0EEENS1_47radix_sort_onesweep_sort_config_static_selectorELNS0_4arch9wavefront6targetE0EEEvSI_.has_recursion, 0
	.set _ZN7rocprim17ROCPRIM_400000_NS6detail17trampoline_kernelINS0_14default_configENS1_35radix_sort_onesweep_config_selectorIiiEEZZNS1_29radix_sort_onesweep_iterationIS3_Lb1EN6thrust23THRUST_200600_302600_NS6detail15normal_iteratorINS8_10device_ptrIiEEEESD_SD_SD_jNS0_19identity_decomposerENS1_16block_id_wrapperIjLb1EEEEE10hipError_tT1_PNSt15iterator_traitsISI_E10value_typeET2_T3_PNSJ_ISO_E10value_typeET4_T5_PST_SU_PNS1_23onesweep_lookback_stateEbbT6_jjT7_P12ihipStream_tbENKUlT_T0_SI_SN_E_clISD_PiSD_S15_EEDaS11_S12_SI_SN_EUlS11_E_NS1_11comp_targetILNS1_3genE8ELNS1_11target_archE1030ELNS1_3gpuE2ELNS1_3repE0EEENS1_47radix_sort_onesweep_sort_config_static_selectorELNS0_4arch9wavefront6targetE0EEEvSI_.has_indirect_call, 0
	.section	.AMDGPU.csdata,"",@progbits
; Kernel info:
; codeLenInByte = 17560
; TotalNumSgprs: 53
; NumVgprs: 68
; ScratchSize: 64
; MemoryBound: 0
; FloatMode: 240
; IeeeMode: 1
; LDSByteSize: 37000 bytes/workgroup (compile time only)
; SGPRBlocks: 0
; VGPRBlocks: 8
; NumSGPRsForWavesPerEU: 53
; NumVGPRsForWavesPerEU: 68
; Occupancy: 12
; WaveLimiterHint : 1
; COMPUTE_PGM_RSRC2:SCRATCH_EN: 1
; COMPUTE_PGM_RSRC2:USER_SGPR: 6
; COMPUTE_PGM_RSRC2:TRAP_HANDLER: 0
; COMPUTE_PGM_RSRC2:TGID_X_EN: 1
; COMPUTE_PGM_RSRC2:TGID_Y_EN: 0
; COMPUTE_PGM_RSRC2:TGID_Z_EN: 0
; COMPUTE_PGM_RSRC2:TIDIG_COMP_CNT: 2
	.section	.text._ZN7rocprim17ROCPRIM_400000_NS6detail17trampoline_kernelINS0_14default_configENS1_35radix_sort_onesweep_config_selectorIiiEEZZNS1_29radix_sort_onesweep_iterationIS3_Lb1EN6thrust23THRUST_200600_302600_NS6detail15normal_iteratorINS8_10device_ptrIiEEEESD_SD_SD_jNS0_19identity_decomposerENS1_16block_id_wrapperIjLb1EEEEE10hipError_tT1_PNSt15iterator_traitsISI_E10value_typeET2_T3_PNSJ_ISO_E10value_typeET4_T5_PST_SU_PNS1_23onesweep_lookback_stateEbbT6_jjT7_P12ihipStream_tbENKUlT_T0_SI_SN_E_clIPiSD_S15_SD_EEDaS11_S12_SI_SN_EUlS11_E_NS1_11comp_targetILNS1_3genE0ELNS1_11target_archE4294967295ELNS1_3gpuE0ELNS1_3repE0EEENS1_47radix_sort_onesweep_sort_config_static_selectorELNS0_4arch9wavefront6targetE0EEEvSI_,"axG",@progbits,_ZN7rocprim17ROCPRIM_400000_NS6detail17trampoline_kernelINS0_14default_configENS1_35radix_sort_onesweep_config_selectorIiiEEZZNS1_29radix_sort_onesweep_iterationIS3_Lb1EN6thrust23THRUST_200600_302600_NS6detail15normal_iteratorINS8_10device_ptrIiEEEESD_SD_SD_jNS0_19identity_decomposerENS1_16block_id_wrapperIjLb1EEEEE10hipError_tT1_PNSt15iterator_traitsISI_E10value_typeET2_T3_PNSJ_ISO_E10value_typeET4_T5_PST_SU_PNS1_23onesweep_lookback_stateEbbT6_jjT7_P12ihipStream_tbENKUlT_T0_SI_SN_E_clIPiSD_S15_SD_EEDaS11_S12_SI_SN_EUlS11_E_NS1_11comp_targetILNS1_3genE0ELNS1_11target_archE4294967295ELNS1_3gpuE0ELNS1_3repE0EEENS1_47radix_sort_onesweep_sort_config_static_selectorELNS0_4arch9wavefront6targetE0EEEvSI_,comdat
	.protected	_ZN7rocprim17ROCPRIM_400000_NS6detail17trampoline_kernelINS0_14default_configENS1_35radix_sort_onesweep_config_selectorIiiEEZZNS1_29radix_sort_onesweep_iterationIS3_Lb1EN6thrust23THRUST_200600_302600_NS6detail15normal_iteratorINS8_10device_ptrIiEEEESD_SD_SD_jNS0_19identity_decomposerENS1_16block_id_wrapperIjLb1EEEEE10hipError_tT1_PNSt15iterator_traitsISI_E10value_typeET2_T3_PNSJ_ISO_E10value_typeET4_T5_PST_SU_PNS1_23onesweep_lookback_stateEbbT6_jjT7_P12ihipStream_tbENKUlT_T0_SI_SN_E_clIPiSD_S15_SD_EEDaS11_S12_SI_SN_EUlS11_E_NS1_11comp_targetILNS1_3genE0ELNS1_11target_archE4294967295ELNS1_3gpuE0ELNS1_3repE0EEENS1_47radix_sort_onesweep_sort_config_static_selectorELNS0_4arch9wavefront6targetE0EEEvSI_ ; -- Begin function _ZN7rocprim17ROCPRIM_400000_NS6detail17trampoline_kernelINS0_14default_configENS1_35radix_sort_onesweep_config_selectorIiiEEZZNS1_29radix_sort_onesweep_iterationIS3_Lb1EN6thrust23THRUST_200600_302600_NS6detail15normal_iteratorINS8_10device_ptrIiEEEESD_SD_SD_jNS0_19identity_decomposerENS1_16block_id_wrapperIjLb1EEEEE10hipError_tT1_PNSt15iterator_traitsISI_E10value_typeET2_T3_PNSJ_ISO_E10value_typeET4_T5_PST_SU_PNS1_23onesweep_lookback_stateEbbT6_jjT7_P12ihipStream_tbENKUlT_T0_SI_SN_E_clIPiSD_S15_SD_EEDaS11_S12_SI_SN_EUlS11_E_NS1_11comp_targetILNS1_3genE0ELNS1_11target_archE4294967295ELNS1_3gpuE0ELNS1_3repE0EEENS1_47radix_sort_onesweep_sort_config_static_selectorELNS0_4arch9wavefront6targetE0EEEvSI_
	.globl	_ZN7rocprim17ROCPRIM_400000_NS6detail17trampoline_kernelINS0_14default_configENS1_35radix_sort_onesweep_config_selectorIiiEEZZNS1_29radix_sort_onesweep_iterationIS3_Lb1EN6thrust23THRUST_200600_302600_NS6detail15normal_iteratorINS8_10device_ptrIiEEEESD_SD_SD_jNS0_19identity_decomposerENS1_16block_id_wrapperIjLb1EEEEE10hipError_tT1_PNSt15iterator_traitsISI_E10value_typeET2_T3_PNSJ_ISO_E10value_typeET4_T5_PST_SU_PNS1_23onesweep_lookback_stateEbbT6_jjT7_P12ihipStream_tbENKUlT_T0_SI_SN_E_clIPiSD_S15_SD_EEDaS11_S12_SI_SN_EUlS11_E_NS1_11comp_targetILNS1_3genE0ELNS1_11target_archE4294967295ELNS1_3gpuE0ELNS1_3repE0EEENS1_47radix_sort_onesweep_sort_config_static_selectorELNS0_4arch9wavefront6targetE0EEEvSI_
	.p2align	8
	.type	_ZN7rocprim17ROCPRIM_400000_NS6detail17trampoline_kernelINS0_14default_configENS1_35radix_sort_onesweep_config_selectorIiiEEZZNS1_29radix_sort_onesweep_iterationIS3_Lb1EN6thrust23THRUST_200600_302600_NS6detail15normal_iteratorINS8_10device_ptrIiEEEESD_SD_SD_jNS0_19identity_decomposerENS1_16block_id_wrapperIjLb1EEEEE10hipError_tT1_PNSt15iterator_traitsISI_E10value_typeET2_T3_PNSJ_ISO_E10value_typeET4_T5_PST_SU_PNS1_23onesweep_lookback_stateEbbT6_jjT7_P12ihipStream_tbENKUlT_T0_SI_SN_E_clIPiSD_S15_SD_EEDaS11_S12_SI_SN_EUlS11_E_NS1_11comp_targetILNS1_3genE0ELNS1_11target_archE4294967295ELNS1_3gpuE0ELNS1_3repE0EEENS1_47radix_sort_onesweep_sort_config_static_selectorELNS0_4arch9wavefront6targetE0EEEvSI_,@function
_ZN7rocprim17ROCPRIM_400000_NS6detail17trampoline_kernelINS0_14default_configENS1_35radix_sort_onesweep_config_selectorIiiEEZZNS1_29radix_sort_onesweep_iterationIS3_Lb1EN6thrust23THRUST_200600_302600_NS6detail15normal_iteratorINS8_10device_ptrIiEEEESD_SD_SD_jNS0_19identity_decomposerENS1_16block_id_wrapperIjLb1EEEEE10hipError_tT1_PNSt15iterator_traitsISI_E10value_typeET2_T3_PNSJ_ISO_E10value_typeET4_T5_PST_SU_PNS1_23onesweep_lookback_stateEbbT6_jjT7_P12ihipStream_tbENKUlT_T0_SI_SN_E_clIPiSD_S15_SD_EEDaS11_S12_SI_SN_EUlS11_E_NS1_11comp_targetILNS1_3genE0ELNS1_11target_archE4294967295ELNS1_3gpuE0ELNS1_3repE0EEENS1_47radix_sort_onesweep_sort_config_static_selectorELNS0_4arch9wavefront6targetE0EEEvSI_: ; @_ZN7rocprim17ROCPRIM_400000_NS6detail17trampoline_kernelINS0_14default_configENS1_35radix_sort_onesweep_config_selectorIiiEEZZNS1_29radix_sort_onesweep_iterationIS3_Lb1EN6thrust23THRUST_200600_302600_NS6detail15normal_iteratorINS8_10device_ptrIiEEEESD_SD_SD_jNS0_19identity_decomposerENS1_16block_id_wrapperIjLb1EEEEE10hipError_tT1_PNSt15iterator_traitsISI_E10value_typeET2_T3_PNSJ_ISO_E10value_typeET4_T5_PST_SU_PNS1_23onesweep_lookback_stateEbbT6_jjT7_P12ihipStream_tbENKUlT_T0_SI_SN_E_clIPiSD_S15_SD_EEDaS11_S12_SI_SN_EUlS11_E_NS1_11comp_targetILNS1_3genE0ELNS1_11target_archE4294967295ELNS1_3gpuE0ELNS1_3repE0EEENS1_47radix_sort_onesweep_sort_config_static_selectorELNS0_4arch9wavefront6targetE0EEEvSI_
; %bb.0:
	.section	.rodata,"a",@progbits
	.p2align	6, 0x0
	.amdhsa_kernel _ZN7rocprim17ROCPRIM_400000_NS6detail17trampoline_kernelINS0_14default_configENS1_35radix_sort_onesweep_config_selectorIiiEEZZNS1_29radix_sort_onesweep_iterationIS3_Lb1EN6thrust23THRUST_200600_302600_NS6detail15normal_iteratorINS8_10device_ptrIiEEEESD_SD_SD_jNS0_19identity_decomposerENS1_16block_id_wrapperIjLb1EEEEE10hipError_tT1_PNSt15iterator_traitsISI_E10value_typeET2_T3_PNSJ_ISO_E10value_typeET4_T5_PST_SU_PNS1_23onesweep_lookback_stateEbbT6_jjT7_P12ihipStream_tbENKUlT_T0_SI_SN_E_clIPiSD_S15_SD_EEDaS11_S12_SI_SN_EUlS11_E_NS1_11comp_targetILNS1_3genE0ELNS1_11target_archE4294967295ELNS1_3gpuE0ELNS1_3repE0EEENS1_47radix_sort_onesweep_sort_config_static_selectorELNS0_4arch9wavefront6targetE0EEEvSI_
		.amdhsa_group_segment_fixed_size 0
		.amdhsa_private_segment_fixed_size 0
		.amdhsa_kernarg_size 88
		.amdhsa_user_sgpr_count 6
		.amdhsa_user_sgpr_private_segment_buffer 1
		.amdhsa_user_sgpr_dispatch_ptr 0
		.amdhsa_user_sgpr_queue_ptr 0
		.amdhsa_user_sgpr_kernarg_segment_ptr 1
		.amdhsa_user_sgpr_dispatch_id 0
		.amdhsa_user_sgpr_flat_scratch_init 0
		.amdhsa_user_sgpr_private_segment_size 0
		.amdhsa_wavefront_size32 1
		.amdhsa_uses_dynamic_stack 0
		.amdhsa_system_sgpr_private_segment_wavefront_offset 0
		.amdhsa_system_sgpr_workgroup_id_x 1
		.amdhsa_system_sgpr_workgroup_id_y 0
		.amdhsa_system_sgpr_workgroup_id_z 0
		.amdhsa_system_sgpr_workgroup_info 0
		.amdhsa_system_vgpr_workitem_id 0
		.amdhsa_next_free_vgpr 1
		.amdhsa_next_free_sgpr 1
		.amdhsa_reserve_vcc 0
		.amdhsa_reserve_flat_scratch 0
		.amdhsa_float_round_mode_32 0
		.amdhsa_float_round_mode_16_64 0
		.amdhsa_float_denorm_mode_32 3
		.amdhsa_float_denorm_mode_16_64 3
		.amdhsa_dx10_clamp 1
		.amdhsa_ieee_mode 1
		.amdhsa_fp16_overflow 0
		.amdhsa_workgroup_processor_mode 1
		.amdhsa_memory_ordered 1
		.amdhsa_forward_progress 1
		.amdhsa_shared_vgpr_count 0
		.amdhsa_exception_fp_ieee_invalid_op 0
		.amdhsa_exception_fp_denorm_src 0
		.amdhsa_exception_fp_ieee_div_zero 0
		.amdhsa_exception_fp_ieee_overflow 0
		.amdhsa_exception_fp_ieee_underflow 0
		.amdhsa_exception_fp_ieee_inexact 0
		.amdhsa_exception_int_div_zero 0
	.end_amdhsa_kernel
	.section	.text._ZN7rocprim17ROCPRIM_400000_NS6detail17trampoline_kernelINS0_14default_configENS1_35radix_sort_onesweep_config_selectorIiiEEZZNS1_29radix_sort_onesweep_iterationIS3_Lb1EN6thrust23THRUST_200600_302600_NS6detail15normal_iteratorINS8_10device_ptrIiEEEESD_SD_SD_jNS0_19identity_decomposerENS1_16block_id_wrapperIjLb1EEEEE10hipError_tT1_PNSt15iterator_traitsISI_E10value_typeET2_T3_PNSJ_ISO_E10value_typeET4_T5_PST_SU_PNS1_23onesweep_lookback_stateEbbT6_jjT7_P12ihipStream_tbENKUlT_T0_SI_SN_E_clIPiSD_S15_SD_EEDaS11_S12_SI_SN_EUlS11_E_NS1_11comp_targetILNS1_3genE0ELNS1_11target_archE4294967295ELNS1_3gpuE0ELNS1_3repE0EEENS1_47radix_sort_onesweep_sort_config_static_selectorELNS0_4arch9wavefront6targetE0EEEvSI_,"axG",@progbits,_ZN7rocprim17ROCPRIM_400000_NS6detail17trampoline_kernelINS0_14default_configENS1_35radix_sort_onesweep_config_selectorIiiEEZZNS1_29radix_sort_onesweep_iterationIS3_Lb1EN6thrust23THRUST_200600_302600_NS6detail15normal_iteratorINS8_10device_ptrIiEEEESD_SD_SD_jNS0_19identity_decomposerENS1_16block_id_wrapperIjLb1EEEEE10hipError_tT1_PNSt15iterator_traitsISI_E10value_typeET2_T3_PNSJ_ISO_E10value_typeET4_T5_PST_SU_PNS1_23onesweep_lookback_stateEbbT6_jjT7_P12ihipStream_tbENKUlT_T0_SI_SN_E_clIPiSD_S15_SD_EEDaS11_S12_SI_SN_EUlS11_E_NS1_11comp_targetILNS1_3genE0ELNS1_11target_archE4294967295ELNS1_3gpuE0ELNS1_3repE0EEENS1_47radix_sort_onesweep_sort_config_static_selectorELNS0_4arch9wavefront6targetE0EEEvSI_,comdat
.Lfunc_end1017:
	.size	_ZN7rocprim17ROCPRIM_400000_NS6detail17trampoline_kernelINS0_14default_configENS1_35radix_sort_onesweep_config_selectorIiiEEZZNS1_29radix_sort_onesweep_iterationIS3_Lb1EN6thrust23THRUST_200600_302600_NS6detail15normal_iteratorINS8_10device_ptrIiEEEESD_SD_SD_jNS0_19identity_decomposerENS1_16block_id_wrapperIjLb1EEEEE10hipError_tT1_PNSt15iterator_traitsISI_E10value_typeET2_T3_PNSJ_ISO_E10value_typeET4_T5_PST_SU_PNS1_23onesweep_lookback_stateEbbT6_jjT7_P12ihipStream_tbENKUlT_T0_SI_SN_E_clIPiSD_S15_SD_EEDaS11_S12_SI_SN_EUlS11_E_NS1_11comp_targetILNS1_3genE0ELNS1_11target_archE4294967295ELNS1_3gpuE0ELNS1_3repE0EEENS1_47radix_sort_onesweep_sort_config_static_selectorELNS0_4arch9wavefront6targetE0EEEvSI_, .Lfunc_end1017-_ZN7rocprim17ROCPRIM_400000_NS6detail17trampoline_kernelINS0_14default_configENS1_35radix_sort_onesweep_config_selectorIiiEEZZNS1_29radix_sort_onesweep_iterationIS3_Lb1EN6thrust23THRUST_200600_302600_NS6detail15normal_iteratorINS8_10device_ptrIiEEEESD_SD_SD_jNS0_19identity_decomposerENS1_16block_id_wrapperIjLb1EEEEE10hipError_tT1_PNSt15iterator_traitsISI_E10value_typeET2_T3_PNSJ_ISO_E10value_typeET4_T5_PST_SU_PNS1_23onesweep_lookback_stateEbbT6_jjT7_P12ihipStream_tbENKUlT_T0_SI_SN_E_clIPiSD_S15_SD_EEDaS11_S12_SI_SN_EUlS11_E_NS1_11comp_targetILNS1_3genE0ELNS1_11target_archE4294967295ELNS1_3gpuE0ELNS1_3repE0EEENS1_47radix_sort_onesweep_sort_config_static_selectorELNS0_4arch9wavefront6targetE0EEEvSI_
                                        ; -- End function
	.set _ZN7rocprim17ROCPRIM_400000_NS6detail17trampoline_kernelINS0_14default_configENS1_35radix_sort_onesweep_config_selectorIiiEEZZNS1_29radix_sort_onesweep_iterationIS3_Lb1EN6thrust23THRUST_200600_302600_NS6detail15normal_iteratorINS8_10device_ptrIiEEEESD_SD_SD_jNS0_19identity_decomposerENS1_16block_id_wrapperIjLb1EEEEE10hipError_tT1_PNSt15iterator_traitsISI_E10value_typeET2_T3_PNSJ_ISO_E10value_typeET4_T5_PST_SU_PNS1_23onesweep_lookback_stateEbbT6_jjT7_P12ihipStream_tbENKUlT_T0_SI_SN_E_clIPiSD_S15_SD_EEDaS11_S12_SI_SN_EUlS11_E_NS1_11comp_targetILNS1_3genE0ELNS1_11target_archE4294967295ELNS1_3gpuE0ELNS1_3repE0EEENS1_47radix_sort_onesweep_sort_config_static_selectorELNS0_4arch9wavefront6targetE0EEEvSI_.num_vgpr, 0
	.set _ZN7rocprim17ROCPRIM_400000_NS6detail17trampoline_kernelINS0_14default_configENS1_35radix_sort_onesweep_config_selectorIiiEEZZNS1_29radix_sort_onesweep_iterationIS3_Lb1EN6thrust23THRUST_200600_302600_NS6detail15normal_iteratorINS8_10device_ptrIiEEEESD_SD_SD_jNS0_19identity_decomposerENS1_16block_id_wrapperIjLb1EEEEE10hipError_tT1_PNSt15iterator_traitsISI_E10value_typeET2_T3_PNSJ_ISO_E10value_typeET4_T5_PST_SU_PNS1_23onesweep_lookback_stateEbbT6_jjT7_P12ihipStream_tbENKUlT_T0_SI_SN_E_clIPiSD_S15_SD_EEDaS11_S12_SI_SN_EUlS11_E_NS1_11comp_targetILNS1_3genE0ELNS1_11target_archE4294967295ELNS1_3gpuE0ELNS1_3repE0EEENS1_47radix_sort_onesweep_sort_config_static_selectorELNS0_4arch9wavefront6targetE0EEEvSI_.num_agpr, 0
	.set _ZN7rocprim17ROCPRIM_400000_NS6detail17trampoline_kernelINS0_14default_configENS1_35radix_sort_onesweep_config_selectorIiiEEZZNS1_29radix_sort_onesweep_iterationIS3_Lb1EN6thrust23THRUST_200600_302600_NS6detail15normal_iteratorINS8_10device_ptrIiEEEESD_SD_SD_jNS0_19identity_decomposerENS1_16block_id_wrapperIjLb1EEEEE10hipError_tT1_PNSt15iterator_traitsISI_E10value_typeET2_T3_PNSJ_ISO_E10value_typeET4_T5_PST_SU_PNS1_23onesweep_lookback_stateEbbT6_jjT7_P12ihipStream_tbENKUlT_T0_SI_SN_E_clIPiSD_S15_SD_EEDaS11_S12_SI_SN_EUlS11_E_NS1_11comp_targetILNS1_3genE0ELNS1_11target_archE4294967295ELNS1_3gpuE0ELNS1_3repE0EEENS1_47radix_sort_onesweep_sort_config_static_selectorELNS0_4arch9wavefront6targetE0EEEvSI_.numbered_sgpr, 0
	.set _ZN7rocprim17ROCPRIM_400000_NS6detail17trampoline_kernelINS0_14default_configENS1_35radix_sort_onesweep_config_selectorIiiEEZZNS1_29radix_sort_onesweep_iterationIS3_Lb1EN6thrust23THRUST_200600_302600_NS6detail15normal_iteratorINS8_10device_ptrIiEEEESD_SD_SD_jNS0_19identity_decomposerENS1_16block_id_wrapperIjLb1EEEEE10hipError_tT1_PNSt15iterator_traitsISI_E10value_typeET2_T3_PNSJ_ISO_E10value_typeET4_T5_PST_SU_PNS1_23onesweep_lookback_stateEbbT6_jjT7_P12ihipStream_tbENKUlT_T0_SI_SN_E_clIPiSD_S15_SD_EEDaS11_S12_SI_SN_EUlS11_E_NS1_11comp_targetILNS1_3genE0ELNS1_11target_archE4294967295ELNS1_3gpuE0ELNS1_3repE0EEENS1_47radix_sort_onesweep_sort_config_static_selectorELNS0_4arch9wavefront6targetE0EEEvSI_.num_named_barrier, 0
	.set _ZN7rocprim17ROCPRIM_400000_NS6detail17trampoline_kernelINS0_14default_configENS1_35radix_sort_onesweep_config_selectorIiiEEZZNS1_29radix_sort_onesweep_iterationIS3_Lb1EN6thrust23THRUST_200600_302600_NS6detail15normal_iteratorINS8_10device_ptrIiEEEESD_SD_SD_jNS0_19identity_decomposerENS1_16block_id_wrapperIjLb1EEEEE10hipError_tT1_PNSt15iterator_traitsISI_E10value_typeET2_T3_PNSJ_ISO_E10value_typeET4_T5_PST_SU_PNS1_23onesweep_lookback_stateEbbT6_jjT7_P12ihipStream_tbENKUlT_T0_SI_SN_E_clIPiSD_S15_SD_EEDaS11_S12_SI_SN_EUlS11_E_NS1_11comp_targetILNS1_3genE0ELNS1_11target_archE4294967295ELNS1_3gpuE0ELNS1_3repE0EEENS1_47radix_sort_onesweep_sort_config_static_selectorELNS0_4arch9wavefront6targetE0EEEvSI_.private_seg_size, 0
	.set _ZN7rocprim17ROCPRIM_400000_NS6detail17trampoline_kernelINS0_14default_configENS1_35radix_sort_onesweep_config_selectorIiiEEZZNS1_29radix_sort_onesweep_iterationIS3_Lb1EN6thrust23THRUST_200600_302600_NS6detail15normal_iteratorINS8_10device_ptrIiEEEESD_SD_SD_jNS0_19identity_decomposerENS1_16block_id_wrapperIjLb1EEEEE10hipError_tT1_PNSt15iterator_traitsISI_E10value_typeET2_T3_PNSJ_ISO_E10value_typeET4_T5_PST_SU_PNS1_23onesweep_lookback_stateEbbT6_jjT7_P12ihipStream_tbENKUlT_T0_SI_SN_E_clIPiSD_S15_SD_EEDaS11_S12_SI_SN_EUlS11_E_NS1_11comp_targetILNS1_3genE0ELNS1_11target_archE4294967295ELNS1_3gpuE0ELNS1_3repE0EEENS1_47radix_sort_onesweep_sort_config_static_selectorELNS0_4arch9wavefront6targetE0EEEvSI_.uses_vcc, 0
	.set _ZN7rocprim17ROCPRIM_400000_NS6detail17trampoline_kernelINS0_14default_configENS1_35radix_sort_onesweep_config_selectorIiiEEZZNS1_29radix_sort_onesweep_iterationIS3_Lb1EN6thrust23THRUST_200600_302600_NS6detail15normal_iteratorINS8_10device_ptrIiEEEESD_SD_SD_jNS0_19identity_decomposerENS1_16block_id_wrapperIjLb1EEEEE10hipError_tT1_PNSt15iterator_traitsISI_E10value_typeET2_T3_PNSJ_ISO_E10value_typeET4_T5_PST_SU_PNS1_23onesweep_lookback_stateEbbT6_jjT7_P12ihipStream_tbENKUlT_T0_SI_SN_E_clIPiSD_S15_SD_EEDaS11_S12_SI_SN_EUlS11_E_NS1_11comp_targetILNS1_3genE0ELNS1_11target_archE4294967295ELNS1_3gpuE0ELNS1_3repE0EEENS1_47radix_sort_onesweep_sort_config_static_selectorELNS0_4arch9wavefront6targetE0EEEvSI_.uses_flat_scratch, 0
	.set _ZN7rocprim17ROCPRIM_400000_NS6detail17trampoline_kernelINS0_14default_configENS1_35radix_sort_onesweep_config_selectorIiiEEZZNS1_29radix_sort_onesweep_iterationIS3_Lb1EN6thrust23THRUST_200600_302600_NS6detail15normal_iteratorINS8_10device_ptrIiEEEESD_SD_SD_jNS0_19identity_decomposerENS1_16block_id_wrapperIjLb1EEEEE10hipError_tT1_PNSt15iterator_traitsISI_E10value_typeET2_T3_PNSJ_ISO_E10value_typeET4_T5_PST_SU_PNS1_23onesweep_lookback_stateEbbT6_jjT7_P12ihipStream_tbENKUlT_T0_SI_SN_E_clIPiSD_S15_SD_EEDaS11_S12_SI_SN_EUlS11_E_NS1_11comp_targetILNS1_3genE0ELNS1_11target_archE4294967295ELNS1_3gpuE0ELNS1_3repE0EEENS1_47radix_sort_onesweep_sort_config_static_selectorELNS0_4arch9wavefront6targetE0EEEvSI_.has_dyn_sized_stack, 0
	.set _ZN7rocprim17ROCPRIM_400000_NS6detail17trampoline_kernelINS0_14default_configENS1_35radix_sort_onesweep_config_selectorIiiEEZZNS1_29radix_sort_onesweep_iterationIS3_Lb1EN6thrust23THRUST_200600_302600_NS6detail15normal_iteratorINS8_10device_ptrIiEEEESD_SD_SD_jNS0_19identity_decomposerENS1_16block_id_wrapperIjLb1EEEEE10hipError_tT1_PNSt15iterator_traitsISI_E10value_typeET2_T3_PNSJ_ISO_E10value_typeET4_T5_PST_SU_PNS1_23onesweep_lookback_stateEbbT6_jjT7_P12ihipStream_tbENKUlT_T0_SI_SN_E_clIPiSD_S15_SD_EEDaS11_S12_SI_SN_EUlS11_E_NS1_11comp_targetILNS1_3genE0ELNS1_11target_archE4294967295ELNS1_3gpuE0ELNS1_3repE0EEENS1_47radix_sort_onesweep_sort_config_static_selectorELNS0_4arch9wavefront6targetE0EEEvSI_.has_recursion, 0
	.set _ZN7rocprim17ROCPRIM_400000_NS6detail17trampoline_kernelINS0_14default_configENS1_35radix_sort_onesweep_config_selectorIiiEEZZNS1_29radix_sort_onesweep_iterationIS3_Lb1EN6thrust23THRUST_200600_302600_NS6detail15normal_iteratorINS8_10device_ptrIiEEEESD_SD_SD_jNS0_19identity_decomposerENS1_16block_id_wrapperIjLb1EEEEE10hipError_tT1_PNSt15iterator_traitsISI_E10value_typeET2_T3_PNSJ_ISO_E10value_typeET4_T5_PST_SU_PNS1_23onesweep_lookback_stateEbbT6_jjT7_P12ihipStream_tbENKUlT_T0_SI_SN_E_clIPiSD_S15_SD_EEDaS11_S12_SI_SN_EUlS11_E_NS1_11comp_targetILNS1_3genE0ELNS1_11target_archE4294967295ELNS1_3gpuE0ELNS1_3repE0EEENS1_47radix_sort_onesweep_sort_config_static_selectorELNS0_4arch9wavefront6targetE0EEEvSI_.has_indirect_call, 0
	.section	.AMDGPU.csdata,"",@progbits
; Kernel info:
; codeLenInByte = 0
; TotalNumSgprs: 0
; NumVgprs: 0
; ScratchSize: 0
; MemoryBound: 0
; FloatMode: 240
; IeeeMode: 1
; LDSByteSize: 0 bytes/workgroup (compile time only)
; SGPRBlocks: 0
; VGPRBlocks: 0
; NumSGPRsForWavesPerEU: 1
; NumVGPRsForWavesPerEU: 1
; Occupancy: 16
; WaveLimiterHint : 0
; COMPUTE_PGM_RSRC2:SCRATCH_EN: 0
; COMPUTE_PGM_RSRC2:USER_SGPR: 6
; COMPUTE_PGM_RSRC2:TRAP_HANDLER: 0
; COMPUTE_PGM_RSRC2:TGID_X_EN: 1
; COMPUTE_PGM_RSRC2:TGID_Y_EN: 0
; COMPUTE_PGM_RSRC2:TGID_Z_EN: 0
; COMPUTE_PGM_RSRC2:TIDIG_COMP_CNT: 0
	.section	.text._ZN7rocprim17ROCPRIM_400000_NS6detail17trampoline_kernelINS0_14default_configENS1_35radix_sort_onesweep_config_selectorIiiEEZZNS1_29radix_sort_onesweep_iterationIS3_Lb1EN6thrust23THRUST_200600_302600_NS6detail15normal_iteratorINS8_10device_ptrIiEEEESD_SD_SD_jNS0_19identity_decomposerENS1_16block_id_wrapperIjLb1EEEEE10hipError_tT1_PNSt15iterator_traitsISI_E10value_typeET2_T3_PNSJ_ISO_E10value_typeET4_T5_PST_SU_PNS1_23onesweep_lookback_stateEbbT6_jjT7_P12ihipStream_tbENKUlT_T0_SI_SN_E_clIPiSD_S15_SD_EEDaS11_S12_SI_SN_EUlS11_E_NS1_11comp_targetILNS1_3genE6ELNS1_11target_archE950ELNS1_3gpuE13ELNS1_3repE0EEENS1_47radix_sort_onesweep_sort_config_static_selectorELNS0_4arch9wavefront6targetE0EEEvSI_,"axG",@progbits,_ZN7rocprim17ROCPRIM_400000_NS6detail17trampoline_kernelINS0_14default_configENS1_35radix_sort_onesweep_config_selectorIiiEEZZNS1_29radix_sort_onesweep_iterationIS3_Lb1EN6thrust23THRUST_200600_302600_NS6detail15normal_iteratorINS8_10device_ptrIiEEEESD_SD_SD_jNS0_19identity_decomposerENS1_16block_id_wrapperIjLb1EEEEE10hipError_tT1_PNSt15iterator_traitsISI_E10value_typeET2_T3_PNSJ_ISO_E10value_typeET4_T5_PST_SU_PNS1_23onesweep_lookback_stateEbbT6_jjT7_P12ihipStream_tbENKUlT_T0_SI_SN_E_clIPiSD_S15_SD_EEDaS11_S12_SI_SN_EUlS11_E_NS1_11comp_targetILNS1_3genE6ELNS1_11target_archE950ELNS1_3gpuE13ELNS1_3repE0EEENS1_47radix_sort_onesweep_sort_config_static_selectorELNS0_4arch9wavefront6targetE0EEEvSI_,comdat
	.protected	_ZN7rocprim17ROCPRIM_400000_NS6detail17trampoline_kernelINS0_14default_configENS1_35radix_sort_onesweep_config_selectorIiiEEZZNS1_29radix_sort_onesweep_iterationIS3_Lb1EN6thrust23THRUST_200600_302600_NS6detail15normal_iteratorINS8_10device_ptrIiEEEESD_SD_SD_jNS0_19identity_decomposerENS1_16block_id_wrapperIjLb1EEEEE10hipError_tT1_PNSt15iterator_traitsISI_E10value_typeET2_T3_PNSJ_ISO_E10value_typeET4_T5_PST_SU_PNS1_23onesweep_lookback_stateEbbT6_jjT7_P12ihipStream_tbENKUlT_T0_SI_SN_E_clIPiSD_S15_SD_EEDaS11_S12_SI_SN_EUlS11_E_NS1_11comp_targetILNS1_3genE6ELNS1_11target_archE950ELNS1_3gpuE13ELNS1_3repE0EEENS1_47radix_sort_onesweep_sort_config_static_selectorELNS0_4arch9wavefront6targetE0EEEvSI_ ; -- Begin function _ZN7rocprim17ROCPRIM_400000_NS6detail17trampoline_kernelINS0_14default_configENS1_35radix_sort_onesweep_config_selectorIiiEEZZNS1_29radix_sort_onesweep_iterationIS3_Lb1EN6thrust23THRUST_200600_302600_NS6detail15normal_iteratorINS8_10device_ptrIiEEEESD_SD_SD_jNS0_19identity_decomposerENS1_16block_id_wrapperIjLb1EEEEE10hipError_tT1_PNSt15iterator_traitsISI_E10value_typeET2_T3_PNSJ_ISO_E10value_typeET4_T5_PST_SU_PNS1_23onesweep_lookback_stateEbbT6_jjT7_P12ihipStream_tbENKUlT_T0_SI_SN_E_clIPiSD_S15_SD_EEDaS11_S12_SI_SN_EUlS11_E_NS1_11comp_targetILNS1_3genE6ELNS1_11target_archE950ELNS1_3gpuE13ELNS1_3repE0EEENS1_47radix_sort_onesweep_sort_config_static_selectorELNS0_4arch9wavefront6targetE0EEEvSI_
	.globl	_ZN7rocprim17ROCPRIM_400000_NS6detail17trampoline_kernelINS0_14default_configENS1_35radix_sort_onesweep_config_selectorIiiEEZZNS1_29radix_sort_onesweep_iterationIS3_Lb1EN6thrust23THRUST_200600_302600_NS6detail15normal_iteratorINS8_10device_ptrIiEEEESD_SD_SD_jNS0_19identity_decomposerENS1_16block_id_wrapperIjLb1EEEEE10hipError_tT1_PNSt15iterator_traitsISI_E10value_typeET2_T3_PNSJ_ISO_E10value_typeET4_T5_PST_SU_PNS1_23onesweep_lookback_stateEbbT6_jjT7_P12ihipStream_tbENKUlT_T0_SI_SN_E_clIPiSD_S15_SD_EEDaS11_S12_SI_SN_EUlS11_E_NS1_11comp_targetILNS1_3genE6ELNS1_11target_archE950ELNS1_3gpuE13ELNS1_3repE0EEENS1_47radix_sort_onesweep_sort_config_static_selectorELNS0_4arch9wavefront6targetE0EEEvSI_
	.p2align	8
	.type	_ZN7rocprim17ROCPRIM_400000_NS6detail17trampoline_kernelINS0_14default_configENS1_35radix_sort_onesweep_config_selectorIiiEEZZNS1_29radix_sort_onesweep_iterationIS3_Lb1EN6thrust23THRUST_200600_302600_NS6detail15normal_iteratorINS8_10device_ptrIiEEEESD_SD_SD_jNS0_19identity_decomposerENS1_16block_id_wrapperIjLb1EEEEE10hipError_tT1_PNSt15iterator_traitsISI_E10value_typeET2_T3_PNSJ_ISO_E10value_typeET4_T5_PST_SU_PNS1_23onesweep_lookback_stateEbbT6_jjT7_P12ihipStream_tbENKUlT_T0_SI_SN_E_clIPiSD_S15_SD_EEDaS11_S12_SI_SN_EUlS11_E_NS1_11comp_targetILNS1_3genE6ELNS1_11target_archE950ELNS1_3gpuE13ELNS1_3repE0EEENS1_47radix_sort_onesweep_sort_config_static_selectorELNS0_4arch9wavefront6targetE0EEEvSI_,@function
_ZN7rocprim17ROCPRIM_400000_NS6detail17trampoline_kernelINS0_14default_configENS1_35radix_sort_onesweep_config_selectorIiiEEZZNS1_29radix_sort_onesweep_iterationIS3_Lb1EN6thrust23THRUST_200600_302600_NS6detail15normal_iteratorINS8_10device_ptrIiEEEESD_SD_SD_jNS0_19identity_decomposerENS1_16block_id_wrapperIjLb1EEEEE10hipError_tT1_PNSt15iterator_traitsISI_E10value_typeET2_T3_PNSJ_ISO_E10value_typeET4_T5_PST_SU_PNS1_23onesweep_lookback_stateEbbT6_jjT7_P12ihipStream_tbENKUlT_T0_SI_SN_E_clIPiSD_S15_SD_EEDaS11_S12_SI_SN_EUlS11_E_NS1_11comp_targetILNS1_3genE6ELNS1_11target_archE950ELNS1_3gpuE13ELNS1_3repE0EEENS1_47radix_sort_onesweep_sort_config_static_selectorELNS0_4arch9wavefront6targetE0EEEvSI_: ; @_ZN7rocprim17ROCPRIM_400000_NS6detail17trampoline_kernelINS0_14default_configENS1_35radix_sort_onesweep_config_selectorIiiEEZZNS1_29radix_sort_onesweep_iterationIS3_Lb1EN6thrust23THRUST_200600_302600_NS6detail15normal_iteratorINS8_10device_ptrIiEEEESD_SD_SD_jNS0_19identity_decomposerENS1_16block_id_wrapperIjLb1EEEEE10hipError_tT1_PNSt15iterator_traitsISI_E10value_typeET2_T3_PNSJ_ISO_E10value_typeET4_T5_PST_SU_PNS1_23onesweep_lookback_stateEbbT6_jjT7_P12ihipStream_tbENKUlT_T0_SI_SN_E_clIPiSD_S15_SD_EEDaS11_S12_SI_SN_EUlS11_E_NS1_11comp_targetILNS1_3genE6ELNS1_11target_archE950ELNS1_3gpuE13ELNS1_3repE0EEENS1_47radix_sort_onesweep_sort_config_static_selectorELNS0_4arch9wavefront6targetE0EEEvSI_
; %bb.0:
	.section	.rodata,"a",@progbits
	.p2align	6, 0x0
	.amdhsa_kernel _ZN7rocprim17ROCPRIM_400000_NS6detail17trampoline_kernelINS0_14default_configENS1_35radix_sort_onesweep_config_selectorIiiEEZZNS1_29radix_sort_onesweep_iterationIS3_Lb1EN6thrust23THRUST_200600_302600_NS6detail15normal_iteratorINS8_10device_ptrIiEEEESD_SD_SD_jNS0_19identity_decomposerENS1_16block_id_wrapperIjLb1EEEEE10hipError_tT1_PNSt15iterator_traitsISI_E10value_typeET2_T3_PNSJ_ISO_E10value_typeET4_T5_PST_SU_PNS1_23onesweep_lookback_stateEbbT6_jjT7_P12ihipStream_tbENKUlT_T0_SI_SN_E_clIPiSD_S15_SD_EEDaS11_S12_SI_SN_EUlS11_E_NS1_11comp_targetILNS1_3genE6ELNS1_11target_archE950ELNS1_3gpuE13ELNS1_3repE0EEENS1_47radix_sort_onesweep_sort_config_static_selectorELNS0_4arch9wavefront6targetE0EEEvSI_
		.amdhsa_group_segment_fixed_size 0
		.amdhsa_private_segment_fixed_size 0
		.amdhsa_kernarg_size 88
		.amdhsa_user_sgpr_count 6
		.amdhsa_user_sgpr_private_segment_buffer 1
		.amdhsa_user_sgpr_dispatch_ptr 0
		.amdhsa_user_sgpr_queue_ptr 0
		.amdhsa_user_sgpr_kernarg_segment_ptr 1
		.amdhsa_user_sgpr_dispatch_id 0
		.amdhsa_user_sgpr_flat_scratch_init 0
		.amdhsa_user_sgpr_private_segment_size 0
		.amdhsa_wavefront_size32 1
		.amdhsa_uses_dynamic_stack 0
		.amdhsa_system_sgpr_private_segment_wavefront_offset 0
		.amdhsa_system_sgpr_workgroup_id_x 1
		.amdhsa_system_sgpr_workgroup_id_y 0
		.amdhsa_system_sgpr_workgroup_id_z 0
		.amdhsa_system_sgpr_workgroup_info 0
		.amdhsa_system_vgpr_workitem_id 0
		.amdhsa_next_free_vgpr 1
		.amdhsa_next_free_sgpr 1
		.amdhsa_reserve_vcc 0
		.amdhsa_reserve_flat_scratch 0
		.amdhsa_float_round_mode_32 0
		.amdhsa_float_round_mode_16_64 0
		.amdhsa_float_denorm_mode_32 3
		.amdhsa_float_denorm_mode_16_64 3
		.amdhsa_dx10_clamp 1
		.amdhsa_ieee_mode 1
		.amdhsa_fp16_overflow 0
		.amdhsa_workgroup_processor_mode 1
		.amdhsa_memory_ordered 1
		.amdhsa_forward_progress 1
		.amdhsa_shared_vgpr_count 0
		.amdhsa_exception_fp_ieee_invalid_op 0
		.amdhsa_exception_fp_denorm_src 0
		.amdhsa_exception_fp_ieee_div_zero 0
		.amdhsa_exception_fp_ieee_overflow 0
		.amdhsa_exception_fp_ieee_underflow 0
		.amdhsa_exception_fp_ieee_inexact 0
		.amdhsa_exception_int_div_zero 0
	.end_amdhsa_kernel
	.section	.text._ZN7rocprim17ROCPRIM_400000_NS6detail17trampoline_kernelINS0_14default_configENS1_35radix_sort_onesweep_config_selectorIiiEEZZNS1_29radix_sort_onesweep_iterationIS3_Lb1EN6thrust23THRUST_200600_302600_NS6detail15normal_iteratorINS8_10device_ptrIiEEEESD_SD_SD_jNS0_19identity_decomposerENS1_16block_id_wrapperIjLb1EEEEE10hipError_tT1_PNSt15iterator_traitsISI_E10value_typeET2_T3_PNSJ_ISO_E10value_typeET4_T5_PST_SU_PNS1_23onesweep_lookback_stateEbbT6_jjT7_P12ihipStream_tbENKUlT_T0_SI_SN_E_clIPiSD_S15_SD_EEDaS11_S12_SI_SN_EUlS11_E_NS1_11comp_targetILNS1_3genE6ELNS1_11target_archE950ELNS1_3gpuE13ELNS1_3repE0EEENS1_47radix_sort_onesweep_sort_config_static_selectorELNS0_4arch9wavefront6targetE0EEEvSI_,"axG",@progbits,_ZN7rocprim17ROCPRIM_400000_NS6detail17trampoline_kernelINS0_14default_configENS1_35radix_sort_onesweep_config_selectorIiiEEZZNS1_29radix_sort_onesweep_iterationIS3_Lb1EN6thrust23THRUST_200600_302600_NS6detail15normal_iteratorINS8_10device_ptrIiEEEESD_SD_SD_jNS0_19identity_decomposerENS1_16block_id_wrapperIjLb1EEEEE10hipError_tT1_PNSt15iterator_traitsISI_E10value_typeET2_T3_PNSJ_ISO_E10value_typeET4_T5_PST_SU_PNS1_23onesweep_lookback_stateEbbT6_jjT7_P12ihipStream_tbENKUlT_T0_SI_SN_E_clIPiSD_S15_SD_EEDaS11_S12_SI_SN_EUlS11_E_NS1_11comp_targetILNS1_3genE6ELNS1_11target_archE950ELNS1_3gpuE13ELNS1_3repE0EEENS1_47radix_sort_onesweep_sort_config_static_selectorELNS0_4arch9wavefront6targetE0EEEvSI_,comdat
.Lfunc_end1018:
	.size	_ZN7rocprim17ROCPRIM_400000_NS6detail17trampoline_kernelINS0_14default_configENS1_35radix_sort_onesweep_config_selectorIiiEEZZNS1_29radix_sort_onesweep_iterationIS3_Lb1EN6thrust23THRUST_200600_302600_NS6detail15normal_iteratorINS8_10device_ptrIiEEEESD_SD_SD_jNS0_19identity_decomposerENS1_16block_id_wrapperIjLb1EEEEE10hipError_tT1_PNSt15iterator_traitsISI_E10value_typeET2_T3_PNSJ_ISO_E10value_typeET4_T5_PST_SU_PNS1_23onesweep_lookback_stateEbbT6_jjT7_P12ihipStream_tbENKUlT_T0_SI_SN_E_clIPiSD_S15_SD_EEDaS11_S12_SI_SN_EUlS11_E_NS1_11comp_targetILNS1_3genE6ELNS1_11target_archE950ELNS1_3gpuE13ELNS1_3repE0EEENS1_47radix_sort_onesweep_sort_config_static_selectorELNS0_4arch9wavefront6targetE0EEEvSI_, .Lfunc_end1018-_ZN7rocprim17ROCPRIM_400000_NS6detail17trampoline_kernelINS0_14default_configENS1_35radix_sort_onesweep_config_selectorIiiEEZZNS1_29radix_sort_onesweep_iterationIS3_Lb1EN6thrust23THRUST_200600_302600_NS6detail15normal_iteratorINS8_10device_ptrIiEEEESD_SD_SD_jNS0_19identity_decomposerENS1_16block_id_wrapperIjLb1EEEEE10hipError_tT1_PNSt15iterator_traitsISI_E10value_typeET2_T3_PNSJ_ISO_E10value_typeET4_T5_PST_SU_PNS1_23onesweep_lookback_stateEbbT6_jjT7_P12ihipStream_tbENKUlT_T0_SI_SN_E_clIPiSD_S15_SD_EEDaS11_S12_SI_SN_EUlS11_E_NS1_11comp_targetILNS1_3genE6ELNS1_11target_archE950ELNS1_3gpuE13ELNS1_3repE0EEENS1_47radix_sort_onesweep_sort_config_static_selectorELNS0_4arch9wavefront6targetE0EEEvSI_
                                        ; -- End function
	.set _ZN7rocprim17ROCPRIM_400000_NS6detail17trampoline_kernelINS0_14default_configENS1_35radix_sort_onesweep_config_selectorIiiEEZZNS1_29radix_sort_onesweep_iterationIS3_Lb1EN6thrust23THRUST_200600_302600_NS6detail15normal_iteratorINS8_10device_ptrIiEEEESD_SD_SD_jNS0_19identity_decomposerENS1_16block_id_wrapperIjLb1EEEEE10hipError_tT1_PNSt15iterator_traitsISI_E10value_typeET2_T3_PNSJ_ISO_E10value_typeET4_T5_PST_SU_PNS1_23onesweep_lookback_stateEbbT6_jjT7_P12ihipStream_tbENKUlT_T0_SI_SN_E_clIPiSD_S15_SD_EEDaS11_S12_SI_SN_EUlS11_E_NS1_11comp_targetILNS1_3genE6ELNS1_11target_archE950ELNS1_3gpuE13ELNS1_3repE0EEENS1_47radix_sort_onesweep_sort_config_static_selectorELNS0_4arch9wavefront6targetE0EEEvSI_.num_vgpr, 0
	.set _ZN7rocprim17ROCPRIM_400000_NS6detail17trampoline_kernelINS0_14default_configENS1_35radix_sort_onesweep_config_selectorIiiEEZZNS1_29radix_sort_onesweep_iterationIS3_Lb1EN6thrust23THRUST_200600_302600_NS6detail15normal_iteratorINS8_10device_ptrIiEEEESD_SD_SD_jNS0_19identity_decomposerENS1_16block_id_wrapperIjLb1EEEEE10hipError_tT1_PNSt15iterator_traitsISI_E10value_typeET2_T3_PNSJ_ISO_E10value_typeET4_T5_PST_SU_PNS1_23onesweep_lookback_stateEbbT6_jjT7_P12ihipStream_tbENKUlT_T0_SI_SN_E_clIPiSD_S15_SD_EEDaS11_S12_SI_SN_EUlS11_E_NS1_11comp_targetILNS1_3genE6ELNS1_11target_archE950ELNS1_3gpuE13ELNS1_3repE0EEENS1_47radix_sort_onesweep_sort_config_static_selectorELNS0_4arch9wavefront6targetE0EEEvSI_.num_agpr, 0
	.set _ZN7rocprim17ROCPRIM_400000_NS6detail17trampoline_kernelINS0_14default_configENS1_35radix_sort_onesweep_config_selectorIiiEEZZNS1_29radix_sort_onesweep_iterationIS3_Lb1EN6thrust23THRUST_200600_302600_NS6detail15normal_iteratorINS8_10device_ptrIiEEEESD_SD_SD_jNS0_19identity_decomposerENS1_16block_id_wrapperIjLb1EEEEE10hipError_tT1_PNSt15iterator_traitsISI_E10value_typeET2_T3_PNSJ_ISO_E10value_typeET4_T5_PST_SU_PNS1_23onesweep_lookback_stateEbbT6_jjT7_P12ihipStream_tbENKUlT_T0_SI_SN_E_clIPiSD_S15_SD_EEDaS11_S12_SI_SN_EUlS11_E_NS1_11comp_targetILNS1_3genE6ELNS1_11target_archE950ELNS1_3gpuE13ELNS1_3repE0EEENS1_47radix_sort_onesweep_sort_config_static_selectorELNS0_4arch9wavefront6targetE0EEEvSI_.numbered_sgpr, 0
	.set _ZN7rocprim17ROCPRIM_400000_NS6detail17trampoline_kernelINS0_14default_configENS1_35radix_sort_onesweep_config_selectorIiiEEZZNS1_29radix_sort_onesweep_iterationIS3_Lb1EN6thrust23THRUST_200600_302600_NS6detail15normal_iteratorINS8_10device_ptrIiEEEESD_SD_SD_jNS0_19identity_decomposerENS1_16block_id_wrapperIjLb1EEEEE10hipError_tT1_PNSt15iterator_traitsISI_E10value_typeET2_T3_PNSJ_ISO_E10value_typeET4_T5_PST_SU_PNS1_23onesweep_lookback_stateEbbT6_jjT7_P12ihipStream_tbENKUlT_T0_SI_SN_E_clIPiSD_S15_SD_EEDaS11_S12_SI_SN_EUlS11_E_NS1_11comp_targetILNS1_3genE6ELNS1_11target_archE950ELNS1_3gpuE13ELNS1_3repE0EEENS1_47radix_sort_onesweep_sort_config_static_selectorELNS0_4arch9wavefront6targetE0EEEvSI_.num_named_barrier, 0
	.set _ZN7rocprim17ROCPRIM_400000_NS6detail17trampoline_kernelINS0_14default_configENS1_35radix_sort_onesweep_config_selectorIiiEEZZNS1_29radix_sort_onesweep_iterationIS3_Lb1EN6thrust23THRUST_200600_302600_NS6detail15normal_iteratorINS8_10device_ptrIiEEEESD_SD_SD_jNS0_19identity_decomposerENS1_16block_id_wrapperIjLb1EEEEE10hipError_tT1_PNSt15iterator_traitsISI_E10value_typeET2_T3_PNSJ_ISO_E10value_typeET4_T5_PST_SU_PNS1_23onesweep_lookback_stateEbbT6_jjT7_P12ihipStream_tbENKUlT_T0_SI_SN_E_clIPiSD_S15_SD_EEDaS11_S12_SI_SN_EUlS11_E_NS1_11comp_targetILNS1_3genE6ELNS1_11target_archE950ELNS1_3gpuE13ELNS1_3repE0EEENS1_47radix_sort_onesweep_sort_config_static_selectorELNS0_4arch9wavefront6targetE0EEEvSI_.private_seg_size, 0
	.set _ZN7rocprim17ROCPRIM_400000_NS6detail17trampoline_kernelINS0_14default_configENS1_35radix_sort_onesweep_config_selectorIiiEEZZNS1_29radix_sort_onesweep_iterationIS3_Lb1EN6thrust23THRUST_200600_302600_NS6detail15normal_iteratorINS8_10device_ptrIiEEEESD_SD_SD_jNS0_19identity_decomposerENS1_16block_id_wrapperIjLb1EEEEE10hipError_tT1_PNSt15iterator_traitsISI_E10value_typeET2_T3_PNSJ_ISO_E10value_typeET4_T5_PST_SU_PNS1_23onesweep_lookback_stateEbbT6_jjT7_P12ihipStream_tbENKUlT_T0_SI_SN_E_clIPiSD_S15_SD_EEDaS11_S12_SI_SN_EUlS11_E_NS1_11comp_targetILNS1_3genE6ELNS1_11target_archE950ELNS1_3gpuE13ELNS1_3repE0EEENS1_47radix_sort_onesweep_sort_config_static_selectorELNS0_4arch9wavefront6targetE0EEEvSI_.uses_vcc, 0
	.set _ZN7rocprim17ROCPRIM_400000_NS6detail17trampoline_kernelINS0_14default_configENS1_35radix_sort_onesweep_config_selectorIiiEEZZNS1_29radix_sort_onesweep_iterationIS3_Lb1EN6thrust23THRUST_200600_302600_NS6detail15normal_iteratorINS8_10device_ptrIiEEEESD_SD_SD_jNS0_19identity_decomposerENS1_16block_id_wrapperIjLb1EEEEE10hipError_tT1_PNSt15iterator_traitsISI_E10value_typeET2_T3_PNSJ_ISO_E10value_typeET4_T5_PST_SU_PNS1_23onesweep_lookback_stateEbbT6_jjT7_P12ihipStream_tbENKUlT_T0_SI_SN_E_clIPiSD_S15_SD_EEDaS11_S12_SI_SN_EUlS11_E_NS1_11comp_targetILNS1_3genE6ELNS1_11target_archE950ELNS1_3gpuE13ELNS1_3repE0EEENS1_47radix_sort_onesweep_sort_config_static_selectorELNS0_4arch9wavefront6targetE0EEEvSI_.uses_flat_scratch, 0
	.set _ZN7rocprim17ROCPRIM_400000_NS6detail17trampoline_kernelINS0_14default_configENS1_35radix_sort_onesweep_config_selectorIiiEEZZNS1_29radix_sort_onesweep_iterationIS3_Lb1EN6thrust23THRUST_200600_302600_NS6detail15normal_iteratorINS8_10device_ptrIiEEEESD_SD_SD_jNS0_19identity_decomposerENS1_16block_id_wrapperIjLb1EEEEE10hipError_tT1_PNSt15iterator_traitsISI_E10value_typeET2_T3_PNSJ_ISO_E10value_typeET4_T5_PST_SU_PNS1_23onesweep_lookback_stateEbbT6_jjT7_P12ihipStream_tbENKUlT_T0_SI_SN_E_clIPiSD_S15_SD_EEDaS11_S12_SI_SN_EUlS11_E_NS1_11comp_targetILNS1_3genE6ELNS1_11target_archE950ELNS1_3gpuE13ELNS1_3repE0EEENS1_47radix_sort_onesweep_sort_config_static_selectorELNS0_4arch9wavefront6targetE0EEEvSI_.has_dyn_sized_stack, 0
	.set _ZN7rocprim17ROCPRIM_400000_NS6detail17trampoline_kernelINS0_14default_configENS1_35radix_sort_onesweep_config_selectorIiiEEZZNS1_29radix_sort_onesweep_iterationIS3_Lb1EN6thrust23THRUST_200600_302600_NS6detail15normal_iteratorINS8_10device_ptrIiEEEESD_SD_SD_jNS0_19identity_decomposerENS1_16block_id_wrapperIjLb1EEEEE10hipError_tT1_PNSt15iterator_traitsISI_E10value_typeET2_T3_PNSJ_ISO_E10value_typeET4_T5_PST_SU_PNS1_23onesweep_lookback_stateEbbT6_jjT7_P12ihipStream_tbENKUlT_T0_SI_SN_E_clIPiSD_S15_SD_EEDaS11_S12_SI_SN_EUlS11_E_NS1_11comp_targetILNS1_3genE6ELNS1_11target_archE950ELNS1_3gpuE13ELNS1_3repE0EEENS1_47radix_sort_onesweep_sort_config_static_selectorELNS0_4arch9wavefront6targetE0EEEvSI_.has_recursion, 0
	.set _ZN7rocprim17ROCPRIM_400000_NS6detail17trampoline_kernelINS0_14default_configENS1_35radix_sort_onesweep_config_selectorIiiEEZZNS1_29radix_sort_onesweep_iterationIS3_Lb1EN6thrust23THRUST_200600_302600_NS6detail15normal_iteratorINS8_10device_ptrIiEEEESD_SD_SD_jNS0_19identity_decomposerENS1_16block_id_wrapperIjLb1EEEEE10hipError_tT1_PNSt15iterator_traitsISI_E10value_typeET2_T3_PNSJ_ISO_E10value_typeET4_T5_PST_SU_PNS1_23onesweep_lookback_stateEbbT6_jjT7_P12ihipStream_tbENKUlT_T0_SI_SN_E_clIPiSD_S15_SD_EEDaS11_S12_SI_SN_EUlS11_E_NS1_11comp_targetILNS1_3genE6ELNS1_11target_archE950ELNS1_3gpuE13ELNS1_3repE0EEENS1_47radix_sort_onesweep_sort_config_static_selectorELNS0_4arch9wavefront6targetE0EEEvSI_.has_indirect_call, 0
	.section	.AMDGPU.csdata,"",@progbits
; Kernel info:
; codeLenInByte = 0
; TotalNumSgprs: 0
; NumVgprs: 0
; ScratchSize: 0
; MemoryBound: 0
; FloatMode: 240
; IeeeMode: 1
; LDSByteSize: 0 bytes/workgroup (compile time only)
; SGPRBlocks: 0
; VGPRBlocks: 0
; NumSGPRsForWavesPerEU: 1
; NumVGPRsForWavesPerEU: 1
; Occupancy: 16
; WaveLimiterHint : 0
; COMPUTE_PGM_RSRC2:SCRATCH_EN: 0
; COMPUTE_PGM_RSRC2:USER_SGPR: 6
; COMPUTE_PGM_RSRC2:TRAP_HANDLER: 0
; COMPUTE_PGM_RSRC2:TGID_X_EN: 1
; COMPUTE_PGM_RSRC2:TGID_Y_EN: 0
; COMPUTE_PGM_RSRC2:TGID_Z_EN: 0
; COMPUTE_PGM_RSRC2:TIDIG_COMP_CNT: 0
	.section	.text._ZN7rocprim17ROCPRIM_400000_NS6detail17trampoline_kernelINS0_14default_configENS1_35radix_sort_onesweep_config_selectorIiiEEZZNS1_29radix_sort_onesweep_iterationIS3_Lb1EN6thrust23THRUST_200600_302600_NS6detail15normal_iteratorINS8_10device_ptrIiEEEESD_SD_SD_jNS0_19identity_decomposerENS1_16block_id_wrapperIjLb1EEEEE10hipError_tT1_PNSt15iterator_traitsISI_E10value_typeET2_T3_PNSJ_ISO_E10value_typeET4_T5_PST_SU_PNS1_23onesweep_lookback_stateEbbT6_jjT7_P12ihipStream_tbENKUlT_T0_SI_SN_E_clIPiSD_S15_SD_EEDaS11_S12_SI_SN_EUlS11_E_NS1_11comp_targetILNS1_3genE5ELNS1_11target_archE942ELNS1_3gpuE9ELNS1_3repE0EEENS1_47radix_sort_onesweep_sort_config_static_selectorELNS0_4arch9wavefront6targetE0EEEvSI_,"axG",@progbits,_ZN7rocprim17ROCPRIM_400000_NS6detail17trampoline_kernelINS0_14default_configENS1_35radix_sort_onesweep_config_selectorIiiEEZZNS1_29radix_sort_onesweep_iterationIS3_Lb1EN6thrust23THRUST_200600_302600_NS6detail15normal_iteratorINS8_10device_ptrIiEEEESD_SD_SD_jNS0_19identity_decomposerENS1_16block_id_wrapperIjLb1EEEEE10hipError_tT1_PNSt15iterator_traitsISI_E10value_typeET2_T3_PNSJ_ISO_E10value_typeET4_T5_PST_SU_PNS1_23onesweep_lookback_stateEbbT6_jjT7_P12ihipStream_tbENKUlT_T0_SI_SN_E_clIPiSD_S15_SD_EEDaS11_S12_SI_SN_EUlS11_E_NS1_11comp_targetILNS1_3genE5ELNS1_11target_archE942ELNS1_3gpuE9ELNS1_3repE0EEENS1_47radix_sort_onesweep_sort_config_static_selectorELNS0_4arch9wavefront6targetE0EEEvSI_,comdat
	.protected	_ZN7rocprim17ROCPRIM_400000_NS6detail17trampoline_kernelINS0_14default_configENS1_35radix_sort_onesweep_config_selectorIiiEEZZNS1_29radix_sort_onesweep_iterationIS3_Lb1EN6thrust23THRUST_200600_302600_NS6detail15normal_iteratorINS8_10device_ptrIiEEEESD_SD_SD_jNS0_19identity_decomposerENS1_16block_id_wrapperIjLb1EEEEE10hipError_tT1_PNSt15iterator_traitsISI_E10value_typeET2_T3_PNSJ_ISO_E10value_typeET4_T5_PST_SU_PNS1_23onesweep_lookback_stateEbbT6_jjT7_P12ihipStream_tbENKUlT_T0_SI_SN_E_clIPiSD_S15_SD_EEDaS11_S12_SI_SN_EUlS11_E_NS1_11comp_targetILNS1_3genE5ELNS1_11target_archE942ELNS1_3gpuE9ELNS1_3repE0EEENS1_47radix_sort_onesweep_sort_config_static_selectorELNS0_4arch9wavefront6targetE0EEEvSI_ ; -- Begin function _ZN7rocprim17ROCPRIM_400000_NS6detail17trampoline_kernelINS0_14default_configENS1_35radix_sort_onesweep_config_selectorIiiEEZZNS1_29radix_sort_onesweep_iterationIS3_Lb1EN6thrust23THRUST_200600_302600_NS6detail15normal_iteratorINS8_10device_ptrIiEEEESD_SD_SD_jNS0_19identity_decomposerENS1_16block_id_wrapperIjLb1EEEEE10hipError_tT1_PNSt15iterator_traitsISI_E10value_typeET2_T3_PNSJ_ISO_E10value_typeET4_T5_PST_SU_PNS1_23onesweep_lookback_stateEbbT6_jjT7_P12ihipStream_tbENKUlT_T0_SI_SN_E_clIPiSD_S15_SD_EEDaS11_S12_SI_SN_EUlS11_E_NS1_11comp_targetILNS1_3genE5ELNS1_11target_archE942ELNS1_3gpuE9ELNS1_3repE0EEENS1_47radix_sort_onesweep_sort_config_static_selectorELNS0_4arch9wavefront6targetE0EEEvSI_
	.globl	_ZN7rocprim17ROCPRIM_400000_NS6detail17trampoline_kernelINS0_14default_configENS1_35radix_sort_onesweep_config_selectorIiiEEZZNS1_29radix_sort_onesweep_iterationIS3_Lb1EN6thrust23THRUST_200600_302600_NS6detail15normal_iteratorINS8_10device_ptrIiEEEESD_SD_SD_jNS0_19identity_decomposerENS1_16block_id_wrapperIjLb1EEEEE10hipError_tT1_PNSt15iterator_traitsISI_E10value_typeET2_T3_PNSJ_ISO_E10value_typeET4_T5_PST_SU_PNS1_23onesweep_lookback_stateEbbT6_jjT7_P12ihipStream_tbENKUlT_T0_SI_SN_E_clIPiSD_S15_SD_EEDaS11_S12_SI_SN_EUlS11_E_NS1_11comp_targetILNS1_3genE5ELNS1_11target_archE942ELNS1_3gpuE9ELNS1_3repE0EEENS1_47radix_sort_onesweep_sort_config_static_selectorELNS0_4arch9wavefront6targetE0EEEvSI_
	.p2align	8
	.type	_ZN7rocprim17ROCPRIM_400000_NS6detail17trampoline_kernelINS0_14default_configENS1_35radix_sort_onesweep_config_selectorIiiEEZZNS1_29radix_sort_onesweep_iterationIS3_Lb1EN6thrust23THRUST_200600_302600_NS6detail15normal_iteratorINS8_10device_ptrIiEEEESD_SD_SD_jNS0_19identity_decomposerENS1_16block_id_wrapperIjLb1EEEEE10hipError_tT1_PNSt15iterator_traitsISI_E10value_typeET2_T3_PNSJ_ISO_E10value_typeET4_T5_PST_SU_PNS1_23onesweep_lookback_stateEbbT6_jjT7_P12ihipStream_tbENKUlT_T0_SI_SN_E_clIPiSD_S15_SD_EEDaS11_S12_SI_SN_EUlS11_E_NS1_11comp_targetILNS1_3genE5ELNS1_11target_archE942ELNS1_3gpuE9ELNS1_3repE0EEENS1_47radix_sort_onesweep_sort_config_static_selectorELNS0_4arch9wavefront6targetE0EEEvSI_,@function
_ZN7rocprim17ROCPRIM_400000_NS6detail17trampoline_kernelINS0_14default_configENS1_35radix_sort_onesweep_config_selectorIiiEEZZNS1_29radix_sort_onesweep_iterationIS3_Lb1EN6thrust23THRUST_200600_302600_NS6detail15normal_iteratorINS8_10device_ptrIiEEEESD_SD_SD_jNS0_19identity_decomposerENS1_16block_id_wrapperIjLb1EEEEE10hipError_tT1_PNSt15iterator_traitsISI_E10value_typeET2_T3_PNSJ_ISO_E10value_typeET4_T5_PST_SU_PNS1_23onesweep_lookback_stateEbbT6_jjT7_P12ihipStream_tbENKUlT_T0_SI_SN_E_clIPiSD_S15_SD_EEDaS11_S12_SI_SN_EUlS11_E_NS1_11comp_targetILNS1_3genE5ELNS1_11target_archE942ELNS1_3gpuE9ELNS1_3repE0EEENS1_47radix_sort_onesweep_sort_config_static_selectorELNS0_4arch9wavefront6targetE0EEEvSI_: ; @_ZN7rocprim17ROCPRIM_400000_NS6detail17trampoline_kernelINS0_14default_configENS1_35radix_sort_onesweep_config_selectorIiiEEZZNS1_29radix_sort_onesweep_iterationIS3_Lb1EN6thrust23THRUST_200600_302600_NS6detail15normal_iteratorINS8_10device_ptrIiEEEESD_SD_SD_jNS0_19identity_decomposerENS1_16block_id_wrapperIjLb1EEEEE10hipError_tT1_PNSt15iterator_traitsISI_E10value_typeET2_T3_PNSJ_ISO_E10value_typeET4_T5_PST_SU_PNS1_23onesweep_lookback_stateEbbT6_jjT7_P12ihipStream_tbENKUlT_T0_SI_SN_E_clIPiSD_S15_SD_EEDaS11_S12_SI_SN_EUlS11_E_NS1_11comp_targetILNS1_3genE5ELNS1_11target_archE942ELNS1_3gpuE9ELNS1_3repE0EEENS1_47radix_sort_onesweep_sort_config_static_selectorELNS0_4arch9wavefront6targetE0EEEvSI_
; %bb.0:
	.section	.rodata,"a",@progbits
	.p2align	6, 0x0
	.amdhsa_kernel _ZN7rocprim17ROCPRIM_400000_NS6detail17trampoline_kernelINS0_14default_configENS1_35radix_sort_onesweep_config_selectorIiiEEZZNS1_29radix_sort_onesweep_iterationIS3_Lb1EN6thrust23THRUST_200600_302600_NS6detail15normal_iteratorINS8_10device_ptrIiEEEESD_SD_SD_jNS0_19identity_decomposerENS1_16block_id_wrapperIjLb1EEEEE10hipError_tT1_PNSt15iterator_traitsISI_E10value_typeET2_T3_PNSJ_ISO_E10value_typeET4_T5_PST_SU_PNS1_23onesweep_lookback_stateEbbT6_jjT7_P12ihipStream_tbENKUlT_T0_SI_SN_E_clIPiSD_S15_SD_EEDaS11_S12_SI_SN_EUlS11_E_NS1_11comp_targetILNS1_3genE5ELNS1_11target_archE942ELNS1_3gpuE9ELNS1_3repE0EEENS1_47radix_sort_onesweep_sort_config_static_selectorELNS0_4arch9wavefront6targetE0EEEvSI_
		.amdhsa_group_segment_fixed_size 0
		.amdhsa_private_segment_fixed_size 0
		.amdhsa_kernarg_size 88
		.amdhsa_user_sgpr_count 6
		.amdhsa_user_sgpr_private_segment_buffer 1
		.amdhsa_user_sgpr_dispatch_ptr 0
		.amdhsa_user_sgpr_queue_ptr 0
		.amdhsa_user_sgpr_kernarg_segment_ptr 1
		.amdhsa_user_sgpr_dispatch_id 0
		.amdhsa_user_sgpr_flat_scratch_init 0
		.amdhsa_user_sgpr_private_segment_size 0
		.amdhsa_wavefront_size32 1
		.amdhsa_uses_dynamic_stack 0
		.amdhsa_system_sgpr_private_segment_wavefront_offset 0
		.amdhsa_system_sgpr_workgroup_id_x 1
		.amdhsa_system_sgpr_workgroup_id_y 0
		.amdhsa_system_sgpr_workgroup_id_z 0
		.amdhsa_system_sgpr_workgroup_info 0
		.amdhsa_system_vgpr_workitem_id 0
		.amdhsa_next_free_vgpr 1
		.amdhsa_next_free_sgpr 1
		.amdhsa_reserve_vcc 0
		.amdhsa_reserve_flat_scratch 0
		.amdhsa_float_round_mode_32 0
		.amdhsa_float_round_mode_16_64 0
		.amdhsa_float_denorm_mode_32 3
		.amdhsa_float_denorm_mode_16_64 3
		.amdhsa_dx10_clamp 1
		.amdhsa_ieee_mode 1
		.amdhsa_fp16_overflow 0
		.amdhsa_workgroup_processor_mode 1
		.amdhsa_memory_ordered 1
		.amdhsa_forward_progress 1
		.amdhsa_shared_vgpr_count 0
		.amdhsa_exception_fp_ieee_invalid_op 0
		.amdhsa_exception_fp_denorm_src 0
		.amdhsa_exception_fp_ieee_div_zero 0
		.amdhsa_exception_fp_ieee_overflow 0
		.amdhsa_exception_fp_ieee_underflow 0
		.amdhsa_exception_fp_ieee_inexact 0
		.amdhsa_exception_int_div_zero 0
	.end_amdhsa_kernel
	.section	.text._ZN7rocprim17ROCPRIM_400000_NS6detail17trampoline_kernelINS0_14default_configENS1_35radix_sort_onesweep_config_selectorIiiEEZZNS1_29radix_sort_onesweep_iterationIS3_Lb1EN6thrust23THRUST_200600_302600_NS6detail15normal_iteratorINS8_10device_ptrIiEEEESD_SD_SD_jNS0_19identity_decomposerENS1_16block_id_wrapperIjLb1EEEEE10hipError_tT1_PNSt15iterator_traitsISI_E10value_typeET2_T3_PNSJ_ISO_E10value_typeET4_T5_PST_SU_PNS1_23onesweep_lookback_stateEbbT6_jjT7_P12ihipStream_tbENKUlT_T0_SI_SN_E_clIPiSD_S15_SD_EEDaS11_S12_SI_SN_EUlS11_E_NS1_11comp_targetILNS1_3genE5ELNS1_11target_archE942ELNS1_3gpuE9ELNS1_3repE0EEENS1_47radix_sort_onesweep_sort_config_static_selectorELNS0_4arch9wavefront6targetE0EEEvSI_,"axG",@progbits,_ZN7rocprim17ROCPRIM_400000_NS6detail17trampoline_kernelINS0_14default_configENS1_35radix_sort_onesweep_config_selectorIiiEEZZNS1_29radix_sort_onesweep_iterationIS3_Lb1EN6thrust23THRUST_200600_302600_NS6detail15normal_iteratorINS8_10device_ptrIiEEEESD_SD_SD_jNS0_19identity_decomposerENS1_16block_id_wrapperIjLb1EEEEE10hipError_tT1_PNSt15iterator_traitsISI_E10value_typeET2_T3_PNSJ_ISO_E10value_typeET4_T5_PST_SU_PNS1_23onesweep_lookback_stateEbbT6_jjT7_P12ihipStream_tbENKUlT_T0_SI_SN_E_clIPiSD_S15_SD_EEDaS11_S12_SI_SN_EUlS11_E_NS1_11comp_targetILNS1_3genE5ELNS1_11target_archE942ELNS1_3gpuE9ELNS1_3repE0EEENS1_47radix_sort_onesweep_sort_config_static_selectorELNS0_4arch9wavefront6targetE0EEEvSI_,comdat
.Lfunc_end1019:
	.size	_ZN7rocprim17ROCPRIM_400000_NS6detail17trampoline_kernelINS0_14default_configENS1_35radix_sort_onesweep_config_selectorIiiEEZZNS1_29radix_sort_onesweep_iterationIS3_Lb1EN6thrust23THRUST_200600_302600_NS6detail15normal_iteratorINS8_10device_ptrIiEEEESD_SD_SD_jNS0_19identity_decomposerENS1_16block_id_wrapperIjLb1EEEEE10hipError_tT1_PNSt15iterator_traitsISI_E10value_typeET2_T3_PNSJ_ISO_E10value_typeET4_T5_PST_SU_PNS1_23onesweep_lookback_stateEbbT6_jjT7_P12ihipStream_tbENKUlT_T0_SI_SN_E_clIPiSD_S15_SD_EEDaS11_S12_SI_SN_EUlS11_E_NS1_11comp_targetILNS1_3genE5ELNS1_11target_archE942ELNS1_3gpuE9ELNS1_3repE0EEENS1_47radix_sort_onesweep_sort_config_static_selectorELNS0_4arch9wavefront6targetE0EEEvSI_, .Lfunc_end1019-_ZN7rocprim17ROCPRIM_400000_NS6detail17trampoline_kernelINS0_14default_configENS1_35radix_sort_onesweep_config_selectorIiiEEZZNS1_29radix_sort_onesweep_iterationIS3_Lb1EN6thrust23THRUST_200600_302600_NS6detail15normal_iteratorINS8_10device_ptrIiEEEESD_SD_SD_jNS0_19identity_decomposerENS1_16block_id_wrapperIjLb1EEEEE10hipError_tT1_PNSt15iterator_traitsISI_E10value_typeET2_T3_PNSJ_ISO_E10value_typeET4_T5_PST_SU_PNS1_23onesweep_lookback_stateEbbT6_jjT7_P12ihipStream_tbENKUlT_T0_SI_SN_E_clIPiSD_S15_SD_EEDaS11_S12_SI_SN_EUlS11_E_NS1_11comp_targetILNS1_3genE5ELNS1_11target_archE942ELNS1_3gpuE9ELNS1_3repE0EEENS1_47radix_sort_onesweep_sort_config_static_selectorELNS0_4arch9wavefront6targetE0EEEvSI_
                                        ; -- End function
	.set _ZN7rocprim17ROCPRIM_400000_NS6detail17trampoline_kernelINS0_14default_configENS1_35radix_sort_onesweep_config_selectorIiiEEZZNS1_29radix_sort_onesweep_iterationIS3_Lb1EN6thrust23THRUST_200600_302600_NS6detail15normal_iteratorINS8_10device_ptrIiEEEESD_SD_SD_jNS0_19identity_decomposerENS1_16block_id_wrapperIjLb1EEEEE10hipError_tT1_PNSt15iterator_traitsISI_E10value_typeET2_T3_PNSJ_ISO_E10value_typeET4_T5_PST_SU_PNS1_23onesweep_lookback_stateEbbT6_jjT7_P12ihipStream_tbENKUlT_T0_SI_SN_E_clIPiSD_S15_SD_EEDaS11_S12_SI_SN_EUlS11_E_NS1_11comp_targetILNS1_3genE5ELNS1_11target_archE942ELNS1_3gpuE9ELNS1_3repE0EEENS1_47radix_sort_onesweep_sort_config_static_selectorELNS0_4arch9wavefront6targetE0EEEvSI_.num_vgpr, 0
	.set _ZN7rocprim17ROCPRIM_400000_NS6detail17trampoline_kernelINS0_14default_configENS1_35radix_sort_onesweep_config_selectorIiiEEZZNS1_29radix_sort_onesweep_iterationIS3_Lb1EN6thrust23THRUST_200600_302600_NS6detail15normal_iteratorINS8_10device_ptrIiEEEESD_SD_SD_jNS0_19identity_decomposerENS1_16block_id_wrapperIjLb1EEEEE10hipError_tT1_PNSt15iterator_traitsISI_E10value_typeET2_T3_PNSJ_ISO_E10value_typeET4_T5_PST_SU_PNS1_23onesweep_lookback_stateEbbT6_jjT7_P12ihipStream_tbENKUlT_T0_SI_SN_E_clIPiSD_S15_SD_EEDaS11_S12_SI_SN_EUlS11_E_NS1_11comp_targetILNS1_3genE5ELNS1_11target_archE942ELNS1_3gpuE9ELNS1_3repE0EEENS1_47radix_sort_onesweep_sort_config_static_selectorELNS0_4arch9wavefront6targetE0EEEvSI_.num_agpr, 0
	.set _ZN7rocprim17ROCPRIM_400000_NS6detail17trampoline_kernelINS0_14default_configENS1_35radix_sort_onesweep_config_selectorIiiEEZZNS1_29radix_sort_onesweep_iterationIS3_Lb1EN6thrust23THRUST_200600_302600_NS6detail15normal_iteratorINS8_10device_ptrIiEEEESD_SD_SD_jNS0_19identity_decomposerENS1_16block_id_wrapperIjLb1EEEEE10hipError_tT1_PNSt15iterator_traitsISI_E10value_typeET2_T3_PNSJ_ISO_E10value_typeET4_T5_PST_SU_PNS1_23onesweep_lookback_stateEbbT6_jjT7_P12ihipStream_tbENKUlT_T0_SI_SN_E_clIPiSD_S15_SD_EEDaS11_S12_SI_SN_EUlS11_E_NS1_11comp_targetILNS1_3genE5ELNS1_11target_archE942ELNS1_3gpuE9ELNS1_3repE0EEENS1_47radix_sort_onesweep_sort_config_static_selectorELNS0_4arch9wavefront6targetE0EEEvSI_.numbered_sgpr, 0
	.set _ZN7rocprim17ROCPRIM_400000_NS6detail17trampoline_kernelINS0_14default_configENS1_35radix_sort_onesweep_config_selectorIiiEEZZNS1_29radix_sort_onesweep_iterationIS3_Lb1EN6thrust23THRUST_200600_302600_NS6detail15normal_iteratorINS8_10device_ptrIiEEEESD_SD_SD_jNS0_19identity_decomposerENS1_16block_id_wrapperIjLb1EEEEE10hipError_tT1_PNSt15iterator_traitsISI_E10value_typeET2_T3_PNSJ_ISO_E10value_typeET4_T5_PST_SU_PNS1_23onesweep_lookback_stateEbbT6_jjT7_P12ihipStream_tbENKUlT_T0_SI_SN_E_clIPiSD_S15_SD_EEDaS11_S12_SI_SN_EUlS11_E_NS1_11comp_targetILNS1_3genE5ELNS1_11target_archE942ELNS1_3gpuE9ELNS1_3repE0EEENS1_47radix_sort_onesweep_sort_config_static_selectorELNS0_4arch9wavefront6targetE0EEEvSI_.num_named_barrier, 0
	.set _ZN7rocprim17ROCPRIM_400000_NS6detail17trampoline_kernelINS0_14default_configENS1_35radix_sort_onesweep_config_selectorIiiEEZZNS1_29radix_sort_onesweep_iterationIS3_Lb1EN6thrust23THRUST_200600_302600_NS6detail15normal_iteratorINS8_10device_ptrIiEEEESD_SD_SD_jNS0_19identity_decomposerENS1_16block_id_wrapperIjLb1EEEEE10hipError_tT1_PNSt15iterator_traitsISI_E10value_typeET2_T3_PNSJ_ISO_E10value_typeET4_T5_PST_SU_PNS1_23onesweep_lookback_stateEbbT6_jjT7_P12ihipStream_tbENKUlT_T0_SI_SN_E_clIPiSD_S15_SD_EEDaS11_S12_SI_SN_EUlS11_E_NS1_11comp_targetILNS1_3genE5ELNS1_11target_archE942ELNS1_3gpuE9ELNS1_3repE0EEENS1_47radix_sort_onesweep_sort_config_static_selectorELNS0_4arch9wavefront6targetE0EEEvSI_.private_seg_size, 0
	.set _ZN7rocprim17ROCPRIM_400000_NS6detail17trampoline_kernelINS0_14default_configENS1_35radix_sort_onesweep_config_selectorIiiEEZZNS1_29radix_sort_onesweep_iterationIS3_Lb1EN6thrust23THRUST_200600_302600_NS6detail15normal_iteratorINS8_10device_ptrIiEEEESD_SD_SD_jNS0_19identity_decomposerENS1_16block_id_wrapperIjLb1EEEEE10hipError_tT1_PNSt15iterator_traitsISI_E10value_typeET2_T3_PNSJ_ISO_E10value_typeET4_T5_PST_SU_PNS1_23onesweep_lookback_stateEbbT6_jjT7_P12ihipStream_tbENKUlT_T0_SI_SN_E_clIPiSD_S15_SD_EEDaS11_S12_SI_SN_EUlS11_E_NS1_11comp_targetILNS1_3genE5ELNS1_11target_archE942ELNS1_3gpuE9ELNS1_3repE0EEENS1_47radix_sort_onesweep_sort_config_static_selectorELNS0_4arch9wavefront6targetE0EEEvSI_.uses_vcc, 0
	.set _ZN7rocprim17ROCPRIM_400000_NS6detail17trampoline_kernelINS0_14default_configENS1_35radix_sort_onesweep_config_selectorIiiEEZZNS1_29radix_sort_onesweep_iterationIS3_Lb1EN6thrust23THRUST_200600_302600_NS6detail15normal_iteratorINS8_10device_ptrIiEEEESD_SD_SD_jNS0_19identity_decomposerENS1_16block_id_wrapperIjLb1EEEEE10hipError_tT1_PNSt15iterator_traitsISI_E10value_typeET2_T3_PNSJ_ISO_E10value_typeET4_T5_PST_SU_PNS1_23onesweep_lookback_stateEbbT6_jjT7_P12ihipStream_tbENKUlT_T0_SI_SN_E_clIPiSD_S15_SD_EEDaS11_S12_SI_SN_EUlS11_E_NS1_11comp_targetILNS1_3genE5ELNS1_11target_archE942ELNS1_3gpuE9ELNS1_3repE0EEENS1_47radix_sort_onesweep_sort_config_static_selectorELNS0_4arch9wavefront6targetE0EEEvSI_.uses_flat_scratch, 0
	.set _ZN7rocprim17ROCPRIM_400000_NS6detail17trampoline_kernelINS0_14default_configENS1_35radix_sort_onesweep_config_selectorIiiEEZZNS1_29radix_sort_onesweep_iterationIS3_Lb1EN6thrust23THRUST_200600_302600_NS6detail15normal_iteratorINS8_10device_ptrIiEEEESD_SD_SD_jNS0_19identity_decomposerENS1_16block_id_wrapperIjLb1EEEEE10hipError_tT1_PNSt15iterator_traitsISI_E10value_typeET2_T3_PNSJ_ISO_E10value_typeET4_T5_PST_SU_PNS1_23onesweep_lookback_stateEbbT6_jjT7_P12ihipStream_tbENKUlT_T0_SI_SN_E_clIPiSD_S15_SD_EEDaS11_S12_SI_SN_EUlS11_E_NS1_11comp_targetILNS1_3genE5ELNS1_11target_archE942ELNS1_3gpuE9ELNS1_3repE0EEENS1_47radix_sort_onesweep_sort_config_static_selectorELNS0_4arch9wavefront6targetE0EEEvSI_.has_dyn_sized_stack, 0
	.set _ZN7rocprim17ROCPRIM_400000_NS6detail17trampoline_kernelINS0_14default_configENS1_35radix_sort_onesweep_config_selectorIiiEEZZNS1_29radix_sort_onesweep_iterationIS3_Lb1EN6thrust23THRUST_200600_302600_NS6detail15normal_iteratorINS8_10device_ptrIiEEEESD_SD_SD_jNS0_19identity_decomposerENS1_16block_id_wrapperIjLb1EEEEE10hipError_tT1_PNSt15iterator_traitsISI_E10value_typeET2_T3_PNSJ_ISO_E10value_typeET4_T5_PST_SU_PNS1_23onesweep_lookback_stateEbbT6_jjT7_P12ihipStream_tbENKUlT_T0_SI_SN_E_clIPiSD_S15_SD_EEDaS11_S12_SI_SN_EUlS11_E_NS1_11comp_targetILNS1_3genE5ELNS1_11target_archE942ELNS1_3gpuE9ELNS1_3repE0EEENS1_47radix_sort_onesweep_sort_config_static_selectorELNS0_4arch9wavefront6targetE0EEEvSI_.has_recursion, 0
	.set _ZN7rocprim17ROCPRIM_400000_NS6detail17trampoline_kernelINS0_14default_configENS1_35radix_sort_onesweep_config_selectorIiiEEZZNS1_29radix_sort_onesweep_iterationIS3_Lb1EN6thrust23THRUST_200600_302600_NS6detail15normal_iteratorINS8_10device_ptrIiEEEESD_SD_SD_jNS0_19identity_decomposerENS1_16block_id_wrapperIjLb1EEEEE10hipError_tT1_PNSt15iterator_traitsISI_E10value_typeET2_T3_PNSJ_ISO_E10value_typeET4_T5_PST_SU_PNS1_23onesweep_lookback_stateEbbT6_jjT7_P12ihipStream_tbENKUlT_T0_SI_SN_E_clIPiSD_S15_SD_EEDaS11_S12_SI_SN_EUlS11_E_NS1_11comp_targetILNS1_3genE5ELNS1_11target_archE942ELNS1_3gpuE9ELNS1_3repE0EEENS1_47radix_sort_onesweep_sort_config_static_selectorELNS0_4arch9wavefront6targetE0EEEvSI_.has_indirect_call, 0
	.section	.AMDGPU.csdata,"",@progbits
; Kernel info:
; codeLenInByte = 0
; TotalNumSgprs: 0
; NumVgprs: 0
; ScratchSize: 0
; MemoryBound: 0
; FloatMode: 240
; IeeeMode: 1
; LDSByteSize: 0 bytes/workgroup (compile time only)
; SGPRBlocks: 0
; VGPRBlocks: 0
; NumSGPRsForWavesPerEU: 1
; NumVGPRsForWavesPerEU: 1
; Occupancy: 16
; WaveLimiterHint : 0
; COMPUTE_PGM_RSRC2:SCRATCH_EN: 0
; COMPUTE_PGM_RSRC2:USER_SGPR: 6
; COMPUTE_PGM_RSRC2:TRAP_HANDLER: 0
; COMPUTE_PGM_RSRC2:TGID_X_EN: 1
; COMPUTE_PGM_RSRC2:TGID_Y_EN: 0
; COMPUTE_PGM_RSRC2:TGID_Z_EN: 0
; COMPUTE_PGM_RSRC2:TIDIG_COMP_CNT: 0
	.section	.text._ZN7rocprim17ROCPRIM_400000_NS6detail17trampoline_kernelINS0_14default_configENS1_35radix_sort_onesweep_config_selectorIiiEEZZNS1_29radix_sort_onesweep_iterationIS3_Lb1EN6thrust23THRUST_200600_302600_NS6detail15normal_iteratorINS8_10device_ptrIiEEEESD_SD_SD_jNS0_19identity_decomposerENS1_16block_id_wrapperIjLb1EEEEE10hipError_tT1_PNSt15iterator_traitsISI_E10value_typeET2_T3_PNSJ_ISO_E10value_typeET4_T5_PST_SU_PNS1_23onesweep_lookback_stateEbbT6_jjT7_P12ihipStream_tbENKUlT_T0_SI_SN_E_clIPiSD_S15_SD_EEDaS11_S12_SI_SN_EUlS11_E_NS1_11comp_targetILNS1_3genE2ELNS1_11target_archE906ELNS1_3gpuE6ELNS1_3repE0EEENS1_47radix_sort_onesweep_sort_config_static_selectorELNS0_4arch9wavefront6targetE0EEEvSI_,"axG",@progbits,_ZN7rocprim17ROCPRIM_400000_NS6detail17trampoline_kernelINS0_14default_configENS1_35radix_sort_onesweep_config_selectorIiiEEZZNS1_29radix_sort_onesweep_iterationIS3_Lb1EN6thrust23THRUST_200600_302600_NS6detail15normal_iteratorINS8_10device_ptrIiEEEESD_SD_SD_jNS0_19identity_decomposerENS1_16block_id_wrapperIjLb1EEEEE10hipError_tT1_PNSt15iterator_traitsISI_E10value_typeET2_T3_PNSJ_ISO_E10value_typeET4_T5_PST_SU_PNS1_23onesweep_lookback_stateEbbT6_jjT7_P12ihipStream_tbENKUlT_T0_SI_SN_E_clIPiSD_S15_SD_EEDaS11_S12_SI_SN_EUlS11_E_NS1_11comp_targetILNS1_3genE2ELNS1_11target_archE906ELNS1_3gpuE6ELNS1_3repE0EEENS1_47radix_sort_onesweep_sort_config_static_selectorELNS0_4arch9wavefront6targetE0EEEvSI_,comdat
	.protected	_ZN7rocprim17ROCPRIM_400000_NS6detail17trampoline_kernelINS0_14default_configENS1_35radix_sort_onesweep_config_selectorIiiEEZZNS1_29radix_sort_onesweep_iterationIS3_Lb1EN6thrust23THRUST_200600_302600_NS6detail15normal_iteratorINS8_10device_ptrIiEEEESD_SD_SD_jNS0_19identity_decomposerENS1_16block_id_wrapperIjLb1EEEEE10hipError_tT1_PNSt15iterator_traitsISI_E10value_typeET2_T3_PNSJ_ISO_E10value_typeET4_T5_PST_SU_PNS1_23onesweep_lookback_stateEbbT6_jjT7_P12ihipStream_tbENKUlT_T0_SI_SN_E_clIPiSD_S15_SD_EEDaS11_S12_SI_SN_EUlS11_E_NS1_11comp_targetILNS1_3genE2ELNS1_11target_archE906ELNS1_3gpuE6ELNS1_3repE0EEENS1_47radix_sort_onesweep_sort_config_static_selectorELNS0_4arch9wavefront6targetE0EEEvSI_ ; -- Begin function _ZN7rocprim17ROCPRIM_400000_NS6detail17trampoline_kernelINS0_14default_configENS1_35radix_sort_onesweep_config_selectorIiiEEZZNS1_29radix_sort_onesweep_iterationIS3_Lb1EN6thrust23THRUST_200600_302600_NS6detail15normal_iteratorINS8_10device_ptrIiEEEESD_SD_SD_jNS0_19identity_decomposerENS1_16block_id_wrapperIjLb1EEEEE10hipError_tT1_PNSt15iterator_traitsISI_E10value_typeET2_T3_PNSJ_ISO_E10value_typeET4_T5_PST_SU_PNS1_23onesweep_lookback_stateEbbT6_jjT7_P12ihipStream_tbENKUlT_T0_SI_SN_E_clIPiSD_S15_SD_EEDaS11_S12_SI_SN_EUlS11_E_NS1_11comp_targetILNS1_3genE2ELNS1_11target_archE906ELNS1_3gpuE6ELNS1_3repE0EEENS1_47radix_sort_onesweep_sort_config_static_selectorELNS0_4arch9wavefront6targetE0EEEvSI_
	.globl	_ZN7rocprim17ROCPRIM_400000_NS6detail17trampoline_kernelINS0_14default_configENS1_35radix_sort_onesweep_config_selectorIiiEEZZNS1_29radix_sort_onesweep_iterationIS3_Lb1EN6thrust23THRUST_200600_302600_NS6detail15normal_iteratorINS8_10device_ptrIiEEEESD_SD_SD_jNS0_19identity_decomposerENS1_16block_id_wrapperIjLb1EEEEE10hipError_tT1_PNSt15iterator_traitsISI_E10value_typeET2_T3_PNSJ_ISO_E10value_typeET4_T5_PST_SU_PNS1_23onesweep_lookback_stateEbbT6_jjT7_P12ihipStream_tbENKUlT_T0_SI_SN_E_clIPiSD_S15_SD_EEDaS11_S12_SI_SN_EUlS11_E_NS1_11comp_targetILNS1_3genE2ELNS1_11target_archE906ELNS1_3gpuE6ELNS1_3repE0EEENS1_47radix_sort_onesweep_sort_config_static_selectorELNS0_4arch9wavefront6targetE0EEEvSI_
	.p2align	8
	.type	_ZN7rocprim17ROCPRIM_400000_NS6detail17trampoline_kernelINS0_14default_configENS1_35radix_sort_onesweep_config_selectorIiiEEZZNS1_29radix_sort_onesweep_iterationIS3_Lb1EN6thrust23THRUST_200600_302600_NS6detail15normal_iteratorINS8_10device_ptrIiEEEESD_SD_SD_jNS0_19identity_decomposerENS1_16block_id_wrapperIjLb1EEEEE10hipError_tT1_PNSt15iterator_traitsISI_E10value_typeET2_T3_PNSJ_ISO_E10value_typeET4_T5_PST_SU_PNS1_23onesweep_lookback_stateEbbT6_jjT7_P12ihipStream_tbENKUlT_T0_SI_SN_E_clIPiSD_S15_SD_EEDaS11_S12_SI_SN_EUlS11_E_NS1_11comp_targetILNS1_3genE2ELNS1_11target_archE906ELNS1_3gpuE6ELNS1_3repE0EEENS1_47radix_sort_onesweep_sort_config_static_selectorELNS0_4arch9wavefront6targetE0EEEvSI_,@function
_ZN7rocprim17ROCPRIM_400000_NS6detail17trampoline_kernelINS0_14default_configENS1_35radix_sort_onesweep_config_selectorIiiEEZZNS1_29radix_sort_onesweep_iterationIS3_Lb1EN6thrust23THRUST_200600_302600_NS6detail15normal_iteratorINS8_10device_ptrIiEEEESD_SD_SD_jNS0_19identity_decomposerENS1_16block_id_wrapperIjLb1EEEEE10hipError_tT1_PNSt15iterator_traitsISI_E10value_typeET2_T3_PNSJ_ISO_E10value_typeET4_T5_PST_SU_PNS1_23onesweep_lookback_stateEbbT6_jjT7_P12ihipStream_tbENKUlT_T0_SI_SN_E_clIPiSD_S15_SD_EEDaS11_S12_SI_SN_EUlS11_E_NS1_11comp_targetILNS1_3genE2ELNS1_11target_archE906ELNS1_3gpuE6ELNS1_3repE0EEENS1_47radix_sort_onesweep_sort_config_static_selectorELNS0_4arch9wavefront6targetE0EEEvSI_: ; @_ZN7rocprim17ROCPRIM_400000_NS6detail17trampoline_kernelINS0_14default_configENS1_35radix_sort_onesweep_config_selectorIiiEEZZNS1_29radix_sort_onesweep_iterationIS3_Lb1EN6thrust23THRUST_200600_302600_NS6detail15normal_iteratorINS8_10device_ptrIiEEEESD_SD_SD_jNS0_19identity_decomposerENS1_16block_id_wrapperIjLb1EEEEE10hipError_tT1_PNSt15iterator_traitsISI_E10value_typeET2_T3_PNSJ_ISO_E10value_typeET4_T5_PST_SU_PNS1_23onesweep_lookback_stateEbbT6_jjT7_P12ihipStream_tbENKUlT_T0_SI_SN_E_clIPiSD_S15_SD_EEDaS11_S12_SI_SN_EUlS11_E_NS1_11comp_targetILNS1_3genE2ELNS1_11target_archE906ELNS1_3gpuE6ELNS1_3repE0EEENS1_47radix_sort_onesweep_sort_config_static_selectorELNS0_4arch9wavefront6targetE0EEEvSI_
; %bb.0:
	.section	.rodata,"a",@progbits
	.p2align	6, 0x0
	.amdhsa_kernel _ZN7rocprim17ROCPRIM_400000_NS6detail17trampoline_kernelINS0_14default_configENS1_35radix_sort_onesweep_config_selectorIiiEEZZNS1_29radix_sort_onesweep_iterationIS3_Lb1EN6thrust23THRUST_200600_302600_NS6detail15normal_iteratorINS8_10device_ptrIiEEEESD_SD_SD_jNS0_19identity_decomposerENS1_16block_id_wrapperIjLb1EEEEE10hipError_tT1_PNSt15iterator_traitsISI_E10value_typeET2_T3_PNSJ_ISO_E10value_typeET4_T5_PST_SU_PNS1_23onesweep_lookback_stateEbbT6_jjT7_P12ihipStream_tbENKUlT_T0_SI_SN_E_clIPiSD_S15_SD_EEDaS11_S12_SI_SN_EUlS11_E_NS1_11comp_targetILNS1_3genE2ELNS1_11target_archE906ELNS1_3gpuE6ELNS1_3repE0EEENS1_47radix_sort_onesweep_sort_config_static_selectorELNS0_4arch9wavefront6targetE0EEEvSI_
		.amdhsa_group_segment_fixed_size 0
		.amdhsa_private_segment_fixed_size 0
		.amdhsa_kernarg_size 88
		.amdhsa_user_sgpr_count 6
		.amdhsa_user_sgpr_private_segment_buffer 1
		.amdhsa_user_sgpr_dispatch_ptr 0
		.amdhsa_user_sgpr_queue_ptr 0
		.amdhsa_user_sgpr_kernarg_segment_ptr 1
		.amdhsa_user_sgpr_dispatch_id 0
		.amdhsa_user_sgpr_flat_scratch_init 0
		.amdhsa_user_sgpr_private_segment_size 0
		.amdhsa_wavefront_size32 1
		.amdhsa_uses_dynamic_stack 0
		.amdhsa_system_sgpr_private_segment_wavefront_offset 0
		.amdhsa_system_sgpr_workgroup_id_x 1
		.amdhsa_system_sgpr_workgroup_id_y 0
		.amdhsa_system_sgpr_workgroup_id_z 0
		.amdhsa_system_sgpr_workgroup_info 0
		.amdhsa_system_vgpr_workitem_id 0
		.amdhsa_next_free_vgpr 1
		.amdhsa_next_free_sgpr 1
		.amdhsa_reserve_vcc 0
		.amdhsa_reserve_flat_scratch 0
		.amdhsa_float_round_mode_32 0
		.amdhsa_float_round_mode_16_64 0
		.amdhsa_float_denorm_mode_32 3
		.amdhsa_float_denorm_mode_16_64 3
		.amdhsa_dx10_clamp 1
		.amdhsa_ieee_mode 1
		.amdhsa_fp16_overflow 0
		.amdhsa_workgroup_processor_mode 1
		.amdhsa_memory_ordered 1
		.amdhsa_forward_progress 1
		.amdhsa_shared_vgpr_count 0
		.amdhsa_exception_fp_ieee_invalid_op 0
		.amdhsa_exception_fp_denorm_src 0
		.amdhsa_exception_fp_ieee_div_zero 0
		.amdhsa_exception_fp_ieee_overflow 0
		.amdhsa_exception_fp_ieee_underflow 0
		.amdhsa_exception_fp_ieee_inexact 0
		.amdhsa_exception_int_div_zero 0
	.end_amdhsa_kernel
	.section	.text._ZN7rocprim17ROCPRIM_400000_NS6detail17trampoline_kernelINS0_14default_configENS1_35radix_sort_onesweep_config_selectorIiiEEZZNS1_29radix_sort_onesweep_iterationIS3_Lb1EN6thrust23THRUST_200600_302600_NS6detail15normal_iteratorINS8_10device_ptrIiEEEESD_SD_SD_jNS0_19identity_decomposerENS1_16block_id_wrapperIjLb1EEEEE10hipError_tT1_PNSt15iterator_traitsISI_E10value_typeET2_T3_PNSJ_ISO_E10value_typeET4_T5_PST_SU_PNS1_23onesweep_lookback_stateEbbT6_jjT7_P12ihipStream_tbENKUlT_T0_SI_SN_E_clIPiSD_S15_SD_EEDaS11_S12_SI_SN_EUlS11_E_NS1_11comp_targetILNS1_3genE2ELNS1_11target_archE906ELNS1_3gpuE6ELNS1_3repE0EEENS1_47radix_sort_onesweep_sort_config_static_selectorELNS0_4arch9wavefront6targetE0EEEvSI_,"axG",@progbits,_ZN7rocprim17ROCPRIM_400000_NS6detail17trampoline_kernelINS0_14default_configENS1_35radix_sort_onesweep_config_selectorIiiEEZZNS1_29radix_sort_onesweep_iterationIS3_Lb1EN6thrust23THRUST_200600_302600_NS6detail15normal_iteratorINS8_10device_ptrIiEEEESD_SD_SD_jNS0_19identity_decomposerENS1_16block_id_wrapperIjLb1EEEEE10hipError_tT1_PNSt15iterator_traitsISI_E10value_typeET2_T3_PNSJ_ISO_E10value_typeET4_T5_PST_SU_PNS1_23onesweep_lookback_stateEbbT6_jjT7_P12ihipStream_tbENKUlT_T0_SI_SN_E_clIPiSD_S15_SD_EEDaS11_S12_SI_SN_EUlS11_E_NS1_11comp_targetILNS1_3genE2ELNS1_11target_archE906ELNS1_3gpuE6ELNS1_3repE0EEENS1_47radix_sort_onesweep_sort_config_static_selectorELNS0_4arch9wavefront6targetE0EEEvSI_,comdat
.Lfunc_end1020:
	.size	_ZN7rocprim17ROCPRIM_400000_NS6detail17trampoline_kernelINS0_14default_configENS1_35radix_sort_onesweep_config_selectorIiiEEZZNS1_29radix_sort_onesweep_iterationIS3_Lb1EN6thrust23THRUST_200600_302600_NS6detail15normal_iteratorINS8_10device_ptrIiEEEESD_SD_SD_jNS0_19identity_decomposerENS1_16block_id_wrapperIjLb1EEEEE10hipError_tT1_PNSt15iterator_traitsISI_E10value_typeET2_T3_PNSJ_ISO_E10value_typeET4_T5_PST_SU_PNS1_23onesweep_lookback_stateEbbT6_jjT7_P12ihipStream_tbENKUlT_T0_SI_SN_E_clIPiSD_S15_SD_EEDaS11_S12_SI_SN_EUlS11_E_NS1_11comp_targetILNS1_3genE2ELNS1_11target_archE906ELNS1_3gpuE6ELNS1_3repE0EEENS1_47radix_sort_onesweep_sort_config_static_selectorELNS0_4arch9wavefront6targetE0EEEvSI_, .Lfunc_end1020-_ZN7rocprim17ROCPRIM_400000_NS6detail17trampoline_kernelINS0_14default_configENS1_35radix_sort_onesweep_config_selectorIiiEEZZNS1_29radix_sort_onesweep_iterationIS3_Lb1EN6thrust23THRUST_200600_302600_NS6detail15normal_iteratorINS8_10device_ptrIiEEEESD_SD_SD_jNS0_19identity_decomposerENS1_16block_id_wrapperIjLb1EEEEE10hipError_tT1_PNSt15iterator_traitsISI_E10value_typeET2_T3_PNSJ_ISO_E10value_typeET4_T5_PST_SU_PNS1_23onesweep_lookback_stateEbbT6_jjT7_P12ihipStream_tbENKUlT_T0_SI_SN_E_clIPiSD_S15_SD_EEDaS11_S12_SI_SN_EUlS11_E_NS1_11comp_targetILNS1_3genE2ELNS1_11target_archE906ELNS1_3gpuE6ELNS1_3repE0EEENS1_47radix_sort_onesweep_sort_config_static_selectorELNS0_4arch9wavefront6targetE0EEEvSI_
                                        ; -- End function
	.set _ZN7rocprim17ROCPRIM_400000_NS6detail17trampoline_kernelINS0_14default_configENS1_35radix_sort_onesweep_config_selectorIiiEEZZNS1_29radix_sort_onesweep_iterationIS3_Lb1EN6thrust23THRUST_200600_302600_NS6detail15normal_iteratorINS8_10device_ptrIiEEEESD_SD_SD_jNS0_19identity_decomposerENS1_16block_id_wrapperIjLb1EEEEE10hipError_tT1_PNSt15iterator_traitsISI_E10value_typeET2_T3_PNSJ_ISO_E10value_typeET4_T5_PST_SU_PNS1_23onesweep_lookback_stateEbbT6_jjT7_P12ihipStream_tbENKUlT_T0_SI_SN_E_clIPiSD_S15_SD_EEDaS11_S12_SI_SN_EUlS11_E_NS1_11comp_targetILNS1_3genE2ELNS1_11target_archE906ELNS1_3gpuE6ELNS1_3repE0EEENS1_47radix_sort_onesweep_sort_config_static_selectorELNS0_4arch9wavefront6targetE0EEEvSI_.num_vgpr, 0
	.set _ZN7rocprim17ROCPRIM_400000_NS6detail17trampoline_kernelINS0_14default_configENS1_35radix_sort_onesweep_config_selectorIiiEEZZNS1_29radix_sort_onesweep_iterationIS3_Lb1EN6thrust23THRUST_200600_302600_NS6detail15normal_iteratorINS8_10device_ptrIiEEEESD_SD_SD_jNS0_19identity_decomposerENS1_16block_id_wrapperIjLb1EEEEE10hipError_tT1_PNSt15iterator_traitsISI_E10value_typeET2_T3_PNSJ_ISO_E10value_typeET4_T5_PST_SU_PNS1_23onesweep_lookback_stateEbbT6_jjT7_P12ihipStream_tbENKUlT_T0_SI_SN_E_clIPiSD_S15_SD_EEDaS11_S12_SI_SN_EUlS11_E_NS1_11comp_targetILNS1_3genE2ELNS1_11target_archE906ELNS1_3gpuE6ELNS1_3repE0EEENS1_47radix_sort_onesweep_sort_config_static_selectorELNS0_4arch9wavefront6targetE0EEEvSI_.num_agpr, 0
	.set _ZN7rocprim17ROCPRIM_400000_NS6detail17trampoline_kernelINS0_14default_configENS1_35radix_sort_onesweep_config_selectorIiiEEZZNS1_29radix_sort_onesweep_iterationIS3_Lb1EN6thrust23THRUST_200600_302600_NS6detail15normal_iteratorINS8_10device_ptrIiEEEESD_SD_SD_jNS0_19identity_decomposerENS1_16block_id_wrapperIjLb1EEEEE10hipError_tT1_PNSt15iterator_traitsISI_E10value_typeET2_T3_PNSJ_ISO_E10value_typeET4_T5_PST_SU_PNS1_23onesweep_lookback_stateEbbT6_jjT7_P12ihipStream_tbENKUlT_T0_SI_SN_E_clIPiSD_S15_SD_EEDaS11_S12_SI_SN_EUlS11_E_NS1_11comp_targetILNS1_3genE2ELNS1_11target_archE906ELNS1_3gpuE6ELNS1_3repE0EEENS1_47radix_sort_onesweep_sort_config_static_selectorELNS0_4arch9wavefront6targetE0EEEvSI_.numbered_sgpr, 0
	.set _ZN7rocprim17ROCPRIM_400000_NS6detail17trampoline_kernelINS0_14default_configENS1_35radix_sort_onesweep_config_selectorIiiEEZZNS1_29radix_sort_onesweep_iterationIS3_Lb1EN6thrust23THRUST_200600_302600_NS6detail15normal_iteratorINS8_10device_ptrIiEEEESD_SD_SD_jNS0_19identity_decomposerENS1_16block_id_wrapperIjLb1EEEEE10hipError_tT1_PNSt15iterator_traitsISI_E10value_typeET2_T3_PNSJ_ISO_E10value_typeET4_T5_PST_SU_PNS1_23onesweep_lookback_stateEbbT6_jjT7_P12ihipStream_tbENKUlT_T0_SI_SN_E_clIPiSD_S15_SD_EEDaS11_S12_SI_SN_EUlS11_E_NS1_11comp_targetILNS1_3genE2ELNS1_11target_archE906ELNS1_3gpuE6ELNS1_3repE0EEENS1_47radix_sort_onesweep_sort_config_static_selectorELNS0_4arch9wavefront6targetE0EEEvSI_.num_named_barrier, 0
	.set _ZN7rocprim17ROCPRIM_400000_NS6detail17trampoline_kernelINS0_14default_configENS1_35radix_sort_onesweep_config_selectorIiiEEZZNS1_29radix_sort_onesweep_iterationIS3_Lb1EN6thrust23THRUST_200600_302600_NS6detail15normal_iteratorINS8_10device_ptrIiEEEESD_SD_SD_jNS0_19identity_decomposerENS1_16block_id_wrapperIjLb1EEEEE10hipError_tT1_PNSt15iterator_traitsISI_E10value_typeET2_T3_PNSJ_ISO_E10value_typeET4_T5_PST_SU_PNS1_23onesweep_lookback_stateEbbT6_jjT7_P12ihipStream_tbENKUlT_T0_SI_SN_E_clIPiSD_S15_SD_EEDaS11_S12_SI_SN_EUlS11_E_NS1_11comp_targetILNS1_3genE2ELNS1_11target_archE906ELNS1_3gpuE6ELNS1_3repE0EEENS1_47radix_sort_onesweep_sort_config_static_selectorELNS0_4arch9wavefront6targetE0EEEvSI_.private_seg_size, 0
	.set _ZN7rocprim17ROCPRIM_400000_NS6detail17trampoline_kernelINS0_14default_configENS1_35radix_sort_onesweep_config_selectorIiiEEZZNS1_29radix_sort_onesweep_iterationIS3_Lb1EN6thrust23THRUST_200600_302600_NS6detail15normal_iteratorINS8_10device_ptrIiEEEESD_SD_SD_jNS0_19identity_decomposerENS1_16block_id_wrapperIjLb1EEEEE10hipError_tT1_PNSt15iterator_traitsISI_E10value_typeET2_T3_PNSJ_ISO_E10value_typeET4_T5_PST_SU_PNS1_23onesweep_lookback_stateEbbT6_jjT7_P12ihipStream_tbENKUlT_T0_SI_SN_E_clIPiSD_S15_SD_EEDaS11_S12_SI_SN_EUlS11_E_NS1_11comp_targetILNS1_3genE2ELNS1_11target_archE906ELNS1_3gpuE6ELNS1_3repE0EEENS1_47radix_sort_onesweep_sort_config_static_selectorELNS0_4arch9wavefront6targetE0EEEvSI_.uses_vcc, 0
	.set _ZN7rocprim17ROCPRIM_400000_NS6detail17trampoline_kernelINS0_14default_configENS1_35radix_sort_onesweep_config_selectorIiiEEZZNS1_29radix_sort_onesweep_iterationIS3_Lb1EN6thrust23THRUST_200600_302600_NS6detail15normal_iteratorINS8_10device_ptrIiEEEESD_SD_SD_jNS0_19identity_decomposerENS1_16block_id_wrapperIjLb1EEEEE10hipError_tT1_PNSt15iterator_traitsISI_E10value_typeET2_T3_PNSJ_ISO_E10value_typeET4_T5_PST_SU_PNS1_23onesweep_lookback_stateEbbT6_jjT7_P12ihipStream_tbENKUlT_T0_SI_SN_E_clIPiSD_S15_SD_EEDaS11_S12_SI_SN_EUlS11_E_NS1_11comp_targetILNS1_3genE2ELNS1_11target_archE906ELNS1_3gpuE6ELNS1_3repE0EEENS1_47radix_sort_onesweep_sort_config_static_selectorELNS0_4arch9wavefront6targetE0EEEvSI_.uses_flat_scratch, 0
	.set _ZN7rocprim17ROCPRIM_400000_NS6detail17trampoline_kernelINS0_14default_configENS1_35radix_sort_onesweep_config_selectorIiiEEZZNS1_29radix_sort_onesweep_iterationIS3_Lb1EN6thrust23THRUST_200600_302600_NS6detail15normal_iteratorINS8_10device_ptrIiEEEESD_SD_SD_jNS0_19identity_decomposerENS1_16block_id_wrapperIjLb1EEEEE10hipError_tT1_PNSt15iterator_traitsISI_E10value_typeET2_T3_PNSJ_ISO_E10value_typeET4_T5_PST_SU_PNS1_23onesweep_lookback_stateEbbT6_jjT7_P12ihipStream_tbENKUlT_T0_SI_SN_E_clIPiSD_S15_SD_EEDaS11_S12_SI_SN_EUlS11_E_NS1_11comp_targetILNS1_3genE2ELNS1_11target_archE906ELNS1_3gpuE6ELNS1_3repE0EEENS1_47radix_sort_onesweep_sort_config_static_selectorELNS0_4arch9wavefront6targetE0EEEvSI_.has_dyn_sized_stack, 0
	.set _ZN7rocprim17ROCPRIM_400000_NS6detail17trampoline_kernelINS0_14default_configENS1_35radix_sort_onesweep_config_selectorIiiEEZZNS1_29radix_sort_onesweep_iterationIS3_Lb1EN6thrust23THRUST_200600_302600_NS6detail15normal_iteratorINS8_10device_ptrIiEEEESD_SD_SD_jNS0_19identity_decomposerENS1_16block_id_wrapperIjLb1EEEEE10hipError_tT1_PNSt15iterator_traitsISI_E10value_typeET2_T3_PNSJ_ISO_E10value_typeET4_T5_PST_SU_PNS1_23onesweep_lookback_stateEbbT6_jjT7_P12ihipStream_tbENKUlT_T0_SI_SN_E_clIPiSD_S15_SD_EEDaS11_S12_SI_SN_EUlS11_E_NS1_11comp_targetILNS1_3genE2ELNS1_11target_archE906ELNS1_3gpuE6ELNS1_3repE0EEENS1_47radix_sort_onesweep_sort_config_static_selectorELNS0_4arch9wavefront6targetE0EEEvSI_.has_recursion, 0
	.set _ZN7rocprim17ROCPRIM_400000_NS6detail17trampoline_kernelINS0_14default_configENS1_35radix_sort_onesweep_config_selectorIiiEEZZNS1_29radix_sort_onesweep_iterationIS3_Lb1EN6thrust23THRUST_200600_302600_NS6detail15normal_iteratorINS8_10device_ptrIiEEEESD_SD_SD_jNS0_19identity_decomposerENS1_16block_id_wrapperIjLb1EEEEE10hipError_tT1_PNSt15iterator_traitsISI_E10value_typeET2_T3_PNSJ_ISO_E10value_typeET4_T5_PST_SU_PNS1_23onesweep_lookback_stateEbbT6_jjT7_P12ihipStream_tbENKUlT_T0_SI_SN_E_clIPiSD_S15_SD_EEDaS11_S12_SI_SN_EUlS11_E_NS1_11comp_targetILNS1_3genE2ELNS1_11target_archE906ELNS1_3gpuE6ELNS1_3repE0EEENS1_47radix_sort_onesweep_sort_config_static_selectorELNS0_4arch9wavefront6targetE0EEEvSI_.has_indirect_call, 0
	.section	.AMDGPU.csdata,"",@progbits
; Kernel info:
; codeLenInByte = 0
; TotalNumSgprs: 0
; NumVgprs: 0
; ScratchSize: 0
; MemoryBound: 0
; FloatMode: 240
; IeeeMode: 1
; LDSByteSize: 0 bytes/workgroup (compile time only)
; SGPRBlocks: 0
; VGPRBlocks: 0
; NumSGPRsForWavesPerEU: 1
; NumVGPRsForWavesPerEU: 1
; Occupancy: 16
; WaveLimiterHint : 0
; COMPUTE_PGM_RSRC2:SCRATCH_EN: 0
; COMPUTE_PGM_RSRC2:USER_SGPR: 6
; COMPUTE_PGM_RSRC2:TRAP_HANDLER: 0
; COMPUTE_PGM_RSRC2:TGID_X_EN: 1
; COMPUTE_PGM_RSRC2:TGID_Y_EN: 0
; COMPUTE_PGM_RSRC2:TGID_Z_EN: 0
; COMPUTE_PGM_RSRC2:TIDIG_COMP_CNT: 0
	.section	.text._ZN7rocprim17ROCPRIM_400000_NS6detail17trampoline_kernelINS0_14default_configENS1_35radix_sort_onesweep_config_selectorIiiEEZZNS1_29radix_sort_onesweep_iterationIS3_Lb1EN6thrust23THRUST_200600_302600_NS6detail15normal_iteratorINS8_10device_ptrIiEEEESD_SD_SD_jNS0_19identity_decomposerENS1_16block_id_wrapperIjLb1EEEEE10hipError_tT1_PNSt15iterator_traitsISI_E10value_typeET2_T3_PNSJ_ISO_E10value_typeET4_T5_PST_SU_PNS1_23onesweep_lookback_stateEbbT6_jjT7_P12ihipStream_tbENKUlT_T0_SI_SN_E_clIPiSD_S15_SD_EEDaS11_S12_SI_SN_EUlS11_E_NS1_11comp_targetILNS1_3genE4ELNS1_11target_archE910ELNS1_3gpuE8ELNS1_3repE0EEENS1_47radix_sort_onesweep_sort_config_static_selectorELNS0_4arch9wavefront6targetE0EEEvSI_,"axG",@progbits,_ZN7rocprim17ROCPRIM_400000_NS6detail17trampoline_kernelINS0_14default_configENS1_35radix_sort_onesweep_config_selectorIiiEEZZNS1_29radix_sort_onesweep_iterationIS3_Lb1EN6thrust23THRUST_200600_302600_NS6detail15normal_iteratorINS8_10device_ptrIiEEEESD_SD_SD_jNS0_19identity_decomposerENS1_16block_id_wrapperIjLb1EEEEE10hipError_tT1_PNSt15iterator_traitsISI_E10value_typeET2_T3_PNSJ_ISO_E10value_typeET4_T5_PST_SU_PNS1_23onesweep_lookback_stateEbbT6_jjT7_P12ihipStream_tbENKUlT_T0_SI_SN_E_clIPiSD_S15_SD_EEDaS11_S12_SI_SN_EUlS11_E_NS1_11comp_targetILNS1_3genE4ELNS1_11target_archE910ELNS1_3gpuE8ELNS1_3repE0EEENS1_47radix_sort_onesweep_sort_config_static_selectorELNS0_4arch9wavefront6targetE0EEEvSI_,comdat
	.protected	_ZN7rocprim17ROCPRIM_400000_NS6detail17trampoline_kernelINS0_14default_configENS1_35radix_sort_onesweep_config_selectorIiiEEZZNS1_29radix_sort_onesweep_iterationIS3_Lb1EN6thrust23THRUST_200600_302600_NS6detail15normal_iteratorINS8_10device_ptrIiEEEESD_SD_SD_jNS0_19identity_decomposerENS1_16block_id_wrapperIjLb1EEEEE10hipError_tT1_PNSt15iterator_traitsISI_E10value_typeET2_T3_PNSJ_ISO_E10value_typeET4_T5_PST_SU_PNS1_23onesweep_lookback_stateEbbT6_jjT7_P12ihipStream_tbENKUlT_T0_SI_SN_E_clIPiSD_S15_SD_EEDaS11_S12_SI_SN_EUlS11_E_NS1_11comp_targetILNS1_3genE4ELNS1_11target_archE910ELNS1_3gpuE8ELNS1_3repE0EEENS1_47radix_sort_onesweep_sort_config_static_selectorELNS0_4arch9wavefront6targetE0EEEvSI_ ; -- Begin function _ZN7rocprim17ROCPRIM_400000_NS6detail17trampoline_kernelINS0_14default_configENS1_35radix_sort_onesweep_config_selectorIiiEEZZNS1_29radix_sort_onesweep_iterationIS3_Lb1EN6thrust23THRUST_200600_302600_NS6detail15normal_iteratorINS8_10device_ptrIiEEEESD_SD_SD_jNS0_19identity_decomposerENS1_16block_id_wrapperIjLb1EEEEE10hipError_tT1_PNSt15iterator_traitsISI_E10value_typeET2_T3_PNSJ_ISO_E10value_typeET4_T5_PST_SU_PNS1_23onesweep_lookback_stateEbbT6_jjT7_P12ihipStream_tbENKUlT_T0_SI_SN_E_clIPiSD_S15_SD_EEDaS11_S12_SI_SN_EUlS11_E_NS1_11comp_targetILNS1_3genE4ELNS1_11target_archE910ELNS1_3gpuE8ELNS1_3repE0EEENS1_47radix_sort_onesweep_sort_config_static_selectorELNS0_4arch9wavefront6targetE0EEEvSI_
	.globl	_ZN7rocprim17ROCPRIM_400000_NS6detail17trampoline_kernelINS0_14default_configENS1_35radix_sort_onesweep_config_selectorIiiEEZZNS1_29radix_sort_onesweep_iterationIS3_Lb1EN6thrust23THRUST_200600_302600_NS6detail15normal_iteratorINS8_10device_ptrIiEEEESD_SD_SD_jNS0_19identity_decomposerENS1_16block_id_wrapperIjLb1EEEEE10hipError_tT1_PNSt15iterator_traitsISI_E10value_typeET2_T3_PNSJ_ISO_E10value_typeET4_T5_PST_SU_PNS1_23onesweep_lookback_stateEbbT6_jjT7_P12ihipStream_tbENKUlT_T0_SI_SN_E_clIPiSD_S15_SD_EEDaS11_S12_SI_SN_EUlS11_E_NS1_11comp_targetILNS1_3genE4ELNS1_11target_archE910ELNS1_3gpuE8ELNS1_3repE0EEENS1_47radix_sort_onesweep_sort_config_static_selectorELNS0_4arch9wavefront6targetE0EEEvSI_
	.p2align	8
	.type	_ZN7rocprim17ROCPRIM_400000_NS6detail17trampoline_kernelINS0_14default_configENS1_35radix_sort_onesweep_config_selectorIiiEEZZNS1_29radix_sort_onesweep_iterationIS3_Lb1EN6thrust23THRUST_200600_302600_NS6detail15normal_iteratorINS8_10device_ptrIiEEEESD_SD_SD_jNS0_19identity_decomposerENS1_16block_id_wrapperIjLb1EEEEE10hipError_tT1_PNSt15iterator_traitsISI_E10value_typeET2_T3_PNSJ_ISO_E10value_typeET4_T5_PST_SU_PNS1_23onesweep_lookback_stateEbbT6_jjT7_P12ihipStream_tbENKUlT_T0_SI_SN_E_clIPiSD_S15_SD_EEDaS11_S12_SI_SN_EUlS11_E_NS1_11comp_targetILNS1_3genE4ELNS1_11target_archE910ELNS1_3gpuE8ELNS1_3repE0EEENS1_47radix_sort_onesweep_sort_config_static_selectorELNS0_4arch9wavefront6targetE0EEEvSI_,@function
_ZN7rocprim17ROCPRIM_400000_NS6detail17trampoline_kernelINS0_14default_configENS1_35radix_sort_onesweep_config_selectorIiiEEZZNS1_29radix_sort_onesweep_iterationIS3_Lb1EN6thrust23THRUST_200600_302600_NS6detail15normal_iteratorINS8_10device_ptrIiEEEESD_SD_SD_jNS0_19identity_decomposerENS1_16block_id_wrapperIjLb1EEEEE10hipError_tT1_PNSt15iterator_traitsISI_E10value_typeET2_T3_PNSJ_ISO_E10value_typeET4_T5_PST_SU_PNS1_23onesweep_lookback_stateEbbT6_jjT7_P12ihipStream_tbENKUlT_T0_SI_SN_E_clIPiSD_S15_SD_EEDaS11_S12_SI_SN_EUlS11_E_NS1_11comp_targetILNS1_3genE4ELNS1_11target_archE910ELNS1_3gpuE8ELNS1_3repE0EEENS1_47radix_sort_onesweep_sort_config_static_selectorELNS0_4arch9wavefront6targetE0EEEvSI_: ; @_ZN7rocprim17ROCPRIM_400000_NS6detail17trampoline_kernelINS0_14default_configENS1_35radix_sort_onesweep_config_selectorIiiEEZZNS1_29radix_sort_onesweep_iterationIS3_Lb1EN6thrust23THRUST_200600_302600_NS6detail15normal_iteratorINS8_10device_ptrIiEEEESD_SD_SD_jNS0_19identity_decomposerENS1_16block_id_wrapperIjLb1EEEEE10hipError_tT1_PNSt15iterator_traitsISI_E10value_typeET2_T3_PNSJ_ISO_E10value_typeET4_T5_PST_SU_PNS1_23onesweep_lookback_stateEbbT6_jjT7_P12ihipStream_tbENKUlT_T0_SI_SN_E_clIPiSD_S15_SD_EEDaS11_S12_SI_SN_EUlS11_E_NS1_11comp_targetILNS1_3genE4ELNS1_11target_archE910ELNS1_3gpuE8ELNS1_3repE0EEENS1_47radix_sort_onesweep_sort_config_static_selectorELNS0_4arch9wavefront6targetE0EEEvSI_
; %bb.0:
	.section	.rodata,"a",@progbits
	.p2align	6, 0x0
	.amdhsa_kernel _ZN7rocprim17ROCPRIM_400000_NS6detail17trampoline_kernelINS0_14default_configENS1_35radix_sort_onesweep_config_selectorIiiEEZZNS1_29radix_sort_onesweep_iterationIS3_Lb1EN6thrust23THRUST_200600_302600_NS6detail15normal_iteratorINS8_10device_ptrIiEEEESD_SD_SD_jNS0_19identity_decomposerENS1_16block_id_wrapperIjLb1EEEEE10hipError_tT1_PNSt15iterator_traitsISI_E10value_typeET2_T3_PNSJ_ISO_E10value_typeET4_T5_PST_SU_PNS1_23onesweep_lookback_stateEbbT6_jjT7_P12ihipStream_tbENKUlT_T0_SI_SN_E_clIPiSD_S15_SD_EEDaS11_S12_SI_SN_EUlS11_E_NS1_11comp_targetILNS1_3genE4ELNS1_11target_archE910ELNS1_3gpuE8ELNS1_3repE0EEENS1_47radix_sort_onesweep_sort_config_static_selectorELNS0_4arch9wavefront6targetE0EEEvSI_
		.amdhsa_group_segment_fixed_size 0
		.amdhsa_private_segment_fixed_size 0
		.amdhsa_kernarg_size 88
		.amdhsa_user_sgpr_count 6
		.amdhsa_user_sgpr_private_segment_buffer 1
		.amdhsa_user_sgpr_dispatch_ptr 0
		.amdhsa_user_sgpr_queue_ptr 0
		.amdhsa_user_sgpr_kernarg_segment_ptr 1
		.amdhsa_user_sgpr_dispatch_id 0
		.amdhsa_user_sgpr_flat_scratch_init 0
		.amdhsa_user_sgpr_private_segment_size 0
		.amdhsa_wavefront_size32 1
		.amdhsa_uses_dynamic_stack 0
		.amdhsa_system_sgpr_private_segment_wavefront_offset 0
		.amdhsa_system_sgpr_workgroup_id_x 1
		.amdhsa_system_sgpr_workgroup_id_y 0
		.amdhsa_system_sgpr_workgroup_id_z 0
		.amdhsa_system_sgpr_workgroup_info 0
		.amdhsa_system_vgpr_workitem_id 0
		.amdhsa_next_free_vgpr 1
		.amdhsa_next_free_sgpr 1
		.amdhsa_reserve_vcc 0
		.amdhsa_reserve_flat_scratch 0
		.amdhsa_float_round_mode_32 0
		.amdhsa_float_round_mode_16_64 0
		.amdhsa_float_denorm_mode_32 3
		.amdhsa_float_denorm_mode_16_64 3
		.amdhsa_dx10_clamp 1
		.amdhsa_ieee_mode 1
		.amdhsa_fp16_overflow 0
		.amdhsa_workgroup_processor_mode 1
		.amdhsa_memory_ordered 1
		.amdhsa_forward_progress 1
		.amdhsa_shared_vgpr_count 0
		.amdhsa_exception_fp_ieee_invalid_op 0
		.amdhsa_exception_fp_denorm_src 0
		.amdhsa_exception_fp_ieee_div_zero 0
		.amdhsa_exception_fp_ieee_overflow 0
		.amdhsa_exception_fp_ieee_underflow 0
		.amdhsa_exception_fp_ieee_inexact 0
		.amdhsa_exception_int_div_zero 0
	.end_amdhsa_kernel
	.section	.text._ZN7rocprim17ROCPRIM_400000_NS6detail17trampoline_kernelINS0_14default_configENS1_35radix_sort_onesweep_config_selectorIiiEEZZNS1_29radix_sort_onesweep_iterationIS3_Lb1EN6thrust23THRUST_200600_302600_NS6detail15normal_iteratorINS8_10device_ptrIiEEEESD_SD_SD_jNS0_19identity_decomposerENS1_16block_id_wrapperIjLb1EEEEE10hipError_tT1_PNSt15iterator_traitsISI_E10value_typeET2_T3_PNSJ_ISO_E10value_typeET4_T5_PST_SU_PNS1_23onesweep_lookback_stateEbbT6_jjT7_P12ihipStream_tbENKUlT_T0_SI_SN_E_clIPiSD_S15_SD_EEDaS11_S12_SI_SN_EUlS11_E_NS1_11comp_targetILNS1_3genE4ELNS1_11target_archE910ELNS1_3gpuE8ELNS1_3repE0EEENS1_47radix_sort_onesweep_sort_config_static_selectorELNS0_4arch9wavefront6targetE0EEEvSI_,"axG",@progbits,_ZN7rocprim17ROCPRIM_400000_NS6detail17trampoline_kernelINS0_14default_configENS1_35radix_sort_onesweep_config_selectorIiiEEZZNS1_29radix_sort_onesweep_iterationIS3_Lb1EN6thrust23THRUST_200600_302600_NS6detail15normal_iteratorINS8_10device_ptrIiEEEESD_SD_SD_jNS0_19identity_decomposerENS1_16block_id_wrapperIjLb1EEEEE10hipError_tT1_PNSt15iterator_traitsISI_E10value_typeET2_T3_PNSJ_ISO_E10value_typeET4_T5_PST_SU_PNS1_23onesweep_lookback_stateEbbT6_jjT7_P12ihipStream_tbENKUlT_T0_SI_SN_E_clIPiSD_S15_SD_EEDaS11_S12_SI_SN_EUlS11_E_NS1_11comp_targetILNS1_3genE4ELNS1_11target_archE910ELNS1_3gpuE8ELNS1_3repE0EEENS1_47radix_sort_onesweep_sort_config_static_selectorELNS0_4arch9wavefront6targetE0EEEvSI_,comdat
.Lfunc_end1021:
	.size	_ZN7rocprim17ROCPRIM_400000_NS6detail17trampoline_kernelINS0_14default_configENS1_35radix_sort_onesweep_config_selectorIiiEEZZNS1_29radix_sort_onesweep_iterationIS3_Lb1EN6thrust23THRUST_200600_302600_NS6detail15normal_iteratorINS8_10device_ptrIiEEEESD_SD_SD_jNS0_19identity_decomposerENS1_16block_id_wrapperIjLb1EEEEE10hipError_tT1_PNSt15iterator_traitsISI_E10value_typeET2_T3_PNSJ_ISO_E10value_typeET4_T5_PST_SU_PNS1_23onesweep_lookback_stateEbbT6_jjT7_P12ihipStream_tbENKUlT_T0_SI_SN_E_clIPiSD_S15_SD_EEDaS11_S12_SI_SN_EUlS11_E_NS1_11comp_targetILNS1_3genE4ELNS1_11target_archE910ELNS1_3gpuE8ELNS1_3repE0EEENS1_47radix_sort_onesweep_sort_config_static_selectorELNS0_4arch9wavefront6targetE0EEEvSI_, .Lfunc_end1021-_ZN7rocprim17ROCPRIM_400000_NS6detail17trampoline_kernelINS0_14default_configENS1_35radix_sort_onesweep_config_selectorIiiEEZZNS1_29radix_sort_onesweep_iterationIS3_Lb1EN6thrust23THRUST_200600_302600_NS6detail15normal_iteratorINS8_10device_ptrIiEEEESD_SD_SD_jNS0_19identity_decomposerENS1_16block_id_wrapperIjLb1EEEEE10hipError_tT1_PNSt15iterator_traitsISI_E10value_typeET2_T3_PNSJ_ISO_E10value_typeET4_T5_PST_SU_PNS1_23onesweep_lookback_stateEbbT6_jjT7_P12ihipStream_tbENKUlT_T0_SI_SN_E_clIPiSD_S15_SD_EEDaS11_S12_SI_SN_EUlS11_E_NS1_11comp_targetILNS1_3genE4ELNS1_11target_archE910ELNS1_3gpuE8ELNS1_3repE0EEENS1_47radix_sort_onesweep_sort_config_static_selectorELNS0_4arch9wavefront6targetE0EEEvSI_
                                        ; -- End function
	.set _ZN7rocprim17ROCPRIM_400000_NS6detail17trampoline_kernelINS0_14default_configENS1_35radix_sort_onesweep_config_selectorIiiEEZZNS1_29radix_sort_onesweep_iterationIS3_Lb1EN6thrust23THRUST_200600_302600_NS6detail15normal_iteratorINS8_10device_ptrIiEEEESD_SD_SD_jNS0_19identity_decomposerENS1_16block_id_wrapperIjLb1EEEEE10hipError_tT1_PNSt15iterator_traitsISI_E10value_typeET2_T3_PNSJ_ISO_E10value_typeET4_T5_PST_SU_PNS1_23onesweep_lookback_stateEbbT6_jjT7_P12ihipStream_tbENKUlT_T0_SI_SN_E_clIPiSD_S15_SD_EEDaS11_S12_SI_SN_EUlS11_E_NS1_11comp_targetILNS1_3genE4ELNS1_11target_archE910ELNS1_3gpuE8ELNS1_3repE0EEENS1_47radix_sort_onesweep_sort_config_static_selectorELNS0_4arch9wavefront6targetE0EEEvSI_.num_vgpr, 0
	.set _ZN7rocprim17ROCPRIM_400000_NS6detail17trampoline_kernelINS0_14default_configENS1_35radix_sort_onesweep_config_selectorIiiEEZZNS1_29radix_sort_onesweep_iterationIS3_Lb1EN6thrust23THRUST_200600_302600_NS6detail15normal_iteratorINS8_10device_ptrIiEEEESD_SD_SD_jNS0_19identity_decomposerENS1_16block_id_wrapperIjLb1EEEEE10hipError_tT1_PNSt15iterator_traitsISI_E10value_typeET2_T3_PNSJ_ISO_E10value_typeET4_T5_PST_SU_PNS1_23onesweep_lookback_stateEbbT6_jjT7_P12ihipStream_tbENKUlT_T0_SI_SN_E_clIPiSD_S15_SD_EEDaS11_S12_SI_SN_EUlS11_E_NS1_11comp_targetILNS1_3genE4ELNS1_11target_archE910ELNS1_3gpuE8ELNS1_3repE0EEENS1_47radix_sort_onesweep_sort_config_static_selectorELNS0_4arch9wavefront6targetE0EEEvSI_.num_agpr, 0
	.set _ZN7rocprim17ROCPRIM_400000_NS6detail17trampoline_kernelINS0_14default_configENS1_35radix_sort_onesweep_config_selectorIiiEEZZNS1_29radix_sort_onesweep_iterationIS3_Lb1EN6thrust23THRUST_200600_302600_NS6detail15normal_iteratorINS8_10device_ptrIiEEEESD_SD_SD_jNS0_19identity_decomposerENS1_16block_id_wrapperIjLb1EEEEE10hipError_tT1_PNSt15iterator_traitsISI_E10value_typeET2_T3_PNSJ_ISO_E10value_typeET4_T5_PST_SU_PNS1_23onesweep_lookback_stateEbbT6_jjT7_P12ihipStream_tbENKUlT_T0_SI_SN_E_clIPiSD_S15_SD_EEDaS11_S12_SI_SN_EUlS11_E_NS1_11comp_targetILNS1_3genE4ELNS1_11target_archE910ELNS1_3gpuE8ELNS1_3repE0EEENS1_47radix_sort_onesweep_sort_config_static_selectorELNS0_4arch9wavefront6targetE0EEEvSI_.numbered_sgpr, 0
	.set _ZN7rocprim17ROCPRIM_400000_NS6detail17trampoline_kernelINS0_14default_configENS1_35radix_sort_onesweep_config_selectorIiiEEZZNS1_29radix_sort_onesweep_iterationIS3_Lb1EN6thrust23THRUST_200600_302600_NS6detail15normal_iteratorINS8_10device_ptrIiEEEESD_SD_SD_jNS0_19identity_decomposerENS1_16block_id_wrapperIjLb1EEEEE10hipError_tT1_PNSt15iterator_traitsISI_E10value_typeET2_T3_PNSJ_ISO_E10value_typeET4_T5_PST_SU_PNS1_23onesweep_lookback_stateEbbT6_jjT7_P12ihipStream_tbENKUlT_T0_SI_SN_E_clIPiSD_S15_SD_EEDaS11_S12_SI_SN_EUlS11_E_NS1_11comp_targetILNS1_3genE4ELNS1_11target_archE910ELNS1_3gpuE8ELNS1_3repE0EEENS1_47radix_sort_onesweep_sort_config_static_selectorELNS0_4arch9wavefront6targetE0EEEvSI_.num_named_barrier, 0
	.set _ZN7rocprim17ROCPRIM_400000_NS6detail17trampoline_kernelINS0_14default_configENS1_35radix_sort_onesweep_config_selectorIiiEEZZNS1_29radix_sort_onesweep_iterationIS3_Lb1EN6thrust23THRUST_200600_302600_NS6detail15normal_iteratorINS8_10device_ptrIiEEEESD_SD_SD_jNS0_19identity_decomposerENS1_16block_id_wrapperIjLb1EEEEE10hipError_tT1_PNSt15iterator_traitsISI_E10value_typeET2_T3_PNSJ_ISO_E10value_typeET4_T5_PST_SU_PNS1_23onesweep_lookback_stateEbbT6_jjT7_P12ihipStream_tbENKUlT_T0_SI_SN_E_clIPiSD_S15_SD_EEDaS11_S12_SI_SN_EUlS11_E_NS1_11comp_targetILNS1_3genE4ELNS1_11target_archE910ELNS1_3gpuE8ELNS1_3repE0EEENS1_47radix_sort_onesweep_sort_config_static_selectorELNS0_4arch9wavefront6targetE0EEEvSI_.private_seg_size, 0
	.set _ZN7rocprim17ROCPRIM_400000_NS6detail17trampoline_kernelINS0_14default_configENS1_35radix_sort_onesweep_config_selectorIiiEEZZNS1_29radix_sort_onesweep_iterationIS3_Lb1EN6thrust23THRUST_200600_302600_NS6detail15normal_iteratorINS8_10device_ptrIiEEEESD_SD_SD_jNS0_19identity_decomposerENS1_16block_id_wrapperIjLb1EEEEE10hipError_tT1_PNSt15iterator_traitsISI_E10value_typeET2_T3_PNSJ_ISO_E10value_typeET4_T5_PST_SU_PNS1_23onesweep_lookback_stateEbbT6_jjT7_P12ihipStream_tbENKUlT_T0_SI_SN_E_clIPiSD_S15_SD_EEDaS11_S12_SI_SN_EUlS11_E_NS1_11comp_targetILNS1_3genE4ELNS1_11target_archE910ELNS1_3gpuE8ELNS1_3repE0EEENS1_47radix_sort_onesweep_sort_config_static_selectorELNS0_4arch9wavefront6targetE0EEEvSI_.uses_vcc, 0
	.set _ZN7rocprim17ROCPRIM_400000_NS6detail17trampoline_kernelINS0_14default_configENS1_35radix_sort_onesweep_config_selectorIiiEEZZNS1_29radix_sort_onesweep_iterationIS3_Lb1EN6thrust23THRUST_200600_302600_NS6detail15normal_iteratorINS8_10device_ptrIiEEEESD_SD_SD_jNS0_19identity_decomposerENS1_16block_id_wrapperIjLb1EEEEE10hipError_tT1_PNSt15iterator_traitsISI_E10value_typeET2_T3_PNSJ_ISO_E10value_typeET4_T5_PST_SU_PNS1_23onesweep_lookback_stateEbbT6_jjT7_P12ihipStream_tbENKUlT_T0_SI_SN_E_clIPiSD_S15_SD_EEDaS11_S12_SI_SN_EUlS11_E_NS1_11comp_targetILNS1_3genE4ELNS1_11target_archE910ELNS1_3gpuE8ELNS1_3repE0EEENS1_47radix_sort_onesweep_sort_config_static_selectorELNS0_4arch9wavefront6targetE0EEEvSI_.uses_flat_scratch, 0
	.set _ZN7rocprim17ROCPRIM_400000_NS6detail17trampoline_kernelINS0_14default_configENS1_35radix_sort_onesweep_config_selectorIiiEEZZNS1_29radix_sort_onesweep_iterationIS3_Lb1EN6thrust23THRUST_200600_302600_NS6detail15normal_iteratorINS8_10device_ptrIiEEEESD_SD_SD_jNS0_19identity_decomposerENS1_16block_id_wrapperIjLb1EEEEE10hipError_tT1_PNSt15iterator_traitsISI_E10value_typeET2_T3_PNSJ_ISO_E10value_typeET4_T5_PST_SU_PNS1_23onesweep_lookback_stateEbbT6_jjT7_P12ihipStream_tbENKUlT_T0_SI_SN_E_clIPiSD_S15_SD_EEDaS11_S12_SI_SN_EUlS11_E_NS1_11comp_targetILNS1_3genE4ELNS1_11target_archE910ELNS1_3gpuE8ELNS1_3repE0EEENS1_47radix_sort_onesweep_sort_config_static_selectorELNS0_4arch9wavefront6targetE0EEEvSI_.has_dyn_sized_stack, 0
	.set _ZN7rocprim17ROCPRIM_400000_NS6detail17trampoline_kernelINS0_14default_configENS1_35radix_sort_onesweep_config_selectorIiiEEZZNS1_29radix_sort_onesweep_iterationIS3_Lb1EN6thrust23THRUST_200600_302600_NS6detail15normal_iteratorINS8_10device_ptrIiEEEESD_SD_SD_jNS0_19identity_decomposerENS1_16block_id_wrapperIjLb1EEEEE10hipError_tT1_PNSt15iterator_traitsISI_E10value_typeET2_T3_PNSJ_ISO_E10value_typeET4_T5_PST_SU_PNS1_23onesweep_lookback_stateEbbT6_jjT7_P12ihipStream_tbENKUlT_T0_SI_SN_E_clIPiSD_S15_SD_EEDaS11_S12_SI_SN_EUlS11_E_NS1_11comp_targetILNS1_3genE4ELNS1_11target_archE910ELNS1_3gpuE8ELNS1_3repE0EEENS1_47radix_sort_onesweep_sort_config_static_selectorELNS0_4arch9wavefront6targetE0EEEvSI_.has_recursion, 0
	.set _ZN7rocprim17ROCPRIM_400000_NS6detail17trampoline_kernelINS0_14default_configENS1_35radix_sort_onesweep_config_selectorIiiEEZZNS1_29radix_sort_onesweep_iterationIS3_Lb1EN6thrust23THRUST_200600_302600_NS6detail15normal_iteratorINS8_10device_ptrIiEEEESD_SD_SD_jNS0_19identity_decomposerENS1_16block_id_wrapperIjLb1EEEEE10hipError_tT1_PNSt15iterator_traitsISI_E10value_typeET2_T3_PNSJ_ISO_E10value_typeET4_T5_PST_SU_PNS1_23onesweep_lookback_stateEbbT6_jjT7_P12ihipStream_tbENKUlT_T0_SI_SN_E_clIPiSD_S15_SD_EEDaS11_S12_SI_SN_EUlS11_E_NS1_11comp_targetILNS1_3genE4ELNS1_11target_archE910ELNS1_3gpuE8ELNS1_3repE0EEENS1_47radix_sort_onesweep_sort_config_static_selectorELNS0_4arch9wavefront6targetE0EEEvSI_.has_indirect_call, 0
	.section	.AMDGPU.csdata,"",@progbits
; Kernel info:
; codeLenInByte = 0
; TotalNumSgprs: 0
; NumVgprs: 0
; ScratchSize: 0
; MemoryBound: 0
; FloatMode: 240
; IeeeMode: 1
; LDSByteSize: 0 bytes/workgroup (compile time only)
; SGPRBlocks: 0
; VGPRBlocks: 0
; NumSGPRsForWavesPerEU: 1
; NumVGPRsForWavesPerEU: 1
; Occupancy: 16
; WaveLimiterHint : 0
; COMPUTE_PGM_RSRC2:SCRATCH_EN: 0
; COMPUTE_PGM_RSRC2:USER_SGPR: 6
; COMPUTE_PGM_RSRC2:TRAP_HANDLER: 0
; COMPUTE_PGM_RSRC2:TGID_X_EN: 1
; COMPUTE_PGM_RSRC2:TGID_Y_EN: 0
; COMPUTE_PGM_RSRC2:TGID_Z_EN: 0
; COMPUTE_PGM_RSRC2:TIDIG_COMP_CNT: 0
	.section	.text._ZN7rocprim17ROCPRIM_400000_NS6detail17trampoline_kernelINS0_14default_configENS1_35radix_sort_onesweep_config_selectorIiiEEZZNS1_29radix_sort_onesweep_iterationIS3_Lb1EN6thrust23THRUST_200600_302600_NS6detail15normal_iteratorINS8_10device_ptrIiEEEESD_SD_SD_jNS0_19identity_decomposerENS1_16block_id_wrapperIjLb1EEEEE10hipError_tT1_PNSt15iterator_traitsISI_E10value_typeET2_T3_PNSJ_ISO_E10value_typeET4_T5_PST_SU_PNS1_23onesweep_lookback_stateEbbT6_jjT7_P12ihipStream_tbENKUlT_T0_SI_SN_E_clIPiSD_S15_SD_EEDaS11_S12_SI_SN_EUlS11_E_NS1_11comp_targetILNS1_3genE3ELNS1_11target_archE908ELNS1_3gpuE7ELNS1_3repE0EEENS1_47radix_sort_onesweep_sort_config_static_selectorELNS0_4arch9wavefront6targetE0EEEvSI_,"axG",@progbits,_ZN7rocprim17ROCPRIM_400000_NS6detail17trampoline_kernelINS0_14default_configENS1_35radix_sort_onesweep_config_selectorIiiEEZZNS1_29radix_sort_onesweep_iterationIS3_Lb1EN6thrust23THRUST_200600_302600_NS6detail15normal_iteratorINS8_10device_ptrIiEEEESD_SD_SD_jNS0_19identity_decomposerENS1_16block_id_wrapperIjLb1EEEEE10hipError_tT1_PNSt15iterator_traitsISI_E10value_typeET2_T3_PNSJ_ISO_E10value_typeET4_T5_PST_SU_PNS1_23onesweep_lookback_stateEbbT6_jjT7_P12ihipStream_tbENKUlT_T0_SI_SN_E_clIPiSD_S15_SD_EEDaS11_S12_SI_SN_EUlS11_E_NS1_11comp_targetILNS1_3genE3ELNS1_11target_archE908ELNS1_3gpuE7ELNS1_3repE0EEENS1_47radix_sort_onesweep_sort_config_static_selectorELNS0_4arch9wavefront6targetE0EEEvSI_,comdat
	.protected	_ZN7rocprim17ROCPRIM_400000_NS6detail17trampoline_kernelINS0_14default_configENS1_35radix_sort_onesweep_config_selectorIiiEEZZNS1_29radix_sort_onesweep_iterationIS3_Lb1EN6thrust23THRUST_200600_302600_NS6detail15normal_iteratorINS8_10device_ptrIiEEEESD_SD_SD_jNS0_19identity_decomposerENS1_16block_id_wrapperIjLb1EEEEE10hipError_tT1_PNSt15iterator_traitsISI_E10value_typeET2_T3_PNSJ_ISO_E10value_typeET4_T5_PST_SU_PNS1_23onesweep_lookback_stateEbbT6_jjT7_P12ihipStream_tbENKUlT_T0_SI_SN_E_clIPiSD_S15_SD_EEDaS11_S12_SI_SN_EUlS11_E_NS1_11comp_targetILNS1_3genE3ELNS1_11target_archE908ELNS1_3gpuE7ELNS1_3repE0EEENS1_47radix_sort_onesweep_sort_config_static_selectorELNS0_4arch9wavefront6targetE0EEEvSI_ ; -- Begin function _ZN7rocprim17ROCPRIM_400000_NS6detail17trampoline_kernelINS0_14default_configENS1_35radix_sort_onesweep_config_selectorIiiEEZZNS1_29radix_sort_onesweep_iterationIS3_Lb1EN6thrust23THRUST_200600_302600_NS6detail15normal_iteratorINS8_10device_ptrIiEEEESD_SD_SD_jNS0_19identity_decomposerENS1_16block_id_wrapperIjLb1EEEEE10hipError_tT1_PNSt15iterator_traitsISI_E10value_typeET2_T3_PNSJ_ISO_E10value_typeET4_T5_PST_SU_PNS1_23onesweep_lookback_stateEbbT6_jjT7_P12ihipStream_tbENKUlT_T0_SI_SN_E_clIPiSD_S15_SD_EEDaS11_S12_SI_SN_EUlS11_E_NS1_11comp_targetILNS1_3genE3ELNS1_11target_archE908ELNS1_3gpuE7ELNS1_3repE0EEENS1_47radix_sort_onesweep_sort_config_static_selectorELNS0_4arch9wavefront6targetE0EEEvSI_
	.globl	_ZN7rocprim17ROCPRIM_400000_NS6detail17trampoline_kernelINS0_14default_configENS1_35radix_sort_onesweep_config_selectorIiiEEZZNS1_29radix_sort_onesweep_iterationIS3_Lb1EN6thrust23THRUST_200600_302600_NS6detail15normal_iteratorINS8_10device_ptrIiEEEESD_SD_SD_jNS0_19identity_decomposerENS1_16block_id_wrapperIjLb1EEEEE10hipError_tT1_PNSt15iterator_traitsISI_E10value_typeET2_T3_PNSJ_ISO_E10value_typeET4_T5_PST_SU_PNS1_23onesweep_lookback_stateEbbT6_jjT7_P12ihipStream_tbENKUlT_T0_SI_SN_E_clIPiSD_S15_SD_EEDaS11_S12_SI_SN_EUlS11_E_NS1_11comp_targetILNS1_3genE3ELNS1_11target_archE908ELNS1_3gpuE7ELNS1_3repE0EEENS1_47radix_sort_onesweep_sort_config_static_selectorELNS0_4arch9wavefront6targetE0EEEvSI_
	.p2align	8
	.type	_ZN7rocprim17ROCPRIM_400000_NS6detail17trampoline_kernelINS0_14default_configENS1_35radix_sort_onesweep_config_selectorIiiEEZZNS1_29radix_sort_onesweep_iterationIS3_Lb1EN6thrust23THRUST_200600_302600_NS6detail15normal_iteratorINS8_10device_ptrIiEEEESD_SD_SD_jNS0_19identity_decomposerENS1_16block_id_wrapperIjLb1EEEEE10hipError_tT1_PNSt15iterator_traitsISI_E10value_typeET2_T3_PNSJ_ISO_E10value_typeET4_T5_PST_SU_PNS1_23onesweep_lookback_stateEbbT6_jjT7_P12ihipStream_tbENKUlT_T0_SI_SN_E_clIPiSD_S15_SD_EEDaS11_S12_SI_SN_EUlS11_E_NS1_11comp_targetILNS1_3genE3ELNS1_11target_archE908ELNS1_3gpuE7ELNS1_3repE0EEENS1_47radix_sort_onesweep_sort_config_static_selectorELNS0_4arch9wavefront6targetE0EEEvSI_,@function
_ZN7rocprim17ROCPRIM_400000_NS6detail17trampoline_kernelINS0_14default_configENS1_35radix_sort_onesweep_config_selectorIiiEEZZNS1_29radix_sort_onesweep_iterationIS3_Lb1EN6thrust23THRUST_200600_302600_NS6detail15normal_iteratorINS8_10device_ptrIiEEEESD_SD_SD_jNS0_19identity_decomposerENS1_16block_id_wrapperIjLb1EEEEE10hipError_tT1_PNSt15iterator_traitsISI_E10value_typeET2_T3_PNSJ_ISO_E10value_typeET4_T5_PST_SU_PNS1_23onesweep_lookback_stateEbbT6_jjT7_P12ihipStream_tbENKUlT_T0_SI_SN_E_clIPiSD_S15_SD_EEDaS11_S12_SI_SN_EUlS11_E_NS1_11comp_targetILNS1_3genE3ELNS1_11target_archE908ELNS1_3gpuE7ELNS1_3repE0EEENS1_47radix_sort_onesweep_sort_config_static_selectorELNS0_4arch9wavefront6targetE0EEEvSI_: ; @_ZN7rocprim17ROCPRIM_400000_NS6detail17trampoline_kernelINS0_14default_configENS1_35radix_sort_onesweep_config_selectorIiiEEZZNS1_29radix_sort_onesweep_iterationIS3_Lb1EN6thrust23THRUST_200600_302600_NS6detail15normal_iteratorINS8_10device_ptrIiEEEESD_SD_SD_jNS0_19identity_decomposerENS1_16block_id_wrapperIjLb1EEEEE10hipError_tT1_PNSt15iterator_traitsISI_E10value_typeET2_T3_PNSJ_ISO_E10value_typeET4_T5_PST_SU_PNS1_23onesweep_lookback_stateEbbT6_jjT7_P12ihipStream_tbENKUlT_T0_SI_SN_E_clIPiSD_S15_SD_EEDaS11_S12_SI_SN_EUlS11_E_NS1_11comp_targetILNS1_3genE3ELNS1_11target_archE908ELNS1_3gpuE7ELNS1_3repE0EEENS1_47radix_sort_onesweep_sort_config_static_selectorELNS0_4arch9wavefront6targetE0EEEvSI_
; %bb.0:
	.section	.rodata,"a",@progbits
	.p2align	6, 0x0
	.amdhsa_kernel _ZN7rocprim17ROCPRIM_400000_NS6detail17trampoline_kernelINS0_14default_configENS1_35radix_sort_onesweep_config_selectorIiiEEZZNS1_29radix_sort_onesweep_iterationIS3_Lb1EN6thrust23THRUST_200600_302600_NS6detail15normal_iteratorINS8_10device_ptrIiEEEESD_SD_SD_jNS0_19identity_decomposerENS1_16block_id_wrapperIjLb1EEEEE10hipError_tT1_PNSt15iterator_traitsISI_E10value_typeET2_T3_PNSJ_ISO_E10value_typeET4_T5_PST_SU_PNS1_23onesweep_lookback_stateEbbT6_jjT7_P12ihipStream_tbENKUlT_T0_SI_SN_E_clIPiSD_S15_SD_EEDaS11_S12_SI_SN_EUlS11_E_NS1_11comp_targetILNS1_3genE3ELNS1_11target_archE908ELNS1_3gpuE7ELNS1_3repE0EEENS1_47radix_sort_onesweep_sort_config_static_selectorELNS0_4arch9wavefront6targetE0EEEvSI_
		.amdhsa_group_segment_fixed_size 0
		.amdhsa_private_segment_fixed_size 0
		.amdhsa_kernarg_size 88
		.amdhsa_user_sgpr_count 6
		.amdhsa_user_sgpr_private_segment_buffer 1
		.amdhsa_user_sgpr_dispatch_ptr 0
		.amdhsa_user_sgpr_queue_ptr 0
		.amdhsa_user_sgpr_kernarg_segment_ptr 1
		.amdhsa_user_sgpr_dispatch_id 0
		.amdhsa_user_sgpr_flat_scratch_init 0
		.amdhsa_user_sgpr_private_segment_size 0
		.amdhsa_wavefront_size32 1
		.amdhsa_uses_dynamic_stack 0
		.amdhsa_system_sgpr_private_segment_wavefront_offset 0
		.amdhsa_system_sgpr_workgroup_id_x 1
		.amdhsa_system_sgpr_workgroup_id_y 0
		.amdhsa_system_sgpr_workgroup_id_z 0
		.amdhsa_system_sgpr_workgroup_info 0
		.amdhsa_system_vgpr_workitem_id 0
		.amdhsa_next_free_vgpr 1
		.amdhsa_next_free_sgpr 1
		.amdhsa_reserve_vcc 0
		.amdhsa_reserve_flat_scratch 0
		.amdhsa_float_round_mode_32 0
		.amdhsa_float_round_mode_16_64 0
		.amdhsa_float_denorm_mode_32 3
		.amdhsa_float_denorm_mode_16_64 3
		.amdhsa_dx10_clamp 1
		.amdhsa_ieee_mode 1
		.amdhsa_fp16_overflow 0
		.amdhsa_workgroup_processor_mode 1
		.amdhsa_memory_ordered 1
		.amdhsa_forward_progress 1
		.amdhsa_shared_vgpr_count 0
		.amdhsa_exception_fp_ieee_invalid_op 0
		.amdhsa_exception_fp_denorm_src 0
		.amdhsa_exception_fp_ieee_div_zero 0
		.amdhsa_exception_fp_ieee_overflow 0
		.amdhsa_exception_fp_ieee_underflow 0
		.amdhsa_exception_fp_ieee_inexact 0
		.amdhsa_exception_int_div_zero 0
	.end_amdhsa_kernel
	.section	.text._ZN7rocprim17ROCPRIM_400000_NS6detail17trampoline_kernelINS0_14default_configENS1_35radix_sort_onesweep_config_selectorIiiEEZZNS1_29radix_sort_onesweep_iterationIS3_Lb1EN6thrust23THRUST_200600_302600_NS6detail15normal_iteratorINS8_10device_ptrIiEEEESD_SD_SD_jNS0_19identity_decomposerENS1_16block_id_wrapperIjLb1EEEEE10hipError_tT1_PNSt15iterator_traitsISI_E10value_typeET2_T3_PNSJ_ISO_E10value_typeET4_T5_PST_SU_PNS1_23onesweep_lookback_stateEbbT6_jjT7_P12ihipStream_tbENKUlT_T0_SI_SN_E_clIPiSD_S15_SD_EEDaS11_S12_SI_SN_EUlS11_E_NS1_11comp_targetILNS1_3genE3ELNS1_11target_archE908ELNS1_3gpuE7ELNS1_3repE0EEENS1_47radix_sort_onesweep_sort_config_static_selectorELNS0_4arch9wavefront6targetE0EEEvSI_,"axG",@progbits,_ZN7rocprim17ROCPRIM_400000_NS6detail17trampoline_kernelINS0_14default_configENS1_35radix_sort_onesweep_config_selectorIiiEEZZNS1_29radix_sort_onesweep_iterationIS3_Lb1EN6thrust23THRUST_200600_302600_NS6detail15normal_iteratorINS8_10device_ptrIiEEEESD_SD_SD_jNS0_19identity_decomposerENS1_16block_id_wrapperIjLb1EEEEE10hipError_tT1_PNSt15iterator_traitsISI_E10value_typeET2_T3_PNSJ_ISO_E10value_typeET4_T5_PST_SU_PNS1_23onesweep_lookback_stateEbbT6_jjT7_P12ihipStream_tbENKUlT_T0_SI_SN_E_clIPiSD_S15_SD_EEDaS11_S12_SI_SN_EUlS11_E_NS1_11comp_targetILNS1_3genE3ELNS1_11target_archE908ELNS1_3gpuE7ELNS1_3repE0EEENS1_47radix_sort_onesweep_sort_config_static_selectorELNS0_4arch9wavefront6targetE0EEEvSI_,comdat
.Lfunc_end1022:
	.size	_ZN7rocprim17ROCPRIM_400000_NS6detail17trampoline_kernelINS0_14default_configENS1_35radix_sort_onesweep_config_selectorIiiEEZZNS1_29radix_sort_onesweep_iterationIS3_Lb1EN6thrust23THRUST_200600_302600_NS6detail15normal_iteratorINS8_10device_ptrIiEEEESD_SD_SD_jNS0_19identity_decomposerENS1_16block_id_wrapperIjLb1EEEEE10hipError_tT1_PNSt15iterator_traitsISI_E10value_typeET2_T3_PNSJ_ISO_E10value_typeET4_T5_PST_SU_PNS1_23onesweep_lookback_stateEbbT6_jjT7_P12ihipStream_tbENKUlT_T0_SI_SN_E_clIPiSD_S15_SD_EEDaS11_S12_SI_SN_EUlS11_E_NS1_11comp_targetILNS1_3genE3ELNS1_11target_archE908ELNS1_3gpuE7ELNS1_3repE0EEENS1_47radix_sort_onesweep_sort_config_static_selectorELNS0_4arch9wavefront6targetE0EEEvSI_, .Lfunc_end1022-_ZN7rocprim17ROCPRIM_400000_NS6detail17trampoline_kernelINS0_14default_configENS1_35radix_sort_onesweep_config_selectorIiiEEZZNS1_29radix_sort_onesweep_iterationIS3_Lb1EN6thrust23THRUST_200600_302600_NS6detail15normal_iteratorINS8_10device_ptrIiEEEESD_SD_SD_jNS0_19identity_decomposerENS1_16block_id_wrapperIjLb1EEEEE10hipError_tT1_PNSt15iterator_traitsISI_E10value_typeET2_T3_PNSJ_ISO_E10value_typeET4_T5_PST_SU_PNS1_23onesweep_lookback_stateEbbT6_jjT7_P12ihipStream_tbENKUlT_T0_SI_SN_E_clIPiSD_S15_SD_EEDaS11_S12_SI_SN_EUlS11_E_NS1_11comp_targetILNS1_3genE3ELNS1_11target_archE908ELNS1_3gpuE7ELNS1_3repE0EEENS1_47radix_sort_onesweep_sort_config_static_selectorELNS0_4arch9wavefront6targetE0EEEvSI_
                                        ; -- End function
	.set _ZN7rocprim17ROCPRIM_400000_NS6detail17trampoline_kernelINS0_14default_configENS1_35radix_sort_onesweep_config_selectorIiiEEZZNS1_29radix_sort_onesweep_iterationIS3_Lb1EN6thrust23THRUST_200600_302600_NS6detail15normal_iteratorINS8_10device_ptrIiEEEESD_SD_SD_jNS0_19identity_decomposerENS1_16block_id_wrapperIjLb1EEEEE10hipError_tT1_PNSt15iterator_traitsISI_E10value_typeET2_T3_PNSJ_ISO_E10value_typeET4_T5_PST_SU_PNS1_23onesweep_lookback_stateEbbT6_jjT7_P12ihipStream_tbENKUlT_T0_SI_SN_E_clIPiSD_S15_SD_EEDaS11_S12_SI_SN_EUlS11_E_NS1_11comp_targetILNS1_3genE3ELNS1_11target_archE908ELNS1_3gpuE7ELNS1_3repE0EEENS1_47radix_sort_onesweep_sort_config_static_selectorELNS0_4arch9wavefront6targetE0EEEvSI_.num_vgpr, 0
	.set _ZN7rocprim17ROCPRIM_400000_NS6detail17trampoline_kernelINS0_14default_configENS1_35radix_sort_onesweep_config_selectorIiiEEZZNS1_29radix_sort_onesweep_iterationIS3_Lb1EN6thrust23THRUST_200600_302600_NS6detail15normal_iteratorINS8_10device_ptrIiEEEESD_SD_SD_jNS0_19identity_decomposerENS1_16block_id_wrapperIjLb1EEEEE10hipError_tT1_PNSt15iterator_traitsISI_E10value_typeET2_T3_PNSJ_ISO_E10value_typeET4_T5_PST_SU_PNS1_23onesweep_lookback_stateEbbT6_jjT7_P12ihipStream_tbENKUlT_T0_SI_SN_E_clIPiSD_S15_SD_EEDaS11_S12_SI_SN_EUlS11_E_NS1_11comp_targetILNS1_3genE3ELNS1_11target_archE908ELNS1_3gpuE7ELNS1_3repE0EEENS1_47radix_sort_onesweep_sort_config_static_selectorELNS0_4arch9wavefront6targetE0EEEvSI_.num_agpr, 0
	.set _ZN7rocprim17ROCPRIM_400000_NS6detail17trampoline_kernelINS0_14default_configENS1_35radix_sort_onesweep_config_selectorIiiEEZZNS1_29radix_sort_onesweep_iterationIS3_Lb1EN6thrust23THRUST_200600_302600_NS6detail15normal_iteratorINS8_10device_ptrIiEEEESD_SD_SD_jNS0_19identity_decomposerENS1_16block_id_wrapperIjLb1EEEEE10hipError_tT1_PNSt15iterator_traitsISI_E10value_typeET2_T3_PNSJ_ISO_E10value_typeET4_T5_PST_SU_PNS1_23onesweep_lookback_stateEbbT6_jjT7_P12ihipStream_tbENKUlT_T0_SI_SN_E_clIPiSD_S15_SD_EEDaS11_S12_SI_SN_EUlS11_E_NS1_11comp_targetILNS1_3genE3ELNS1_11target_archE908ELNS1_3gpuE7ELNS1_3repE0EEENS1_47radix_sort_onesweep_sort_config_static_selectorELNS0_4arch9wavefront6targetE0EEEvSI_.numbered_sgpr, 0
	.set _ZN7rocprim17ROCPRIM_400000_NS6detail17trampoline_kernelINS0_14default_configENS1_35radix_sort_onesweep_config_selectorIiiEEZZNS1_29radix_sort_onesweep_iterationIS3_Lb1EN6thrust23THRUST_200600_302600_NS6detail15normal_iteratorINS8_10device_ptrIiEEEESD_SD_SD_jNS0_19identity_decomposerENS1_16block_id_wrapperIjLb1EEEEE10hipError_tT1_PNSt15iterator_traitsISI_E10value_typeET2_T3_PNSJ_ISO_E10value_typeET4_T5_PST_SU_PNS1_23onesweep_lookback_stateEbbT6_jjT7_P12ihipStream_tbENKUlT_T0_SI_SN_E_clIPiSD_S15_SD_EEDaS11_S12_SI_SN_EUlS11_E_NS1_11comp_targetILNS1_3genE3ELNS1_11target_archE908ELNS1_3gpuE7ELNS1_3repE0EEENS1_47radix_sort_onesweep_sort_config_static_selectorELNS0_4arch9wavefront6targetE0EEEvSI_.num_named_barrier, 0
	.set _ZN7rocprim17ROCPRIM_400000_NS6detail17trampoline_kernelINS0_14default_configENS1_35radix_sort_onesweep_config_selectorIiiEEZZNS1_29radix_sort_onesweep_iterationIS3_Lb1EN6thrust23THRUST_200600_302600_NS6detail15normal_iteratorINS8_10device_ptrIiEEEESD_SD_SD_jNS0_19identity_decomposerENS1_16block_id_wrapperIjLb1EEEEE10hipError_tT1_PNSt15iterator_traitsISI_E10value_typeET2_T3_PNSJ_ISO_E10value_typeET4_T5_PST_SU_PNS1_23onesweep_lookback_stateEbbT6_jjT7_P12ihipStream_tbENKUlT_T0_SI_SN_E_clIPiSD_S15_SD_EEDaS11_S12_SI_SN_EUlS11_E_NS1_11comp_targetILNS1_3genE3ELNS1_11target_archE908ELNS1_3gpuE7ELNS1_3repE0EEENS1_47radix_sort_onesweep_sort_config_static_selectorELNS0_4arch9wavefront6targetE0EEEvSI_.private_seg_size, 0
	.set _ZN7rocprim17ROCPRIM_400000_NS6detail17trampoline_kernelINS0_14default_configENS1_35radix_sort_onesweep_config_selectorIiiEEZZNS1_29radix_sort_onesweep_iterationIS3_Lb1EN6thrust23THRUST_200600_302600_NS6detail15normal_iteratorINS8_10device_ptrIiEEEESD_SD_SD_jNS0_19identity_decomposerENS1_16block_id_wrapperIjLb1EEEEE10hipError_tT1_PNSt15iterator_traitsISI_E10value_typeET2_T3_PNSJ_ISO_E10value_typeET4_T5_PST_SU_PNS1_23onesweep_lookback_stateEbbT6_jjT7_P12ihipStream_tbENKUlT_T0_SI_SN_E_clIPiSD_S15_SD_EEDaS11_S12_SI_SN_EUlS11_E_NS1_11comp_targetILNS1_3genE3ELNS1_11target_archE908ELNS1_3gpuE7ELNS1_3repE0EEENS1_47radix_sort_onesweep_sort_config_static_selectorELNS0_4arch9wavefront6targetE0EEEvSI_.uses_vcc, 0
	.set _ZN7rocprim17ROCPRIM_400000_NS6detail17trampoline_kernelINS0_14default_configENS1_35radix_sort_onesweep_config_selectorIiiEEZZNS1_29radix_sort_onesweep_iterationIS3_Lb1EN6thrust23THRUST_200600_302600_NS6detail15normal_iteratorINS8_10device_ptrIiEEEESD_SD_SD_jNS0_19identity_decomposerENS1_16block_id_wrapperIjLb1EEEEE10hipError_tT1_PNSt15iterator_traitsISI_E10value_typeET2_T3_PNSJ_ISO_E10value_typeET4_T5_PST_SU_PNS1_23onesweep_lookback_stateEbbT6_jjT7_P12ihipStream_tbENKUlT_T0_SI_SN_E_clIPiSD_S15_SD_EEDaS11_S12_SI_SN_EUlS11_E_NS1_11comp_targetILNS1_3genE3ELNS1_11target_archE908ELNS1_3gpuE7ELNS1_3repE0EEENS1_47radix_sort_onesweep_sort_config_static_selectorELNS0_4arch9wavefront6targetE0EEEvSI_.uses_flat_scratch, 0
	.set _ZN7rocprim17ROCPRIM_400000_NS6detail17trampoline_kernelINS0_14default_configENS1_35radix_sort_onesweep_config_selectorIiiEEZZNS1_29radix_sort_onesweep_iterationIS3_Lb1EN6thrust23THRUST_200600_302600_NS6detail15normal_iteratorINS8_10device_ptrIiEEEESD_SD_SD_jNS0_19identity_decomposerENS1_16block_id_wrapperIjLb1EEEEE10hipError_tT1_PNSt15iterator_traitsISI_E10value_typeET2_T3_PNSJ_ISO_E10value_typeET4_T5_PST_SU_PNS1_23onesweep_lookback_stateEbbT6_jjT7_P12ihipStream_tbENKUlT_T0_SI_SN_E_clIPiSD_S15_SD_EEDaS11_S12_SI_SN_EUlS11_E_NS1_11comp_targetILNS1_3genE3ELNS1_11target_archE908ELNS1_3gpuE7ELNS1_3repE0EEENS1_47radix_sort_onesweep_sort_config_static_selectorELNS0_4arch9wavefront6targetE0EEEvSI_.has_dyn_sized_stack, 0
	.set _ZN7rocprim17ROCPRIM_400000_NS6detail17trampoline_kernelINS0_14default_configENS1_35radix_sort_onesweep_config_selectorIiiEEZZNS1_29radix_sort_onesweep_iterationIS3_Lb1EN6thrust23THRUST_200600_302600_NS6detail15normal_iteratorINS8_10device_ptrIiEEEESD_SD_SD_jNS0_19identity_decomposerENS1_16block_id_wrapperIjLb1EEEEE10hipError_tT1_PNSt15iterator_traitsISI_E10value_typeET2_T3_PNSJ_ISO_E10value_typeET4_T5_PST_SU_PNS1_23onesweep_lookback_stateEbbT6_jjT7_P12ihipStream_tbENKUlT_T0_SI_SN_E_clIPiSD_S15_SD_EEDaS11_S12_SI_SN_EUlS11_E_NS1_11comp_targetILNS1_3genE3ELNS1_11target_archE908ELNS1_3gpuE7ELNS1_3repE0EEENS1_47radix_sort_onesweep_sort_config_static_selectorELNS0_4arch9wavefront6targetE0EEEvSI_.has_recursion, 0
	.set _ZN7rocprim17ROCPRIM_400000_NS6detail17trampoline_kernelINS0_14default_configENS1_35radix_sort_onesweep_config_selectorIiiEEZZNS1_29radix_sort_onesweep_iterationIS3_Lb1EN6thrust23THRUST_200600_302600_NS6detail15normal_iteratorINS8_10device_ptrIiEEEESD_SD_SD_jNS0_19identity_decomposerENS1_16block_id_wrapperIjLb1EEEEE10hipError_tT1_PNSt15iterator_traitsISI_E10value_typeET2_T3_PNSJ_ISO_E10value_typeET4_T5_PST_SU_PNS1_23onesweep_lookback_stateEbbT6_jjT7_P12ihipStream_tbENKUlT_T0_SI_SN_E_clIPiSD_S15_SD_EEDaS11_S12_SI_SN_EUlS11_E_NS1_11comp_targetILNS1_3genE3ELNS1_11target_archE908ELNS1_3gpuE7ELNS1_3repE0EEENS1_47radix_sort_onesweep_sort_config_static_selectorELNS0_4arch9wavefront6targetE0EEEvSI_.has_indirect_call, 0
	.section	.AMDGPU.csdata,"",@progbits
; Kernel info:
; codeLenInByte = 0
; TotalNumSgprs: 0
; NumVgprs: 0
; ScratchSize: 0
; MemoryBound: 0
; FloatMode: 240
; IeeeMode: 1
; LDSByteSize: 0 bytes/workgroup (compile time only)
; SGPRBlocks: 0
; VGPRBlocks: 0
; NumSGPRsForWavesPerEU: 1
; NumVGPRsForWavesPerEU: 1
; Occupancy: 16
; WaveLimiterHint : 0
; COMPUTE_PGM_RSRC2:SCRATCH_EN: 0
; COMPUTE_PGM_RSRC2:USER_SGPR: 6
; COMPUTE_PGM_RSRC2:TRAP_HANDLER: 0
; COMPUTE_PGM_RSRC2:TGID_X_EN: 1
; COMPUTE_PGM_RSRC2:TGID_Y_EN: 0
; COMPUTE_PGM_RSRC2:TGID_Z_EN: 0
; COMPUTE_PGM_RSRC2:TIDIG_COMP_CNT: 0
	.section	.text._ZN7rocprim17ROCPRIM_400000_NS6detail17trampoline_kernelINS0_14default_configENS1_35radix_sort_onesweep_config_selectorIiiEEZZNS1_29radix_sort_onesweep_iterationIS3_Lb1EN6thrust23THRUST_200600_302600_NS6detail15normal_iteratorINS8_10device_ptrIiEEEESD_SD_SD_jNS0_19identity_decomposerENS1_16block_id_wrapperIjLb1EEEEE10hipError_tT1_PNSt15iterator_traitsISI_E10value_typeET2_T3_PNSJ_ISO_E10value_typeET4_T5_PST_SU_PNS1_23onesweep_lookback_stateEbbT6_jjT7_P12ihipStream_tbENKUlT_T0_SI_SN_E_clIPiSD_S15_SD_EEDaS11_S12_SI_SN_EUlS11_E_NS1_11comp_targetILNS1_3genE10ELNS1_11target_archE1201ELNS1_3gpuE5ELNS1_3repE0EEENS1_47radix_sort_onesweep_sort_config_static_selectorELNS0_4arch9wavefront6targetE0EEEvSI_,"axG",@progbits,_ZN7rocprim17ROCPRIM_400000_NS6detail17trampoline_kernelINS0_14default_configENS1_35radix_sort_onesweep_config_selectorIiiEEZZNS1_29radix_sort_onesweep_iterationIS3_Lb1EN6thrust23THRUST_200600_302600_NS6detail15normal_iteratorINS8_10device_ptrIiEEEESD_SD_SD_jNS0_19identity_decomposerENS1_16block_id_wrapperIjLb1EEEEE10hipError_tT1_PNSt15iterator_traitsISI_E10value_typeET2_T3_PNSJ_ISO_E10value_typeET4_T5_PST_SU_PNS1_23onesweep_lookback_stateEbbT6_jjT7_P12ihipStream_tbENKUlT_T0_SI_SN_E_clIPiSD_S15_SD_EEDaS11_S12_SI_SN_EUlS11_E_NS1_11comp_targetILNS1_3genE10ELNS1_11target_archE1201ELNS1_3gpuE5ELNS1_3repE0EEENS1_47radix_sort_onesweep_sort_config_static_selectorELNS0_4arch9wavefront6targetE0EEEvSI_,comdat
	.protected	_ZN7rocprim17ROCPRIM_400000_NS6detail17trampoline_kernelINS0_14default_configENS1_35radix_sort_onesweep_config_selectorIiiEEZZNS1_29radix_sort_onesweep_iterationIS3_Lb1EN6thrust23THRUST_200600_302600_NS6detail15normal_iteratorINS8_10device_ptrIiEEEESD_SD_SD_jNS0_19identity_decomposerENS1_16block_id_wrapperIjLb1EEEEE10hipError_tT1_PNSt15iterator_traitsISI_E10value_typeET2_T3_PNSJ_ISO_E10value_typeET4_T5_PST_SU_PNS1_23onesweep_lookback_stateEbbT6_jjT7_P12ihipStream_tbENKUlT_T0_SI_SN_E_clIPiSD_S15_SD_EEDaS11_S12_SI_SN_EUlS11_E_NS1_11comp_targetILNS1_3genE10ELNS1_11target_archE1201ELNS1_3gpuE5ELNS1_3repE0EEENS1_47radix_sort_onesweep_sort_config_static_selectorELNS0_4arch9wavefront6targetE0EEEvSI_ ; -- Begin function _ZN7rocprim17ROCPRIM_400000_NS6detail17trampoline_kernelINS0_14default_configENS1_35radix_sort_onesweep_config_selectorIiiEEZZNS1_29radix_sort_onesweep_iterationIS3_Lb1EN6thrust23THRUST_200600_302600_NS6detail15normal_iteratorINS8_10device_ptrIiEEEESD_SD_SD_jNS0_19identity_decomposerENS1_16block_id_wrapperIjLb1EEEEE10hipError_tT1_PNSt15iterator_traitsISI_E10value_typeET2_T3_PNSJ_ISO_E10value_typeET4_T5_PST_SU_PNS1_23onesweep_lookback_stateEbbT6_jjT7_P12ihipStream_tbENKUlT_T0_SI_SN_E_clIPiSD_S15_SD_EEDaS11_S12_SI_SN_EUlS11_E_NS1_11comp_targetILNS1_3genE10ELNS1_11target_archE1201ELNS1_3gpuE5ELNS1_3repE0EEENS1_47radix_sort_onesweep_sort_config_static_selectorELNS0_4arch9wavefront6targetE0EEEvSI_
	.globl	_ZN7rocprim17ROCPRIM_400000_NS6detail17trampoline_kernelINS0_14default_configENS1_35radix_sort_onesweep_config_selectorIiiEEZZNS1_29radix_sort_onesweep_iterationIS3_Lb1EN6thrust23THRUST_200600_302600_NS6detail15normal_iteratorINS8_10device_ptrIiEEEESD_SD_SD_jNS0_19identity_decomposerENS1_16block_id_wrapperIjLb1EEEEE10hipError_tT1_PNSt15iterator_traitsISI_E10value_typeET2_T3_PNSJ_ISO_E10value_typeET4_T5_PST_SU_PNS1_23onesweep_lookback_stateEbbT6_jjT7_P12ihipStream_tbENKUlT_T0_SI_SN_E_clIPiSD_S15_SD_EEDaS11_S12_SI_SN_EUlS11_E_NS1_11comp_targetILNS1_3genE10ELNS1_11target_archE1201ELNS1_3gpuE5ELNS1_3repE0EEENS1_47radix_sort_onesweep_sort_config_static_selectorELNS0_4arch9wavefront6targetE0EEEvSI_
	.p2align	8
	.type	_ZN7rocprim17ROCPRIM_400000_NS6detail17trampoline_kernelINS0_14default_configENS1_35radix_sort_onesweep_config_selectorIiiEEZZNS1_29radix_sort_onesweep_iterationIS3_Lb1EN6thrust23THRUST_200600_302600_NS6detail15normal_iteratorINS8_10device_ptrIiEEEESD_SD_SD_jNS0_19identity_decomposerENS1_16block_id_wrapperIjLb1EEEEE10hipError_tT1_PNSt15iterator_traitsISI_E10value_typeET2_T3_PNSJ_ISO_E10value_typeET4_T5_PST_SU_PNS1_23onesweep_lookback_stateEbbT6_jjT7_P12ihipStream_tbENKUlT_T0_SI_SN_E_clIPiSD_S15_SD_EEDaS11_S12_SI_SN_EUlS11_E_NS1_11comp_targetILNS1_3genE10ELNS1_11target_archE1201ELNS1_3gpuE5ELNS1_3repE0EEENS1_47radix_sort_onesweep_sort_config_static_selectorELNS0_4arch9wavefront6targetE0EEEvSI_,@function
_ZN7rocprim17ROCPRIM_400000_NS6detail17trampoline_kernelINS0_14default_configENS1_35radix_sort_onesweep_config_selectorIiiEEZZNS1_29radix_sort_onesweep_iterationIS3_Lb1EN6thrust23THRUST_200600_302600_NS6detail15normal_iteratorINS8_10device_ptrIiEEEESD_SD_SD_jNS0_19identity_decomposerENS1_16block_id_wrapperIjLb1EEEEE10hipError_tT1_PNSt15iterator_traitsISI_E10value_typeET2_T3_PNSJ_ISO_E10value_typeET4_T5_PST_SU_PNS1_23onesweep_lookback_stateEbbT6_jjT7_P12ihipStream_tbENKUlT_T0_SI_SN_E_clIPiSD_S15_SD_EEDaS11_S12_SI_SN_EUlS11_E_NS1_11comp_targetILNS1_3genE10ELNS1_11target_archE1201ELNS1_3gpuE5ELNS1_3repE0EEENS1_47radix_sort_onesweep_sort_config_static_selectorELNS0_4arch9wavefront6targetE0EEEvSI_: ; @_ZN7rocprim17ROCPRIM_400000_NS6detail17trampoline_kernelINS0_14default_configENS1_35radix_sort_onesweep_config_selectorIiiEEZZNS1_29radix_sort_onesweep_iterationIS3_Lb1EN6thrust23THRUST_200600_302600_NS6detail15normal_iteratorINS8_10device_ptrIiEEEESD_SD_SD_jNS0_19identity_decomposerENS1_16block_id_wrapperIjLb1EEEEE10hipError_tT1_PNSt15iterator_traitsISI_E10value_typeET2_T3_PNSJ_ISO_E10value_typeET4_T5_PST_SU_PNS1_23onesweep_lookback_stateEbbT6_jjT7_P12ihipStream_tbENKUlT_T0_SI_SN_E_clIPiSD_S15_SD_EEDaS11_S12_SI_SN_EUlS11_E_NS1_11comp_targetILNS1_3genE10ELNS1_11target_archE1201ELNS1_3gpuE5ELNS1_3repE0EEENS1_47radix_sort_onesweep_sort_config_static_selectorELNS0_4arch9wavefront6targetE0EEEvSI_
; %bb.0:
	.section	.rodata,"a",@progbits
	.p2align	6, 0x0
	.amdhsa_kernel _ZN7rocprim17ROCPRIM_400000_NS6detail17trampoline_kernelINS0_14default_configENS1_35radix_sort_onesweep_config_selectorIiiEEZZNS1_29radix_sort_onesweep_iterationIS3_Lb1EN6thrust23THRUST_200600_302600_NS6detail15normal_iteratorINS8_10device_ptrIiEEEESD_SD_SD_jNS0_19identity_decomposerENS1_16block_id_wrapperIjLb1EEEEE10hipError_tT1_PNSt15iterator_traitsISI_E10value_typeET2_T3_PNSJ_ISO_E10value_typeET4_T5_PST_SU_PNS1_23onesweep_lookback_stateEbbT6_jjT7_P12ihipStream_tbENKUlT_T0_SI_SN_E_clIPiSD_S15_SD_EEDaS11_S12_SI_SN_EUlS11_E_NS1_11comp_targetILNS1_3genE10ELNS1_11target_archE1201ELNS1_3gpuE5ELNS1_3repE0EEENS1_47radix_sort_onesweep_sort_config_static_selectorELNS0_4arch9wavefront6targetE0EEEvSI_
		.amdhsa_group_segment_fixed_size 0
		.amdhsa_private_segment_fixed_size 0
		.amdhsa_kernarg_size 88
		.amdhsa_user_sgpr_count 6
		.amdhsa_user_sgpr_private_segment_buffer 1
		.amdhsa_user_sgpr_dispatch_ptr 0
		.amdhsa_user_sgpr_queue_ptr 0
		.amdhsa_user_sgpr_kernarg_segment_ptr 1
		.amdhsa_user_sgpr_dispatch_id 0
		.amdhsa_user_sgpr_flat_scratch_init 0
		.amdhsa_user_sgpr_private_segment_size 0
		.amdhsa_wavefront_size32 1
		.amdhsa_uses_dynamic_stack 0
		.amdhsa_system_sgpr_private_segment_wavefront_offset 0
		.amdhsa_system_sgpr_workgroup_id_x 1
		.amdhsa_system_sgpr_workgroup_id_y 0
		.amdhsa_system_sgpr_workgroup_id_z 0
		.amdhsa_system_sgpr_workgroup_info 0
		.amdhsa_system_vgpr_workitem_id 0
		.amdhsa_next_free_vgpr 1
		.amdhsa_next_free_sgpr 1
		.amdhsa_reserve_vcc 0
		.amdhsa_reserve_flat_scratch 0
		.amdhsa_float_round_mode_32 0
		.amdhsa_float_round_mode_16_64 0
		.amdhsa_float_denorm_mode_32 3
		.amdhsa_float_denorm_mode_16_64 3
		.amdhsa_dx10_clamp 1
		.amdhsa_ieee_mode 1
		.amdhsa_fp16_overflow 0
		.amdhsa_workgroup_processor_mode 1
		.amdhsa_memory_ordered 1
		.amdhsa_forward_progress 1
		.amdhsa_shared_vgpr_count 0
		.amdhsa_exception_fp_ieee_invalid_op 0
		.amdhsa_exception_fp_denorm_src 0
		.amdhsa_exception_fp_ieee_div_zero 0
		.amdhsa_exception_fp_ieee_overflow 0
		.amdhsa_exception_fp_ieee_underflow 0
		.amdhsa_exception_fp_ieee_inexact 0
		.amdhsa_exception_int_div_zero 0
	.end_amdhsa_kernel
	.section	.text._ZN7rocprim17ROCPRIM_400000_NS6detail17trampoline_kernelINS0_14default_configENS1_35radix_sort_onesweep_config_selectorIiiEEZZNS1_29radix_sort_onesweep_iterationIS3_Lb1EN6thrust23THRUST_200600_302600_NS6detail15normal_iteratorINS8_10device_ptrIiEEEESD_SD_SD_jNS0_19identity_decomposerENS1_16block_id_wrapperIjLb1EEEEE10hipError_tT1_PNSt15iterator_traitsISI_E10value_typeET2_T3_PNSJ_ISO_E10value_typeET4_T5_PST_SU_PNS1_23onesweep_lookback_stateEbbT6_jjT7_P12ihipStream_tbENKUlT_T0_SI_SN_E_clIPiSD_S15_SD_EEDaS11_S12_SI_SN_EUlS11_E_NS1_11comp_targetILNS1_3genE10ELNS1_11target_archE1201ELNS1_3gpuE5ELNS1_3repE0EEENS1_47radix_sort_onesweep_sort_config_static_selectorELNS0_4arch9wavefront6targetE0EEEvSI_,"axG",@progbits,_ZN7rocprim17ROCPRIM_400000_NS6detail17trampoline_kernelINS0_14default_configENS1_35radix_sort_onesweep_config_selectorIiiEEZZNS1_29radix_sort_onesweep_iterationIS3_Lb1EN6thrust23THRUST_200600_302600_NS6detail15normal_iteratorINS8_10device_ptrIiEEEESD_SD_SD_jNS0_19identity_decomposerENS1_16block_id_wrapperIjLb1EEEEE10hipError_tT1_PNSt15iterator_traitsISI_E10value_typeET2_T3_PNSJ_ISO_E10value_typeET4_T5_PST_SU_PNS1_23onesweep_lookback_stateEbbT6_jjT7_P12ihipStream_tbENKUlT_T0_SI_SN_E_clIPiSD_S15_SD_EEDaS11_S12_SI_SN_EUlS11_E_NS1_11comp_targetILNS1_3genE10ELNS1_11target_archE1201ELNS1_3gpuE5ELNS1_3repE0EEENS1_47radix_sort_onesweep_sort_config_static_selectorELNS0_4arch9wavefront6targetE0EEEvSI_,comdat
.Lfunc_end1023:
	.size	_ZN7rocprim17ROCPRIM_400000_NS6detail17trampoline_kernelINS0_14default_configENS1_35radix_sort_onesweep_config_selectorIiiEEZZNS1_29radix_sort_onesweep_iterationIS3_Lb1EN6thrust23THRUST_200600_302600_NS6detail15normal_iteratorINS8_10device_ptrIiEEEESD_SD_SD_jNS0_19identity_decomposerENS1_16block_id_wrapperIjLb1EEEEE10hipError_tT1_PNSt15iterator_traitsISI_E10value_typeET2_T3_PNSJ_ISO_E10value_typeET4_T5_PST_SU_PNS1_23onesweep_lookback_stateEbbT6_jjT7_P12ihipStream_tbENKUlT_T0_SI_SN_E_clIPiSD_S15_SD_EEDaS11_S12_SI_SN_EUlS11_E_NS1_11comp_targetILNS1_3genE10ELNS1_11target_archE1201ELNS1_3gpuE5ELNS1_3repE0EEENS1_47radix_sort_onesweep_sort_config_static_selectorELNS0_4arch9wavefront6targetE0EEEvSI_, .Lfunc_end1023-_ZN7rocprim17ROCPRIM_400000_NS6detail17trampoline_kernelINS0_14default_configENS1_35radix_sort_onesweep_config_selectorIiiEEZZNS1_29radix_sort_onesweep_iterationIS3_Lb1EN6thrust23THRUST_200600_302600_NS6detail15normal_iteratorINS8_10device_ptrIiEEEESD_SD_SD_jNS0_19identity_decomposerENS1_16block_id_wrapperIjLb1EEEEE10hipError_tT1_PNSt15iterator_traitsISI_E10value_typeET2_T3_PNSJ_ISO_E10value_typeET4_T5_PST_SU_PNS1_23onesweep_lookback_stateEbbT6_jjT7_P12ihipStream_tbENKUlT_T0_SI_SN_E_clIPiSD_S15_SD_EEDaS11_S12_SI_SN_EUlS11_E_NS1_11comp_targetILNS1_3genE10ELNS1_11target_archE1201ELNS1_3gpuE5ELNS1_3repE0EEENS1_47radix_sort_onesweep_sort_config_static_selectorELNS0_4arch9wavefront6targetE0EEEvSI_
                                        ; -- End function
	.set _ZN7rocprim17ROCPRIM_400000_NS6detail17trampoline_kernelINS0_14default_configENS1_35radix_sort_onesweep_config_selectorIiiEEZZNS1_29radix_sort_onesweep_iterationIS3_Lb1EN6thrust23THRUST_200600_302600_NS6detail15normal_iteratorINS8_10device_ptrIiEEEESD_SD_SD_jNS0_19identity_decomposerENS1_16block_id_wrapperIjLb1EEEEE10hipError_tT1_PNSt15iterator_traitsISI_E10value_typeET2_T3_PNSJ_ISO_E10value_typeET4_T5_PST_SU_PNS1_23onesweep_lookback_stateEbbT6_jjT7_P12ihipStream_tbENKUlT_T0_SI_SN_E_clIPiSD_S15_SD_EEDaS11_S12_SI_SN_EUlS11_E_NS1_11comp_targetILNS1_3genE10ELNS1_11target_archE1201ELNS1_3gpuE5ELNS1_3repE0EEENS1_47radix_sort_onesweep_sort_config_static_selectorELNS0_4arch9wavefront6targetE0EEEvSI_.num_vgpr, 0
	.set _ZN7rocprim17ROCPRIM_400000_NS6detail17trampoline_kernelINS0_14default_configENS1_35radix_sort_onesweep_config_selectorIiiEEZZNS1_29radix_sort_onesweep_iterationIS3_Lb1EN6thrust23THRUST_200600_302600_NS6detail15normal_iteratorINS8_10device_ptrIiEEEESD_SD_SD_jNS0_19identity_decomposerENS1_16block_id_wrapperIjLb1EEEEE10hipError_tT1_PNSt15iterator_traitsISI_E10value_typeET2_T3_PNSJ_ISO_E10value_typeET4_T5_PST_SU_PNS1_23onesweep_lookback_stateEbbT6_jjT7_P12ihipStream_tbENKUlT_T0_SI_SN_E_clIPiSD_S15_SD_EEDaS11_S12_SI_SN_EUlS11_E_NS1_11comp_targetILNS1_3genE10ELNS1_11target_archE1201ELNS1_3gpuE5ELNS1_3repE0EEENS1_47radix_sort_onesweep_sort_config_static_selectorELNS0_4arch9wavefront6targetE0EEEvSI_.num_agpr, 0
	.set _ZN7rocprim17ROCPRIM_400000_NS6detail17trampoline_kernelINS0_14default_configENS1_35radix_sort_onesweep_config_selectorIiiEEZZNS1_29radix_sort_onesweep_iterationIS3_Lb1EN6thrust23THRUST_200600_302600_NS6detail15normal_iteratorINS8_10device_ptrIiEEEESD_SD_SD_jNS0_19identity_decomposerENS1_16block_id_wrapperIjLb1EEEEE10hipError_tT1_PNSt15iterator_traitsISI_E10value_typeET2_T3_PNSJ_ISO_E10value_typeET4_T5_PST_SU_PNS1_23onesweep_lookback_stateEbbT6_jjT7_P12ihipStream_tbENKUlT_T0_SI_SN_E_clIPiSD_S15_SD_EEDaS11_S12_SI_SN_EUlS11_E_NS1_11comp_targetILNS1_3genE10ELNS1_11target_archE1201ELNS1_3gpuE5ELNS1_3repE0EEENS1_47radix_sort_onesweep_sort_config_static_selectorELNS0_4arch9wavefront6targetE0EEEvSI_.numbered_sgpr, 0
	.set _ZN7rocprim17ROCPRIM_400000_NS6detail17trampoline_kernelINS0_14default_configENS1_35radix_sort_onesweep_config_selectorIiiEEZZNS1_29radix_sort_onesweep_iterationIS3_Lb1EN6thrust23THRUST_200600_302600_NS6detail15normal_iteratorINS8_10device_ptrIiEEEESD_SD_SD_jNS0_19identity_decomposerENS1_16block_id_wrapperIjLb1EEEEE10hipError_tT1_PNSt15iterator_traitsISI_E10value_typeET2_T3_PNSJ_ISO_E10value_typeET4_T5_PST_SU_PNS1_23onesweep_lookback_stateEbbT6_jjT7_P12ihipStream_tbENKUlT_T0_SI_SN_E_clIPiSD_S15_SD_EEDaS11_S12_SI_SN_EUlS11_E_NS1_11comp_targetILNS1_3genE10ELNS1_11target_archE1201ELNS1_3gpuE5ELNS1_3repE0EEENS1_47radix_sort_onesweep_sort_config_static_selectorELNS0_4arch9wavefront6targetE0EEEvSI_.num_named_barrier, 0
	.set _ZN7rocprim17ROCPRIM_400000_NS6detail17trampoline_kernelINS0_14default_configENS1_35radix_sort_onesweep_config_selectorIiiEEZZNS1_29radix_sort_onesweep_iterationIS3_Lb1EN6thrust23THRUST_200600_302600_NS6detail15normal_iteratorINS8_10device_ptrIiEEEESD_SD_SD_jNS0_19identity_decomposerENS1_16block_id_wrapperIjLb1EEEEE10hipError_tT1_PNSt15iterator_traitsISI_E10value_typeET2_T3_PNSJ_ISO_E10value_typeET4_T5_PST_SU_PNS1_23onesweep_lookback_stateEbbT6_jjT7_P12ihipStream_tbENKUlT_T0_SI_SN_E_clIPiSD_S15_SD_EEDaS11_S12_SI_SN_EUlS11_E_NS1_11comp_targetILNS1_3genE10ELNS1_11target_archE1201ELNS1_3gpuE5ELNS1_3repE0EEENS1_47radix_sort_onesweep_sort_config_static_selectorELNS0_4arch9wavefront6targetE0EEEvSI_.private_seg_size, 0
	.set _ZN7rocprim17ROCPRIM_400000_NS6detail17trampoline_kernelINS0_14default_configENS1_35radix_sort_onesweep_config_selectorIiiEEZZNS1_29radix_sort_onesweep_iterationIS3_Lb1EN6thrust23THRUST_200600_302600_NS6detail15normal_iteratorINS8_10device_ptrIiEEEESD_SD_SD_jNS0_19identity_decomposerENS1_16block_id_wrapperIjLb1EEEEE10hipError_tT1_PNSt15iterator_traitsISI_E10value_typeET2_T3_PNSJ_ISO_E10value_typeET4_T5_PST_SU_PNS1_23onesweep_lookback_stateEbbT6_jjT7_P12ihipStream_tbENKUlT_T0_SI_SN_E_clIPiSD_S15_SD_EEDaS11_S12_SI_SN_EUlS11_E_NS1_11comp_targetILNS1_3genE10ELNS1_11target_archE1201ELNS1_3gpuE5ELNS1_3repE0EEENS1_47radix_sort_onesweep_sort_config_static_selectorELNS0_4arch9wavefront6targetE0EEEvSI_.uses_vcc, 0
	.set _ZN7rocprim17ROCPRIM_400000_NS6detail17trampoline_kernelINS0_14default_configENS1_35radix_sort_onesweep_config_selectorIiiEEZZNS1_29radix_sort_onesweep_iterationIS3_Lb1EN6thrust23THRUST_200600_302600_NS6detail15normal_iteratorINS8_10device_ptrIiEEEESD_SD_SD_jNS0_19identity_decomposerENS1_16block_id_wrapperIjLb1EEEEE10hipError_tT1_PNSt15iterator_traitsISI_E10value_typeET2_T3_PNSJ_ISO_E10value_typeET4_T5_PST_SU_PNS1_23onesweep_lookback_stateEbbT6_jjT7_P12ihipStream_tbENKUlT_T0_SI_SN_E_clIPiSD_S15_SD_EEDaS11_S12_SI_SN_EUlS11_E_NS1_11comp_targetILNS1_3genE10ELNS1_11target_archE1201ELNS1_3gpuE5ELNS1_3repE0EEENS1_47radix_sort_onesweep_sort_config_static_selectorELNS0_4arch9wavefront6targetE0EEEvSI_.uses_flat_scratch, 0
	.set _ZN7rocprim17ROCPRIM_400000_NS6detail17trampoline_kernelINS0_14default_configENS1_35radix_sort_onesweep_config_selectorIiiEEZZNS1_29radix_sort_onesweep_iterationIS3_Lb1EN6thrust23THRUST_200600_302600_NS6detail15normal_iteratorINS8_10device_ptrIiEEEESD_SD_SD_jNS0_19identity_decomposerENS1_16block_id_wrapperIjLb1EEEEE10hipError_tT1_PNSt15iterator_traitsISI_E10value_typeET2_T3_PNSJ_ISO_E10value_typeET4_T5_PST_SU_PNS1_23onesweep_lookback_stateEbbT6_jjT7_P12ihipStream_tbENKUlT_T0_SI_SN_E_clIPiSD_S15_SD_EEDaS11_S12_SI_SN_EUlS11_E_NS1_11comp_targetILNS1_3genE10ELNS1_11target_archE1201ELNS1_3gpuE5ELNS1_3repE0EEENS1_47radix_sort_onesweep_sort_config_static_selectorELNS0_4arch9wavefront6targetE0EEEvSI_.has_dyn_sized_stack, 0
	.set _ZN7rocprim17ROCPRIM_400000_NS6detail17trampoline_kernelINS0_14default_configENS1_35radix_sort_onesweep_config_selectorIiiEEZZNS1_29radix_sort_onesweep_iterationIS3_Lb1EN6thrust23THRUST_200600_302600_NS6detail15normal_iteratorINS8_10device_ptrIiEEEESD_SD_SD_jNS0_19identity_decomposerENS1_16block_id_wrapperIjLb1EEEEE10hipError_tT1_PNSt15iterator_traitsISI_E10value_typeET2_T3_PNSJ_ISO_E10value_typeET4_T5_PST_SU_PNS1_23onesweep_lookback_stateEbbT6_jjT7_P12ihipStream_tbENKUlT_T0_SI_SN_E_clIPiSD_S15_SD_EEDaS11_S12_SI_SN_EUlS11_E_NS1_11comp_targetILNS1_3genE10ELNS1_11target_archE1201ELNS1_3gpuE5ELNS1_3repE0EEENS1_47radix_sort_onesweep_sort_config_static_selectorELNS0_4arch9wavefront6targetE0EEEvSI_.has_recursion, 0
	.set _ZN7rocprim17ROCPRIM_400000_NS6detail17trampoline_kernelINS0_14default_configENS1_35radix_sort_onesweep_config_selectorIiiEEZZNS1_29radix_sort_onesweep_iterationIS3_Lb1EN6thrust23THRUST_200600_302600_NS6detail15normal_iteratorINS8_10device_ptrIiEEEESD_SD_SD_jNS0_19identity_decomposerENS1_16block_id_wrapperIjLb1EEEEE10hipError_tT1_PNSt15iterator_traitsISI_E10value_typeET2_T3_PNSJ_ISO_E10value_typeET4_T5_PST_SU_PNS1_23onesweep_lookback_stateEbbT6_jjT7_P12ihipStream_tbENKUlT_T0_SI_SN_E_clIPiSD_S15_SD_EEDaS11_S12_SI_SN_EUlS11_E_NS1_11comp_targetILNS1_3genE10ELNS1_11target_archE1201ELNS1_3gpuE5ELNS1_3repE0EEENS1_47radix_sort_onesweep_sort_config_static_selectorELNS0_4arch9wavefront6targetE0EEEvSI_.has_indirect_call, 0
	.section	.AMDGPU.csdata,"",@progbits
; Kernel info:
; codeLenInByte = 0
; TotalNumSgprs: 0
; NumVgprs: 0
; ScratchSize: 0
; MemoryBound: 0
; FloatMode: 240
; IeeeMode: 1
; LDSByteSize: 0 bytes/workgroup (compile time only)
; SGPRBlocks: 0
; VGPRBlocks: 0
; NumSGPRsForWavesPerEU: 1
; NumVGPRsForWavesPerEU: 1
; Occupancy: 16
; WaveLimiterHint : 0
; COMPUTE_PGM_RSRC2:SCRATCH_EN: 0
; COMPUTE_PGM_RSRC2:USER_SGPR: 6
; COMPUTE_PGM_RSRC2:TRAP_HANDLER: 0
; COMPUTE_PGM_RSRC2:TGID_X_EN: 1
; COMPUTE_PGM_RSRC2:TGID_Y_EN: 0
; COMPUTE_PGM_RSRC2:TGID_Z_EN: 0
; COMPUTE_PGM_RSRC2:TIDIG_COMP_CNT: 0
	.section	.text._ZN7rocprim17ROCPRIM_400000_NS6detail17trampoline_kernelINS0_14default_configENS1_35radix_sort_onesweep_config_selectorIiiEEZZNS1_29radix_sort_onesweep_iterationIS3_Lb1EN6thrust23THRUST_200600_302600_NS6detail15normal_iteratorINS8_10device_ptrIiEEEESD_SD_SD_jNS0_19identity_decomposerENS1_16block_id_wrapperIjLb1EEEEE10hipError_tT1_PNSt15iterator_traitsISI_E10value_typeET2_T3_PNSJ_ISO_E10value_typeET4_T5_PST_SU_PNS1_23onesweep_lookback_stateEbbT6_jjT7_P12ihipStream_tbENKUlT_T0_SI_SN_E_clIPiSD_S15_SD_EEDaS11_S12_SI_SN_EUlS11_E_NS1_11comp_targetILNS1_3genE9ELNS1_11target_archE1100ELNS1_3gpuE3ELNS1_3repE0EEENS1_47radix_sort_onesweep_sort_config_static_selectorELNS0_4arch9wavefront6targetE0EEEvSI_,"axG",@progbits,_ZN7rocprim17ROCPRIM_400000_NS6detail17trampoline_kernelINS0_14default_configENS1_35radix_sort_onesweep_config_selectorIiiEEZZNS1_29radix_sort_onesweep_iterationIS3_Lb1EN6thrust23THRUST_200600_302600_NS6detail15normal_iteratorINS8_10device_ptrIiEEEESD_SD_SD_jNS0_19identity_decomposerENS1_16block_id_wrapperIjLb1EEEEE10hipError_tT1_PNSt15iterator_traitsISI_E10value_typeET2_T3_PNSJ_ISO_E10value_typeET4_T5_PST_SU_PNS1_23onesweep_lookback_stateEbbT6_jjT7_P12ihipStream_tbENKUlT_T0_SI_SN_E_clIPiSD_S15_SD_EEDaS11_S12_SI_SN_EUlS11_E_NS1_11comp_targetILNS1_3genE9ELNS1_11target_archE1100ELNS1_3gpuE3ELNS1_3repE0EEENS1_47radix_sort_onesweep_sort_config_static_selectorELNS0_4arch9wavefront6targetE0EEEvSI_,comdat
	.protected	_ZN7rocprim17ROCPRIM_400000_NS6detail17trampoline_kernelINS0_14default_configENS1_35radix_sort_onesweep_config_selectorIiiEEZZNS1_29radix_sort_onesweep_iterationIS3_Lb1EN6thrust23THRUST_200600_302600_NS6detail15normal_iteratorINS8_10device_ptrIiEEEESD_SD_SD_jNS0_19identity_decomposerENS1_16block_id_wrapperIjLb1EEEEE10hipError_tT1_PNSt15iterator_traitsISI_E10value_typeET2_T3_PNSJ_ISO_E10value_typeET4_T5_PST_SU_PNS1_23onesweep_lookback_stateEbbT6_jjT7_P12ihipStream_tbENKUlT_T0_SI_SN_E_clIPiSD_S15_SD_EEDaS11_S12_SI_SN_EUlS11_E_NS1_11comp_targetILNS1_3genE9ELNS1_11target_archE1100ELNS1_3gpuE3ELNS1_3repE0EEENS1_47radix_sort_onesweep_sort_config_static_selectorELNS0_4arch9wavefront6targetE0EEEvSI_ ; -- Begin function _ZN7rocprim17ROCPRIM_400000_NS6detail17trampoline_kernelINS0_14default_configENS1_35radix_sort_onesweep_config_selectorIiiEEZZNS1_29radix_sort_onesweep_iterationIS3_Lb1EN6thrust23THRUST_200600_302600_NS6detail15normal_iteratorINS8_10device_ptrIiEEEESD_SD_SD_jNS0_19identity_decomposerENS1_16block_id_wrapperIjLb1EEEEE10hipError_tT1_PNSt15iterator_traitsISI_E10value_typeET2_T3_PNSJ_ISO_E10value_typeET4_T5_PST_SU_PNS1_23onesweep_lookback_stateEbbT6_jjT7_P12ihipStream_tbENKUlT_T0_SI_SN_E_clIPiSD_S15_SD_EEDaS11_S12_SI_SN_EUlS11_E_NS1_11comp_targetILNS1_3genE9ELNS1_11target_archE1100ELNS1_3gpuE3ELNS1_3repE0EEENS1_47radix_sort_onesweep_sort_config_static_selectorELNS0_4arch9wavefront6targetE0EEEvSI_
	.globl	_ZN7rocprim17ROCPRIM_400000_NS6detail17trampoline_kernelINS0_14default_configENS1_35radix_sort_onesweep_config_selectorIiiEEZZNS1_29radix_sort_onesweep_iterationIS3_Lb1EN6thrust23THRUST_200600_302600_NS6detail15normal_iteratorINS8_10device_ptrIiEEEESD_SD_SD_jNS0_19identity_decomposerENS1_16block_id_wrapperIjLb1EEEEE10hipError_tT1_PNSt15iterator_traitsISI_E10value_typeET2_T3_PNSJ_ISO_E10value_typeET4_T5_PST_SU_PNS1_23onesweep_lookback_stateEbbT6_jjT7_P12ihipStream_tbENKUlT_T0_SI_SN_E_clIPiSD_S15_SD_EEDaS11_S12_SI_SN_EUlS11_E_NS1_11comp_targetILNS1_3genE9ELNS1_11target_archE1100ELNS1_3gpuE3ELNS1_3repE0EEENS1_47radix_sort_onesweep_sort_config_static_selectorELNS0_4arch9wavefront6targetE0EEEvSI_
	.p2align	8
	.type	_ZN7rocprim17ROCPRIM_400000_NS6detail17trampoline_kernelINS0_14default_configENS1_35radix_sort_onesweep_config_selectorIiiEEZZNS1_29radix_sort_onesweep_iterationIS3_Lb1EN6thrust23THRUST_200600_302600_NS6detail15normal_iteratorINS8_10device_ptrIiEEEESD_SD_SD_jNS0_19identity_decomposerENS1_16block_id_wrapperIjLb1EEEEE10hipError_tT1_PNSt15iterator_traitsISI_E10value_typeET2_T3_PNSJ_ISO_E10value_typeET4_T5_PST_SU_PNS1_23onesweep_lookback_stateEbbT6_jjT7_P12ihipStream_tbENKUlT_T0_SI_SN_E_clIPiSD_S15_SD_EEDaS11_S12_SI_SN_EUlS11_E_NS1_11comp_targetILNS1_3genE9ELNS1_11target_archE1100ELNS1_3gpuE3ELNS1_3repE0EEENS1_47radix_sort_onesweep_sort_config_static_selectorELNS0_4arch9wavefront6targetE0EEEvSI_,@function
_ZN7rocprim17ROCPRIM_400000_NS6detail17trampoline_kernelINS0_14default_configENS1_35radix_sort_onesweep_config_selectorIiiEEZZNS1_29radix_sort_onesweep_iterationIS3_Lb1EN6thrust23THRUST_200600_302600_NS6detail15normal_iteratorINS8_10device_ptrIiEEEESD_SD_SD_jNS0_19identity_decomposerENS1_16block_id_wrapperIjLb1EEEEE10hipError_tT1_PNSt15iterator_traitsISI_E10value_typeET2_T3_PNSJ_ISO_E10value_typeET4_T5_PST_SU_PNS1_23onesweep_lookback_stateEbbT6_jjT7_P12ihipStream_tbENKUlT_T0_SI_SN_E_clIPiSD_S15_SD_EEDaS11_S12_SI_SN_EUlS11_E_NS1_11comp_targetILNS1_3genE9ELNS1_11target_archE1100ELNS1_3gpuE3ELNS1_3repE0EEENS1_47radix_sort_onesweep_sort_config_static_selectorELNS0_4arch9wavefront6targetE0EEEvSI_: ; @_ZN7rocprim17ROCPRIM_400000_NS6detail17trampoline_kernelINS0_14default_configENS1_35radix_sort_onesweep_config_selectorIiiEEZZNS1_29radix_sort_onesweep_iterationIS3_Lb1EN6thrust23THRUST_200600_302600_NS6detail15normal_iteratorINS8_10device_ptrIiEEEESD_SD_SD_jNS0_19identity_decomposerENS1_16block_id_wrapperIjLb1EEEEE10hipError_tT1_PNSt15iterator_traitsISI_E10value_typeET2_T3_PNSJ_ISO_E10value_typeET4_T5_PST_SU_PNS1_23onesweep_lookback_stateEbbT6_jjT7_P12ihipStream_tbENKUlT_T0_SI_SN_E_clIPiSD_S15_SD_EEDaS11_S12_SI_SN_EUlS11_E_NS1_11comp_targetILNS1_3genE9ELNS1_11target_archE1100ELNS1_3gpuE3ELNS1_3repE0EEENS1_47radix_sort_onesweep_sort_config_static_selectorELNS0_4arch9wavefront6targetE0EEEvSI_
; %bb.0:
	.section	.rodata,"a",@progbits
	.p2align	6, 0x0
	.amdhsa_kernel _ZN7rocprim17ROCPRIM_400000_NS6detail17trampoline_kernelINS0_14default_configENS1_35radix_sort_onesweep_config_selectorIiiEEZZNS1_29radix_sort_onesweep_iterationIS3_Lb1EN6thrust23THRUST_200600_302600_NS6detail15normal_iteratorINS8_10device_ptrIiEEEESD_SD_SD_jNS0_19identity_decomposerENS1_16block_id_wrapperIjLb1EEEEE10hipError_tT1_PNSt15iterator_traitsISI_E10value_typeET2_T3_PNSJ_ISO_E10value_typeET4_T5_PST_SU_PNS1_23onesweep_lookback_stateEbbT6_jjT7_P12ihipStream_tbENKUlT_T0_SI_SN_E_clIPiSD_S15_SD_EEDaS11_S12_SI_SN_EUlS11_E_NS1_11comp_targetILNS1_3genE9ELNS1_11target_archE1100ELNS1_3gpuE3ELNS1_3repE0EEENS1_47radix_sort_onesweep_sort_config_static_selectorELNS0_4arch9wavefront6targetE0EEEvSI_
		.amdhsa_group_segment_fixed_size 0
		.amdhsa_private_segment_fixed_size 0
		.amdhsa_kernarg_size 88
		.amdhsa_user_sgpr_count 6
		.amdhsa_user_sgpr_private_segment_buffer 1
		.amdhsa_user_sgpr_dispatch_ptr 0
		.amdhsa_user_sgpr_queue_ptr 0
		.amdhsa_user_sgpr_kernarg_segment_ptr 1
		.amdhsa_user_sgpr_dispatch_id 0
		.amdhsa_user_sgpr_flat_scratch_init 0
		.amdhsa_user_sgpr_private_segment_size 0
		.amdhsa_wavefront_size32 1
		.amdhsa_uses_dynamic_stack 0
		.amdhsa_system_sgpr_private_segment_wavefront_offset 0
		.amdhsa_system_sgpr_workgroup_id_x 1
		.amdhsa_system_sgpr_workgroup_id_y 0
		.amdhsa_system_sgpr_workgroup_id_z 0
		.amdhsa_system_sgpr_workgroup_info 0
		.amdhsa_system_vgpr_workitem_id 0
		.amdhsa_next_free_vgpr 1
		.amdhsa_next_free_sgpr 1
		.amdhsa_reserve_vcc 0
		.amdhsa_reserve_flat_scratch 0
		.amdhsa_float_round_mode_32 0
		.amdhsa_float_round_mode_16_64 0
		.amdhsa_float_denorm_mode_32 3
		.amdhsa_float_denorm_mode_16_64 3
		.amdhsa_dx10_clamp 1
		.amdhsa_ieee_mode 1
		.amdhsa_fp16_overflow 0
		.amdhsa_workgroup_processor_mode 1
		.amdhsa_memory_ordered 1
		.amdhsa_forward_progress 1
		.amdhsa_shared_vgpr_count 0
		.amdhsa_exception_fp_ieee_invalid_op 0
		.amdhsa_exception_fp_denorm_src 0
		.amdhsa_exception_fp_ieee_div_zero 0
		.amdhsa_exception_fp_ieee_overflow 0
		.amdhsa_exception_fp_ieee_underflow 0
		.amdhsa_exception_fp_ieee_inexact 0
		.amdhsa_exception_int_div_zero 0
	.end_amdhsa_kernel
	.section	.text._ZN7rocprim17ROCPRIM_400000_NS6detail17trampoline_kernelINS0_14default_configENS1_35radix_sort_onesweep_config_selectorIiiEEZZNS1_29radix_sort_onesweep_iterationIS3_Lb1EN6thrust23THRUST_200600_302600_NS6detail15normal_iteratorINS8_10device_ptrIiEEEESD_SD_SD_jNS0_19identity_decomposerENS1_16block_id_wrapperIjLb1EEEEE10hipError_tT1_PNSt15iterator_traitsISI_E10value_typeET2_T3_PNSJ_ISO_E10value_typeET4_T5_PST_SU_PNS1_23onesweep_lookback_stateEbbT6_jjT7_P12ihipStream_tbENKUlT_T0_SI_SN_E_clIPiSD_S15_SD_EEDaS11_S12_SI_SN_EUlS11_E_NS1_11comp_targetILNS1_3genE9ELNS1_11target_archE1100ELNS1_3gpuE3ELNS1_3repE0EEENS1_47radix_sort_onesweep_sort_config_static_selectorELNS0_4arch9wavefront6targetE0EEEvSI_,"axG",@progbits,_ZN7rocprim17ROCPRIM_400000_NS6detail17trampoline_kernelINS0_14default_configENS1_35radix_sort_onesweep_config_selectorIiiEEZZNS1_29radix_sort_onesweep_iterationIS3_Lb1EN6thrust23THRUST_200600_302600_NS6detail15normal_iteratorINS8_10device_ptrIiEEEESD_SD_SD_jNS0_19identity_decomposerENS1_16block_id_wrapperIjLb1EEEEE10hipError_tT1_PNSt15iterator_traitsISI_E10value_typeET2_T3_PNSJ_ISO_E10value_typeET4_T5_PST_SU_PNS1_23onesweep_lookback_stateEbbT6_jjT7_P12ihipStream_tbENKUlT_T0_SI_SN_E_clIPiSD_S15_SD_EEDaS11_S12_SI_SN_EUlS11_E_NS1_11comp_targetILNS1_3genE9ELNS1_11target_archE1100ELNS1_3gpuE3ELNS1_3repE0EEENS1_47radix_sort_onesweep_sort_config_static_selectorELNS0_4arch9wavefront6targetE0EEEvSI_,comdat
.Lfunc_end1024:
	.size	_ZN7rocprim17ROCPRIM_400000_NS6detail17trampoline_kernelINS0_14default_configENS1_35radix_sort_onesweep_config_selectorIiiEEZZNS1_29radix_sort_onesweep_iterationIS3_Lb1EN6thrust23THRUST_200600_302600_NS6detail15normal_iteratorINS8_10device_ptrIiEEEESD_SD_SD_jNS0_19identity_decomposerENS1_16block_id_wrapperIjLb1EEEEE10hipError_tT1_PNSt15iterator_traitsISI_E10value_typeET2_T3_PNSJ_ISO_E10value_typeET4_T5_PST_SU_PNS1_23onesweep_lookback_stateEbbT6_jjT7_P12ihipStream_tbENKUlT_T0_SI_SN_E_clIPiSD_S15_SD_EEDaS11_S12_SI_SN_EUlS11_E_NS1_11comp_targetILNS1_3genE9ELNS1_11target_archE1100ELNS1_3gpuE3ELNS1_3repE0EEENS1_47radix_sort_onesweep_sort_config_static_selectorELNS0_4arch9wavefront6targetE0EEEvSI_, .Lfunc_end1024-_ZN7rocprim17ROCPRIM_400000_NS6detail17trampoline_kernelINS0_14default_configENS1_35radix_sort_onesweep_config_selectorIiiEEZZNS1_29radix_sort_onesweep_iterationIS3_Lb1EN6thrust23THRUST_200600_302600_NS6detail15normal_iteratorINS8_10device_ptrIiEEEESD_SD_SD_jNS0_19identity_decomposerENS1_16block_id_wrapperIjLb1EEEEE10hipError_tT1_PNSt15iterator_traitsISI_E10value_typeET2_T3_PNSJ_ISO_E10value_typeET4_T5_PST_SU_PNS1_23onesweep_lookback_stateEbbT6_jjT7_P12ihipStream_tbENKUlT_T0_SI_SN_E_clIPiSD_S15_SD_EEDaS11_S12_SI_SN_EUlS11_E_NS1_11comp_targetILNS1_3genE9ELNS1_11target_archE1100ELNS1_3gpuE3ELNS1_3repE0EEENS1_47radix_sort_onesweep_sort_config_static_selectorELNS0_4arch9wavefront6targetE0EEEvSI_
                                        ; -- End function
	.set _ZN7rocprim17ROCPRIM_400000_NS6detail17trampoline_kernelINS0_14default_configENS1_35radix_sort_onesweep_config_selectorIiiEEZZNS1_29radix_sort_onesweep_iterationIS3_Lb1EN6thrust23THRUST_200600_302600_NS6detail15normal_iteratorINS8_10device_ptrIiEEEESD_SD_SD_jNS0_19identity_decomposerENS1_16block_id_wrapperIjLb1EEEEE10hipError_tT1_PNSt15iterator_traitsISI_E10value_typeET2_T3_PNSJ_ISO_E10value_typeET4_T5_PST_SU_PNS1_23onesweep_lookback_stateEbbT6_jjT7_P12ihipStream_tbENKUlT_T0_SI_SN_E_clIPiSD_S15_SD_EEDaS11_S12_SI_SN_EUlS11_E_NS1_11comp_targetILNS1_3genE9ELNS1_11target_archE1100ELNS1_3gpuE3ELNS1_3repE0EEENS1_47radix_sort_onesweep_sort_config_static_selectorELNS0_4arch9wavefront6targetE0EEEvSI_.num_vgpr, 0
	.set _ZN7rocprim17ROCPRIM_400000_NS6detail17trampoline_kernelINS0_14default_configENS1_35radix_sort_onesweep_config_selectorIiiEEZZNS1_29radix_sort_onesweep_iterationIS3_Lb1EN6thrust23THRUST_200600_302600_NS6detail15normal_iteratorINS8_10device_ptrIiEEEESD_SD_SD_jNS0_19identity_decomposerENS1_16block_id_wrapperIjLb1EEEEE10hipError_tT1_PNSt15iterator_traitsISI_E10value_typeET2_T3_PNSJ_ISO_E10value_typeET4_T5_PST_SU_PNS1_23onesweep_lookback_stateEbbT6_jjT7_P12ihipStream_tbENKUlT_T0_SI_SN_E_clIPiSD_S15_SD_EEDaS11_S12_SI_SN_EUlS11_E_NS1_11comp_targetILNS1_3genE9ELNS1_11target_archE1100ELNS1_3gpuE3ELNS1_3repE0EEENS1_47radix_sort_onesweep_sort_config_static_selectorELNS0_4arch9wavefront6targetE0EEEvSI_.num_agpr, 0
	.set _ZN7rocprim17ROCPRIM_400000_NS6detail17trampoline_kernelINS0_14default_configENS1_35radix_sort_onesweep_config_selectorIiiEEZZNS1_29radix_sort_onesweep_iterationIS3_Lb1EN6thrust23THRUST_200600_302600_NS6detail15normal_iteratorINS8_10device_ptrIiEEEESD_SD_SD_jNS0_19identity_decomposerENS1_16block_id_wrapperIjLb1EEEEE10hipError_tT1_PNSt15iterator_traitsISI_E10value_typeET2_T3_PNSJ_ISO_E10value_typeET4_T5_PST_SU_PNS1_23onesweep_lookback_stateEbbT6_jjT7_P12ihipStream_tbENKUlT_T0_SI_SN_E_clIPiSD_S15_SD_EEDaS11_S12_SI_SN_EUlS11_E_NS1_11comp_targetILNS1_3genE9ELNS1_11target_archE1100ELNS1_3gpuE3ELNS1_3repE0EEENS1_47radix_sort_onesweep_sort_config_static_selectorELNS0_4arch9wavefront6targetE0EEEvSI_.numbered_sgpr, 0
	.set _ZN7rocprim17ROCPRIM_400000_NS6detail17trampoline_kernelINS0_14default_configENS1_35radix_sort_onesweep_config_selectorIiiEEZZNS1_29radix_sort_onesweep_iterationIS3_Lb1EN6thrust23THRUST_200600_302600_NS6detail15normal_iteratorINS8_10device_ptrIiEEEESD_SD_SD_jNS0_19identity_decomposerENS1_16block_id_wrapperIjLb1EEEEE10hipError_tT1_PNSt15iterator_traitsISI_E10value_typeET2_T3_PNSJ_ISO_E10value_typeET4_T5_PST_SU_PNS1_23onesweep_lookback_stateEbbT6_jjT7_P12ihipStream_tbENKUlT_T0_SI_SN_E_clIPiSD_S15_SD_EEDaS11_S12_SI_SN_EUlS11_E_NS1_11comp_targetILNS1_3genE9ELNS1_11target_archE1100ELNS1_3gpuE3ELNS1_3repE0EEENS1_47radix_sort_onesweep_sort_config_static_selectorELNS0_4arch9wavefront6targetE0EEEvSI_.num_named_barrier, 0
	.set _ZN7rocprim17ROCPRIM_400000_NS6detail17trampoline_kernelINS0_14default_configENS1_35radix_sort_onesweep_config_selectorIiiEEZZNS1_29radix_sort_onesweep_iterationIS3_Lb1EN6thrust23THRUST_200600_302600_NS6detail15normal_iteratorINS8_10device_ptrIiEEEESD_SD_SD_jNS0_19identity_decomposerENS1_16block_id_wrapperIjLb1EEEEE10hipError_tT1_PNSt15iterator_traitsISI_E10value_typeET2_T3_PNSJ_ISO_E10value_typeET4_T5_PST_SU_PNS1_23onesweep_lookback_stateEbbT6_jjT7_P12ihipStream_tbENKUlT_T0_SI_SN_E_clIPiSD_S15_SD_EEDaS11_S12_SI_SN_EUlS11_E_NS1_11comp_targetILNS1_3genE9ELNS1_11target_archE1100ELNS1_3gpuE3ELNS1_3repE0EEENS1_47radix_sort_onesweep_sort_config_static_selectorELNS0_4arch9wavefront6targetE0EEEvSI_.private_seg_size, 0
	.set _ZN7rocprim17ROCPRIM_400000_NS6detail17trampoline_kernelINS0_14default_configENS1_35radix_sort_onesweep_config_selectorIiiEEZZNS1_29radix_sort_onesweep_iterationIS3_Lb1EN6thrust23THRUST_200600_302600_NS6detail15normal_iteratorINS8_10device_ptrIiEEEESD_SD_SD_jNS0_19identity_decomposerENS1_16block_id_wrapperIjLb1EEEEE10hipError_tT1_PNSt15iterator_traitsISI_E10value_typeET2_T3_PNSJ_ISO_E10value_typeET4_T5_PST_SU_PNS1_23onesweep_lookback_stateEbbT6_jjT7_P12ihipStream_tbENKUlT_T0_SI_SN_E_clIPiSD_S15_SD_EEDaS11_S12_SI_SN_EUlS11_E_NS1_11comp_targetILNS1_3genE9ELNS1_11target_archE1100ELNS1_3gpuE3ELNS1_3repE0EEENS1_47radix_sort_onesweep_sort_config_static_selectorELNS0_4arch9wavefront6targetE0EEEvSI_.uses_vcc, 0
	.set _ZN7rocprim17ROCPRIM_400000_NS6detail17trampoline_kernelINS0_14default_configENS1_35radix_sort_onesweep_config_selectorIiiEEZZNS1_29radix_sort_onesweep_iterationIS3_Lb1EN6thrust23THRUST_200600_302600_NS6detail15normal_iteratorINS8_10device_ptrIiEEEESD_SD_SD_jNS0_19identity_decomposerENS1_16block_id_wrapperIjLb1EEEEE10hipError_tT1_PNSt15iterator_traitsISI_E10value_typeET2_T3_PNSJ_ISO_E10value_typeET4_T5_PST_SU_PNS1_23onesweep_lookback_stateEbbT6_jjT7_P12ihipStream_tbENKUlT_T0_SI_SN_E_clIPiSD_S15_SD_EEDaS11_S12_SI_SN_EUlS11_E_NS1_11comp_targetILNS1_3genE9ELNS1_11target_archE1100ELNS1_3gpuE3ELNS1_3repE0EEENS1_47radix_sort_onesweep_sort_config_static_selectorELNS0_4arch9wavefront6targetE0EEEvSI_.uses_flat_scratch, 0
	.set _ZN7rocprim17ROCPRIM_400000_NS6detail17trampoline_kernelINS0_14default_configENS1_35radix_sort_onesweep_config_selectorIiiEEZZNS1_29radix_sort_onesweep_iterationIS3_Lb1EN6thrust23THRUST_200600_302600_NS6detail15normal_iteratorINS8_10device_ptrIiEEEESD_SD_SD_jNS0_19identity_decomposerENS1_16block_id_wrapperIjLb1EEEEE10hipError_tT1_PNSt15iterator_traitsISI_E10value_typeET2_T3_PNSJ_ISO_E10value_typeET4_T5_PST_SU_PNS1_23onesweep_lookback_stateEbbT6_jjT7_P12ihipStream_tbENKUlT_T0_SI_SN_E_clIPiSD_S15_SD_EEDaS11_S12_SI_SN_EUlS11_E_NS1_11comp_targetILNS1_3genE9ELNS1_11target_archE1100ELNS1_3gpuE3ELNS1_3repE0EEENS1_47radix_sort_onesweep_sort_config_static_selectorELNS0_4arch9wavefront6targetE0EEEvSI_.has_dyn_sized_stack, 0
	.set _ZN7rocprim17ROCPRIM_400000_NS6detail17trampoline_kernelINS0_14default_configENS1_35radix_sort_onesweep_config_selectorIiiEEZZNS1_29radix_sort_onesweep_iterationIS3_Lb1EN6thrust23THRUST_200600_302600_NS6detail15normal_iteratorINS8_10device_ptrIiEEEESD_SD_SD_jNS0_19identity_decomposerENS1_16block_id_wrapperIjLb1EEEEE10hipError_tT1_PNSt15iterator_traitsISI_E10value_typeET2_T3_PNSJ_ISO_E10value_typeET4_T5_PST_SU_PNS1_23onesweep_lookback_stateEbbT6_jjT7_P12ihipStream_tbENKUlT_T0_SI_SN_E_clIPiSD_S15_SD_EEDaS11_S12_SI_SN_EUlS11_E_NS1_11comp_targetILNS1_3genE9ELNS1_11target_archE1100ELNS1_3gpuE3ELNS1_3repE0EEENS1_47radix_sort_onesweep_sort_config_static_selectorELNS0_4arch9wavefront6targetE0EEEvSI_.has_recursion, 0
	.set _ZN7rocprim17ROCPRIM_400000_NS6detail17trampoline_kernelINS0_14default_configENS1_35radix_sort_onesweep_config_selectorIiiEEZZNS1_29radix_sort_onesweep_iterationIS3_Lb1EN6thrust23THRUST_200600_302600_NS6detail15normal_iteratorINS8_10device_ptrIiEEEESD_SD_SD_jNS0_19identity_decomposerENS1_16block_id_wrapperIjLb1EEEEE10hipError_tT1_PNSt15iterator_traitsISI_E10value_typeET2_T3_PNSJ_ISO_E10value_typeET4_T5_PST_SU_PNS1_23onesweep_lookback_stateEbbT6_jjT7_P12ihipStream_tbENKUlT_T0_SI_SN_E_clIPiSD_S15_SD_EEDaS11_S12_SI_SN_EUlS11_E_NS1_11comp_targetILNS1_3genE9ELNS1_11target_archE1100ELNS1_3gpuE3ELNS1_3repE0EEENS1_47radix_sort_onesweep_sort_config_static_selectorELNS0_4arch9wavefront6targetE0EEEvSI_.has_indirect_call, 0
	.section	.AMDGPU.csdata,"",@progbits
; Kernel info:
; codeLenInByte = 0
; TotalNumSgprs: 0
; NumVgprs: 0
; ScratchSize: 0
; MemoryBound: 0
; FloatMode: 240
; IeeeMode: 1
; LDSByteSize: 0 bytes/workgroup (compile time only)
; SGPRBlocks: 0
; VGPRBlocks: 0
; NumSGPRsForWavesPerEU: 1
; NumVGPRsForWavesPerEU: 1
; Occupancy: 16
; WaveLimiterHint : 0
; COMPUTE_PGM_RSRC2:SCRATCH_EN: 0
; COMPUTE_PGM_RSRC2:USER_SGPR: 6
; COMPUTE_PGM_RSRC2:TRAP_HANDLER: 0
; COMPUTE_PGM_RSRC2:TGID_X_EN: 1
; COMPUTE_PGM_RSRC2:TGID_Y_EN: 0
; COMPUTE_PGM_RSRC2:TGID_Z_EN: 0
; COMPUTE_PGM_RSRC2:TIDIG_COMP_CNT: 0
	.section	.text._ZN7rocprim17ROCPRIM_400000_NS6detail17trampoline_kernelINS0_14default_configENS1_35radix_sort_onesweep_config_selectorIiiEEZZNS1_29radix_sort_onesweep_iterationIS3_Lb1EN6thrust23THRUST_200600_302600_NS6detail15normal_iteratorINS8_10device_ptrIiEEEESD_SD_SD_jNS0_19identity_decomposerENS1_16block_id_wrapperIjLb1EEEEE10hipError_tT1_PNSt15iterator_traitsISI_E10value_typeET2_T3_PNSJ_ISO_E10value_typeET4_T5_PST_SU_PNS1_23onesweep_lookback_stateEbbT6_jjT7_P12ihipStream_tbENKUlT_T0_SI_SN_E_clIPiSD_S15_SD_EEDaS11_S12_SI_SN_EUlS11_E_NS1_11comp_targetILNS1_3genE8ELNS1_11target_archE1030ELNS1_3gpuE2ELNS1_3repE0EEENS1_47radix_sort_onesweep_sort_config_static_selectorELNS0_4arch9wavefront6targetE0EEEvSI_,"axG",@progbits,_ZN7rocprim17ROCPRIM_400000_NS6detail17trampoline_kernelINS0_14default_configENS1_35radix_sort_onesweep_config_selectorIiiEEZZNS1_29radix_sort_onesweep_iterationIS3_Lb1EN6thrust23THRUST_200600_302600_NS6detail15normal_iteratorINS8_10device_ptrIiEEEESD_SD_SD_jNS0_19identity_decomposerENS1_16block_id_wrapperIjLb1EEEEE10hipError_tT1_PNSt15iterator_traitsISI_E10value_typeET2_T3_PNSJ_ISO_E10value_typeET4_T5_PST_SU_PNS1_23onesweep_lookback_stateEbbT6_jjT7_P12ihipStream_tbENKUlT_T0_SI_SN_E_clIPiSD_S15_SD_EEDaS11_S12_SI_SN_EUlS11_E_NS1_11comp_targetILNS1_3genE8ELNS1_11target_archE1030ELNS1_3gpuE2ELNS1_3repE0EEENS1_47radix_sort_onesweep_sort_config_static_selectorELNS0_4arch9wavefront6targetE0EEEvSI_,comdat
	.protected	_ZN7rocprim17ROCPRIM_400000_NS6detail17trampoline_kernelINS0_14default_configENS1_35radix_sort_onesweep_config_selectorIiiEEZZNS1_29radix_sort_onesweep_iterationIS3_Lb1EN6thrust23THRUST_200600_302600_NS6detail15normal_iteratorINS8_10device_ptrIiEEEESD_SD_SD_jNS0_19identity_decomposerENS1_16block_id_wrapperIjLb1EEEEE10hipError_tT1_PNSt15iterator_traitsISI_E10value_typeET2_T3_PNSJ_ISO_E10value_typeET4_T5_PST_SU_PNS1_23onesweep_lookback_stateEbbT6_jjT7_P12ihipStream_tbENKUlT_T0_SI_SN_E_clIPiSD_S15_SD_EEDaS11_S12_SI_SN_EUlS11_E_NS1_11comp_targetILNS1_3genE8ELNS1_11target_archE1030ELNS1_3gpuE2ELNS1_3repE0EEENS1_47radix_sort_onesweep_sort_config_static_selectorELNS0_4arch9wavefront6targetE0EEEvSI_ ; -- Begin function _ZN7rocprim17ROCPRIM_400000_NS6detail17trampoline_kernelINS0_14default_configENS1_35radix_sort_onesweep_config_selectorIiiEEZZNS1_29radix_sort_onesweep_iterationIS3_Lb1EN6thrust23THRUST_200600_302600_NS6detail15normal_iteratorINS8_10device_ptrIiEEEESD_SD_SD_jNS0_19identity_decomposerENS1_16block_id_wrapperIjLb1EEEEE10hipError_tT1_PNSt15iterator_traitsISI_E10value_typeET2_T3_PNSJ_ISO_E10value_typeET4_T5_PST_SU_PNS1_23onesweep_lookback_stateEbbT6_jjT7_P12ihipStream_tbENKUlT_T0_SI_SN_E_clIPiSD_S15_SD_EEDaS11_S12_SI_SN_EUlS11_E_NS1_11comp_targetILNS1_3genE8ELNS1_11target_archE1030ELNS1_3gpuE2ELNS1_3repE0EEENS1_47radix_sort_onesweep_sort_config_static_selectorELNS0_4arch9wavefront6targetE0EEEvSI_
	.globl	_ZN7rocprim17ROCPRIM_400000_NS6detail17trampoline_kernelINS0_14default_configENS1_35radix_sort_onesweep_config_selectorIiiEEZZNS1_29radix_sort_onesweep_iterationIS3_Lb1EN6thrust23THRUST_200600_302600_NS6detail15normal_iteratorINS8_10device_ptrIiEEEESD_SD_SD_jNS0_19identity_decomposerENS1_16block_id_wrapperIjLb1EEEEE10hipError_tT1_PNSt15iterator_traitsISI_E10value_typeET2_T3_PNSJ_ISO_E10value_typeET4_T5_PST_SU_PNS1_23onesweep_lookback_stateEbbT6_jjT7_P12ihipStream_tbENKUlT_T0_SI_SN_E_clIPiSD_S15_SD_EEDaS11_S12_SI_SN_EUlS11_E_NS1_11comp_targetILNS1_3genE8ELNS1_11target_archE1030ELNS1_3gpuE2ELNS1_3repE0EEENS1_47radix_sort_onesweep_sort_config_static_selectorELNS0_4arch9wavefront6targetE0EEEvSI_
	.p2align	8
	.type	_ZN7rocprim17ROCPRIM_400000_NS6detail17trampoline_kernelINS0_14default_configENS1_35radix_sort_onesweep_config_selectorIiiEEZZNS1_29radix_sort_onesweep_iterationIS3_Lb1EN6thrust23THRUST_200600_302600_NS6detail15normal_iteratorINS8_10device_ptrIiEEEESD_SD_SD_jNS0_19identity_decomposerENS1_16block_id_wrapperIjLb1EEEEE10hipError_tT1_PNSt15iterator_traitsISI_E10value_typeET2_T3_PNSJ_ISO_E10value_typeET4_T5_PST_SU_PNS1_23onesweep_lookback_stateEbbT6_jjT7_P12ihipStream_tbENKUlT_T0_SI_SN_E_clIPiSD_S15_SD_EEDaS11_S12_SI_SN_EUlS11_E_NS1_11comp_targetILNS1_3genE8ELNS1_11target_archE1030ELNS1_3gpuE2ELNS1_3repE0EEENS1_47radix_sort_onesweep_sort_config_static_selectorELNS0_4arch9wavefront6targetE0EEEvSI_,@function
_ZN7rocprim17ROCPRIM_400000_NS6detail17trampoline_kernelINS0_14default_configENS1_35radix_sort_onesweep_config_selectorIiiEEZZNS1_29radix_sort_onesweep_iterationIS3_Lb1EN6thrust23THRUST_200600_302600_NS6detail15normal_iteratorINS8_10device_ptrIiEEEESD_SD_SD_jNS0_19identity_decomposerENS1_16block_id_wrapperIjLb1EEEEE10hipError_tT1_PNSt15iterator_traitsISI_E10value_typeET2_T3_PNSJ_ISO_E10value_typeET4_T5_PST_SU_PNS1_23onesweep_lookback_stateEbbT6_jjT7_P12ihipStream_tbENKUlT_T0_SI_SN_E_clIPiSD_S15_SD_EEDaS11_S12_SI_SN_EUlS11_E_NS1_11comp_targetILNS1_3genE8ELNS1_11target_archE1030ELNS1_3gpuE2ELNS1_3repE0EEENS1_47radix_sort_onesweep_sort_config_static_selectorELNS0_4arch9wavefront6targetE0EEEvSI_: ; @_ZN7rocprim17ROCPRIM_400000_NS6detail17trampoline_kernelINS0_14default_configENS1_35radix_sort_onesweep_config_selectorIiiEEZZNS1_29radix_sort_onesweep_iterationIS3_Lb1EN6thrust23THRUST_200600_302600_NS6detail15normal_iteratorINS8_10device_ptrIiEEEESD_SD_SD_jNS0_19identity_decomposerENS1_16block_id_wrapperIjLb1EEEEE10hipError_tT1_PNSt15iterator_traitsISI_E10value_typeET2_T3_PNSJ_ISO_E10value_typeET4_T5_PST_SU_PNS1_23onesweep_lookback_stateEbbT6_jjT7_P12ihipStream_tbENKUlT_T0_SI_SN_E_clIPiSD_S15_SD_EEDaS11_S12_SI_SN_EUlS11_E_NS1_11comp_targetILNS1_3genE8ELNS1_11target_archE1030ELNS1_3gpuE2ELNS1_3repE0EEENS1_47radix_sort_onesweep_sort_config_static_selectorELNS0_4arch9wavefront6targetE0EEEvSI_
; %bb.0:
	s_clause 0x2
	s_load_dwordx4 s[28:31], s[4:5], 0x28
	s_load_dwordx2 s[26:27], s[4:5], 0x38
	s_load_dwordx4 s[44:47], s[4:5], 0x44
	s_add_u32 s0, s0, s7
	v_cmp_eq_u32_e64 s7, 0, v0
	s_addc_u32 s1, s1, 0
	s_and_saveexec_b32 s8, s7
	s_cbranch_execz .LBB1025_4
; %bb.1:
	s_mov_b32 s10, exec_lo
	s_mov_b32 s9, exec_lo
	v_mbcnt_lo_u32_b32 v3, s10, 0
                                        ; implicit-def: $vgpr4
	v_cmpx_eq_u32_e32 0, v3
	s_cbranch_execz .LBB1025_3
; %bb.2:
	s_load_dwordx2 s[12:13], s[4:5], 0x50
	s_bcnt1_i32_b32 s10, s10
	v_mov_b32_e32 v4, 0
	v_mov_b32_e32 v5, s10
	s_waitcnt lgkmcnt(0)
	global_atomic_add v4, v4, v5, s[12:13] glc
.LBB1025_3:
	s_or_b32 exec_lo, exec_lo, s9
	s_waitcnt vmcnt(0)
	v_readfirstlane_b32 s9, v4
	v_mov_b32_e32 v4, 0
	v_add_nc_u32_e32 v3, s9, v3
	ds_write_b32 v4, v3 offset:36992
.LBB1025_4:
	s_or_b32 exec_lo, exec_lo, s8
	v_mov_b32_e32 v3, 0
	s_clause 0x1
	s_load_dwordx8 s[36:43], s[4:5], 0x0
	s_load_dword s8, s[4:5], 0x20
	s_waitcnt lgkmcnt(0)
	s_barrier
	buffer_gl0_inv
	ds_read_b32 v3, v3 offset:36992
	v_mbcnt_lo_u32_b32 v11, -1, 0
	v_and_b32_e32 v12, 0x3e0, v0
	s_mov_b32 s9, -1
	s_waitcnt lgkmcnt(0)
	s_barrier
	buffer_gl0_inv
	v_readfirstlane_b32 s33, v3
	v_cmp_le_u32_e32 vcc_lo, s46, v3
	s_mul_i32 s34, s33, 0x3000
	s_cbranch_vccz .LBB1025_136
; %bb.5:
	s_mov_b32 s35, 0
	s_mul_i32 s48, s46, 0xffffd000
	v_mul_u32_u24_e32 v3, 12, v12
	v_lshlrev_b32_e32 v13, 2, v11
	s_lshl_b64 s[46:47], s[34:35], 2
	s_add_i32 s48, s48, s8
	s_add_u32 s8, s36, s46
	s_addc_u32 s9, s37, s47
	v_lshlrev_b32_e32 v14, 2, v3
	v_add_co_u32 v4, s8, s8, v13
	v_add_co_ci_u32_e64 v6, null, s9, 0, s8
	v_or_b32_e32 v5, v11, v3
	v_add_co_u32 v3, vcc_lo, v4, v14
	v_mov_b32_e32 v15, -1
	v_add_co_ci_u32_e64 v4, null, 0, v6, vcc_lo
	v_cmp_gt_u32_e64 s8, s48, v5
	v_mov_b32_e32 v16, -1
	s_and_saveexec_b32 s9, s8
	s_cbranch_execz .LBB1025_7
; %bb.6:
	global_load_dword v6, v[3:4], off
	s_waitcnt vmcnt(0)
	v_xor_b32_e32 v16, 0x7fffffff, v6
.LBB1025_7:
	s_or_b32 exec_lo, exec_lo, s9
	v_or_b32_e32 v6, 32, v5
	v_cmp_gt_u32_e64 s9, s48, v6
	s_and_saveexec_b32 s10, s9
	s_cbranch_execz .LBB1025_9
; %bb.8:
	global_load_dword v6, v[3:4], off offset:128
	s_waitcnt vmcnt(0)
	v_xor_b32_e32 v15, 0x7fffffff, v6
.LBB1025_9:
	s_or_b32 exec_lo, exec_lo, s10
	v_or_b32_e32 v6, 64, v5
	v_mov_b32_e32 v17, -1
	v_mov_b32_e32 v18, -1
	v_cmp_gt_u32_e64 s10, s48, v6
	s_and_saveexec_b32 s11, s10
	s_cbranch_execz .LBB1025_11
; %bb.10:
	global_load_dword v6, v[3:4], off offset:256
	s_waitcnt vmcnt(0)
	v_xor_b32_e32 v18, 0x7fffffff, v6
.LBB1025_11:
	s_or_b32 exec_lo, exec_lo, s11
	v_or_b32_e32 v6, 0x60, v5
	v_cmp_gt_u32_e64 s11, s48, v6
	s_and_saveexec_b32 s12, s11
	s_cbranch_execz .LBB1025_13
; %bb.12:
	global_load_dword v6, v[3:4], off offset:384
	s_waitcnt vmcnt(0)
	v_xor_b32_e32 v17, 0x7fffffff, v6
.LBB1025_13:
	s_or_b32 exec_lo, exec_lo, s12
	v_add_nc_u32_e32 v6, 0x80, v5
	v_mov_b32_e32 v19, -1
	v_mov_b32_e32 v20, -1
	v_cmp_gt_u32_e64 s12, s48, v6
	s_and_saveexec_b32 s13, s12
	s_cbranch_execz .LBB1025_15
; %bb.14:
	global_load_dword v6, v[3:4], off offset:512
	s_waitcnt vmcnt(0)
	v_xor_b32_e32 v20, 0x7fffffff, v6
.LBB1025_15:
	s_or_b32 exec_lo, exec_lo, s13
	v_add_nc_u32_e32 v6, 0xa0, v5
	v_cmp_gt_u32_e64 s13, s48, v6
	s_and_saveexec_b32 s14, s13
	s_cbranch_execz .LBB1025_17
; %bb.16:
	global_load_dword v6, v[3:4], off offset:640
	s_waitcnt vmcnt(0)
	v_xor_b32_e32 v19, 0x7fffffff, v6
.LBB1025_17:
	s_or_b32 exec_lo, exec_lo, s14
	v_add_nc_u32_e32 v6, 0xc0, v5
	v_mov_b32_e32 v21, -1
	v_mov_b32_e32 v22, -1
	v_cmp_gt_u32_e64 s14, s48, v6
	s_and_saveexec_b32 s15, s14
	s_cbranch_execz .LBB1025_19
; %bb.18:
	global_load_dword v6, v[3:4], off offset:768
	s_waitcnt vmcnt(0)
	v_xor_b32_e32 v22, 0x7fffffff, v6
.LBB1025_19:
	s_or_b32 exec_lo, exec_lo, s15
	v_add_nc_u32_e32 v6, 0xe0, v5
	;; [unrolled: 22-line block ×4, first 2 shown]
	v_cmp_gt_u32_e64 s19, s48, v5
	s_and_saveexec_b32 s20, s19
	s_cbranch_execz .LBB1025_29
; %bb.28:
	global_load_dword v3, v[3:4], off offset:1408
	s_waitcnt vmcnt(0)
	v_xor_b32_e32 v25, 0x7fffffff, v3
.LBB1025_29:
	s_or_b32 exec_lo, exec_lo, s20
	s_clause 0x1
	s_load_dword s20, s[4:5], 0x64
	s_load_dword s35, s[4:5], 0x58
	s_add_u32 s21, s4, 0x58
	s_addc_u32 s22, s5, 0
	v_mov_b32_e32 v5, 0
	v_lshrrev_b32_e32 v4, s44, v16
	s_waitcnt lgkmcnt(0)
	s_lshr_b32 s23, s20, 16
	s_cmp_lt_u32 s6, s35
	s_cselect_b32 s20, 12, 18
	s_add_u32 s20, s21, s20
	s_addc_u32 s21, s22, 0
	global_load_ushort v3, v5, s[20:21]
	s_lshl_b32 s20, -1, s45
	s_not_b32 s49, s20
	v_and_b32_e32 v6, s49, v4
	v_and_b32_e32 v4, 1, v6
	v_lshlrev_b32_e32 v7, 30, v6
	v_lshlrev_b32_e32 v8, 29, v6
	;; [unrolled: 1-line block ×4, first 2 shown]
	v_add_co_u32 v4, s20, v4, -1
	v_cndmask_b32_e64 v10, 0, 1, s20
	v_not_b32_e32 v30, v7
	v_cmp_gt_i32_e64 s20, 0, v7
	v_not_b32_e32 v7, v8
	v_lshlrev_b32_e32 v28, 26, v6
	v_cmp_ne_u32_e32 vcc_lo, 0, v10
	v_ashrrev_i32_e32 v30, 31, v30
	v_lshlrev_b32_e32 v29, 25, v6
	v_ashrrev_i32_e32 v7, 31, v7
	v_lshlrev_b32_e32 v10, 24, v6
	v_xor_b32_e32 v4, vcc_lo, v4
	v_cmp_gt_i32_e32 vcc_lo, 0, v8
	v_not_b32_e32 v8, v9
	v_xor_b32_e32 v30, s20, v30
	v_cmp_gt_i32_e64 s20, 0, v9
	v_and_b32_e32 v4, exec_lo, v4
	v_not_b32_e32 v9, v27
	v_ashrrev_i32_e32 v8, 31, v8
	v_xor_b32_e32 v7, vcc_lo, v7
	v_cmp_gt_i32_e32 vcc_lo, 0, v27
	v_and_b32_e32 v4, v4, v30
	v_not_b32_e32 v27, v28
	v_ashrrev_i32_e32 v9, 31, v9
	v_xor_b32_e32 v8, s20, v8
	v_cmp_gt_i32_e64 s20, 0, v28
	v_and_b32_e32 v4, v4, v7
	v_not_b32_e32 v7, v29
	v_ashrrev_i32_e32 v27, 31, v27
	v_xor_b32_e32 v9, vcc_lo, v9
	v_cmp_gt_i32_e32 vcc_lo, 0, v29
	v_and_b32_e32 v4, v4, v8
	v_not_b32_e32 v8, v10
	v_ashrrev_i32_e32 v7, 31, v7
	v_xor_b32_e32 v27, s20, v27
	v_cmp_gt_i32_e64 s20, 0, v10
	v_and_b32_e32 v4, v4, v9
	v_ashrrev_i32_e32 v8, 31, v8
	v_xor_b32_e32 v7, vcc_lo, v7
	v_mad_u32_u24 v9, v2, s23, v1
	v_mul_lo_u32 v6, 0x84, v6
	v_and_b32_e32 v4, v4, v27
	v_xor_b32_e32 v8, s20, v8
	v_mul_u32_u24_e32 v30, 36, v0
	ds_write2_b32 v30, v5, v5 offset0:32 offset1:33
	ds_write2_b32 v30, v5, v5 offset0:34 offset1:35
	;; [unrolled: 1-line block ×3, first 2 shown]
	v_and_b32_e32 v7, v4, v7
	ds_write2_b32 v30, v5, v5 offset0:38 offset1:39
	ds_write_b32 v30, v5 offset:160
	s_waitcnt vmcnt(0) lgkmcnt(0)
	s_barrier
	buffer_gl0_inv
	; wave barrier
	v_mad_u64_u32 v[3:4], null, v9, v3, v[0:1]
	v_and_b32_e32 v4, v7, v8
	v_mbcnt_lo_u32_b32 v27, v4, 0
	v_lshrrev_b32_e32 v3, 5, v3
	v_cmp_ne_u32_e64 s20, 0, v4
	v_cmp_eq_u32_e32 vcc_lo, 0, v27
	v_lshl_add_u32 v31, v3, 2, v6
	s_and_b32 s21, s20, vcc_lo
	s_and_saveexec_b32 s20, s21
; %bb.30:
	v_bcnt_u32_b32 v4, v4, 0
	ds_write_b32 v31, v4 offset:128
; %bb.31:
	s_or_b32 exec_lo, exec_lo, s20
	v_lshrrev_b32_e32 v4, s44, v15
	; wave barrier
	v_and_b32_e32 v4, s49, v4
	v_and_b32_e32 v6, 1, v4
	v_lshlrev_b32_e32 v7, 30, v4
	v_lshlrev_b32_e32 v8, 29, v4
	;; [unrolled: 1-line block ×4, first 2 shown]
	v_add_co_u32 v6, s20, v6, -1
	v_cndmask_b32_e64 v10, 0, 1, s20
	v_not_b32_e32 v33, v7
	v_cmp_gt_i32_e64 s20, 0, v7
	v_not_b32_e32 v7, v8
	v_lshlrev_b32_e32 v29, 26, v4
	v_cmp_ne_u32_e32 vcc_lo, 0, v10
	v_ashrrev_i32_e32 v10, 31, v33
	v_lshlrev_b32_e32 v32, 25, v4
	v_ashrrev_i32_e32 v7, 31, v7
	v_mul_lo_u32 v5, 0x84, v4
	v_xor_b32_e32 v6, vcc_lo, v6
	v_cmp_gt_i32_e32 vcc_lo, 0, v8
	v_not_b32_e32 v8, v9
	v_xor_b32_e32 v10, s20, v10
	v_cmp_gt_i32_e64 s20, 0, v9
	v_and_b32_e32 v6, exec_lo, v6
	v_not_b32_e32 v9, v28
	v_ashrrev_i32_e32 v8, 31, v8
	v_xor_b32_e32 v7, vcc_lo, v7
	v_cmp_gt_i32_e32 vcc_lo, 0, v28
	v_and_b32_e32 v6, v6, v10
	v_not_b32_e32 v10, v29
	v_ashrrev_i32_e32 v9, 31, v9
	v_xor_b32_e32 v8, s20, v8
	v_lshlrev_b32_e32 v4, 24, v4
	v_and_b32_e32 v6, v6, v7
	v_cmp_gt_i32_e64 s20, 0, v29
	v_not_b32_e32 v7, v32
	v_ashrrev_i32_e32 v10, 31, v10
	v_xor_b32_e32 v9, vcc_lo, v9
	v_and_b32_e32 v6, v6, v8
	v_cmp_gt_i32_e32 vcc_lo, 0, v32
	v_not_b32_e32 v8, v4
	v_ashrrev_i32_e32 v7, 31, v7
	v_xor_b32_e32 v10, s20, v10
	v_and_b32_e32 v6, v6, v9
	v_cmp_gt_i32_e64 s20, 0, v4
	v_ashrrev_i32_e32 v4, 31, v8
	v_xor_b32_e32 v7, vcc_lo, v7
	v_lshl_add_u32 v34, v3, 2, v5
	v_and_b32_e32 v6, v6, v10
	v_xor_b32_e32 v4, s20, v4
	ds_read_b32 v28, v34 offset:128
	v_and_b32_e32 v5, v6, v7
	; wave barrier
	v_and_b32_e32 v4, v5, v4
	v_mbcnt_lo_u32_b32 v29, v4, 0
	v_cmp_ne_u32_e64 s20, 0, v4
	v_cmp_eq_u32_e32 vcc_lo, 0, v29
	s_and_b32 s21, s20, vcc_lo
	s_and_saveexec_b32 s20, s21
	s_cbranch_execz .LBB1025_33
; %bb.32:
	s_waitcnt lgkmcnt(0)
	v_bcnt_u32_b32 v4, v4, v28
	ds_write_b32 v34, v4 offset:128
.LBB1025_33:
	s_or_b32 exec_lo, exec_lo, s20
	v_lshrrev_b32_e32 v4, s44, v18
	; wave barrier
	v_and_b32_e32 v4, s49, v4
	v_and_b32_e32 v6, 1, v4
	v_lshlrev_b32_e32 v7, 30, v4
	v_lshlrev_b32_e32 v8, 29, v4
	v_lshlrev_b32_e32 v9, 28, v4
	v_lshlrev_b32_e32 v32, 27, v4
	v_add_co_u32 v6, s20, v6, -1
	v_cndmask_b32_e64 v10, 0, 1, s20
	v_not_b32_e32 v36, v7
	v_cmp_gt_i32_e64 s20, 0, v7
	v_not_b32_e32 v7, v8
	v_lshlrev_b32_e32 v33, 26, v4
	v_cmp_ne_u32_e32 vcc_lo, 0, v10
	v_ashrrev_i32_e32 v10, 31, v36
	v_lshlrev_b32_e32 v35, 25, v4
	v_ashrrev_i32_e32 v7, 31, v7
	v_mul_lo_u32 v5, 0x84, v4
	v_xor_b32_e32 v6, vcc_lo, v6
	v_cmp_gt_i32_e32 vcc_lo, 0, v8
	v_not_b32_e32 v8, v9
	v_xor_b32_e32 v10, s20, v10
	v_cmp_gt_i32_e64 s20, 0, v9
	v_and_b32_e32 v6, exec_lo, v6
	v_not_b32_e32 v9, v32
	v_ashrrev_i32_e32 v8, 31, v8
	v_xor_b32_e32 v7, vcc_lo, v7
	v_cmp_gt_i32_e32 vcc_lo, 0, v32
	v_and_b32_e32 v6, v6, v10
	v_not_b32_e32 v10, v33
	v_ashrrev_i32_e32 v9, 31, v9
	v_xor_b32_e32 v8, s20, v8
	v_lshlrev_b32_e32 v4, 24, v4
	v_and_b32_e32 v6, v6, v7
	v_cmp_gt_i32_e64 s20, 0, v33
	v_not_b32_e32 v7, v35
	v_ashrrev_i32_e32 v10, 31, v10
	v_xor_b32_e32 v9, vcc_lo, v9
	v_and_b32_e32 v6, v6, v8
	v_cmp_gt_i32_e32 vcc_lo, 0, v35
	v_not_b32_e32 v8, v4
	v_ashrrev_i32_e32 v7, 31, v7
	v_xor_b32_e32 v10, s20, v10
	v_and_b32_e32 v6, v6, v9
	v_cmp_gt_i32_e64 s20, 0, v4
	v_ashrrev_i32_e32 v4, 31, v8
	v_xor_b32_e32 v7, vcc_lo, v7
	v_lshl_add_u32 v37, v3, 2, v5
	v_and_b32_e32 v6, v6, v10
	v_xor_b32_e32 v4, s20, v4
	ds_read_b32 v32, v37 offset:128
	v_and_b32_e32 v5, v6, v7
	; wave barrier
	v_and_b32_e32 v4, v5, v4
	v_mbcnt_lo_u32_b32 v33, v4, 0
	v_cmp_ne_u32_e64 s20, 0, v4
	v_cmp_eq_u32_e32 vcc_lo, 0, v33
	s_and_b32 s21, s20, vcc_lo
	s_and_saveexec_b32 s20, s21
	s_cbranch_execz .LBB1025_35
; %bb.34:
	s_waitcnt lgkmcnt(0)
	v_bcnt_u32_b32 v4, v4, v32
	ds_write_b32 v37, v4 offset:128
.LBB1025_35:
	s_or_b32 exec_lo, exec_lo, s20
	v_lshrrev_b32_e32 v4, s44, v17
	; wave barrier
	v_and_b32_e32 v4, s49, v4
	v_and_b32_e32 v6, 1, v4
	v_lshlrev_b32_e32 v7, 30, v4
	v_lshlrev_b32_e32 v8, 29, v4
	;; [unrolled: 1-line block ×4, first 2 shown]
	v_add_co_u32 v6, s20, v6, -1
	v_cndmask_b32_e64 v10, 0, 1, s20
	v_not_b32_e32 v39, v7
	v_cmp_gt_i32_e64 s20, 0, v7
	v_not_b32_e32 v7, v8
	v_lshlrev_b32_e32 v36, 26, v4
	v_cmp_ne_u32_e32 vcc_lo, 0, v10
	v_ashrrev_i32_e32 v10, 31, v39
	v_lshlrev_b32_e32 v38, 25, v4
	v_ashrrev_i32_e32 v7, 31, v7
	v_mul_lo_u32 v5, 0x84, v4
	v_xor_b32_e32 v6, vcc_lo, v6
	v_cmp_gt_i32_e32 vcc_lo, 0, v8
	v_not_b32_e32 v8, v9
	v_xor_b32_e32 v10, s20, v10
	v_cmp_gt_i32_e64 s20, 0, v9
	v_and_b32_e32 v6, exec_lo, v6
	v_not_b32_e32 v9, v35
	v_ashrrev_i32_e32 v8, 31, v8
	v_xor_b32_e32 v7, vcc_lo, v7
	v_cmp_gt_i32_e32 vcc_lo, 0, v35
	v_and_b32_e32 v6, v6, v10
	v_not_b32_e32 v10, v36
	v_ashrrev_i32_e32 v9, 31, v9
	v_xor_b32_e32 v8, s20, v8
	v_lshlrev_b32_e32 v4, 24, v4
	v_and_b32_e32 v6, v6, v7
	v_cmp_gt_i32_e64 s20, 0, v36
	v_not_b32_e32 v7, v38
	v_ashrrev_i32_e32 v10, 31, v10
	v_xor_b32_e32 v9, vcc_lo, v9
	v_and_b32_e32 v6, v6, v8
	v_cmp_gt_i32_e32 vcc_lo, 0, v38
	v_not_b32_e32 v8, v4
	v_ashrrev_i32_e32 v7, 31, v7
	v_xor_b32_e32 v10, s20, v10
	v_and_b32_e32 v6, v6, v9
	v_cmp_gt_i32_e64 s20, 0, v4
	v_ashrrev_i32_e32 v4, 31, v8
	v_xor_b32_e32 v7, vcc_lo, v7
	v_lshl_add_u32 v40, v3, 2, v5
	v_and_b32_e32 v6, v6, v10
	v_xor_b32_e32 v4, s20, v4
	ds_read_b32 v35, v40 offset:128
	v_and_b32_e32 v5, v6, v7
	; wave barrier
	v_and_b32_e32 v4, v5, v4
	v_mbcnt_lo_u32_b32 v36, v4, 0
	v_cmp_ne_u32_e64 s20, 0, v4
	v_cmp_eq_u32_e32 vcc_lo, 0, v36
	s_and_b32 s21, s20, vcc_lo
	s_and_saveexec_b32 s20, s21
	s_cbranch_execz .LBB1025_37
; %bb.36:
	s_waitcnt lgkmcnt(0)
	v_bcnt_u32_b32 v4, v4, v35
	ds_write_b32 v40, v4 offset:128
.LBB1025_37:
	s_or_b32 exec_lo, exec_lo, s20
	v_lshrrev_b32_e32 v4, s44, v20
	; wave barrier
	v_and_b32_e32 v4, s49, v4
	v_and_b32_e32 v6, 1, v4
	v_lshlrev_b32_e32 v7, 30, v4
	v_lshlrev_b32_e32 v8, 29, v4
	;; [unrolled: 1-line block ×4, first 2 shown]
	v_add_co_u32 v6, s20, v6, -1
	v_cndmask_b32_e64 v10, 0, 1, s20
	v_not_b32_e32 v42, v7
	v_cmp_gt_i32_e64 s20, 0, v7
	v_not_b32_e32 v7, v8
	v_lshlrev_b32_e32 v39, 26, v4
	v_cmp_ne_u32_e32 vcc_lo, 0, v10
	v_ashrrev_i32_e32 v10, 31, v42
	v_lshlrev_b32_e32 v41, 25, v4
	v_ashrrev_i32_e32 v7, 31, v7
	v_mul_lo_u32 v5, 0x84, v4
	v_xor_b32_e32 v6, vcc_lo, v6
	v_cmp_gt_i32_e32 vcc_lo, 0, v8
	v_not_b32_e32 v8, v9
	v_xor_b32_e32 v10, s20, v10
	v_cmp_gt_i32_e64 s20, 0, v9
	v_and_b32_e32 v6, exec_lo, v6
	v_not_b32_e32 v9, v38
	v_ashrrev_i32_e32 v8, 31, v8
	v_xor_b32_e32 v7, vcc_lo, v7
	v_cmp_gt_i32_e32 vcc_lo, 0, v38
	v_and_b32_e32 v6, v6, v10
	v_not_b32_e32 v10, v39
	v_ashrrev_i32_e32 v9, 31, v9
	v_xor_b32_e32 v8, s20, v8
	v_lshlrev_b32_e32 v4, 24, v4
	v_and_b32_e32 v6, v6, v7
	v_cmp_gt_i32_e64 s20, 0, v39
	v_not_b32_e32 v7, v41
	v_ashrrev_i32_e32 v10, 31, v10
	v_xor_b32_e32 v9, vcc_lo, v9
	v_and_b32_e32 v6, v6, v8
	v_cmp_gt_i32_e32 vcc_lo, 0, v41
	v_not_b32_e32 v8, v4
	v_ashrrev_i32_e32 v7, 31, v7
	v_xor_b32_e32 v10, s20, v10
	v_and_b32_e32 v6, v6, v9
	v_cmp_gt_i32_e64 s20, 0, v4
	v_ashrrev_i32_e32 v4, 31, v8
	v_xor_b32_e32 v7, vcc_lo, v7
	v_lshl_add_u32 v43, v3, 2, v5
	v_and_b32_e32 v6, v6, v10
	v_xor_b32_e32 v4, s20, v4
	ds_read_b32 v38, v43 offset:128
	v_and_b32_e32 v5, v6, v7
	; wave barrier
	v_and_b32_e32 v4, v5, v4
	v_mbcnt_lo_u32_b32 v39, v4, 0
	v_cmp_ne_u32_e64 s20, 0, v4
	v_cmp_eq_u32_e32 vcc_lo, 0, v39
	s_and_b32 s21, s20, vcc_lo
	s_and_saveexec_b32 s20, s21
	s_cbranch_execz .LBB1025_39
; %bb.38:
	s_waitcnt lgkmcnt(0)
	v_bcnt_u32_b32 v4, v4, v38
	ds_write_b32 v43, v4 offset:128
.LBB1025_39:
	s_or_b32 exec_lo, exec_lo, s20
	v_lshrrev_b32_e32 v4, s44, v19
	; wave barrier
	v_and_b32_e32 v4, s49, v4
	v_and_b32_e32 v6, 1, v4
	v_lshlrev_b32_e32 v7, 30, v4
	v_lshlrev_b32_e32 v8, 29, v4
	;; [unrolled: 1-line block ×4, first 2 shown]
	v_add_co_u32 v6, s20, v6, -1
	v_cndmask_b32_e64 v10, 0, 1, s20
	v_not_b32_e32 v45, v7
	v_cmp_gt_i32_e64 s20, 0, v7
	v_not_b32_e32 v7, v8
	v_lshlrev_b32_e32 v42, 26, v4
	v_cmp_ne_u32_e32 vcc_lo, 0, v10
	v_ashrrev_i32_e32 v10, 31, v45
	v_lshlrev_b32_e32 v44, 25, v4
	v_ashrrev_i32_e32 v7, 31, v7
	v_mul_lo_u32 v5, 0x84, v4
	v_xor_b32_e32 v6, vcc_lo, v6
	v_cmp_gt_i32_e32 vcc_lo, 0, v8
	v_not_b32_e32 v8, v9
	v_xor_b32_e32 v10, s20, v10
	v_cmp_gt_i32_e64 s20, 0, v9
	v_and_b32_e32 v6, exec_lo, v6
	v_not_b32_e32 v9, v41
	v_ashrrev_i32_e32 v8, 31, v8
	v_xor_b32_e32 v7, vcc_lo, v7
	v_cmp_gt_i32_e32 vcc_lo, 0, v41
	v_and_b32_e32 v6, v6, v10
	v_not_b32_e32 v10, v42
	v_ashrrev_i32_e32 v9, 31, v9
	v_xor_b32_e32 v8, s20, v8
	v_lshlrev_b32_e32 v4, 24, v4
	v_and_b32_e32 v6, v6, v7
	v_cmp_gt_i32_e64 s20, 0, v42
	v_not_b32_e32 v7, v44
	v_ashrrev_i32_e32 v10, 31, v10
	v_xor_b32_e32 v9, vcc_lo, v9
	v_and_b32_e32 v6, v6, v8
	v_cmp_gt_i32_e32 vcc_lo, 0, v44
	v_not_b32_e32 v8, v4
	v_ashrrev_i32_e32 v7, 31, v7
	v_xor_b32_e32 v10, s20, v10
	v_and_b32_e32 v6, v6, v9
	v_cmp_gt_i32_e64 s20, 0, v4
	v_ashrrev_i32_e32 v4, 31, v8
	v_xor_b32_e32 v7, vcc_lo, v7
	v_lshl_add_u32 v46, v3, 2, v5
	v_and_b32_e32 v6, v6, v10
	v_xor_b32_e32 v4, s20, v4
	ds_read_b32 v41, v46 offset:128
	v_and_b32_e32 v5, v6, v7
	; wave barrier
	v_and_b32_e32 v4, v5, v4
	v_mbcnt_lo_u32_b32 v42, v4, 0
	v_cmp_ne_u32_e64 s20, 0, v4
	v_cmp_eq_u32_e32 vcc_lo, 0, v42
	s_and_b32 s21, s20, vcc_lo
	s_and_saveexec_b32 s20, s21
	s_cbranch_execz .LBB1025_41
; %bb.40:
	s_waitcnt lgkmcnt(0)
	v_bcnt_u32_b32 v4, v4, v41
	ds_write_b32 v46, v4 offset:128
.LBB1025_41:
	s_or_b32 exec_lo, exec_lo, s20
	v_lshrrev_b32_e32 v4, s44, v22
	; wave barrier
	v_and_b32_e32 v4, s49, v4
	v_and_b32_e32 v6, 1, v4
	v_lshlrev_b32_e32 v7, 30, v4
	v_lshlrev_b32_e32 v8, 29, v4
	;; [unrolled: 1-line block ×4, first 2 shown]
	v_add_co_u32 v6, s20, v6, -1
	v_cndmask_b32_e64 v10, 0, 1, s20
	v_not_b32_e32 v48, v7
	v_cmp_gt_i32_e64 s20, 0, v7
	v_not_b32_e32 v7, v8
	v_lshlrev_b32_e32 v45, 26, v4
	v_cmp_ne_u32_e32 vcc_lo, 0, v10
	v_ashrrev_i32_e32 v10, 31, v48
	v_lshlrev_b32_e32 v47, 25, v4
	v_ashrrev_i32_e32 v7, 31, v7
	v_mul_lo_u32 v5, 0x84, v4
	v_xor_b32_e32 v6, vcc_lo, v6
	v_cmp_gt_i32_e32 vcc_lo, 0, v8
	v_not_b32_e32 v8, v9
	v_xor_b32_e32 v10, s20, v10
	v_cmp_gt_i32_e64 s20, 0, v9
	v_and_b32_e32 v6, exec_lo, v6
	v_not_b32_e32 v9, v44
	v_ashrrev_i32_e32 v8, 31, v8
	v_xor_b32_e32 v7, vcc_lo, v7
	v_cmp_gt_i32_e32 vcc_lo, 0, v44
	v_and_b32_e32 v6, v6, v10
	v_not_b32_e32 v10, v45
	v_ashrrev_i32_e32 v9, 31, v9
	v_xor_b32_e32 v8, s20, v8
	v_lshlrev_b32_e32 v4, 24, v4
	v_and_b32_e32 v6, v6, v7
	v_cmp_gt_i32_e64 s20, 0, v45
	v_not_b32_e32 v7, v47
	v_ashrrev_i32_e32 v10, 31, v10
	v_xor_b32_e32 v9, vcc_lo, v9
	v_and_b32_e32 v6, v6, v8
	v_cmp_gt_i32_e32 vcc_lo, 0, v47
	v_not_b32_e32 v8, v4
	v_ashrrev_i32_e32 v7, 31, v7
	v_xor_b32_e32 v10, s20, v10
	v_and_b32_e32 v6, v6, v9
	v_cmp_gt_i32_e64 s20, 0, v4
	v_ashrrev_i32_e32 v4, 31, v8
	v_xor_b32_e32 v7, vcc_lo, v7
	v_lshl_add_u32 v49, v3, 2, v5
	v_and_b32_e32 v6, v6, v10
	v_xor_b32_e32 v4, s20, v4
	ds_read_b32 v44, v49 offset:128
	v_and_b32_e32 v5, v6, v7
	; wave barrier
	v_and_b32_e32 v4, v5, v4
	v_mbcnt_lo_u32_b32 v45, v4, 0
	v_cmp_ne_u32_e64 s20, 0, v4
	v_cmp_eq_u32_e32 vcc_lo, 0, v45
	s_and_b32 s21, s20, vcc_lo
	s_and_saveexec_b32 s20, s21
	s_cbranch_execz .LBB1025_43
; %bb.42:
	s_waitcnt lgkmcnt(0)
	v_bcnt_u32_b32 v4, v4, v44
	ds_write_b32 v49, v4 offset:128
.LBB1025_43:
	s_or_b32 exec_lo, exec_lo, s20
	v_lshrrev_b32_e32 v4, s44, v21
	; wave barrier
	v_and_b32_e32 v4, s49, v4
	v_and_b32_e32 v6, 1, v4
	v_lshlrev_b32_e32 v7, 30, v4
	v_lshlrev_b32_e32 v8, 29, v4
	;; [unrolled: 1-line block ×4, first 2 shown]
	v_add_co_u32 v6, s20, v6, -1
	v_cndmask_b32_e64 v10, 0, 1, s20
	v_not_b32_e32 v51, v7
	v_cmp_gt_i32_e64 s20, 0, v7
	v_not_b32_e32 v7, v8
	v_lshlrev_b32_e32 v48, 26, v4
	v_cmp_ne_u32_e32 vcc_lo, 0, v10
	v_ashrrev_i32_e32 v10, 31, v51
	v_lshlrev_b32_e32 v50, 25, v4
	v_ashrrev_i32_e32 v7, 31, v7
	v_mul_lo_u32 v5, 0x84, v4
	v_xor_b32_e32 v6, vcc_lo, v6
	v_cmp_gt_i32_e32 vcc_lo, 0, v8
	v_not_b32_e32 v8, v9
	v_xor_b32_e32 v10, s20, v10
	v_cmp_gt_i32_e64 s20, 0, v9
	v_and_b32_e32 v6, exec_lo, v6
	v_not_b32_e32 v9, v47
	v_ashrrev_i32_e32 v8, 31, v8
	v_xor_b32_e32 v7, vcc_lo, v7
	v_cmp_gt_i32_e32 vcc_lo, 0, v47
	v_and_b32_e32 v6, v6, v10
	v_not_b32_e32 v10, v48
	v_ashrrev_i32_e32 v9, 31, v9
	v_xor_b32_e32 v8, s20, v8
	v_lshlrev_b32_e32 v4, 24, v4
	v_and_b32_e32 v6, v6, v7
	v_cmp_gt_i32_e64 s20, 0, v48
	v_not_b32_e32 v7, v50
	v_ashrrev_i32_e32 v10, 31, v10
	v_xor_b32_e32 v9, vcc_lo, v9
	v_and_b32_e32 v6, v6, v8
	v_cmp_gt_i32_e32 vcc_lo, 0, v50
	v_not_b32_e32 v8, v4
	v_ashrrev_i32_e32 v7, 31, v7
	v_xor_b32_e32 v10, s20, v10
	v_and_b32_e32 v6, v6, v9
	v_cmp_gt_i32_e64 s20, 0, v4
	v_ashrrev_i32_e32 v4, 31, v8
	v_xor_b32_e32 v7, vcc_lo, v7
	v_lshl_add_u32 v52, v3, 2, v5
	v_and_b32_e32 v6, v6, v10
	v_xor_b32_e32 v4, s20, v4
	ds_read_b32 v47, v52 offset:128
	v_and_b32_e32 v5, v6, v7
	; wave barrier
	v_and_b32_e32 v4, v5, v4
	v_mbcnt_lo_u32_b32 v48, v4, 0
	v_cmp_ne_u32_e64 s20, 0, v4
	v_cmp_eq_u32_e32 vcc_lo, 0, v48
	s_and_b32 s21, s20, vcc_lo
	s_and_saveexec_b32 s20, s21
	s_cbranch_execz .LBB1025_45
; %bb.44:
	s_waitcnt lgkmcnt(0)
	v_bcnt_u32_b32 v4, v4, v47
	ds_write_b32 v52, v4 offset:128
.LBB1025_45:
	s_or_b32 exec_lo, exec_lo, s20
	v_lshrrev_b32_e32 v4, s44, v24
	; wave barrier
	v_and_b32_e32 v4, s49, v4
	v_and_b32_e32 v6, 1, v4
	v_lshlrev_b32_e32 v7, 30, v4
	v_lshlrev_b32_e32 v8, 29, v4
	;; [unrolled: 1-line block ×4, first 2 shown]
	v_add_co_u32 v6, s20, v6, -1
	v_cndmask_b32_e64 v10, 0, 1, s20
	v_not_b32_e32 v54, v7
	v_cmp_gt_i32_e64 s20, 0, v7
	v_not_b32_e32 v7, v8
	v_lshlrev_b32_e32 v51, 26, v4
	v_cmp_ne_u32_e32 vcc_lo, 0, v10
	v_ashrrev_i32_e32 v10, 31, v54
	v_lshlrev_b32_e32 v53, 25, v4
	v_ashrrev_i32_e32 v7, 31, v7
	v_mul_lo_u32 v5, 0x84, v4
	v_xor_b32_e32 v6, vcc_lo, v6
	v_cmp_gt_i32_e32 vcc_lo, 0, v8
	v_not_b32_e32 v8, v9
	v_xor_b32_e32 v10, s20, v10
	v_cmp_gt_i32_e64 s20, 0, v9
	v_and_b32_e32 v6, exec_lo, v6
	v_not_b32_e32 v9, v50
	v_ashrrev_i32_e32 v8, 31, v8
	v_xor_b32_e32 v7, vcc_lo, v7
	v_cmp_gt_i32_e32 vcc_lo, 0, v50
	v_and_b32_e32 v6, v6, v10
	v_not_b32_e32 v10, v51
	v_ashrrev_i32_e32 v9, 31, v9
	v_xor_b32_e32 v8, s20, v8
	v_lshlrev_b32_e32 v4, 24, v4
	v_and_b32_e32 v6, v6, v7
	v_cmp_gt_i32_e64 s20, 0, v51
	v_not_b32_e32 v7, v53
	v_ashrrev_i32_e32 v10, 31, v10
	v_xor_b32_e32 v9, vcc_lo, v9
	v_and_b32_e32 v6, v6, v8
	v_cmp_gt_i32_e32 vcc_lo, 0, v53
	v_not_b32_e32 v8, v4
	v_ashrrev_i32_e32 v7, 31, v7
	v_xor_b32_e32 v10, s20, v10
	v_and_b32_e32 v6, v6, v9
	v_cmp_gt_i32_e64 s20, 0, v4
	v_ashrrev_i32_e32 v4, 31, v8
	v_xor_b32_e32 v7, vcc_lo, v7
	v_lshl_add_u32 v55, v3, 2, v5
	v_and_b32_e32 v6, v6, v10
	v_xor_b32_e32 v4, s20, v4
	ds_read_b32 v50, v55 offset:128
	v_and_b32_e32 v5, v6, v7
	; wave barrier
	v_and_b32_e32 v4, v5, v4
	v_mbcnt_lo_u32_b32 v51, v4, 0
	v_cmp_ne_u32_e64 s20, 0, v4
	v_cmp_eq_u32_e32 vcc_lo, 0, v51
	s_and_b32 s21, s20, vcc_lo
	s_and_saveexec_b32 s20, s21
	s_cbranch_execz .LBB1025_47
; %bb.46:
	s_waitcnt lgkmcnt(0)
	v_bcnt_u32_b32 v4, v4, v50
	ds_write_b32 v55, v4 offset:128
.LBB1025_47:
	s_or_b32 exec_lo, exec_lo, s20
	v_lshrrev_b32_e32 v4, s44, v23
	; wave barrier
	v_and_b32_e32 v4, s49, v4
	v_and_b32_e32 v6, 1, v4
	v_lshlrev_b32_e32 v7, 30, v4
	v_lshlrev_b32_e32 v8, 29, v4
	;; [unrolled: 1-line block ×4, first 2 shown]
	v_add_co_u32 v6, s20, v6, -1
	v_cndmask_b32_e64 v10, 0, 1, s20
	v_not_b32_e32 v57, v7
	v_cmp_gt_i32_e64 s20, 0, v7
	v_not_b32_e32 v7, v8
	v_lshlrev_b32_e32 v54, 26, v4
	v_cmp_ne_u32_e32 vcc_lo, 0, v10
	v_ashrrev_i32_e32 v10, 31, v57
	v_lshlrev_b32_e32 v56, 25, v4
	v_ashrrev_i32_e32 v7, 31, v7
	v_mul_lo_u32 v5, 0x84, v4
	v_xor_b32_e32 v6, vcc_lo, v6
	v_cmp_gt_i32_e32 vcc_lo, 0, v8
	v_not_b32_e32 v8, v9
	v_xor_b32_e32 v10, s20, v10
	v_cmp_gt_i32_e64 s20, 0, v9
	v_and_b32_e32 v6, exec_lo, v6
	v_not_b32_e32 v9, v53
	v_ashrrev_i32_e32 v8, 31, v8
	v_xor_b32_e32 v7, vcc_lo, v7
	v_cmp_gt_i32_e32 vcc_lo, 0, v53
	v_and_b32_e32 v6, v6, v10
	v_not_b32_e32 v10, v54
	v_ashrrev_i32_e32 v9, 31, v9
	v_xor_b32_e32 v8, s20, v8
	v_lshlrev_b32_e32 v4, 24, v4
	v_and_b32_e32 v6, v6, v7
	v_cmp_gt_i32_e64 s20, 0, v54
	v_not_b32_e32 v7, v56
	v_ashrrev_i32_e32 v10, 31, v10
	v_xor_b32_e32 v9, vcc_lo, v9
	v_and_b32_e32 v6, v6, v8
	v_cmp_gt_i32_e32 vcc_lo, 0, v56
	v_not_b32_e32 v8, v4
	v_ashrrev_i32_e32 v7, 31, v7
	v_xor_b32_e32 v10, s20, v10
	v_and_b32_e32 v6, v6, v9
	v_cmp_gt_i32_e64 s20, 0, v4
	v_ashrrev_i32_e32 v4, 31, v8
	v_xor_b32_e32 v7, vcc_lo, v7
	v_lshl_add_u32 v58, v3, 2, v5
	v_and_b32_e32 v6, v6, v10
	v_xor_b32_e32 v4, s20, v4
	ds_read_b32 v53, v58 offset:128
	v_and_b32_e32 v5, v6, v7
	; wave barrier
	v_and_b32_e32 v4, v5, v4
	v_mbcnt_lo_u32_b32 v54, v4, 0
	v_cmp_ne_u32_e64 s20, 0, v4
	v_cmp_eq_u32_e32 vcc_lo, 0, v54
	s_and_b32 s21, s20, vcc_lo
	s_and_saveexec_b32 s20, s21
	s_cbranch_execz .LBB1025_49
; %bb.48:
	s_waitcnt lgkmcnt(0)
	v_bcnt_u32_b32 v4, v4, v53
	ds_write_b32 v58, v4 offset:128
.LBB1025_49:
	s_or_b32 exec_lo, exec_lo, s20
	v_lshrrev_b32_e32 v4, s44, v26
	; wave barrier
	v_and_b32_e32 v4, s49, v4
	v_and_b32_e32 v6, 1, v4
	v_lshlrev_b32_e32 v7, 30, v4
	v_lshlrev_b32_e32 v8, 29, v4
	;; [unrolled: 1-line block ×4, first 2 shown]
	v_add_co_u32 v6, s20, v6, -1
	v_cndmask_b32_e64 v10, 0, 1, s20
	v_not_b32_e32 v60, v7
	v_cmp_gt_i32_e64 s20, 0, v7
	v_not_b32_e32 v7, v8
	v_lshlrev_b32_e32 v57, 26, v4
	v_cmp_ne_u32_e32 vcc_lo, 0, v10
	v_ashrrev_i32_e32 v10, 31, v60
	v_lshlrev_b32_e32 v59, 25, v4
	v_ashrrev_i32_e32 v7, 31, v7
	v_mul_lo_u32 v5, 0x84, v4
	v_xor_b32_e32 v6, vcc_lo, v6
	v_cmp_gt_i32_e32 vcc_lo, 0, v8
	v_not_b32_e32 v8, v9
	v_xor_b32_e32 v10, s20, v10
	v_cmp_gt_i32_e64 s20, 0, v9
	v_and_b32_e32 v6, exec_lo, v6
	v_not_b32_e32 v9, v56
	v_ashrrev_i32_e32 v8, 31, v8
	v_xor_b32_e32 v7, vcc_lo, v7
	v_cmp_gt_i32_e32 vcc_lo, 0, v56
	v_and_b32_e32 v6, v6, v10
	v_not_b32_e32 v10, v57
	v_ashrrev_i32_e32 v9, 31, v9
	v_xor_b32_e32 v8, s20, v8
	v_lshlrev_b32_e32 v4, 24, v4
	v_and_b32_e32 v6, v6, v7
	v_cmp_gt_i32_e64 s20, 0, v57
	v_not_b32_e32 v7, v59
	v_ashrrev_i32_e32 v10, 31, v10
	v_xor_b32_e32 v9, vcc_lo, v9
	v_and_b32_e32 v6, v6, v8
	v_cmp_gt_i32_e32 vcc_lo, 0, v59
	v_not_b32_e32 v8, v4
	v_ashrrev_i32_e32 v7, 31, v7
	v_xor_b32_e32 v10, s20, v10
	v_and_b32_e32 v6, v6, v9
	v_cmp_gt_i32_e64 s20, 0, v4
	v_ashrrev_i32_e32 v4, 31, v8
	v_xor_b32_e32 v7, vcc_lo, v7
	v_lshl_add_u32 v61, v3, 2, v5
	v_and_b32_e32 v6, v6, v10
	v_xor_b32_e32 v4, s20, v4
	ds_read_b32 v56, v61 offset:128
	v_and_b32_e32 v5, v6, v7
	; wave barrier
	v_and_b32_e32 v4, v5, v4
	v_mbcnt_lo_u32_b32 v57, v4, 0
	v_cmp_ne_u32_e64 s20, 0, v4
	v_cmp_eq_u32_e32 vcc_lo, 0, v57
	s_and_b32 s21, s20, vcc_lo
	s_and_saveexec_b32 s20, s21
	s_cbranch_execz .LBB1025_51
; %bb.50:
	s_waitcnt lgkmcnt(0)
	v_bcnt_u32_b32 v4, v4, v56
	ds_write_b32 v61, v4 offset:128
.LBB1025_51:
	s_or_b32 exec_lo, exec_lo, s20
	v_lshrrev_b32_e32 v4, s44, v25
	; wave barrier
	v_and_b32_e32 v4, s49, v4
	v_and_b32_e32 v6, 1, v4
	v_lshlrev_b32_e32 v7, 30, v4
	v_lshlrev_b32_e32 v8, 29, v4
	;; [unrolled: 1-line block ×4, first 2 shown]
	v_add_co_u32 v6, s20, v6, -1
	v_cndmask_b32_e64 v10, 0, 1, s20
	v_not_b32_e32 v63, v7
	v_cmp_gt_i32_e64 s20, 0, v7
	v_not_b32_e32 v7, v8
	v_lshlrev_b32_e32 v60, 26, v4
	v_cmp_ne_u32_e32 vcc_lo, 0, v10
	v_ashrrev_i32_e32 v10, 31, v63
	v_lshlrev_b32_e32 v62, 25, v4
	v_ashrrev_i32_e32 v7, 31, v7
	v_mul_lo_u32 v5, 0x84, v4
	v_xor_b32_e32 v6, vcc_lo, v6
	v_cmp_gt_i32_e32 vcc_lo, 0, v8
	v_not_b32_e32 v8, v9
	v_xor_b32_e32 v10, s20, v10
	v_cmp_gt_i32_e64 s20, 0, v9
	v_and_b32_e32 v6, exec_lo, v6
	v_not_b32_e32 v9, v59
	v_ashrrev_i32_e32 v8, 31, v8
	v_xor_b32_e32 v7, vcc_lo, v7
	v_cmp_gt_i32_e32 vcc_lo, 0, v59
	v_and_b32_e32 v6, v6, v10
	v_not_b32_e32 v10, v60
	v_ashrrev_i32_e32 v9, 31, v9
	v_xor_b32_e32 v8, s20, v8
	v_lshlrev_b32_e32 v4, 24, v4
	v_and_b32_e32 v6, v6, v7
	v_cmp_gt_i32_e64 s20, 0, v60
	v_not_b32_e32 v7, v62
	v_ashrrev_i32_e32 v10, 31, v10
	v_xor_b32_e32 v9, vcc_lo, v9
	v_and_b32_e32 v6, v6, v8
	v_cmp_gt_i32_e32 vcc_lo, 0, v62
	v_not_b32_e32 v8, v4
	v_ashrrev_i32_e32 v7, 31, v7
	v_xor_b32_e32 v10, s20, v10
	v_and_b32_e32 v6, v6, v9
	v_cmp_gt_i32_e64 s20, 0, v4
	v_ashrrev_i32_e32 v4, 31, v8
	v_xor_b32_e32 v7, vcc_lo, v7
	v_lshl_add_u32 v62, v3, 2, v5
	v_and_b32_e32 v6, v6, v10
	v_xor_b32_e32 v3, s20, v4
	ds_read_b32 v59, v62 offset:128
	v_and_b32_e32 v4, v6, v7
	; wave barrier
	v_and_b32_e32 v3, v4, v3
	v_mbcnt_lo_u32_b32 v60, v3, 0
	v_cmp_ne_u32_e64 s20, 0, v3
	v_cmp_eq_u32_e32 vcc_lo, 0, v60
	s_and_b32 s21, s20, vcc_lo
	s_and_saveexec_b32 s20, s21
	s_cbranch_execz .LBB1025_53
; %bb.52:
	s_waitcnt lgkmcnt(0)
	v_bcnt_u32_b32 v3, v3, v59
	ds_write_b32 v62, v3 offset:128
.LBB1025_53:
	s_or_b32 exec_lo, exec_lo, s20
	; wave barrier
	s_waitcnt lgkmcnt(0)
	s_barrier
	buffer_gl0_inv
	ds_read2_b32 v[9:10], v30 offset0:32 offset1:33
	ds_read2_b32 v[7:8], v30 offset0:34 offset1:35
	;; [unrolled: 1-line block ×4, first 2 shown]
	ds_read_b32 v63, v30 offset:160
	v_and_b32_e32 v66, 16, v11
	v_and_b32_e32 v67, 31, v0
	s_mov_b32 s25, exec_lo
	v_cmp_eq_u32_e64 s23, 0, v66
	s_waitcnt lgkmcnt(3)
	v_add3_u32 v64, v10, v9, v7
	s_waitcnt lgkmcnt(2)
	v_add3_u32 v64, v64, v8, v5
	;; [unrolled: 2-line block ×4, first 2 shown]
	v_and_b32_e32 v64, 15, v11
	v_mov_b32_dpp v65, v63 row_shr:1 row_mask:0xf bank_mask:0xf
	v_cmp_eq_u32_e32 vcc_lo, 0, v64
	v_cmp_lt_u32_e64 s20, 1, v64
	v_cmp_lt_u32_e64 s21, 3, v64
	;; [unrolled: 1-line block ×3, first 2 shown]
	v_cndmask_b32_e64 v65, v65, 0, vcc_lo
	v_add_nc_u32_e32 v63, v65, v63
	v_mov_b32_dpp v65, v63 row_shr:2 row_mask:0xf bank_mask:0xf
	v_cndmask_b32_e64 v65, 0, v65, s20
	v_add_nc_u32_e32 v63, v63, v65
	v_mov_b32_dpp v65, v63 row_shr:4 row_mask:0xf bank_mask:0xf
	v_cndmask_b32_e64 v65, 0, v65, s21
	;; [unrolled: 3-line block ×3, first 2 shown]
	v_bfe_i32 v65, v11, 4, 1
	v_add_nc_u32_e32 v63, v63, v64
	ds_swizzle_b32 v64, v63 offset:swizzle(BROADCAST,32,15)
	s_waitcnt lgkmcnt(0)
	v_and_b32_e32 v65, v65, v64
	v_lshrrev_b32_e32 v64, 5, v0
	v_add_nc_u32_e32 v63, v63, v65
	v_cmpx_eq_u32_e32 31, v67
; %bb.54:
	v_lshlrev_b32_e32 v65, 2, v64
	ds_write_b32 v65, v63
; %bb.55:
	s_or_b32 exec_lo, exec_lo, s25
	v_cmp_lt_u32_e64 s24, 31, v0
	s_mov_b32 s50, exec_lo
	s_waitcnt lgkmcnt(0)
	s_barrier
	buffer_gl0_inv
	v_cmpx_gt_u32_e32 32, v0
	s_cbranch_execz .LBB1025_57
; %bb.56:
	v_lshlrev_b32_e32 v65, 2, v0
	ds_read_b32 v66, v65
	s_waitcnt lgkmcnt(0)
	v_mov_b32_dpp v67, v66 row_shr:1 row_mask:0xf bank_mask:0xf
	v_cndmask_b32_e64 v67, v67, 0, vcc_lo
	v_add_nc_u32_e32 v66, v67, v66
	v_mov_b32_dpp v67, v66 row_shr:2 row_mask:0xf bank_mask:0xf
	v_cndmask_b32_e64 v67, 0, v67, s20
	v_add_nc_u32_e32 v66, v66, v67
	v_mov_b32_dpp v67, v66 row_shr:4 row_mask:0xf bank_mask:0xf
	v_cndmask_b32_e64 v67, 0, v67, s21
	;; [unrolled: 3-line block ×3, first 2 shown]
	v_add_nc_u32_e32 v66, v66, v67
	ds_swizzle_b32 v67, v66 offset:swizzle(BROADCAST,32,15)
	s_waitcnt lgkmcnt(0)
	v_cndmask_b32_e64 v67, v67, 0, s23
	v_add_nc_u32_e32 v66, v66, v67
	ds_write_b32 v65, v66
.LBB1025_57:
	s_or_b32 exec_lo, exec_lo, s50
	v_mov_b32_e32 v65, 0
	s_waitcnt lgkmcnt(0)
	s_barrier
	buffer_gl0_inv
	s_and_saveexec_b32 s20, s24
; %bb.58:
	v_lshl_add_u32 v64, v64, 2, -4
	ds_read_b32 v65, v64
; %bb.59:
	s_or_b32 exec_lo, exec_lo, s20
	v_sub_co_u32 v64, vcc_lo, v11, 1
	s_waitcnt lgkmcnt(0)
	v_add_nc_u32_e32 v63, v65, v63
	v_cmp_gt_i32_e64 s20, 0, v64
	v_cndmask_b32_e64 v64, v64, v11, s20
	v_cmp_lt_u32_e64 s20, 0xff, v0
	v_lshlrev_b32_e32 v64, 2, v64
	ds_bpermute_b32 v63, v64, v63
	s_waitcnt lgkmcnt(0)
	v_cndmask_b32_e32 v63, v63, v65, vcc_lo
	v_cmp_gt_u32_e32 vcc_lo, 0x100, v0
	v_cndmask_b32_e64 v63, v63, 0, s7
	v_add_nc_u32_e32 v9, v63, v9
	v_add_nc_u32_e32 v10, v9, v10
	;; [unrolled: 1-line block ×8, first 2 shown]
	ds_write2_b32 v30, v63, v9 offset0:32 offset1:33
	ds_write2_b32 v30, v10, v7 offset0:34 offset1:35
	ds_write2_b32 v30, v8, v5 offset0:36 offset1:37
	ds_write2_b32 v30, v6, v3 offset0:38 offset1:39
	ds_write_b32 v30, v4 offset:160
	s_waitcnt lgkmcnt(0)
	s_barrier
	buffer_gl0_inv
	ds_read_b32 v31, v31 offset:128
	ds_read_b32 v34, v34 offset:128
	;; [unrolled: 1-line block ×12, first 2 shown]
                                        ; implicit-def: $vgpr9
                                        ; implicit-def: $vgpr10
	s_and_saveexec_b32 s22, vcc_lo
	s_cbranch_execz .LBB1025_63
; %bb.60:
	v_mul_u32_u24_e32 v3, 0x84, v0
	v_add_nc_u32_e32 v4, 1, v0
	s_mov_b32 s23, exec_lo
	ds_read_b32 v9, v3 offset:128
	v_mov_b32_e32 v3, 0x3000
	v_cmpx_ne_u32_e32 0x100, v4
; %bb.61:
	v_mul_u32_u24_e32 v3, 0x84, v4
	ds_read_b32 v3, v3 offset:128
; %bb.62:
	s_or_b32 exec_lo, exec_lo, s23
	s_waitcnt lgkmcnt(0)
	v_sub_nc_u32_e32 v10, v3, v9
.LBB1025_63:
	s_or_b32 exec_lo, exec_lo, s22
	v_mov_b32_e32 v4, 0
	v_lshlrev_b32_e32 v30, 2, v0
	s_waitcnt lgkmcnt(0)
	s_barrier
	buffer_gl0_inv
	s_and_saveexec_b32 s21, vcc_lo
	s_cbranch_execz .LBB1025_73
; %bb.64:
	v_lshl_add_u32 v3, s33, 8, v0
	v_mov_b32_e32 v63, 0
	s_mov_b32 s22, 0
	s_mov_b32 s23, s33
                                        ; implicit-def: $sgpr24
	v_lshlrev_b64 v[5:6], 2, v[3:4]
	v_or_b32_e32 v3, 2.0, v10
	v_add_co_u32 v5, vcc_lo, s26, v5
	v_add_co_ci_u32_e64 v6, null, s27, v6, vcc_lo
	global_store_dword v[5:6], v3, off
	s_branch .LBB1025_67
	.p2align	6
.LBB1025_65:                            ;   in Loop: Header=BB1025_67 Depth=1
	s_or_b32 exec_lo, exec_lo, s25
.LBB1025_66:                            ;   in Loop: Header=BB1025_67 Depth=1
	s_or_b32 exec_lo, exec_lo, s24
	v_and_b32_e32 v7, 0x3fffffff, v3
	v_cmp_gt_i32_e64 s24, -2.0, v3
	v_add_nc_u32_e32 v63, v7, v63
	s_and_b32 s25, exec_lo, s24
	s_or_b32 s22, s25, s22
	s_andn2_b32 exec_lo, exec_lo, s22
	s_cbranch_execz .LBB1025_72
.LBB1025_67:                            ; =>This Loop Header: Depth=1
                                        ;     Child Loop BB1025_70 Depth 2
	s_or_b32 s24, s24, exec_lo
	s_cmp_eq_u32 s23, 0
	s_cbranch_scc1 .LBB1025_71
; %bb.68:                               ;   in Loop: Header=BB1025_67 Depth=1
	s_add_i32 s23, s23, -1
	s_mov_b32 s24, exec_lo
	v_lshl_or_b32 v3, s23, 8, v0
	v_lshlrev_b64 v[7:8], 2, v[3:4]
	v_add_co_u32 v7, vcc_lo, s26, v7
	v_add_co_ci_u32_e64 v8, null, s27, v8, vcc_lo
	global_load_dword v3, v[7:8], off glc dlc
	s_waitcnt vmcnt(0)
	v_cmpx_gt_u32_e32 2.0, v3
	s_cbranch_execz .LBB1025_66
; %bb.69:                               ;   in Loop: Header=BB1025_67 Depth=1
	s_mov_b32 s25, 0
.LBB1025_70:                            ;   Parent Loop BB1025_67 Depth=1
                                        ; =>  This Inner Loop Header: Depth=2
	global_load_dword v3, v[7:8], off glc dlc
	s_waitcnt vmcnt(0)
	v_cmp_lt_u32_e32 vcc_lo, 0x3fffffff, v3
	s_or_b32 s25, vcc_lo, s25
	s_andn2_b32 exec_lo, exec_lo, s25
	s_cbranch_execnz .LBB1025_70
	s_branch .LBB1025_65
.LBB1025_71:                            ;   in Loop: Header=BB1025_67 Depth=1
                                        ; implicit-def: $sgpr23
	s_and_b32 s25, exec_lo, s24
	s_or_b32 s22, s25, s22
	s_andn2_b32 exec_lo, exec_lo, s22
	s_cbranch_execnz .LBB1025_67
.LBB1025_72:
	s_or_b32 exec_lo, exec_lo, s22
	v_add_nc_u32_e32 v3, v63, v10
	v_sub_nc_u32_e32 v4, v63, v9
	v_or_b32_e32 v3, 0x80000000, v3
	global_store_dword v[5:6], v3, off
	global_load_dword v3, v30, s[28:29]
	s_waitcnt vmcnt(0)
	v_add_nc_u32_e32 v3, v4, v3
	ds_write_b32 v30, v3
.LBB1025_73:
	s_or_b32 exec_lo, exec_lo, s21
	v_add_nc_u32_e32 v5, v31, v27
	v_add3_u32 v6, v29, v28, v34
	v_add3_u32 v7, v33, v32, v37
	;; [unrolled: 1-line block ×11, first 2 shown]
	v_mov_b32_e32 v4, 0
	v_mov_b32_e32 v36, v5
	v_mov_b32_e32 v37, v6
	v_mov_b32_e32 v38, v7
	v_mov_b32_e32 v39, v8
	v_mov_b32_e32 v40, v27
	v_mov_b32_e32 v41, v28
	v_mov_b32_e32 v42, v29
	v_mov_b32_e32 v43, v31
	v_mov_b32_e32 v44, v32
	v_mov_b32_e32 v45, v33
	v_mov_b32_e32 v46, v34
	v_mov_b32_e32 v47, v35
	v_mov_b32_e32 v48, v0
	s_mov_b32 s21, 32
	s_mov_b32 s23, 0
	s_mov_b32 s22, -1
	s_branch .LBB1025_75
.LBB1025_74:                            ;   in Loop: Header=BB1025_75 Depth=1
	s_or_b32 exec_lo, exec_lo, s24
	v_add_nc_u32_e32 v48, 0x2000, v48
	v_add_nc_u32_e32 v47, 0xffffe000, v47
	;; [unrolled: 1-line block ×13, first 2 shown]
	s_xor_b32 s23, s22, -1
	s_mov_b32 s22, 0
	s_and_b32 vcc_lo, exec_lo, s23
	s_mov_b32 s23, s21
	s_waitcnt_vscnt null, 0x0
	s_barrier
	buffer_gl0_inv
	s_cbranch_vccnz .LBB1025_91
.LBB1025_75:                            ; =>This Inner Loop Header: Depth=1
	v_min_u32_e32 v3, 0x2000, v36
	v_min_u32_e32 v49, 0x2000, v37
	;; [unrolled: 1-line block ×5, first 2 shown]
	v_lshlrev_b32_e32 v3, 2, v3
	v_lshlrev_b32_e32 v49, 2, v49
	v_min_u32_e32 v53, 0x2000, v41
	v_lshlrev_b32_e32 v50, 2, v50
	s_mov_b32 s24, exec_lo
	ds_write_b32 v3, v16 offset:1024
	ds_write_b32 v49, v15 offset:1024
	v_min_u32_e32 v3, 0x2000, v42
	v_lshlrev_b32_e32 v49, 2, v51
	v_lshlrev_b32_e32 v51, 2, v52
	;; [unrolled: 1-line block ×3, first 2 shown]
	ds_write_b32 v50, v18 offset:1024
	v_lshlrev_b32_e32 v3, 2, v3
	ds_write_b32 v49, v17 offset:1024
	ds_write_b32 v51, v20 offset:1024
	;; [unrolled: 1-line block ×3, first 2 shown]
	v_min_u32_e32 v49, 0x2000, v43
	v_min_u32_e32 v50, 0x2000, v45
	;; [unrolled: 1-line block ×3, first 2 shown]
	ds_write_b32 v3, v22 offset:1024
	v_min_u32_e32 v3, 0x2000, v44
	v_lshlrev_b32_e32 v49, 2, v49
	v_min_u32_e32 v52, 0x2000, v47
	v_lshlrev_b32_e32 v50, 2, v50
	v_lshlrev_b32_e32 v51, 2, v51
	;; [unrolled: 1-line block ×3, first 2 shown]
	ds_write_b32 v49, v21 offset:1024
	v_lshlrev_b32_e32 v49, 2, v52
	ds_write_b32 v3, v24 offset:1024
	ds_write_b32 v50, v23 offset:1024
	;; [unrolled: 1-line block ×4, first 2 shown]
	s_waitcnt lgkmcnt(0)
	s_waitcnt_vscnt null, 0x0
	s_barrier
	buffer_gl0_inv
	v_cmpx_gt_u32_e64 s48, v48
	s_cbranch_execz .LBB1025_77
; %bb.76:                               ;   in Loop: Header=BB1025_75 Depth=1
	ds_read_b32 v51, v30 offset:1024
	s_waitcnt lgkmcnt(0)
	v_lshrrev_b32_e32 v3, s44, v51
	v_and_b32_e32 v52, s49, v3
	v_lshlrev_b32_e32 v3, 2, v52
	ds_read_b32 v3, v3
	s_waitcnt lgkmcnt(0)
	v_add_nc_u32_e32 v3, v48, v3
	v_lshlrev_b64 v[49:50], 2, v[3:4]
	v_xor_b32_e32 v3, 0x7fffffff, v51
	v_mov_b32_e32 v51, s23
	v_add_co_u32 v49, vcc_lo, s38, v49
	v_add_co_ci_u32_e64 v50, null, s39, v50, vcc_lo
	buffer_store_dword v52, v51, s[0:3], 0 offen
	global_store_dword v[49:50], v3, off
.LBB1025_77:                            ;   in Loop: Header=BB1025_75 Depth=1
	s_or_b32 exec_lo, exec_lo, s24
	v_add_nc_u32_e32 v3, 0x400, v48
	s_mov_b32 s24, exec_lo
	v_cmpx_gt_u32_e64 s48, v3
	s_cbranch_execz .LBB1025_79
; %bb.78:                               ;   in Loop: Header=BB1025_75 Depth=1
	ds_read_b32 v51, v30 offset:5120
	s_waitcnt lgkmcnt(0)
	v_lshrrev_b32_e32 v3, s44, v51
	v_and_b32_e32 v52, s49, v3
	v_lshlrev_b32_e32 v3, 2, v52
	ds_read_b32 v3, v3
	s_waitcnt lgkmcnt(0)
	v_add3_u32 v3, v48, v3, 0x400
	v_lshlrev_b64 v[49:50], 2, v[3:4]
	v_xor_b32_e32 v3, 0x7fffffff, v51
	v_mov_b32_e32 v51, s23
	v_add_co_u32 v49, vcc_lo, s38, v49
	v_add_co_ci_u32_e64 v50, null, s39, v50, vcc_lo
	buffer_store_dword v52, v51, s[0:3], 0 offen offset:4
	global_store_dword v[49:50], v3, off
.LBB1025_79:                            ;   in Loop: Header=BB1025_75 Depth=1
	s_or_b32 exec_lo, exec_lo, s24
	v_add_nc_u32_e32 v3, 0x800, v48
	s_mov_b32 s24, exec_lo
	v_cmpx_gt_u32_e64 s48, v3
	s_cbranch_execz .LBB1025_81
; %bb.80:                               ;   in Loop: Header=BB1025_75 Depth=1
	ds_read_b32 v51, v30 offset:9216
	s_waitcnt lgkmcnt(0)
	v_lshrrev_b32_e32 v3, s44, v51
	v_and_b32_e32 v52, s49, v3
	v_lshlrev_b32_e32 v3, 2, v52
	ds_read_b32 v3, v3
	s_waitcnt lgkmcnt(0)
	v_add3_u32 v3, v48, v3, 0x800
	v_lshlrev_b64 v[49:50], 2, v[3:4]
	v_xor_b32_e32 v3, 0x7fffffff, v51
	v_mov_b32_e32 v51, s23
	v_add_co_u32 v49, vcc_lo, s38, v49
	v_add_co_ci_u32_e64 v50, null, s39, v50, vcc_lo
	buffer_store_dword v52, v51, s[0:3], 0 offen offset:8
	global_store_dword v[49:50], v3, off
.LBB1025_81:                            ;   in Loop: Header=BB1025_75 Depth=1
	;; [unrolled: 22-line block ×6, first 2 shown]
	s_or_b32 exec_lo, exec_lo, s24
	v_add_nc_u32_e32 v3, 0x1c00, v48
	s_mov_b32 s24, exec_lo
	v_cmpx_gt_u32_e64 s48, v3
	s_cbranch_execz .LBB1025_74
; %bb.90:                               ;   in Loop: Header=BB1025_75 Depth=1
	ds_read_b32 v51, v30 offset:29696
	s_waitcnt lgkmcnt(0)
	v_lshrrev_b32_e32 v3, s44, v51
	v_and_b32_e32 v52, s49, v3
	v_lshlrev_b32_e32 v3, 2, v52
	ds_read_b32 v3, v3
	s_waitcnt lgkmcnt(0)
	v_add3_u32 v3, v48, v3, 0x1c00
	v_lshlrev_b64 v[49:50], 2, v[3:4]
	v_xor_b32_e32 v3, 0x7fffffff, v51
	v_mov_b32_e32 v51, s23
	v_add_co_u32 v49, vcc_lo, s38, v49
	v_add_co_ci_u32_e64 v50, null, s39, v50, vcc_lo
	buffer_store_dword v52, v51, s[0:3], 0 offen offset:28
	global_store_dword v[49:50], v3, off
	s_branch .LBB1025_74
.LBB1025_91:
	s_add_u32 s22, s40, s46
	s_addc_u32 s23, s41, s47
	v_add_co_u32 v3, s22, s22, v13
	v_add_co_ci_u32_e64 v4, null, s23, 0, s22
                                        ; implicit-def: $vgpr13
	v_add_co_u32 v3, vcc_lo, v3, v14
	v_add_co_ci_u32_e64 v4, null, 0, v4, vcc_lo
	s_and_saveexec_b32 s22, s8
	s_cbranch_execz .LBB1025_103
; %bb.92:
	global_load_dword v13, v[3:4], off
	s_or_b32 exec_lo, exec_lo, s22
                                        ; implicit-def: $vgpr14
	s_and_saveexec_b32 s8, s9
	s_cbranch_execnz .LBB1025_104
.LBB1025_93:
	s_or_b32 exec_lo, exec_lo, s8
                                        ; implicit-def: $vgpr15
	s_and_saveexec_b32 s8, s10
	s_cbranch_execz .LBB1025_105
.LBB1025_94:
	global_load_dword v15, v[3:4], off offset:256
	s_or_b32 exec_lo, exec_lo, s8
                                        ; implicit-def: $vgpr16
	s_and_saveexec_b32 s8, s11
	s_cbranch_execnz .LBB1025_106
.LBB1025_95:
	s_or_b32 exec_lo, exec_lo, s8
                                        ; implicit-def: $vgpr17
	s_and_saveexec_b32 s8, s12
	s_cbranch_execz .LBB1025_107
.LBB1025_96:
	global_load_dword v17, v[3:4], off offset:512
	s_or_b32 exec_lo, exec_lo, s8
                                        ; implicit-def: $vgpr18
	s_and_saveexec_b32 s8, s13
	s_cbranch_execnz .LBB1025_108
.LBB1025_97:
	s_or_b32 exec_lo, exec_lo, s8
                                        ; implicit-def: $vgpr19
	s_and_saveexec_b32 s8, s14
	s_cbranch_execz .LBB1025_109
.LBB1025_98:
	global_load_dword v19, v[3:4], off offset:768
	s_or_b32 exec_lo, exec_lo, s8
                                        ; implicit-def: $vgpr20
	s_and_saveexec_b32 s8, s15
	s_cbranch_execnz .LBB1025_110
.LBB1025_99:
	s_or_b32 exec_lo, exec_lo, s8
                                        ; implicit-def: $vgpr21
	s_and_saveexec_b32 s8, s16
	s_cbranch_execz .LBB1025_111
.LBB1025_100:
	global_load_dword v21, v[3:4], off offset:1024
	s_or_b32 exec_lo, exec_lo, s8
                                        ; implicit-def: $vgpr22
	s_and_saveexec_b32 s8, s17
	s_cbranch_execnz .LBB1025_112
.LBB1025_101:
	s_or_b32 exec_lo, exec_lo, s8
                                        ; implicit-def: $vgpr23
	s_and_saveexec_b32 s8, s18
	s_cbranch_execz .LBB1025_113
.LBB1025_102:
	global_load_dword v23, v[3:4], off offset:1280
	s_or_b32 exec_lo, exec_lo, s8
                                        ; implicit-def: $vgpr24
	s_and_saveexec_b32 s8, s19
	s_cbranch_execnz .LBB1025_114
	s_branch .LBB1025_115
.LBB1025_103:
	s_or_b32 exec_lo, exec_lo, s22
                                        ; implicit-def: $vgpr14
	s_and_saveexec_b32 s8, s9
	s_cbranch_execz .LBB1025_93
.LBB1025_104:
	global_load_dword v14, v[3:4], off offset:128
	s_or_b32 exec_lo, exec_lo, s8
                                        ; implicit-def: $vgpr15
	s_and_saveexec_b32 s8, s10
	s_cbranch_execnz .LBB1025_94
.LBB1025_105:
	s_or_b32 exec_lo, exec_lo, s8
                                        ; implicit-def: $vgpr16
	s_and_saveexec_b32 s8, s11
	s_cbranch_execz .LBB1025_95
.LBB1025_106:
	global_load_dword v16, v[3:4], off offset:384
	s_or_b32 exec_lo, exec_lo, s8
                                        ; implicit-def: $vgpr17
	s_and_saveexec_b32 s8, s12
	s_cbranch_execnz .LBB1025_96
.LBB1025_107:
	s_or_b32 exec_lo, exec_lo, s8
                                        ; implicit-def: $vgpr18
	s_and_saveexec_b32 s8, s13
	s_cbranch_execz .LBB1025_97
.LBB1025_108:
	global_load_dword v18, v[3:4], off offset:640
	s_or_b32 exec_lo, exec_lo, s8
                                        ; implicit-def: $vgpr19
	s_and_saveexec_b32 s8, s14
	s_cbranch_execnz .LBB1025_98
.LBB1025_109:
	s_or_b32 exec_lo, exec_lo, s8
                                        ; implicit-def: $vgpr20
	s_and_saveexec_b32 s8, s15
	s_cbranch_execz .LBB1025_99
.LBB1025_110:
	global_load_dword v20, v[3:4], off offset:896
	s_or_b32 exec_lo, exec_lo, s8
                                        ; implicit-def: $vgpr21
	s_and_saveexec_b32 s8, s16
	s_cbranch_execnz .LBB1025_100
.LBB1025_111:
	s_or_b32 exec_lo, exec_lo, s8
                                        ; implicit-def: $vgpr22
	s_and_saveexec_b32 s8, s17
	s_cbranch_execz .LBB1025_101
.LBB1025_112:
	global_load_dword v22, v[3:4], off offset:1152
	s_or_b32 exec_lo, exec_lo, s8
                                        ; implicit-def: $vgpr23
	s_and_saveexec_b32 s8, s18
	s_cbranch_execnz .LBB1025_102
.LBB1025_113:
	s_or_b32 exec_lo, exec_lo, s8
                                        ; implicit-def: $vgpr24
	s_and_saveexec_b32 s8, s19
	s_cbranch_execz .LBB1025_115
.LBB1025_114:
	global_load_dword v24, v[3:4], off offset:1408
.LBB1025_115:
	s_or_b32 exec_lo, exec_lo, s8
	v_mov_b32_e32 v4, 0
	v_mov_b32_e32 v25, v0
	s_mov_b32 s9, 0
	s_mov_b32 s8, -1
	s_branch .LBB1025_117
.LBB1025_116:                           ;   in Loop: Header=BB1025_117 Depth=1
	s_or_b32 exec_lo, exec_lo, s10
	v_add_nc_u32_e32 v25, 0x2000, v25
	v_add_nc_u32_e32 v35, 0xffffe000, v35
	;; [unrolled: 1-line block ×13, first 2 shown]
	s_xor_b32 s9, s8, -1
	s_mov_b32 s8, 0
	s_and_b32 vcc_lo, exec_lo, s9
	s_mov_b32 s9, s21
	s_waitcnt_vscnt null, 0x0
	s_barrier
	buffer_gl0_inv
	s_cbranch_vccnz .LBB1025_133
.LBB1025_117:                           ; =>This Inner Loop Header: Depth=1
	v_min_u32_e32 v3, 0x2000, v5
	v_min_u32_e32 v26, 0x2000, v6
	;; [unrolled: 1-line block ×5, first 2 shown]
	v_lshlrev_b32_e32 v3, 2, v3
	v_lshlrev_b32_e32 v26, 2, v26
	v_min_u32_e32 v39, 0x2000, v28
	v_lshlrev_b32_e32 v36, 2, v36
	s_mov_b32 s10, exec_lo
	s_waitcnt vmcnt(0)
	ds_write_b32 v3, v13 offset:1024
	ds_write_b32 v26, v14 offset:1024
	v_min_u32_e32 v3, 0x2000, v29
	v_lshlrev_b32_e32 v26, 2, v37
	v_lshlrev_b32_e32 v37, 2, v38
	;; [unrolled: 1-line block ×3, first 2 shown]
	ds_write_b32 v36, v15 offset:1024
	v_lshlrev_b32_e32 v3, 2, v3
	ds_write_b32 v26, v16 offset:1024
	ds_write_b32 v37, v17 offset:1024
	;; [unrolled: 1-line block ×3, first 2 shown]
	v_min_u32_e32 v26, 0x2000, v31
	v_min_u32_e32 v36, 0x2000, v33
	;; [unrolled: 1-line block ×3, first 2 shown]
	ds_write_b32 v3, v19 offset:1024
	v_min_u32_e32 v3, 0x2000, v32
	v_lshlrev_b32_e32 v26, 2, v26
	v_min_u32_e32 v38, 0x2000, v35
	v_lshlrev_b32_e32 v36, 2, v36
	v_lshlrev_b32_e32 v37, 2, v37
	;; [unrolled: 1-line block ×3, first 2 shown]
	ds_write_b32 v26, v20 offset:1024
	v_lshlrev_b32_e32 v26, 2, v38
	ds_write_b32 v3, v21 offset:1024
	ds_write_b32 v36, v22 offset:1024
	;; [unrolled: 1-line block ×4, first 2 shown]
	s_waitcnt lgkmcnt(0)
	s_barrier
	buffer_gl0_inv
	v_cmpx_gt_u32_e64 s48, v25
	s_cbranch_execz .LBB1025_119
; %bb.118:                              ;   in Loop: Header=BB1025_117 Depth=1
	v_mov_b32_e32 v3, s9
	buffer_load_dword v3, v3, s[0:3], 0 offen
	s_waitcnt vmcnt(0)
	v_lshlrev_b32_e32 v3, 2, v3
	ds_read_b32 v3, v3
	ds_read_b32 v26, v30 offset:1024
	s_waitcnt lgkmcnt(1)
	v_add_nc_u32_e32 v3, v25, v3
	v_lshlrev_b64 v[36:37], 2, v[3:4]
	v_add_co_u32 v36, vcc_lo, s42, v36
	v_add_co_ci_u32_e64 v37, null, s43, v37, vcc_lo
	s_waitcnt lgkmcnt(0)
	global_store_dword v[36:37], v26, off
.LBB1025_119:                           ;   in Loop: Header=BB1025_117 Depth=1
	s_or_b32 exec_lo, exec_lo, s10
	v_add_nc_u32_e32 v3, 0x400, v25
	s_mov_b32 s10, exec_lo
	v_cmpx_gt_u32_e64 s48, v3
	s_cbranch_execz .LBB1025_121
; %bb.120:                              ;   in Loop: Header=BB1025_117 Depth=1
	v_mov_b32_e32 v3, s9
	buffer_load_dword v3, v3, s[0:3], 0 offen offset:4
	s_waitcnt vmcnt(0)
	v_lshlrev_b32_e32 v3, 2, v3
	ds_read_b32 v3, v3
	ds_read_b32 v26, v30 offset:5120
	s_waitcnt lgkmcnt(1)
	v_add3_u32 v3, v25, v3, 0x400
	v_lshlrev_b64 v[36:37], 2, v[3:4]
	v_add_co_u32 v36, vcc_lo, s42, v36
	v_add_co_ci_u32_e64 v37, null, s43, v37, vcc_lo
	s_waitcnt lgkmcnt(0)
	global_store_dword v[36:37], v26, off
.LBB1025_121:                           ;   in Loop: Header=BB1025_117 Depth=1
	s_or_b32 exec_lo, exec_lo, s10
	v_add_nc_u32_e32 v3, 0x800, v25
	s_mov_b32 s10, exec_lo
	v_cmpx_gt_u32_e64 s48, v3
	s_cbranch_execz .LBB1025_123
; %bb.122:                              ;   in Loop: Header=BB1025_117 Depth=1
	v_mov_b32_e32 v3, s9
	buffer_load_dword v3, v3, s[0:3], 0 offen offset:8
	s_waitcnt vmcnt(0)
	v_lshlrev_b32_e32 v3, 2, v3
	ds_read_b32 v3, v3
	ds_read_b32 v26, v30 offset:9216
	s_waitcnt lgkmcnt(1)
	v_add3_u32 v3, v25, v3, 0x800
	v_lshlrev_b64 v[36:37], 2, v[3:4]
	v_add_co_u32 v36, vcc_lo, s42, v36
	v_add_co_ci_u32_e64 v37, null, s43, v37, vcc_lo
	s_waitcnt lgkmcnt(0)
	global_store_dword v[36:37], v26, off
.LBB1025_123:                           ;   in Loop: Header=BB1025_117 Depth=1
	;; [unrolled: 20-line block ×6, first 2 shown]
	s_or_b32 exec_lo, exec_lo, s10
	v_add_nc_u32_e32 v3, 0x1c00, v25
	s_mov_b32 s10, exec_lo
	v_cmpx_gt_u32_e64 s48, v3
	s_cbranch_execz .LBB1025_116
; %bb.132:                              ;   in Loop: Header=BB1025_117 Depth=1
	v_mov_b32_e32 v3, s9
	buffer_load_dword v3, v3, s[0:3], 0 offen offset:28
	s_waitcnt vmcnt(0)
	v_lshlrev_b32_e32 v3, 2, v3
	ds_read_b32 v3, v3
	ds_read_b32 v26, v30 offset:29696
	s_waitcnt lgkmcnt(1)
	v_add3_u32 v3, v25, v3, 0x1c00
	v_lshlrev_b64 v[36:37], 2, v[3:4]
	v_add_co_u32 v36, vcc_lo, s42, v36
	v_add_co_ci_u32_e64 v37, null, s43, v37, vcc_lo
	s_waitcnt lgkmcnt(0)
	global_store_dword v[36:37], v26, off
	s_branch .LBB1025_116
.LBB1025_133:
	s_add_i32 s35, s35, -1
	s_cmp_eq_u32 s33, s35
	s_cselect_b32 s8, -1, 0
	s_xor_b32 s9, s20, -1
	s_and_b32 s9, s9, s8
	s_and_saveexec_b32 s8, s9
	s_cbranch_execz .LBB1025_135
; %bb.134:
	ds_read_b32 v3, v30
	s_waitcnt lgkmcnt(0)
	v_add3_u32 v3, v9, v10, v3
	global_store_dword v30, v3, s[30:31]
.LBB1025_135:
	s_or_b32 exec_lo, exec_lo, s8
	s_mov_b32 s9, 0
.LBB1025_136:
	s_and_b32 vcc_lo, exec_lo, s9
	s_cbranch_vccz .LBB1025_203
; %bb.137:
	s_mov_b32 s35, 0
	v_mul_u32_u24_e32 v3, 12, v12
	v_lshlrev_b32_e32 v9, 2, v11
	s_lshl_b64 s[12:13], s[34:35], 2
	v_mov_b32_e32 v22, 0
	s_add_u32 s8, s36, s12
	s_addc_u32 s9, s37, s13
	v_lshlrev_b32_e32 v10, 2, v3
	v_add_co_u32 v3, s8, s8, v9
	v_add_co_ci_u32_e64 v4, null, s9, 0, s8
	v_add_co_u32 v18, vcc_lo, v3, v10
	v_add_co_ci_u32_e64 v19, null, 0, v4, vcc_lo
	global_load_dword v12, v[18:19], off
	s_clause 0x1
	s_load_dword s8, s[4:5], 0x64
	s_load_dword s11, s[4:5], 0x58
	s_add_u32 s4, s4, 0x58
	s_addc_u32 s5, s5, 0
	s_waitcnt lgkmcnt(0)
	s_lshr_b32 s8, s8, 16
	s_cmp_lt_u32 s6, s11
	v_mad_u32_u24 v1, v2, s8, v1
	s_cselect_b32 s6, 12, 18
	s_add_u32 s4, s4, s6
	s_addc_u32 s5, s5, 0
	global_load_ushort v16, v22, s[4:5]
	s_clause 0xa
	global_load_dword v13, v[18:19], off offset:128
	global_load_dword v14, v[18:19], off offset:256
	;; [unrolled: 1-line block ×11, first 2 shown]
	s_lshl_b32 s4, -1, s45
	s_not_b32 s14, s4
	s_waitcnt vmcnt(12)
	v_xor_b32_e32 v12, 0x7fffffff, v12
	v_lshrrev_b32_e32 v18, s44, v12
	v_and_b32_e32 v18, s14, v18
	v_and_b32_e32 v19, 1, v18
	v_lshlrev_b32_e32 v21, 30, v18
	v_lshlrev_b32_e32 v23, 29, v18
	;; [unrolled: 1-line block ×4, first 2 shown]
	v_add_co_u32 v19, s4, v19, -1
	v_cndmask_b32_e64 v25, 0, 1, s4
	v_not_b32_e32 v29, v21
	v_cmp_gt_i32_e64 s4, 0, v21
	v_not_b32_e32 v21, v23
	v_lshlrev_b32_e32 v27, 26, v18
	v_cmp_ne_u32_e32 vcc_lo, 0, v25
	v_ashrrev_i32_e32 v29, 31, v29
	v_lshlrev_b32_e32 v28, 25, v18
	v_ashrrev_i32_e32 v21, 31, v21
	v_lshlrev_b32_e32 v25, 24, v18
	v_xor_b32_e32 v19, vcc_lo, v19
	v_cmp_gt_i32_e32 vcc_lo, 0, v23
	v_not_b32_e32 v23, v24
	v_xor_b32_e32 v29, s4, v29
	v_cmp_gt_i32_e64 s4, 0, v24
	v_and_b32_e32 v19, exec_lo, v19
	v_not_b32_e32 v24, v26
	v_ashrrev_i32_e32 v23, 31, v23
	v_xor_b32_e32 v21, vcc_lo, v21
	v_cmp_gt_i32_e32 vcc_lo, 0, v26
	v_and_b32_e32 v19, v19, v29
	v_not_b32_e32 v26, v27
	v_ashrrev_i32_e32 v24, 31, v24
	v_xor_b32_e32 v23, s4, v23
	v_cmp_gt_i32_e64 s4, 0, v27
	v_and_b32_e32 v19, v19, v21
	v_not_b32_e32 v21, v28
	v_ashrrev_i32_e32 v26, 31, v26
	v_xor_b32_e32 v24, vcc_lo, v24
	v_cmp_gt_i32_e32 vcc_lo, 0, v28
	v_and_b32_e32 v19, v19, v23
	v_not_b32_e32 v23, v25
	v_ashrrev_i32_e32 v21, 31, v21
	v_xor_b32_e32 v26, s4, v26
	v_cmp_gt_i32_e64 s4, 0, v25
	v_and_b32_e32 v19, v19, v24
	v_ashrrev_i32_e32 v23, 31, v23
	v_xor_b32_e32 v21, vcc_lo, v21
	s_waitcnt vmcnt(11)
	v_mad_u64_u32 v[1:2], null, v1, v16, v[0:1]
	v_and_b32_e32 v19, v19, v26
	v_xor_b32_e32 v23, s4, v23
	v_mul_lo_u32 v18, 0x84, v18
	v_and_b32_e32 v19, v19, v21
	v_mul_u32_u24_e32 v21, 36, v0
	v_lshrrev_b32_e32 v1, 5, v1
	ds_write2_b32 v21, v22, v22 offset0:32 offset1:33
	ds_write2_b32 v21, v22, v22 offset0:34 offset1:35
	ds_write2_b32 v21, v22, v22 offset0:36 offset1:37
	v_and_b32_e32 v2, v19, v23
	ds_write2_b32 v21, v22, v22 offset0:38 offset1:39
	ds_write_b32 v21, v22 offset:160
	v_lshl_add_u32 v22, v1, 2, v18
	s_waitcnt vmcnt(0) lgkmcnt(0)
	s_waitcnt_vscnt null, 0x0
	s_barrier
	v_mbcnt_lo_u32_b32 v16, v2, 0
	v_cmp_ne_u32_e64 s4, 0, v2
	buffer_gl0_inv
	; wave barrier
	v_cmp_eq_u32_e32 vcc_lo, 0, v16
	s_and_b32 s5, s4, vcc_lo
	s_and_saveexec_b32 s4, s5
; %bb.138:
	v_bcnt_u32_b32 v2, v2, 0
	ds_write_b32 v22, v2 offset:128
; %bb.139:
	s_or_b32 exec_lo, exec_lo, s4
	v_xor_b32_e32 v13, 0x7fffffff, v13
	; wave barrier
	v_lshrrev_b32_e32 v2, s44, v13
	v_and_b32_e32 v2, s14, v2
	v_and_b32_e32 v19, 1, v2
	v_lshlrev_b32_e32 v23, 30, v2
	v_lshlrev_b32_e32 v24, 29, v2
	;; [unrolled: 1-line block ×4, first 2 shown]
	v_add_co_u32 v19, s4, v19, -1
	v_cndmask_b32_e64 v26, 0, 1, s4
	v_not_b32_e32 v30, v23
	v_cmp_gt_i32_e64 s4, 0, v23
	v_not_b32_e32 v23, v24
	v_lshlrev_b32_e32 v28, 26, v2
	v_cmp_ne_u32_e32 vcc_lo, 0, v26
	v_ashrrev_i32_e32 v26, 31, v30
	v_lshlrev_b32_e32 v29, 25, v2
	v_ashrrev_i32_e32 v23, 31, v23
	v_mul_lo_u32 v18, 0x84, v2
	v_xor_b32_e32 v19, vcc_lo, v19
	v_cmp_gt_i32_e32 vcc_lo, 0, v24
	v_not_b32_e32 v24, v25
	v_xor_b32_e32 v26, s4, v26
	v_cmp_gt_i32_e64 s4, 0, v25
	v_and_b32_e32 v19, exec_lo, v19
	v_not_b32_e32 v25, v27
	v_ashrrev_i32_e32 v24, 31, v24
	v_xor_b32_e32 v23, vcc_lo, v23
	v_cmp_gt_i32_e32 vcc_lo, 0, v27
	v_and_b32_e32 v19, v19, v26
	v_not_b32_e32 v26, v28
	v_ashrrev_i32_e32 v25, 31, v25
	v_xor_b32_e32 v24, s4, v24
	v_lshlrev_b32_e32 v2, 24, v2
	v_and_b32_e32 v19, v19, v23
	v_cmp_gt_i32_e64 s4, 0, v28
	v_not_b32_e32 v23, v29
	v_ashrrev_i32_e32 v26, 31, v26
	v_xor_b32_e32 v25, vcc_lo, v25
	v_and_b32_e32 v19, v19, v24
	v_cmp_gt_i32_e32 vcc_lo, 0, v29
	v_not_b32_e32 v24, v2
	v_ashrrev_i32_e32 v23, 31, v23
	v_xor_b32_e32 v26, s4, v26
	v_and_b32_e32 v19, v19, v25
	v_cmp_gt_i32_e64 s4, 0, v2
	v_ashrrev_i32_e32 v2, 31, v24
	v_xor_b32_e32 v23, vcc_lo, v23
	v_and_b32_e32 v19, v19, v26
	v_lshl_add_u32 v26, v1, 2, v18
	v_xor_b32_e32 v2, s4, v2
	v_and_b32_e32 v19, v19, v23
	ds_read_b32 v18, v26 offset:128
	; wave barrier
	v_and_b32_e32 v2, v19, v2
	v_mbcnt_lo_u32_b32 v19, v2, 0
	v_cmp_ne_u32_e64 s4, 0, v2
	v_cmp_eq_u32_e32 vcc_lo, 0, v19
	s_and_b32 s5, s4, vcc_lo
	s_and_saveexec_b32 s4, s5
	s_cbranch_execz .LBB1025_141
; %bb.140:
	s_waitcnt lgkmcnt(0)
	v_bcnt_u32_b32 v2, v2, v18
	ds_write_b32 v26, v2 offset:128
.LBB1025_141:
	s_or_b32 exec_lo, exec_lo, s4
	v_xor_b32_e32 v14, 0x7fffffff, v14
	; wave barrier
	v_lshrrev_b32_e32 v2, s44, v14
	v_and_b32_e32 v2, s14, v2
	v_and_b32_e32 v24, 1, v2
	v_lshlrev_b32_e32 v25, 30, v2
	v_lshlrev_b32_e32 v27, 29, v2
	;; [unrolled: 1-line block ×4, first 2 shown]
	v_add_co_u32 v24, s4, v24, -1
	v_cndmask_b32_e64 v29, 0, 1, s4
	v_not_b32_e32 v33, v25
	v_cmp_gt_i32_e64 s4, 0, v25
	v_not_b32_e32 v25, v27
	v_lshlrev_b32_e32 v31, 26, v2
	v_cmp_ne_u32_e32 vcc_lo, 0, v29
	v_ashrrev_i32_e32 v29, 31, v33
	v_lshlrev_b32_e32 v32, 25, v2
	v_ashrrev_i32_e32 v25, 31, v25
	v_mul_lo_u32 v23, 0x84, v2
	v_xor_b32_e32 v24, vcc_lo, v24
	v_cmp_gt_i32_e32 vcc_lo, 0, v27
	v_not_b32_e32 v27, v28
	v_xor_b32_e32 v29, s4, v29
	v_cmp_gt_i32_e64 s4, 0, v28
	v_and_b32_e32 v24, exec_lo, v24
	v_not_b32_e32 v28, v30
	v_ashrrev_i32_e32 v27, 31, v27
	v_xor_b32_e32 v25, vcc_lo, v25
	v_cmp_gt_i32_e32 vcc_lo, 0, v30
	v_and_b32_e32 v24, v24, v29
	v_not_b32_e32 v29, v31
	v_ashrrev_i32_e32 v28, 31, v28
	v_xor_b32_e32 v27, s4, v27
	v_lshlrev_b32_e32 v2, 24, v2
	v_and_b32_e32 v24, v24, v25
	v_cmp_gt_i32_e64 s4, 0, v31
	v_not_b32_e32 v25, v32
	v_ashrrev_i32_e32 v29, 31, v29
	v_xor_b32_e32 v28, vcc_lo, v28
	v_and_b32_e32 v24, v24, v27
	v_cmp_gt_i32_e32 vcc_lo, 0, v32
	v_not_b32_e32 v27, v2
	v_ashrrev_i32_e32 v25, 31, v25
	v_xor_b32_e32 v29, s4, v29
	v_and_b32_e32 v24, v24, v28
	v_cmp_gt_i32_e64 s4, 0, v2
	v_ashrrev_i32_e32 v2, 31, v27
	v_xor_b32_e32 v25, vcc_lo, v25
	v_lshl_add_u32 v30, v1, 2, v23
	v_and_b32_e32 v24, v24, v29
	v_xor_b32_e32 v2, s4, v2
	ds_read_b32 v23, v30 offset:128
	v_and_b32_e32 v24, v24, v25
	; wave barrier
	v_and_b32_e32 v2, v24, v2
	v_mbcnt_lo_u32_b32 v24, v2, 0
	v_cmp_ne_u32_e64 s4, 0, v2
	v_cmp_eq_u32_e32 vcc_lo, 0, v24
	s_and_b32 s5, s4, vcc_lo
	s_and_saveexec_b32 s4, s5
	s_cbranch_execz .LBB1025_143
; %bb.142:
	s_waitcnt lgkmcnt(0)
	v_bcnt_u32_b32 v2, v2, v23
	ds_write_b32 v30, v2 offset:128
.LBB1025_143:
	s_or_b32 exec_lo, exec_lo, s4
	v_xor_b32_e32 v15, 0x7fffffff, v15
	; wave barrier
	v_lshrrev_b32_e32 v2, s44, v15
	v_and_b32_e32 v2, s14, v2
	v_and_b32_e32 v27, 1, v2
	v_lshlrev_b32_e32 v28, 30, v2
	v_lshlrev_b32_e32 v29, 29, v2
	;; [unrolled: 1-line block ×4, first 2 shown]
	v_add_co_u32 v27, s4, v27, -1
	v_cndmask_b32_e64 v32, 0, 1, s4
	v_not_b32_e32 v36, v28
	v_cmp_gt_i32_e64 s4, 0, v28
	v_not_b32_e32 v28, v29
	v_lshlrev_b32_e32 v34, 26, v2
	v_cmp_ne_u32_e32 vcc_lo, 0, v32
	v_ashrrev_i32_e32 v32, 31, v36
	v_lshlrev_b32_e32 v35, 25, v2
	v_ashrrev_i32_e32 v28, 31, v28
	v_mul_lo_u32 v25, 0x84, v2
	v_xor_b32_e32 v27, vcc_lo, v27
	v_cmp_gt_i32_e32 vcc_lo, 0, v29
	v_not_b32_e32 v29, v31
	v_xor_b32_e32 v32, s4, v32
	v_cmp_gt_i32_e64 s4, 0, v31
	v_and_b32_e32 v27, exec_lo, v27
	v_not_b32_e32 v31, v33
	v_ashrrev_i32_e32 v29, 31, v29
	v_xor_b32_e32 v28, vcc_lo, v28
	v_cmp_gt_i32_e32 vcc_lo, 0, v33
	v_and_b32_e32 v27, v27, v32
	v_not_b32_e32 v32, v34
	v_ashrrev_i32_e32 v31, 31, v31
	v_xor_b32_e32 v29, s4, v29
	v_lshlrev_b32_e32 v2, 24, v2
	v_and_b32_e32 v27, v27, v28
	v_cmp_gt_i32_e64 s4, 0, v34
	v_not_b32_e32 v28, v35
	v_ashrrev_i32_e32 v32, 31, v32
	v_xor_b32_e32 v31, vcc_lo, v31
	v_and_b32_e32 v27, v27, v29
	v_cmp_gt_i32_e32 vcc_lo, 0, v35
	v_not_b32_e32 v29, v2
	v_ashrrev_i32_e32 v28, 31, v28
	v_xor_b32_e32 v32, s4, v32
	v_and_b32_e32 v27, v27, v31
	v_cmp_gt_i32_e64 s4, 0, v2
	v_ashrrev_i32_e32 v2, 31, v29
	v_xor_b32_e32 v28, vcc_lo, v28
	v_lshl_add_u32 v34, v1, 2, v25
	v_and_b32_e32 v27, v27, v32
	v_xor_b32_e32 v2, s4, v2
	v_and_b32_e32 v25, v27, v28
	ds_read_b32 v27, v34 offset:128
	; wave barrier
	v_and_b32_e32 v2, v25, v2
	v_mbcnt_lo_u32_b32 v28, v2, 0
	v_cmp_ne_u32_e64 s4, 0, v2
	v_cmp_eq_u32_e32 vcc_lo, 0, v28
	s_and_b32 s5, s4, vcc_lo
	s_and_saveexec_b32 s4, s5
	s_cbranch_execz .LBB1025_145
; %bb.144:
	s_waitcnt lgkmcnt(0)
	v_bcnt_u32_b32 v2, v2, v27
	ds_write_b32 v34, v2 offset:128
.LBB1025_145:
	s_or_b32 exec_lo, exec_lo, s4
	v_xor_b32_e32 v17, 0x7fffffff, v17
	; wave barrier
	v_lshrrev_b32_e32 v2, s44, v17
	v_and_b32_e32 v2, s14, v2
	v_and_b32_e32 v29, 1, v2
	v_lshlrev_b32_e32 v31, 30, v2
	v_lshlrev_b32_e32 v32, 29, v2
	;; [unrolled: 1-line block ×4, first 2 shown]
	v_add_co_u32 v29, s4, v29, -1
	v_cndmask_b32_e64 v35, 0, 1, s4
	v_not_b32_e32 v39, v31
	v_cmp_gt_i32_e64 s4, 0, v31
	v_not_b32_e32 v31, v32
	v_lshlrev_b32_e32 v37, 26, v2
	v_cmp_ne_u32_e32 vcc_lo, 0, v35
	v_ashrrev_i32_e32 v35, 31, v39
	v_lshlrev_b32_e32 v38, 25, v2
	v_ashrrev_i32_e32 v31, 31, v31
	v_mul_lo_u32 v25, 0x84, v2
	v_xor_b32_e32 v29, vcc_lo, v29
	v_cmp_gt_i32_e32 vcc_lo, 0, v32
	v_not_b32_e32 v32, v33
	v_xor_b32_e32 v35, s4, v35
	v_cmp_gt_i32_e64 s4, 0, v33
	v_and_b32_e32 v29, exec_lo, v29
	v_not_b32_e32 v33, v36
	v_ashrrev_i32_e32 v32, 31, v32
	v_xor_b32_e32 v31, vcc_lo, v31
	v_cmp_gt_i32_e32 vcc_lo, 0, v36
	v_and_b32_e32 v29, v29, v35
	v_not_b32_e32 v35, v37
	v_ashrrev_i32_e32 v33, 31, v33
	v_xor_b32_e32 v32, s4, v32
	v_lshlrev_b32_e32 v2, 24, v2
	v_and_b32_e32 v29, v29, v31
	v_cmp_gt_i32_e64 s4, 0, v37
	v_not_b32_e32 v31, v38
	v_ashrrev_i32_e32 v35, 31, v35
	v_xor_b32_e32 v33, vcc_lo, v33
	v_and_b32_e32 v29, v29, v32
	v_cmp_gt_i32_e32 vcc_lo, 0, v38
	v_not_b32_e32 v32, v2
	v_ashrrev_i32_e32 v31, 31, v31
	v_xor_b32_e32 v35, s4, v35
	v_and_b32_e32 v29, v29, v33
	v_cmp_gt_i32_e64 s4, 0, v2
	v_ashrrev_i32_e32 v2, 31, v32
	v_xor_b32_e32 v31, vcc_lo, v31
	v_lshl_add_u32 v38, v1, 2, v25
	v_and_b32_e32 v29, v29, v35
	v_xor_b32_e32 v2, s4, v2
	v_and_b32_e32 v25, v29, v31
	ds_read_b32 v31, v38 offset:128
	; wave barrier
	v_and_b32_e32 v2, v25, v2
	v_mbcnt_lo_u32_b32 v32, v2, 0
	v_cmp_ne_u32_e64 s4, 0, v2
	v_cmp_eq_u32_e32 vcc_lo, 0, v32
	s_and_b32 s5, s4, vcc_lo
	s_and_saveexec_b32 s4, s5
	s_cbranch_execz .LBB1025_147
; %bb.146:
	s_waitcnt lgkmcnt(0)
	v_bcnt_u32_b32 v2, v2, v31
	ds_write_b32 v38, v2 offset:128
.LBB1025_147:
	s_or_b32 exec_lo, exec_lo, s4
	v_xor_b32_e32 v20, 0x7fffffff, v20
	; wave barrier
	v_lshrrev_b32_e32 v2, s44, v20
	v_and_b32_e32 v2, s14, v2
	v_and_b32_e32 v29, 1, v2
	v_lshlrev_b32_e32 v33, 30, v2
	v_lshlrev_b32_e32 v35, 29, v2
	;; [unrolled: 1-line block ×4, first 2 shown]
	v_add_co_u32 v29, s4, v29, -1
	v_cndmask_b32_e64 v37, 0, 1, s4
	v_not_b32_e32 v42, v33
	v_cmp_gt_i32_e64 s4, 0, v33
	v_not_b32_e32 v33, v35
	v_lshlrev_b32_e32 v40, 26, v2
	v_cmp_ne_u32_e32 vcc_lo, 0, v37
	v_ashrrev_i32_e32 v37, 31, v42
	v_lshlrev_b32_e32 v41, 25, v2
	v_ashrrev_i32_e32 v33, 31, v33
	v_mul_lo_u32 v25, 0x84, v2
	v_xor_b32_e32 v29, vcc_lo, v29
	v_cmp_gt_i32_e32 vcc_lo, 0, v35
	v_not_b32_e32 v35, v36
	v_xor_b32_e32 v37, s4, v37
	v_cmp_gt_i32_e64 s4, 0, v36
	v_and_b32_e32 v29, exec_lo, v29
	v_not_b32_e32 v36, v39
	v_ashrrev_i32_e32 v35, 31, v35
	v_xor_b32_e32 v33, vcc_lo, v33
	v_cmp_gt_i32_e32 vcc_lo, 0, v39
	v_and_b32_e32 v29, v29, v37
	v_not_b32_e32 v37, v40
	v_ashrrev_i32_e32 v36, 31, v36
	v_xor_b32_e32 v35, s4, v35
	v_lshlrev_b32_e32 v2, 24, v2
	v_and_b32_e32 v29, v29, v33
	v_cmp_gt_i32_e64 s4, 0, v40
	v_not_b32_e32 v33, v41
	v_ashrrev_i32_e32 v37, 31, v37
	v_xor_b32_e32 v36, vcc_lo, v36
	v_and_b32_e32 v29, v29, v35
	v_cmp_gt_i32_e32 vcc_lo, 0, v41
	v_not_b32_e32 v35, v2
	v_ashrrev_i32_e32 v33, 31, v33
	v_xor_b32_e32 v37, s4, v37
	v_and_b32_e32 v29, v29, v36
	v_cmp_gt_i32_e64 s4, 0, v2
	v_ashrrev_i32_e32 v2, 31, v35
	v_xor_b32_e32 v33, vcc_lo, v33
	v_lshl_add_u32 v43, v1, 2, v25
	v_and_b32_e32 v29, v29, v37
	v_xor_b32_e32 v2, s4, v2
	ds_read_b32 v35, v43 offset:128
	v_and_b32_e32 v25, v29, v33
	; wave barrier
	v_and_b32_e32 v2, v25, v2
	v_mbcnt_lo_u32_b32 v36, v2, 0
	v_cmp_ne_u32_e64 s4, 0, v2
	v_cmp_eq_u32_e32 vcc_lo, 0, v36
	s_and_b32 s5, s4, vcc_lo
	s_and_saveexec_b32 s4, s5
	s_cbranch_execz .LBB1025_149
; %bb.148:
	s_waitcnt lgkmcnt(0)
	v_bcnt_u32_b32 v2, v2, v35
	ds_write_b32 v43, v2 offset:128
.LBB1025_149:
	s_or_b32 exec_lo, exec_lo, s4
	v_xor_b32_e32 v25, 0x7fffffff, v8
	; wave barrier
	v_lshrrev_b32_e32 v2, s44, v25
	v_and_b32_e32 v2, s14, v2
	v_and_b32_e32 v29, 1, v2
	v_lshlrev_b32_e32 v33, 30, v2
	v_lshlrev_b32_e32 v37, 29, v2
	;; [unrolled: 1-line block ×4, first 2 shown]
	v_add_co_u32 v29, s4, v29, -1
	v_cndmask_b32_e64 v40, 0, 1, s4
	v_not_b32_e32 v45, v33
	v_cmp_gt_i32_e64 s4, 0, v33
	v_not_b32_e32 v33, v37
	v_lshlrev_b32_e32 v42, 26, v2
	v_cmp_ne_u32_e32 vcc_lo, 0, v40
	v_ashrrev_i32_e32 v40, 31, v45
	v_lshlrev_b32_e32 v44, 25, v2
	v_ashrrev_i32_e32 v33, 31, v33
	v_mul_lo_u32 v8, 0x84, v2
	v_xor_b32_e32 v29, vcc_lo, v29
	v_cmp_gt_i32_e32 vcc_lo, 0, v37
	v_not_b32_e32 v37, v39
	v_xor_b32_e32 v40, s4, v40
	v_cmp_gt_i32_e64 s4, 0, v39
	v_and_b32_e32 v29, exec_lo, v29
	v_not_b32_e32 v39, v41
	v_ashrrev_i32_e32 v37, 31, v37
	v_xor_b32_e32 v33, vcc_lo, v33
	v_cmp_gt_i32_e32 vcc_lo, 0, v41
	v_and_b32_e32 v29, v29, v40
	v_not_b32_e32 v40, v42
	v_ashrrev_i32_e32 v39, 31, v39
	v_xor_b32_e32 v37, s4, v37
	v_lshlrev_b32_e32 v2, 24, v2
	v_and_b32_e32 v29, v29, v33
	v_cmp_gt_i32_e64 s4, 0, v42
	v_not_b32_e32 v33, v44
	v_ashrrev_i32_e32 v40, 31, v40
	v_xor_b32_e32 v39, vcc_lo, v39
	v_and_b32_e32 v29, v29, v37
	v_cmp_gt_i32_e32 vcc_lo, 0, v44
	v_not_b32_e32 v37, v2
	v_ashrrev_i32_e32 v33, 31, v33
	v_xor_b32_e32 v40, s4, v40
	v_and_b32_e32 v29, v29, v39
	v_cmp_gt_i32_e64 s4, 0, v2
	v_ashrrev_i32_e32 v2, 31, v37
	v_xor_b32_e32 v33, vcc_lo, v33
	v_lshl_add_u32 v47, v1, 2, v8
	v_and_b32_e32 v29, v29, v40
	v_xor_b32_e32 v2, s4, v2
	ds_read_b32 v39, v47 offset:128
	v_and_b32_e32 v8, v29, v33
	; wave barrier
	v_and_b32_e32 v2, v8, v2
	v_mbcnt_lo_u32_b32 v41, v2, 0
	v_cmp_ne_u32_e64 s4, 0, v2
	v_cmp_eq_u32_e32 vcc_lo, 0, v41
	s_and_b32 s5, s4, vcc_lo
	s_and_saveexec_b32 s4, s5
	s_cbranch_execz .LBB1025_151
; %bb.150:
	s_waitcnt lgkmcnt(0)
	v_bcnt_u32_b32 v2, v2, v39
	ds_write_b32 v47, v2 offset:128
.LBB1025_151:
	s_or_b32 exec_lo, exec_lo, s4
	v_xor_b32_e32 v29, 0x7fffffff, v7
	; wave barrier
	v_lshrrev_b32_e32 v2, s44, v29
	v_and_b32_e32 v2, s14, v2
	v_and_b32_e32 v8, 1, v2
	v_lshlrev_b32_e32 v33, 30, v2
	v_lshlrev_b32_e32 v37, 29, v2
	;; [unrolled: 1-line block ×4, first 2 shown]
	v_add_co_u32 v8, s4, v8, -1
	v_cndmask_b32_e64 v42, 0, 1, s4
	v_not_b32_e32 v48, v33
	v_cmp_gt_i32_e64 s4, 0, v33
	v_not_b32_e32 v33, v37
	v_lshlrev_b32_e32 v45, 26, v2
	v_cmp_ne_u32_e32 vcc_lo, 0, v42
	v_ashrrev_i32_e32 v42, 31, v48
	v_lshlrev_b32_e32 v46, 25, v2
	v_ashrrev_i32_e32 v33, 31, v33
	v_mul_lo_u32 v7, 0x84, v2
	v_xor_b32_e32 v8, vcc_lo, v8
	v_cmp_gt_i32_e32 vcc_lo, 0, v37
	v_not_b32_e32 v37, v40
	v_xor_b32_e32 v42, s4, v42
	v_cmp_gt_i32_e64 s4, 0, v40
	v_and_b32_e32 v8, exec_lo, v8
	v_not_b32_e32 v40, v44
	v_ashrrev_i32_e32 v37, 31, v37
	v_xor_b32_e32 v33, vcc_lo, v33
	v_cmp_gt_i32_e32 vcc_lo, 0, v44
	v_and_b32_e32 v8, v8, v42
	v_not_b32_e32 v42, v45
	v_ashrrev_i32_e32 v40, 31, v40
	v_xor_b32_e32 v37, s4, v37
	v_lshlrev_b32_e32 v2, 24, v2
	v_and_b32_e32 v8, v8, v33
	v_cmp_gt_i32_e64 s4, 0, v45
	v_not_b32_e32 v33, v46
	v_ashrrev_i32_e32 v42, 31, v42
	v_xor_b32_e32 v40, vcc_lo, v40
	v_and_b32_e32 v8, v8, v37
	v_cmp_gt_i32_e32 vcc_lo, 0, v46
	v_not_b32_e32 v37, v2
	v_ashrrev_i32_e32 v33, 31, v33
	v_xor_b32_e32 v42, s4, v42
	v_and_b32_e32 v8, v8, v40
	v_cmp_gt_i32_e64 s4, 0, v2
	v_ashrrev_i32_e32 v2, 31, v37
	v_xor_b32_e32 v33, vcc_lo, v33
	v_lshl_add_u32 v50, v1, 2, v7
	v_and_b32_e32 v8, v8, v42
	v_xor_b32_e32 v2, s4, v2
	ds_read_b32 v44, v50 offset:128
	v_and_b32_e32 v7, v8, v33
	; wave barrier
	v_and_b32_e32 v2, v7, v2
	v_mbcnt_lo_u32_b32 v45, v2, 0
	v_cmp_ne_u32_e64 s4, 0, v2
	v_cmp_eq_u32_e32 vcc_lo, 0, v45
	s_and_b32 s5, s4, vcc_lo
	s_and_saveexec_b32 s4, s5
	s_cbranch_execz .LBB1025_153
; %bb.152:
	s_waitcnt lgkmcnt(0)
	v_bcnt_u32_b32 v2, v2, v44
	ds_write_b32 v50, v2 offset:128
.LBB1025_153:
	s_or_b32 exec_lo, exec_lo, s4
	v_xor_b32_e32 v33, 0x7fffffff, v6
	; wave barrier
	v_lshrrev_b32_e32 v2, s44, v33
	v_and_b32_e32 v2, s14, v2
	v_and_b32_e32 v7, 1, v2
	v_lshlrev_b32_e32 v8, 30, v2
	v_lshlrev_b32_e32 v37, 29, v2
	v_lshlrev_b32_e32 v40, 28, v2
	v_lshlrev_b32_e32 v46, 27, v2
	v_add_co_u32 v7, s4, v7, -1
	v_cndmask_b32_e64 v42, 0, 1, s4
	v_not_b32_e32 v51, v8
	v_cmp_gt_i32_e64 s4, 0, v8
	v_not_b32_e32 v8, v37
	v_lshlrev_b32_e32 v48, 26, v2
	v_cmp_ne_u32_e32 vcc_lo, 0, v42
	v_ashrrev_i32_e32 v42, 31, v51
	v_lshlrev_b32_e32 v49, 25, v2
	v_ashrrev_i32_e32 v8, 31, v8
	v_mul_lo_u32 v6, 0x84, v2
	v_xor_b32_e32 v7, vcc_lo, v7
	v_cmp_gt_i32_e32 vcc_lo, 0, v37
	v_not_b32_e32 v37, v40
	v_xor_b32_e32 v42, s4, v42
	v_cmp_gt_i32_e64 s4, 0, v40
	v_and_b32_e32 v7, exec_lo, v7
	v_not_b32_e32 v40, v46
	v_ashrrev_i32_e32 v37, 31, v37
	v_xor_b32_e32 v8, vcc_lo, v8
	v_cmp_gt_i32_e32 vcc_lo, 0, v46
	v_and_b32_e32 v7, v7, v42
	v_not_b32_e32 v42, v48
	v_ashrrev_i32_e32 v40, 31, v40
	v_xor_b32_e32 v37, s4, v37
	v_lshlrev_b32_e32 v2, 24, v2
	v_and_b32_e32 v7, v7, v8
	v_cmp_gt_i32_e64 s4, 0, v48
	v_not_b32_e32 v8, v49
	v_ashrrev_i32_e32 v42, 31, v42
	v_xor_b32_e32 v40, vcc_lo, v40
	v_and_b32_e32 v7, v7, v37
	v_cmp_gt_i32_e32 vcc_lo, 0, v49
	v_not_b32_e32 v37, v2
	v_ashrrev_i32_e32 v8, 31, v8
	v_xor_b32_e32 v42, s4, v42
	v_and_b32_e32 v7, v7, v40
	v_cmp_gt_i32_e64 s4, 0, v2
	v_ashrrev_i32_e32 v2, 31, v37
	v_xor_b32_e32 v8, vcc_lo, v8
	v_lshl_add_u32 v53, v1, 2, v6
	v_and_b32_e32 v7, v7, v42
	v_xor_b32_e32 v2, s4, v2
	ds_read_b32 v48, v53 offset:128
	v_and_b32_e32 v6, v7, v8
	; wave barrier
	v_and_b32_e32 v2, v6, v2
	v_mbcnt_lo_u32_b32 v49, v2, 0
	v_cmp_ne_u32_e64 s4, 0, v2
	v_cmp_eq_u32_e32 vcc_lo, 0, v49
	s_and_b32 s5, s4, vcc_lo
	s_and_saveexec_b32 s4, s5
	s_cbranch_execz .LBB1025_155
; %bb.154:
	s_waitcnt lgkmcnt(0)
	v_bcnt_u32_b32 v2, v2, v48
	ds_write_b32 v53, v2 offset:128
.LBB1025_155:
	s_or_b32 exec_lo, exec_lo, s4
	v_xor_b32_e32 v37, 0x7fffffff, v5
	; wave barrier
	v_lshrrev_b32_e32 v2, s44, v37
	v_and_b32_e32 v2, s14, v2
	v_and_b32_e32 v6, 1, v2
	v_lshlrev_b32_e32 v7, 30, v2
	v_lshlrev_b32_e32 v8, 29, v2
	;; [unrolled: 1-line block ×4, first 2 shown]
	v_add_co_u32 v6, s4, v6, -1
	v_cndmask_b32_e64 v42, 0, 1, s4
	v_not_b32_e32 v54, v7
	v_cmp_gt_i32_e64 s4, 0, v7
	v_not_b32_e32 v7, v8
	v_lshlrev_b32_e32 v51, 26, v2
	v_cmp_ne_u32_e32 vcc_lo, 0, v42
	v_ashrrev_i32_e32 v42, 31, v54
	v_lshlrev_b32_e32 v52, 25, v2
	v_ashrrev_i32_e32 v7, 31, v7
	v_mul_lo_u32 v5, 0x84, v2
	v_xor_b32_e32 v6, vcc_lo, v6
	v_cmp_gt_i32_e32 vcc_lo, 0, v8
	v_not_b32_e32 v8, v40
	v_xor_b32_e32 v42, s4, v42
	v_cmp_gt_i32_e64 s4, 0, v40
	v_and_b32_e32 v6, exec_lo, v6
	v_not_b32_e32 v40, v46
	v_ashrrev_i32_e32 v8, 31, v8
	v_xor_b32_e32 v7, vcc_lo, v7
	v_cmp_gt_i32_e32 vcc_lo, 0, v46
	v_and_b32_e32 v6, v6, v42
	v_not_b32_e32 v42, v51
	v_ashrrev_i32_e32 v40, 31, v40
	v_xor_b32_e32 v8, s4, v8
	v_lshlrev_b32_e32 v2, 24, v2
	v_and_b32_e32 v6, v6, v7
	v_cmp_gt_i32_e64 s4, 0, v51
	v_not_b32_e32 v7, v52
	v_ashrrev_i32_e32 v42, 31, v42
	v_xor_b32_e32 v40, vcc_lo, v40
	v_and_b32_e32 v6, v6, v8
	v_cmp_gt_i32_e32 vcc_lo, 0, v52
	v_not_b32_e32 v8, v2
	v_ashrrev_i32_e32 v7, 31, v7
	v_xor_b32_e32 v42, s4, v42
	v_and_b32_e32 v6, v6, v40
	v_cmp_gt_i32_e64 s4, 0, v2
	v_ashrrev_i32_e32 v2, 31, v8
	v_xor_b32_e32 v7, vcc_lo, v7
	v_lshl_add_u32 v56, v1, 2, v5
	v_and_b32_e32 v6, v6, v42
	v_xor_b32_e32 v2, s4, v2
	ds_read_b32 v51, v56 offset:128
	v_and_b32_e32 v5, v6, v7
	; wave barrier
	v_and_b32_e32 v2, v5, v2
	v_mbcnt_lo_u32_b32 v52, v2, 0
	v_cmp_ne_u32_e64 s4, 0, v2
	v_cmp_eq_u32_e32 vcc_lo, 0, v52
	s_and_b32 s5, s4, vcc_lo
	s_and_saveexec_b32 s4, s5
	s_cbranch_execz .LBB1025_157
; %bb.156:
	s_waitcnt lgkmcnt(0)
	v_bcnt_u32_b32 v2, v2, v51
	ds_write_b32 v56, v2 offset:128
.LBB1025_157:
	s_or_b32 exec_lo, exec_lo, s4
	v_xor_b32_e32 v42, 0x7fffffff, v4
	; wave barrier
	v_lshrrev_b32_e32 v2, s44, v42
	v_and_b32_e32 v2, s14, v2
	v_and_b32_e32 v5, 1, v2
	v_lshlrev_b32_e32 v6, 30, v2
	v_lshlrev_b32_e32 v7, 29, v2
	v_lshlrev_b32_e32 v8, 28, v2
	v_lshlrev_b32_e32 v46, 27, v2
	v_add_co_u32 v5, s4, v5, -1
	v_cndmask_b32_e64 v40, 0, 1, s4
	v_not_b32_e32 v57, v6
	v_cmp_gt_i32_e64 s4, 0, v6
	v_not_b32_e32 v6, v7
	v_lshlrev_b32_e32 v54, 26, v2
	v_cmp_ne_u32_e32 vcc_lo, 0, v40
	v_ashrrev_i32_e32 v40, 31, v57
	v_lshlrev_b32_e32 v55, 25, v2
	v_ashrrev_i32_e32 v6, 31, v6
	v_mul_lo_u32 v4, 0x84, v2
	v_xor_b32_e32 v5, vcc_lo, v5
	v_cmp_gt_i32_e32 vcc_lo, 0, v7
	v_not_b32_e32 v7, v8
	v_xor_b32_e32 v40, s4, v40
	v_cmp_gt_i32_e64 s4, 0, v8
	v_and_b32_e32 v5, exec_lo, v5
	v_not_b32_e32 v8, v46
	v_ashrrev_i32_e32 v7, 31, v7
	v_xor_b32_e32 v6, vcc_lo, v6
	v_cmp_gt_i32_e32 vcc_lo, 0, v46
	v_and_b32_e32 v5, v5, v40
	v_not_b32_e32 v40, v54
	v_ashrrev_i32_e32 v8, 31, v8
	v_xor_b32_e32 v7, s4, v7
	v_lshlrev_b32_e32 v2, 24, v2
	v_and_b32_e32 v5, v5, v6
	v_cmp_gt_i32_e64 s4, 0, v54
	v_not_b32_e32 v6, v55
	v_ashrrev_i32_e32 v40, 31, v40
	v_xor_b32_e32 v8, vcc_lo, v8
	v_and_b32_e32 v5, v5, v7
	v_cmp_gt_i32_e32 vcc_lo, 0, v55
	v_not_b32_e32 v7, v2
	v_ashrrev_i32_e32 v6, 31, v6
	v_xor_b32_e32 v40, s4, v40
	v_and_b32_e32 v5, v5, v8
	v_cmp_gt_i32_e64 s4, 0, v2
	v_ashrrev_i32_e32 v2, 31, v7
	v_xor_b32_e32 v6, vcc_lo, v6
	v_lshl_add_u32 v59, v1, 2, v4
	v_and_b32_e32 v5, v5, v40
	v_xor_b32_e32 v2, s4, v2
	ds_read_b32 v54, v59 offset:128
	v_and_b32_e32 v4, v5, v6
	; wave barrier
	v_and_b32_e32 v2, v4, v2
	v_mbcnt_lo_u32_b32 v55, v2, 0
	v_cmp_ne_u32_e64 s4, 0, v2
	v_cmp_eq_u32_e32 vcc_lo, 0, v55
	s_and_b32 s5, s4, vcc_lo
	s_and_saveexec_b32 s4, s5
	s_cbranch_execz .LBB1025_159
; %bb.158:
	s_waitcnt lgkmcnt(0)
	v_bcnt_u32_b32 v2, v2, v54
	ds_write_b32 v59, v2 offset:128
.LBB1025_159:
	s_or_b32 exec_lo, exec_lo, s4
	v_xor_b32_e32 v46, 0x7fffffff, v3
	; wave barrier
	v_lshrrev_b32_e32 v2, s44, v46
	v_and_b32_e32 v2, s14, v2
	v_and_b32_e32 v4, 1, v2
	v_lshlrev_b32_e32 v5, 30, v2
	v_lshlrev_b32_e32 v6, 29, v2
	;; [unrolled: 1-line block ×4, first 2 shown]
	v_add_co_u32 v4, s4, v4, -1
	v_cndmask_b32_e64 v8, 0, 1, s4
	v_not_b32_e32 v60, v5
	v_cmp_gt_i32_e64 s4, 0, v5
	v_not_b32_e32 v5, v6
	v_lshlrev_b32_e32 v57, 26, v2
	v_cmp_ne_u32_e32 vcc_lo, 0, v8
	v_ashrrev_i32_e32 v8, 31, v60
	v_lshlrev_b32_e32 v58, 25, v2
	v_ashrrev_i32_e32 v5, 31, v5
	v_mul_lo_u32 v3, 0x84, v2
	v_xor_b32_e32 v4, vcc_lo, v4
	v_cmp_gt_i32_e32 vcc_lo, 0, v6
	v_not_b32_e32 v6, v7
	v_xor_b32_e32 v8, s4, v8
	v_cmp_gt_i32_e64 s4, 0, v7
	v_and_b32_e32 v4, exec_lo, v4
	v_not_b32_e32 v7, v40
	v_ashrrev_i32_e32 v6, 31, v6
	v_xor_b32_e32 v5, vcc_lo, v5
	v_cmp_gt_i32_e32 vcc_lo, 0, v40
	v_and_b32_e32 v4, v4, v8
	v_not_b32_e32 v8, v57
	v_ashrrev_i32_e32 v7, 31, v7
	v_xor_b32_e32 v6, s4, v6
	v_lshlrev_b32_e32 v2, 24, v2
	v_and_b32_e32 v4, v4, v5
	v_cmp_gt_i32_e64 s4, 0, v57
	v_not_b32_e32 v5, v58
	v_ashrrev_i32_e32 v8, 31, v8
	v_xor_b32_e32 v7, vcc_lo, v7
	v_and_b32_e32 v4, v4, v6
	v_cmp_gt_i32_e32 vcc_lo, 0, v58
	v_not_b32_e32 v6, v2
	v_ashrrev_i32_e32 v5, 31, v5
	v_xor_b32_e32 v8, s4, v8
	v_and_b32_e32 v4, v4, v7
	v_cmp_gt_i32_e64 s4, 0, v2
	v_ashrrev_i32_e32 v2, 31, v6
	v_xor_b32_e32 v5, vcc_lo, v5
	v_lshl_add_u32 v60, v1, 2, v3
	v_and_b32_e32 v4, v4, v8
	v_xor_b32_e32 v1, s4, v2
	ds_read_b32 v57, v60 offset:128
	v_and_b32_e32 v2, v4, v5
	; wave barrier
	v_and_b32_e32 v1, v2, v1
	v_mbcnt_lo_u32_b32 v58, v1, 0
	v_cmp_ne_u32_e64 s4, 0, v1
	v_cmp_eq_u32_e32 vcc_lo, 0, v58
	s_and_b32 s5, s4, vcc_lo
	s_and_saveexec_b32 s4, s5
	s_cbranch_execz .LBB1025_161
; %bb.160:
	s_waitcnt lgkmcnt(0)
	v_bcnt_u32_b32 v1, v1, v57
	ds_write_b32 v60, v1 offset:128
.LBB1025_161:
	s_or_b32 exec_lo, exec_lo, s4
	; wave barrier
	s_waitcnt lgkmcnt(0)
	s_barrier
	buffer_gl0_inv
	ds_read2_b32 v[7:8], v21 offset0:32 offset1:33
	ds_read2_b32 v[5:6], v21 offset0:34 offset1:35
	;; [unrolled: 1-line block ×4, first 2 shown]
	ds_read_b32 v40, v21 offset:160
	v_and_b32_e32 v63, 16, v11
	v_and_b32_e32 v64, 31, v0
	s_mov_b32 s10, exec_lo
	v_cmp_eq_u32_e64 s8, 0, v63
	s_waitcnt lgkmcnt(3)
	v_add3_u32 v61, v8, v7, v5
	s_waitcnt lgkmcnt(2)
	v_add3_u32 v61, v61, v6, v3
	;; [unrolled: 2-line block ×4, first 2 shown]
	v_and_b32_e32 v61, 15, v11
	v_mov_b32_dpp v62, v40 row_shr:1 row_mask:0xf bank_mask:0xf
	v_cmp_eq_u32_e32 vcc_lo, 0, v61
	v_cmp_lt_u32_e64 s4, 1, v61
	v_cmp_lt_u32_e64 s5, 3, v61
	;; [unrolled: 1-line block ×3, first 2 shown]
	v_cndmask_b32_e64 v62, v62, 0, vcc_lo
	v_add_nc_u32_e32 v40, v62, v40
	v_mov_b32_dpp v62, v40 row_shr:2 row_mask:0xf bank_mask:0xf
	v_cndmask_b32_e64 v62, 0, v62, s4
	v_add_nc_u32_e32 v40, v40, v62
	v_mov_b32_dpp v62, v40 row_shr:4 row_mask:0xf bank_mask:0xf
	v_cndmask_b32_e64 v62, 0, v62, s5
	;; [unrolled: 3-line block ×3, first 2 shown]
	v_bfe_i32 v62, v11, 4, 1
	v_add_nc_u32_e32 v40, v40, v61
	ds_swizzle_b32 v61, v40 offset:swizzle(BROADCAST,32,15)
	s_waitcnt lgkmcnt(0)
	v_and_b32_e32 v61, v62, v61
	v_lshrrev_b32_e32 v62, 5, v0
	v_add_nc_u32_e32 v61, v40, v61
	v_cmpx_eq_u32_e32 31, v64
; %bb.162:
	v_lshlrev_b32_e32 v40, 2, v62
	ds_write_b32 v40, v61
; %bb.163:
	s_or_b32 exec_lo, exec_lo, s10
	v_cmp_lt_u32_e64 s9, 31, v0
	v_lshlrev_b32_e32 v40, 2, v0
	s_mov_b32 s15, exec_lo
	s_waitcnt lgkmcnt(0)
	s_barrier
	buffer_gl0_inv
	v_cmpx_gt_u32_e32 32, v0
	s_cbranch_execz .LBB1025_165
; %bb.164:
	ds_read_b32 v63, v40
	s_waitcnt lgkmcnt(0)
	v_mov_b32_dpp v64, v63 row_shr:1 row_mask:0xf bank_mask:0xf
	v_cndmask_b32_e64 v64, v64, 0, vcc_lo
	v_add_nc_u32_e32 v63, v64, v63
	v_mov_b32_dpp v64, v63 row_shr:2 row_mask:0xf bank_mask:0xf
	v_cndmask_b32_e64 v64, 0, v64, s4
	v_add_nc_u32_e32 v63, v63, v64
	v_mov_b32_dpp v64, v63 row_shr:4 row_mask:0xf bank_mask:0xf
	v_cndmask_b32_e64 v64, 0, v64, s5
	;; [unrolled: 3-line block ×3, first 2 shown]
	v_add_nc_u32_e32 v63, v63, v64
	ds_swizzle_b32 v64, v63 offset:swizzle(BROADCAST,32,15)
	s_waitcnt lgkmcnt(0)
	v_cndmask_b32_e64 v64, v64, 0, s8
	v_add_nc_u32_e32 v63, v63, v64
	ds_write_b32 v40, v63
.LBB1025_165:
	s_or_b32 exec_lo, exec_lo, s15
	v_mov_b32_e32 v63, 0
	s_waitcnt lgkmcnt(0)
	s_barrier
	buffer_gl0_inv
	s_and_saveexec_b32 s4, s9
; %bb.166:
	v_lshl_add_u32 v62, v62, 2, -4
	ds_read_b32 v63, v62
; %bb.167:
	s_or_b32 exec_lo, exec_lo, s4
	v_sub_co_u32 v62, vcc_lo, v11, 1
	s_waitcnt lgkmcnt(0)
	v_add_nc_u32_e32 v61, v63, v61
	v_cmp_gt_i32_e64 s4, 0, v62
	v_cndmask_b32_e64 v11, v62, v11, s4
	v_cmp_lt_u32_e64 s4, 0xff, v0
	v_lshlrev_b32_e32 v11, 2, v11
	ds_bpermute_b32 v11, v11, v61
	s_waitcnt lgkmcnt(0)
	v_cndmask_b32_e32 v11, v11, v63, vcc_lo
	v_cmp_gt_u32_e32 vcc_lo, 0x100, v0
	v_cndmask_b32_e64 v11, v11, 0, s7
	v_add_nc_u32_e32 v7, v11, v7
	v_add_nc_u32_e32 v8, v7, v8
	;; [unrolled: 1-line block ×8, first 2 shown]
	ds_write2_b32 v21, v11, v7 offset0:32 offset1:33
	ds_write2_b32 v21, v8, v5 offset0:34 offset1:35
	;; [unrolled: 1-line block ×4, first 2 shown]
	ds_write_b32 v21, v2 offset:160
	s_waitcnt lgkmcnt(0)
	s_barrier
	buffer_gl0_inv
	ds_read_b32 v11, v22 offset:128
	ds_read_b32 v21, v26 offset:128
	;; [unrolled: 1-line block ×12, first 2 shown]
                                        ; implicit-def: $vgpr7
                                        ; implicit-def: $vgpr8
	s_and_saveexec_b32 s6, vcc_lo
	s_cbranch_execz .LBB1025_171
; %bb.168:
	v_mul_u32_u24_e32 v1, 0x84, v0
	v_add_nc_u32_e32 v2, 1, v0
	s_mov_b32 s7, exec_lo
	ds_read_b32 v7, v1 offset:128
	v_mov_b32_e32 v1, 0x3000
	v_cmpx_ne_u32_e32 0x100, v2
; %bb.169:
	v_mul_u32_u24_e32 v1, 0x84, v2
	ds_read_b32 v1, v1 offset:128
; %bb.170:
	s_or_b32 exec_lo, exec_lo, s7
	s_waitcnt lgkmcnt(0)
	v_sub_nc_u32_e32 v8, v1, v7
.LBB1025_171:
	s_or_b32 exec_lo, exec_lo, s6
	v_mov_b32_e32 v2, 0
	s_waitcnt lgkmcnt(0)
	s_barrier
	buffer_gl0_inv
	s_and_saveexec_b32 s5, vcc_lo
	s_cbranch_execz .LBB1025_181
; %bb.172:
	v_lshl_add_u32 v1, s33, 8, v0
	v_mov_b32_e32 v59, 0
	s_mov_b32 s6, 0
	s_mov_b32 s7, s33
                                        ; implicit-def: $sgpr8
	v_lshlrev_b64 v[3:4], 2, v[1:2]
	v_or_b32_e32 v1, 2.0, v8
	v_add_co_u32 v3, vcc_lo, s26, v3
	v_add_co_ci_u32_e64 v4, null, s27, v4, vcc_lo
	global_store_dword v[3:4], v1, off
	s_branch .LBB1025_175
	.p2align	6
.LBB1025_173:                           ;   in Loop: Header=BB1025_175 Depth=1
	s_or_b32 exec_lo, exec_lo, s9
.LBB1025_174:                           ;   in Loop: Header=BB1025_175 Depth=1
	s_or_b32 exec_lo, exec_lo, s8
	v_and_b32_e32 v5, 0x3fffffff, v1
	v_cmp_gt_i32_e64 s8, -2.0, v1
	v_add_nc_u32_e32 v59, v5, v59
	s_and_b32 s9, exec_lo, s8
	s_or_b32 s6, s9, s6
	s_andn2_b32 exec_lo, exec_lo, s6
	s_cbranch_execz .LBB1025_180
.LBB1025_175:                           ; =>This Loop Header: Depth=1
                                        ;     Child Loop BB1025_178 Depth 2
	s_or_b32 s8, s8, exec_lo
	s_cmp_eq_u32 s7, 0
	s_cbranch_scc1 .LBB1025_179
; %bb.176:                              ;   in Loop: Header=BB1025_175 Depth=1
	s_add_i32 s7, s7, -1
	s_mov_b32 s8, exec_lo
	v_lshl_or_b32 v1, s7, 8, v0
	v_lshlrev_b64 v[5:6], 2, v[1:2]
	v_add_co_u32 v5, vcc_lo, s26, v5
	v_add_co_ci_u32_e64 v6, null, s27, v6, vcc_lo
	global_load_dword v1, v[5:6], off glc dlc
	s_waitcnt vmcnt(0)
	v_cmpx_gt_u32_e32 2.0, v1
	s_cbranch_execz .LBB1025_174
; %bb.177:                              ;   in Loop: Header=BB1025_175 Depth=1
	s_mov_b32 s9, 0
.LBB1025_178:                           ;   Parent Loop BB1025_175 Depth=1
                                        ; =>  This Inner Loop Header: Depth=2
	global_load_dword v1, v[5:6], off glc dlc
	s_waitcnt vmcnt(0)
	v_cmp_lt_u32_e32 vcc_lo, 0x3fffffff, v1
	s_or_b32 s9, vcc_lo, s9
	s_andn2_b32 exec_lo, exec_lo, s9
	s_cbranch_execnz .LBB1025_178
	s_branch .LBB1025_173
.LBB1025_179:                           ;   in Loop: Header=BB1025_175 Depth=1
                                        ; implicit-def: $sgpr7
	s_and_b32 s9, exec_lo, s8
	s_or_b32 s6, s9, s6
	s_andn2_b32 exec_lo, exec_lo, s6
	s_cbranch_execnz .LBB1025_175
.LBB1025_180:
	s_or_b32 exec_lo, exec_lo, s6
	v_add_nc_u32_e32 v1, v59, v8
	v_sub_nc_u32_e32 v2, v59, v7
	v_or_b32_e32 v1, 0x80000000, v1
	global_store_dword v[3:4], v1, off
	global_load_dword v1, v40, s[28:29]
	s_waitcnt vmcnt(0)
	v_add_nc_u32_e32 v1, v2, v1
	ds_write_b32 v40, v1
.LBB1025_181:
	s_or_b32 exec_lo, exec_lo, s5
	v_add_nc_u32_e32 v3, v11, v16
	v_add3_u32 v4, v19, v18, v21
	v_add3_u32 v5, v24, v23, v22
	;; [unrolled: 1-line block ×11, first 2 shown]
	v_mov_b32_e32 v2, 0
	v_mov_b32_e32 v26, v3
	;; [unrolled: 1-line block ×13, first 2 shown]
	s_mov_b32 s5, 32
	s_mov_b32 s8, 0
	s_mov_b32 s6, 0
	s_mov_b32 s7, -1
	s_branch .LBB1025_183
.LBB1025_182:                           ;   in Loop: Header=BB1025_183 Depth=1
	v_add_nc_u32_e32 v41, 0xffffe000, v41
	v_add_nc_u32_e32 v39, 0xffffe000, v39
	;; [unrolled: 1-line block ×12, first 2 shown]
	s_xor_b32 s8, s7, -1
	s_addk_i32 s6, 0x2000
	s_mov_b32 s7, 0
	s_and_b32 vcc_lo, exec_lo, s8
	s_mov_b32 s8, s5
	s_waitcnt_vscnt null, 0x0
	s_barrier
	buffer_gl0_inv
	s_cbranch_vccnz .LBB1025_191
.LBB1025_183:                           ; =>This Inner Loop Header: Depth=1
	v_min_u32_e32 v1, 0x2000, v26
	v_min_u32_e32 v43, 0x2000, v27
	;; [unrolled: 1-line block ×5, first 2 shown]
	v_lshlrev_b32_e32 v1, 2, v1
	v_lshlrev_b32_e32 v43, 2, v43
	v_min_u32_e32 v48, 0x2000, v32
	v_min_u32_e32 v49, 0x2000, v34
	v_mov_b32_e32 v57, s8
	ds_write_b32 v1, v12 offset:1024
	ds_write_b32 v43, v13 offset:1024
	v_lshlrev_b32_e32 v1, 2, v44
	v_lshlrev_b32_e32 v43, 2, v45
	;; [unrolled: 1-line block ×5, first 2 shown]
	ds_write_b32 v1, v14 offset:1024
	ds_write_b32 v43, v15 offset:1024
	;; [unrolled: 1-line block ×5, first 2 shown]
	v_min_u32_e32 v1, 0x2000, v35
	v_min_u32_e32 v43, 0x2000, v36
	;; [unrolled: 1-line block ×5, first 2 shown]
	v_lshlrev_b32_e32 v1, 2, v1
	v_lshlrev_b32_e32 v43, 2, v43
	v_lshlrev_b32_e32 v44, 2, v44
	v_lshlrev_b32_e32 v45, 2, v45
	v_lshlrev_b32_e32 v47, 2, v47
	ds_write_b32 v1, v29 offset:1024
	ds_write_b32 v43, v33 offset:1024
	;; [unrolled: 1-line block ×5, first 2 shown]
	s_waitcnt lgkmcnt(0)
	s_waitcnt_vscnt null, 0x0
	s_barrier
	buffer_gl0_inv
	ds_read2st64_b32 v[44:45], v40 offset0:4 offset1:20
	ds_read2st64_b32 v[47:48], v40 offset0:36 offset1:52
	s_add_i32 s9, s6, 0x1000
	s_cmpk_lt_u32 s9, 0x3000
	s_waitcnt lgkmcnt(1)
	v_lshrrev_b32_e32 v1, s44, v44
	v_xor_b32_e32 v58, 0x7fffffff, v44
	v_xor_b32_e32 v59, 0x7fffffff, v45
	s_waitcnt lgkmcnt(0)
	v_xor_b32_e32 v60, 0x7fffffff, v47
	v_xor_b32_e32 v61, 0x7fffffff, v48
	v_and_b32_e32 v49, s14, v1
	v_lshrrev_b32_e32 v1, s44, v45
	v_lshlrev_b32_e32 v43, 2, v49
	v_and_b32_e32 v50, s14, v1
	v_lshrrev_b32_e32 v1, s44, v47
	ds_read_b32 v51, v43
	v_and_b32_e32 v53, s14, v1
	v_lshrrev_b32_e32 v1, s44, v48
	v_and_b32_e32 v54, s14, v1
	v_lshlrev_b32_e32 v1, 2, v54
	ds_read_b32 v56, v1
	v_lshlrev_b32_e32 v43, 2, v50
	ds_read_b32 v52, v43
	;; [unrolled: 2-line block ×3, first 2 shown]
	v_add_nc_u32_e32 v43, s6, v0
	buffer_store_dword v49, v57, s[0:3], 0 offen
	buffer_store_dword v50, v57, s[0:3], 0 offen offset:4
	buffer_store_dword v53, v57, s[0:3], 0 offen offset:8
	s_waitcnt lgkmcnt(3)
	v_add_nc_u32_e32 v1, v43, v51
	v_lshlrev_b64 v[44:45], 2, v[1:2]
	s_waitcnt lgkmcnt(1)
	v_add3_u32 v1, v43, v52, 0x400
	v_add_co_u32 v44, vcc_lo, s38, v44
	v_lshlrev_b64 v[47:48], 2, v[1:2]
	s_waitcnt lgkmcnt(0)
	v_add3_u32 v1, v43, v55, 0x800
	v_add_co_ci_u32_e64 v45, null, s39, v45, vcc_lo
	v_lshlrev_b64 v[49:50], 2, v[1:2]
	v_add3_u32 v1, v43, v56, 0xc00
	v_add_co_u32 v47, vcc_lo, s38, v47
	v_add_co_ci_u32_e64 v48, null, s39, v48, vcc_lo
	v_lshlrev_b64 v[51:52], 2, v[1:2]
	v_add_co_u32 v49, vcc_lo, s38, v49
	v_add_co_ci_u32_e64 v50, null, s39, v50, vcc_lo
	v_add_co_u32 v51, vcc_lo, s38, v51
	v_add_co_ci_u32_e64 v52, null, s39, v52, vcc_lo
	global_store_dword v[44:45], v58, off
	global_store_dword v[47:48], v59, off
	;; [unrolled: 1-line block ×4, first 2 shown]
	buffer_store_dword v54, v57, s[0:3], 0 offen offset:12
	s_cbranch_scc0 .LBB1025_187
; %bb.184:                              ;   in Loop: Header=BB1025_183 Depth=1
	ds_read_b32 v47, v40 offset:17408
	s_waitcnt lgkmcnt(0)
	v_lshrrev_b32_e32 v1, s44, v47
	v_and_b32_e32 v48, s14, v1
	v_lshlrev_b32_e32 v1, 2, v48
	ds_read_b32 v1, v1
	s_waitcnt lgkmcnt(0)
	v_add3_u32 v1, v43, v1, 0x1000
	v_lshlrev_b64 v[44:45], 2, v[1:2]
	v_xor_b32_e32 v1, 0x7fffffff, v47
	v_mov_b32_e32 v47, s8
	v_add_co_u32 v44, vcc_lo, s38, v44
	v_add_co_ci_u32_e64 v45, null, s39, v45, vcc_lo
	buffer_store_dword v48, v47, s[0:3], 0 offen offset:16
	global_store_dword v[44:45], v1, off
	s_add_i32 s9, s6, 0x1400
	s_cmpk_gt_u32 s9, 0x2fff
	s_cbranch_scc0 .LBB1025_188
.LBB1025_185:                           ;   in Loop: Header=BB1025_183 Depth=1
	s_add_i32 s9, s6, 0x1800
	s_cmpk_gt_u32 s9, 0x2fff
	s_cbranch_scc1 .LBB1025_189
.LBB1025_186:                           ;   in Loop: Header=BB1025_183 Depth=1
	ds_read_b32 v47, v40 offset:25600
	s_waitcnt lgkmcnt(0)
	v_lshrrev_b32_e32 v1, s44, v47
	v_and_b32_e32 v48, s14, v1
	v_lshlrev_b32_e32 v1, 2, v48
	ds_read_b32 v1, v1
	s_waitcnt lgkmcnt(0)
	v_add3_u32 v1, v43, v1, 0x1800
	v_lshlrev_b64 v[44:45], 2, v[1:2]
	v_xor_b32_e32 v1, 0x7fffffff, v47
	v_mov_b32_e32 v47, s8
	v_add_co_u32 v44, vcc_lo, s38, v44
	v_add_co_ci_u32_e64 v45, null, s39, v45, vcc_lo
	buffer_store_dword v48, v47, s[0:3], 0 offen offset:24
	global_store_dword v[44:45], v1, off
	s_add_i32 s9, s6, 0x1c00
	s_cmpk_gt_u32 s9, 0x2fff
	s_cbranch_scc1 .LBB1025_182
	s_branch .LBB1025_190
.LBB1025_187:                           ;   in Loop: Header=BB1025_183 Depth=1
	s_add_i32 s9, s6, 0x1400
	s_cmpk_gt_u32 s9, 0x2fff
	s_cbranch_scc1 .LBB1025_185
.LBB1025_188:                           ;   in Loop: Header=BB1025_183 Depth=1
	ds_read_b32 v47, v40 offset:21504
	s_waitcnt lgkmcnt(0)
	v_lshrrev_b32_e32 v1, s44, v47
	v_and_b32_e32 v48, s14, v1
	v_lshlrev_b32_e32 v1, 2, v48
	ds_read_b32 v1, v1
	s_waitcnt lgkmcnt(0)
	v_add3_u32 v1, v43, v1, 0x1400
	v_lshlrev_b64 v[44:45], 2, v[1:2]
	v_xor_b32_e32 v1, 0x7fffffff, v47
	v_mov_b32_e32 v47, s8
	v_add_co_u32 v44, vcc_lo, s38, v44
	v_add_co_ci_u32_e64 v45, null, s39, v45, vcc_lo
	buffer_store_dword v48, v47, s[0:3], 0 offen offset:20
	global_store_dword v[44:45], v1, off
	s_add_i32 s9, s6, 0x1800
	s_cmpk_gt_u32 s9, 0x2fff
	s_cbranch_scc0 .LBB1025_186
.LBB1025_189:                           ;   in Loop: Header=BB1025_183 Depth=1
	s_add_i32 s9, s6, 0x1c00
	s_cmpk_gt_u32 s9, 0x2fff
	s_cbranch_scc1 .LBB1025_182
.LBB1025_190:                           ;   in Loop: Header=BB1025_183 Depth=1
	ds_read_b32 v45, v40 offset:29696
	s_waitcnt lgkmcnt(0)
	v_lshrrev_b32_e32 v1, s44, v45
	v_and_b32_e32 v47, s14, v1
	v_lshlrev_b32_e32 v1, 2, v47
	ds_read_b32 v1, v1
	s_waitcnt lgkmcnt(0)
	v_add3_u32 v1, v43, v1, 0x1c00
	v_lshlrev_b64 v[43:44], 2, v[1:2]
	v_xor_b32_e32 v1, 0x7fffffff, v45
	v_mov_b32_e32 v45, s8
	v_add_co_u32 v43, vcc_lo, s38, v43
	v_add_co_ci_u32_e64 v44, null, s39, v44, vcc_lo
	buffer_store_dword v47, v45, s[0:3], 0 offen offset:28
	global_store_dword v[43:44], v1, off
	s_branch .LBB1025_182
.LBB1025_191:
	s_add_u32 s6, s40, s12
	s_addc_u32 s7, s41, s13
	v_add_co_u32 v1, s6, s6, v9
	v_add_co_ci_u32_e64 v2, null, s7, 0, s6
	s_mov_b32 s8, 0
	v_add_co_u32 v1, vcc_lo, v1, v10
	v_add_co_ci_u32_e64 v2, null, 0, v2, vcc_lo
	s_mov_b32 s7, -1
	s_mov_b32 s6, 0
	s_clause 0xb
	global_load_dword v9, v[1:2], off
	global_load_dword v10, v[1:2], off offset:128
	global_load_dword v12, v[1:2], off offset:256
	;; [unrolled: 1-line block ×11, first 2 shown]
	v_mov_b32_e32 v2, 0
	s_branch .LBB1025_193
.LBB1025_192:                           ;   in Loop: Header=BB1025_193 Depth=1
	v_add_nc_u32_e32 v24, 0xffffe000, v24
	v_add_nc_u32_e32 v23, 0xffffe000, v23
	;; [unrolled: 1-line block ×12, first 2 shown]
	s_xor_b32 s8, s7, -1
	s_addk_i32 s6, 0x2000
	s_mov_b32 s7, 0
	s_and_b32 vcc_lo, exec_lo, s8
	s_mov_b32 s8, s5
	s_waitcnt_vscnt null, 0x0
	s_barrier
	buffer_gl0_inv
	s_cbranch_vccnz .LBB1025_201
.LBB1025_193:                           ; =>This Inner Loop Header: Depth=1
	v_min_u32_e32 v1, 0x2000, v3
	v_min_u32_e32 v29, 0x2000, v4
	;; [unrolled: 1-line block ×5, first 2 shown]
	v_lshlrev_b32_e32 v1, 2, v1
	v_lshlrev_b32_e32 v29, 2, v29
	v_min_u32_e32 v33, 0x2000, v16
	v_lshlrev_b32_e32 v30, 2, v30
	s_add_i32 s9, s6, 0x1000
	s_waitcnt vmcnt(11)
	ds_write_b32 v1, v9 offset:1024
	s_waitcnt vmcnt(10)
	ds_write_b32 v29, v10 offset:1024
	v_min_u32_e32 v1, 0x2000, v18
	v_lshlrev_b32_e32 v29, 2, v31
	v_lshlrev_b32_e32 v31, 2, v32
	;; [unrolled: 1-line block ×3, first 2 shown]
	s_waitcnt vmcnt(9)
	ds_write_b32 v30, v12 offset:1024
	v_lshlrev_b32_e32 v1, 2, v1
	s_waitcnt vmcnt(8)
	ds_write_b32 v29, v13 offset:1024
	s_waitcnt vmcnt(7)
	ds_write_b32 v31, v14 offset:1024
	;; [unrolled: 2-line block ×3, first 2 shown]
	v_min_u32_e32 v29, 0x2000, v19
	v_min_u32_e32 v30, 0x2000, v22
	;; [unrolled: 1-line block ×3, first 2 shown]
	s_waitcnt vmcnt(5)
	ds_write_b32 v1, v17 offset:1024
	v_min_u32_e32 v1, 0x2000, v21
	v_lshlrev_b32_e32 v29, 2, v29
	v_min_u32_e32 v32, 0x2000, v24
	v_lshlrev_b32_e32 v30, 2, v30
	v_lshlrev_b32_e32 v31, 2, v31
	;; [unrolled: 1-line block ×3, first 2 shown]
	s_waitcnt vmcnt(4)
	ds_write_b32 v29, v20 offset:1024
	v_lshlrev_b32_e32 v29, 2, v32
	s_waitcnt vmcnt(3)
	ds_write_b32 v1, v25 offset:1024
	s_waitcnt vmcnt(2)
	ds_write_b32 v30, v26 offset:1024
	;; [unrolled: 2-line block ×3, first 2 shown]
	v_mov_b32_e32 v1, s8
	s_waitcnt vmcnt(0)
	ds_write_b32 v29, v28 offset:1024
	s_waitcnt lgkmcnt(0)
	s_barrier
	buffer_gl0_inv
	s_clause 0x3
	buffer_load_dword v29, v1, s[0:3], 0 offen
	buffer_load_dword v30, v1, s[0:3], 0 offen offset:4
	buffer_load_dword v31, v1, s[0:3], 0 offen offset:8
	;; [unrolled: 1-line block ×3, first 2 shown]
	s_cmpk_lt_u32 s9, 0x3000
	s_waitcnt vmcnt(3)
	v_lshlrev_b32_e32 v29, 2, v29
	s_waitcnt vmcnt(0)
	v_lshlrev_b32_e32 v1, 2, v1
	ds_read_b32 v32, v29
	ds_read_b32 v41, v1
	v_lshlrev_b32_e32 v29, 2, v30
	ds_read_b32 v34, v29
	v_lshlrev_b32_e32 v29, 2, v31
	ds_read2st64_b32 v[30:31], v40 offset0:4 offset1:20
	ds_read_b32 v36, v29
	v_add_nc_u32_e32 v29, s6, v0
	s_waitcnt lgkmcnt(4)
	v_add_nc_u32_e32 v1, v29, v32
	v_lshlrev_b64 v[32:33], 2, v[1:2]
	s_waitcnt lgkmcnt(2)
	v_add3_u32 v1, v29, v34, 0x400
	v_add_co_u32 v32, vcc_lo, s42, v32
	v_lshlrev_b64 v[34:35], 2, v[1:2]
	s_waitcnt lgkmcnt(0)
	v_add3_u32 v1, v29, v36, 0x800
	ds_read2st64_b32 v[36:37], v40 offset0:36 offset1:52
	v_add_co_ci_u32_e64 v33, null, s43, v33, vcc_lo
	v_lshlrev_b64 v[38:39], 2, v[1:2]
	v_add3_u32 v1, v29, v41, 0xc00
	global_store_dword v[32:33], v30, off
	v_add_co_u32 v32, vcc_lo, s42, v34
	v_add_co_ci_u32_e64 v33, null, s43, v35, vcc_lo
	v_lshlrev_b64 v[34:35], 2, v[1:2]
	v_add_co_u32 v38, vcc_lo, s42, v38
	v_add_co_ci_u32_e64 v39, null, s43, v39, vcc_lo
	global_store_dword v[32:33], v31, off
	v_add_co_u32 v34, vcc_lo, s42, v34
	v_add_co_ci_u32_e64 v35, null, s43, v35, vcc_lo
	s_waitcnt lgkmcnt(0)
	global_store_dword v[38:39], v36, off
	global_store_dword v[34:35], v37, off
	s_cbranch_scc0 .LBB1025_197
; %bb.194:                              ;   in Loop: Header=BB1025_193 Depth=1
	v_mov_b32_e32 v1, s8
	buffer_load_dword v1, v1, s[0:3], 0 offen offset:16
	s_waitcnt vmcnt(0)
	v_lshlrev_b32_e32 v1, 2, v1
	ds_read_b32 v1, v1
	ds_read_b32 v32, v40 offset:17408
	s_waitcnt lgkmcnt(1)
	v_add3_u32 v1, v29, v1, 0x1000
	v_lshlrev_b64 v[30:31], 2, v[1:2]
	v_add_co_u32 v30, vcc_lo, s42, v30
	v_add_co_ci_u32_e64 v31, null, s43, v31, vcc_lo
	s_waitcnt lgkmcnt(0)
	global_store_dword v[30:31], v32, off
	s_add_i32 s9, s6, 0x1400
	s_cmpk_gt_u32 s9, 0x2fff
	s_cbranch_scc0 .LBB1025_198
.LBB1025_195:                           ;   in Loop: Header=BB1025_193 Depth=1
	s_add_i32 s9, s6, 0x1800
	s_cmpk_gt_u32 s9, 0x2fff
	s_cbranch_scc1 .LBB1025_199
.LBB1025_196:                           ;   in Loop: Header=BB1025_193 Depth=1
	v_mov_b32_e32 v1, s8
	buffer_load_dword v1, v1, s[0:3], 0 offen offset:24
	s_waitcnt vmcnt(0)
	v_lshlrev_b32_e32 v1, 2, v1
	ds_read_b32 v1, v1
	ds_read_b32 v32, v40 offset:25600
	s_waitcnt lgkmcnt(1)
	v_add3_u32 v1, v29, v1, 0x1800
	v_lshlrev_b64 v[30:31], 2, v[1:2]
	v_add_co_u32 v30, vcc_lo, s42, v30
	v_add_co_ci_u32_e64 v31, null, s43, v31, vcc_lo
	s_waitcnt lgkmcnt(0)
	global_store_dword v[30:31], v32, off
	s_add_i32 s9, s6, 0x1c00
	s_cmpk_gt_u32 s9, 0x2fff
	s_cbranch_scc1 .LBB1025_192
	s_branch .LBB1025_200
.LBB1025_197:                           ;   in Loop: Header=BB1025_193 Depth=1
	s_add_i32 s9, s6, 0x1400
	s_cmpk_gt_u32 s9, 0x2fff
	s_cbranch_scc1 .LBB1025_195
.LBB1025_198:                           ;   in Loop: Header=BB1025_193 Depth=1
	v_mov_b32_e32 v1, s8
	buffer_load_dword v1, v1, s[0:3], 0 offen offset:20
	s_waitcnt vmcnt(0)
	v_lshlrev_b32_e32 v1, 2, v1
	ds_read_b32 v1, v1
	ds_read_b32 v32, v40 offset:21504
	s_waitcnt lgkmcnt(1)
	v_add3_u32 v1, v29, v1, 0x1400
	v_lshlrev_b64 v[30:31], 2, v[1:2]
	v_add_co_u32 v30, vcc_lo, s42, v30
	v_add_co_ci_u32_e64 v31, null, s43, v31, vcc_lo
	s_waitcnt lgkmcnt(0)
	global_store_dword v[30:31], v32, off
	s_add_i32 s9, s6, 0x1800
	s_cmpk_gt_u32 s9, 0x2fff
	s_cbranch_scc0 .LBB1025_196
.LBB1025_199:                           ;   in Loop: Header=BB1025_193 Depth=1
	s_add_i32 s9, s6, 0x1c00
	s_cmpk_gt_u32 s9, 0x2fff
	s_cbranch_scc1 .LBB1025_192
.LBB1025_200:                           ;   in Loop: Header=BB1025_193 Depth=1
	v_mov_b32_e32 v1, s8
	buffer_load_dword v1, v1, s[0:3], 0 offen offset:28
	s_waitcnt vmcnt(0)
	v_lshlrev_b32_e32 v1, 2, v1
	ds_read_b32 v1, v1
	ds_read_b32 v31, v40 offset:29696
	s_waitcnt lgkmcnt(1)
	v_add3_u32 v1, v29, v1, 0x1c00
	v_lshlrev_b64 v[29:30], 2, v[1:2]
	v_add_co_u32 v29, vcc_lo, s42, v29
	v_add_co_ci_u32_e64 v30, null, s43, v30, vcc_lo
	s_waitcnt lgkmcnt(0)
	global_store_dword v[29:30], v31, off
	s_branch .LBB1025_192
.LBB1025_201:
	s_add_i32 s11, s11, -1
	s_cmp_eq_u32 s33, s11
	s_cselect_b32 s5, -1, 0
	s_xor_b32 s4, s4, -1
	s_and_b32 s4, s4, s5
	s_and_saveexec_b32 s5, s4
	s_cbranch_execz .LBB1025_203
; %bb.202:
	ds_read_b32 v0, v40
	s_waitcnt lgkmcnt(0)
	v_add3_u32 v0, v7, v8, v0
	global_store_dword v40, v0, s[30:31]
.LBB1025_203:
	s_endpgm
	.section	.rodata,"a",@progbits
	.p2align	6, 0x0
	.amdhsa_kernel _ZN7rocprim17ROCPRIM_400000_NS6detail17trampoline_kernelINS0_14default_configENS1_35radix_sort_onesweep_config_selectorIiiEEZZNS1_29radix_sort_onesweep_iterationIS3_Lb1EN6thrust23THRUST_200600_302600_NS6detail15normal_iteratorINS8_10device_ptrIiEEEESD_SD_SD_jNS0_19identity_decomposerENS1_16block_id_wrapperIjLb1EEEEE10hipError_tT1_PNSt15iterator_traitsISI_E10value_typeET2_T3_PNSJ_ISO_E10value_typeET4_T5_PST_SU_PNS1_23onesweep_lookback_stateEbbT6_jjT7_P12ihipStream_tbENKUlT_T0_SI_SN_E_clIPiSD_S15_SD_EEDaS11_S12_SI_SN_EUlS11_E_NS1_11comp_targetILNS1_3genE8ELNS1_11target_archE1030ELNS1_3gpuE2ELNS1_3repE0EEENS1_47radix_sort_onesweep_sort_config_static_selectorELNS0_4arch9wavefront6targetE0EEEvSI_
		.amdhsa_group_segment_fixed_size 37000
		.amdhsa_private_segment_fixed_size 64
		.amdhsa_kernarg_size 344
		.amdhsa_user_sgpr_count 6
		.amdhsa_user_sgpr_private_segment_buffer 1
		.amdhsa_user_sgpr_dispatch_ptr 0
		.amdhsa_user_sgpr_queue_ptr 0
		.amdhsa_user_sgpr_kernarg_segment_ptr 1
		.amdhsa_user_sgpr_dispatch_id 0
		.amdhsa_user_sgpr_flat_scratch_init 0
		.amdhsa_user_sgpr_private_segment_size 0
		.amdhsa_wavefront_size32 1
		.amdhsa_uses_dynamic_stack 0
		.amdhsa_system_sgpr_private_segment_wavefront_offset 1
		.amdhsa_system_sgpr_workgroup_id_x 1
		.amdhsa_system_sgpr_workgroup_id_y 0
		.amdhsa_system_sgpr_workgroup_id_z 0
		.amdhsa_system_sgpr_workgroup_info 0
		.amdhsa_system_vgpr_workitem_id 2
		.amdhsa_next_free_vgpr 68
		.amdhsa_next_free_sgpr 51
		.amdhsa_reserve_vcc 1
		.amdhsa_reserve_flat_scratch 0
		.amdhsa_float_round_mode_32 0
		.amdhsa_float_round_mode_16_64 0
		.amdhsa_float_denorm_mode_32 3
		.amdhsa_float_denorm_mode_16_64 3
		.amdhsa_dx10_clamp 1
		.amdhsa_ieee_mode 1
		.amdhsa_fp16_overflow 0
		.amdhsa_workgroup_processor_mode 1
		.amdhsa_memory_ordered 1
		.amdhsa_forward_progress 1
		.amdhsa_shared_vgpr_count 0
		.amdhsa_exception_fp_ieee_invalid_op 0
		.amdhsa_exception_fp_denorm_src 0
		.amdhsa_exception_fp_ieee_div_zero 0
		.amdhsa_exception_fp_ieee_overflow 0
		.amdhsa_exception_fp_ieee_underflow 0
		.amdhsa_exception_fp_ieee_inexact 0
		.amdhsa_exception_int_div_zero 0
	.end_amdhsa_kernel
	.section	.text._ZN7rocprim17ROCPRIM_400000_NS6detail17trampoline_kernelINS0_14default_configENS1_35radix_sort_onesweep_config_selectorIiiEEZZNS1_29radix_sort_onesweep_iterationIS3_Lb1EN6thrust23THRUST_200600_302600_NS6detail15normal_iteratorINS8_10device_ptrIiEEEESD_SD_SD_jNS0_19identity_decomposerENS1_16block_id_wrapperIjLb1EEEEE10hipError_tT1_PNSt15iterator_traitsISI_E10value_typeET2_T3_PNSJ_ISO_E10value_typeET4_T5_PST_SU_PNS1_23onesweep_lookback_stateEbbT6_jjT7_P12ihipStream_tbENKUlT_T0_SI_SN_E_clIPiSD_S15_SD_EEDaS11_S12_SI_SN_EUlS11_E_NS1_11comp_targetILNS1_3genE8ELNS1_11target_archE1030ELNS1_3gpuE2ELNS1_3repE0EEENS1_47radix_sort_onesweep_sort_config_static_selectorELNS0_4arch9wavefront6targetE0EEEvSI_,"axG",@progbits,_ZN7rocprim17ROCPRIM_400000_NS6detail17trampoline_kernelINS0_14default_configENS1_35radix_sort_onesweep_config_selectorIiiEEZZNS1_29radix_sort_onesweep_iterationIS3_Lb1EN6thrust23THRUST_200600_302600_NS6detail15normal_iteratorINS8_10device_ptrIiEEEESD_SD_SD_jNS0_19identity_decomposerENS1_16block_id_wrapperIjLb1EEEEE10hipError_tT1_PNSt15iterator_traitsISI_E10value_typeET2_T3_PNSJ_ISO_E10value_typeET4_T5_PST_SU_PNS1_23onesweep_lookback_stateEbbT6_jjT7_P12ihipStream_tbENKUlT_T0_SI_SN_E_clIPiSD_S15_SD_EEDaS11_S12_SI_SN_EUlS11_E_NS1_11comp_targetILNS1_3genE8ELNS1_11target_archE1030ELNS1_3gpuE2ELNS1_3repE0EEENS1_47radix_sort_onesweep_sort_config_static_selectorELNS0_4arch9wavefront6targetE0EEEvSI_,comdat
.Lfunc_end1025:
	.size	_ZN7rocprim17ROCPRIM_400000_NS6detail17trampoline_kernelINS0_14default_configENS1_35radix_sort_onesweep_config_selectorIiiEEZZNS1_29radix_sort_onesweep_iterationIS3_Lb1EN6thrust23THRUST_200600_302600_NS6detail15normal_iteratorINS8_10device_ptrIiEEEESD_SD_SD_jNS0_19identity_decomposerENS1_16block_id_wrapperIjLb1EEEEE10hipError_tT1_PNSt15iterator_traitsISI_E10value_typeET2_T3_PNSJ_ISO_E10value_typeET4_T5_PST_SU_PNS1_23onesweep_lookback_stateEbbT6_jjT7_P12ihipStream_tbENKUlT_T0_SI_SN_E_clIPiSD_S15_SD_EEDaS11_S12_SI_SN_EUlS11_E_NS1_11comp_targetILNS1_3genE8ELNS1_11target_archE1030ELNS1_3gpuE2ELNS1_3repE0EEENS1_47radix_sort_onesweep_sort_config_static_selectorELNS0_4arch9wavefront6targetE0EEEvSI_, .Lfunc_end1025-_ZN7rocprim17ROCPRIM_400000_NS6detail17trampoline_kernelINS0_14default_configENS1_35radix_sort_onesweep_config_selectorIiiEEZZNS1_29radix_sort_onesweep_iterationIS3_Lb1EN6thrust23THRUST_200600_302600_NS6detail15normal_iteratorINS8_10device_ptrIiEEEESD_SD_SD_jNS0_19identity_decomposerENS1_16block_id_wrapperIjLb1EEEEE10hipError_tT1_PNSt15iterator_traitsISI_E10value_typeET2_T3_PNSJ_ISO_E10value_typeET4_T5_PST_SU_PNS1_23onesweep_lookback_stateEbbT6_jjT7_P12ihipStream_tbENKUlT_T0_SI_SN_E_clIPiSD_S15_SD_EEDaS11_S12_SI_SN_EUlS11_E_NS1_11comp_targetILNS1_3genE8ELNS1_11target_archE1030ELNS1_3gpuE2ELNS1_3repE0EEENS1_47radix_sort_onesweep_sort_config_static_selectorELNS0_4arch9wavefront6targetE0EEEvSI_
                                        ; -- End function
	.set _ZN7rocprim17ROCPRIM_400000_NS6detail17trampoline_kernelINS0_14default_configENS1_35radix_sort_onesweep_config_selectorIiiEEZZNS1_29radix_sort_onesweep_iterationIS3_Lb1EN6thrust23THRUST_200600_302600_NS6detail15normal_iteratorINS8_10device_ptrIiEEEESD_SD_SD_jNS0_19identity_decomposerENS1_16block_id_wrapperIjLb1EEEEE10hipError_tT1_PNSt15iterator_traitsISI_E10value_typeET2_T3_PNSJ_ISO_E10value_typeET4_T5_PST_SU_PNS1_23onesweep_lookback_stateEbbT6_jjT7_P12ihipStream_tbENKUlT_T0_SI_SN_E_clIPiSD_S15_SD_EEDaS11_S12_SI_SN_EUlS11_E_NS1_11comp_targetILNS1_3genE8ELNS1_11target_archE1030ELNS1_3gpuE2ELNS1_3repE0EEENS1_47radix_sort_onesweep_sort_config_static_selectorELNS0_4arch9wavefront6targetE0EEEvSI_.num_vgpr, 68
	.set _ZN7rocprim17ROCPRIM_400000_NS6detail17trampoline_kernelINS0_14default_configENS1_35radix_sort_onesweep_config_selectorIiiEEZZNS1_29radix_sort_onesweep_iterationIS3_Lb1EN6thrust23THRUST_200600_302600_NS6detail15normal_iteratorINS8_10device_ptrIiEEEESD_SD_SD_jNS0_19identity_decomposerENS1_16block_id_wrapperIjLb1EEEEE10hipError_tT1_PNSt15iterator_traitsISI_E10value_typeET2_T3_PNSJ_ISO_E10value_typeET4_T5_PST_SU_PNS1_23onesweep_lookback_stateEbbT6_jjT7_P12ihipStream_tbENKUlT_T0_SI_SN_E_clIPiSD_S15_SD_EEDaS11_S12_SI_SN_EUlS11_E_NS1_11comp_targetILNS1_3genE8ELNS1_11target_archE1030ELNS1_3gpuE2ELNS1_3repE0EEENS1_47radix_sort_onesweep_sort_config_static_selectorELNS0_4arch9wavefront6targetE0EEEvSI_.num_agpr, 0
	.set _ZN7rocprim17ROCPRIM_400000_NS6detail17trampoline_kernelINS0_14default_configENS1_35radix_sort_onesweep_config_selectorIiiEEZZNS1_29radix_sort_onesweep_iterationIS3_Lb1EN6thrust23THRUST_200600_302600_NS6detail15normal_iteratorINS8_10device_ptrIiEEEESD_SD_SD_jNS0_19identity_decomposerENS1_16block_id_wrapperIjLb1EEEEE10hipError_tT1_PNSt15iterator_traitsISI_E10value_typeET2_T3_PNSJ_ISO_E10value_typeET4_T5_PST_SU_PNS1_23onesweep_lookback_stateEbbT6_jjT7_P12ihipStream_tbENKUlT_T0_SI_SN_E_clIPiSD_S15_SD_EEDaS11_S12_SI_SN_EUlS11_E_NS1_11comp_targetILNS1_3genE8ELNS1_11target_archE1030ELNS1_3gpuE2ELNS1_3repE0EEENS1_47radix_sort_onesweep_sort_config_static_selectorELNS0_4arch9wavefront6targetE0EEEvSI_.numbered_sgpr, 51
	.set _ZN7rocprim17ROCPRIM_400000_NS6detail17trampoline_kernelINS0_14default_configENS1_35radix_sort_onesweep_config_selectorIiiEEZZNS1_29radix_sort_onesweep_iterationIS3_Lb1EN6thrust23THRUST_200600_302600_NS6detail15normal_iteratorINS8_10device_ptrIiEEEESD_SD_SD_jNS0_19identity_decomposerENS1_16block_id_wrapperIjLb1EEEEE10hipError_tT1_PNSt15iterator_traitsISI_E10value_typeET2_T3_PNSJ_ISO_E10value_typeET4_T5_PST_SU_PNS1_23onesweep_lookback_stateEbbT6_jjT7_P12ihipStream_tbENKUlT_T0_SI_SN_E_clIPiSD_S15_SD_EEDaS11_S12_SI_SN_EUlS11_E_NS1_11comp_targetILNS1_3genE8ELNS1_11target_archE1030ELNS1_3gpuE2ELNS1_3repE0EEENS1_47radix_sort_onesweep_sort_config_static_selectorELNS0_4arch9wavefront6targetE0EEEvSI_.num_named_barrier, 0
	.set _ZN7rocprim17ROCPRIM_400000_NS6detail17trampoline_kernelINS0_14default_configENS1_35radix_sort_onesweep_config_selectorIiiEEZZNS1_29radix_sort_onesweep_iterationIS3_Lb1EN6thrust23THRUST_200600_302600_NS6detail15normal_iteratorINS8_10device_ptrIiEEEESD_SD_SD_jNS0_19identity_decomposerENS1_16block_id_wrapperIjLb1EEEEE10hipError_tT1_PNSt15iterator_traitsISI_E10value_typeET2_T3_PNSJ_ISO_E10value_typeET4_T5_PST_SU_PNS1_23onesweep_lookback_stateEbbT6_jjT7_P12ihipStream_tbENKUlT_T0_SI_SN_E_clIPiSD_S15_SD_EEDaS11_S12_SI_SN_EUlS11_E_NS1_11comp_targetILNS1_3genE8ELNS1_11target_archE1030ELNS1_3gpuE2ELNS1_3repE0EEENS1_47radix_sort_onesweep_sort_config_static_selectorELNS0_4arch9wavefront6targetE0EEEvSI_.private_seg_size, 64
	.set _ZN7rocprim17ROCPRIM_400000_NS6detail17trampoline_kernelINS0_14default_configENS1_35radix_sort_onesweep_config_selectorIiiEEZZNS1_29radix_sort_onesweep_iterationIS3_Lb1EN6thrust23THRUST_200600_302600_NS6detail15normal_iteratorINS8_10device_ptrIiEEEESD_SD_SD_jNS0_19identity_decomposerENS1_16block_id_wrapperIjLb1EEEEE10hipError_tT1_PNSt15iterator_traitsISI_E10value_typeET2_T3_PNSJ_ISO_E10value_typeET4_T5_PST_SU_PNS1_23onesweep_lookback_stateEbbT6_jjT7_P12ihipStream_tbENKUlT_T0_SI_SN_E_clIPiSD_S15_SD_EEDaS11_S12_SI_SN_EUlS11_E_NS1_11comp_targetILNS1_3genE8ELNS1_11target_archE1030ELNS1_3gpuE2ELNS1_3repE0EEENS1_47radix_sort_onesweep_sort_config_static_selectorELNS0_4arch9wavefront6targetE0EEEvSI_.uses_vcc, 1
	.set _ZN7rocprim17ROCPRIM_400000_NS6detail17trampoline_kernelINS0_14default_configENS1_35radix_sort_onesweep_config_selectorIiiEEZZNS1_29radix_sort_onesweep_iterationIS3_Lb1EN6thrust23THRUST_200600_302600_NS6detail15normal_iteratorINS8_10device_ptrIiEEEESD_SD_SD_jNS0_19identity_decomposerENS1_16block_id_wrapperIjLb1EEEEE10hipError_tT1_PNSt15iterator_traitsISI_E10value_typeET2_T3_PNSJ_ISO_E10value_typeET4_T5_PST_SU_PNS1_23onesweep_lookback_stateEbbT6_jjT7_P12ihipStream_tbENKUlT_T0_SI_SN_E_clIPiSD_S15_SD_EEDaS11_S12_SI_SN_EUlS11_E_NS1_11comp_targetILNS1_3genE8ELNS1_11target_archE1030ELNS1_3gpuE2ELNS1_3repE0EEENS1_47radix_sort_onesweep_sort_config_static_selectorELNS0_4arch9wavefront6targetE0EEEvSI_.uses_flat_scratch, 0
	.set _ZN7rocprim17ROCPRIM_400000_NS6detail17trampoline_kernelINS0_14default_configENS1_35radix_sort_onesweep_config_selectorIiiEEZZNS1_29radix_sort_onesweep_iterationIS3_Lb1EN6thrust23THRUST_200600_302600_NS6detail15normal_iteratorINS8_10device_ptrIiEEEESD_SD_SD_jNS0_19identity_decomposerENS1_16block_id_wrapperIjLb1EEEEE10hipError_tT1_PNSt15iterator_traitsISI_E10value_typeET2_T3_PNSJ_ISO_E10value_typeET4_T5_PST_SU_PNS1_23onesweep_lookback_stateEbbT6_jjT7_P12ihipStream_tbENKUlT_T0_SI_SN_E_clIPiSD_S15_SD_EEDaS11_S12_SI_SN_EUlS11_E_NS1_11comp_targetILNS1_3genE8ELNS1_11target_archE1030ELNS1_3gpuE2ELNS1_3repE0EEENS1_47radix_sort_onesweep_sort_config_static_selectorELNS0_4arch9wavefront6targetE0EEEvSI_.has_dyn_sized_stack, 0
	.set _ZN7rocprim17ROCPRIM_400000_NS6detail17trampoline_kernelINS0_14default_configENS1_35radix_sort_onesweep_config_selectorIiiEEZZNS1_29radix_sort_onesweep_iterationIS3_Lb1EN6thrust23THRUST_200600_302600_NS6detail15normal_iteratorINS8_10device_ptrIiEEEESD_SD_SD_jNS0_19identity_decomposerENS1_16block_id_wrapperIjLb1EEEEE10hipError_tT1_PNSt15iterator_traitsISI_E10value_typeET2_T3_PNSJ_ISO_E10value_typeET4_T5_PST_SU_PNS1_23onesweep_lookback_stateEbbT6_jjT7_P12ihipStream_tbENKUlT_T0_SI_SN_E_clIPiSD_S15_SD_EEDaS11_S12_SI_SN_EUlS11_E_NS1_11comp_targetILNS1_3genE8ELNS1_11target_archE1030ELNS1_3gpuE2ELNS1_3repE0EEENS1_47radix_sort_onesweep_sort_config_static_selectorELNS0_4arch9wavefront6targetE0EEEvSI_.has_recursion, 0
	.set _ZN7rocprim17ROCPRIM_400000_NS6detail17trampoline_kernelINS0_14default_configENS1_35radix_sort_onesweep_config_selectorIiiEEZZNS1_29radix_sort_onesweep_iterationIS3_Lb1EN6thrust23THRUST_200600_302600_NS6detail15normal_iteratorINS8_10device_ptrIiEEEESD_SD_SD_jNS0_19identity_decomposerENS1_16block_id_wrapperIjLb1EEEEE10hipError_tT1_PNSt15iterator_traitsISI_E10value_typeET2_T3_PNSJ_ISO_E10value_typeET4_T5_PST_SU_PNS1_23onesweep_lookback_stateEbbT6_jjT7_P12ihipStream_tbENKUlT_T0_SI_SN_E_clIPiSD_S15_SD_EEDaS11_S12_SI_SN_EUlS11_E_NS1_11comp_targetILNS1_3genE8ELNS1_11target_archE1030ELNS1_3gpuE2ELNS1_3repE0EEENS1_47radix_sort_onesweep_sort_config_static_selectorELNS0_4arch9wavefront6targetE0EEEvSI_.has_indirect_call, 0
	.section	.AMDGPU.csdata,"",@progbits
; Kernel info:
; codeLenInByte = 17560
; TotalNumSgprs: 53
; NumVgprs: 68
; ScratchSize: 64
; MemoryBound: 0
; FloatMode: 240
; IeeeMode: 1
; LDSByteSize: 37000 bytes/workgroup (compile time only)
; SGPRBlocks: 0
; VGPRBlocks: 8
; NumSGPRsForWavesPerEU: 53
; NumVGPRsForWavesPerEU: 68
; Occupancy: 12
; WaveLimiterHint : 1
; COMPUTE_PGM_RSRC2:SCRATCH_EN: 1
; COMPUTE_PGM_RSRC2:USER_SGPR: 6
; COMPUTE_PGM_RSRC2:TRAP_HANDLER: 0
; COMPUTE_PGM_RSRC2:TGID_X_EN: 1
; COMPUTE_PGM_RSRC2:TGID_Y_EN: 0
; COMPUTE_PGM_RSRC2:TGID_Z_EN: 0
; COMPUTE_PGM_RSRC2:TIDIG_COMP_CNT: 2
	.section	.text._ZN7rocprim17ROCPRIM_400000_NS6detail17trampoline_kernelINS0_14default_configENS1_35radix_sort_onesweep_config_selectorIiiEEZZNS1_29radix_sort_onesweep_iterationIS3_Lb1EN6thrust23THRUST_200600_302600_NS6detail15normal_iteratorINS8_10device_ptrIiEEEESD_SD_SD_jNS0_19identity_decomposerENS1_16block_id_wrapperIjLb0EEEEE10hipError_tT1_PNSt15iterator_traitsISI_E10value_typeET2_T3_PNSJ_ISO_E10value_typeET4_T5_PST_SU_PNS1_23onesweep_lookback_stateEbbT6_jjT7_P12ihipStream_tbENKUlT_T0_SI_SN_E_clISD_SD_SD_SD_EEDaS11_S12_SI_SN_EUlS11_E_NS1_11comp_targetILNS1_3genE0ELNS1_11target_archE4294967295ELNS1_3gpuE0ELNS1_3repE0EEENS1_47radix_sort_onesweep_sort_config_static_selectorELNS0_4arch9wavefront6targetE0EEEvSI_,"axG",@progbits,_ZN7rocprim17ROCPRIM_400000_NS6detail17trampoline_kernelINS0_14default_configENS1_35radix_sort_onesweep_config_selectorIiiEEZZNS1_29radix_sort_onesweep_iterationIS3_Lb1EN6thrust23THRUST_200600_302600_NS6detail15normal_iteratorINS8_10device_ptrIiEEEESD_SD_SD_jNS0_19identity_decomposerENS1_16block_id_wrapperIjLb0EEEEE10hipError_tT1_PNSt15iterator_traitsISI_E10value_typeET2_T3_PNSJ_ISO_E10value_typeET4_T5_PST_SU_PNS1_23onesweep_lookback_stateEbbT6_jjT7_P12ihipStream_tbENKUlT_T0_SI_SN_E_clISD_SD_SD_SD_EEDaS11_S12_SI_SN_EUlS11_E_NS1_11comp_targetILNS1_3genE0ELNS1_11target_archE4294967295ELNS1_3gpuE0ELNS1_3repE0EEENS1_47radix_sort_onesweep_sort_config_static_selectorELNS0_4arch9wavefront6targetE0EEEvSI_,comdat
	.protected	_ZN7rocprim17ROCPRIM_400000_NS6detail17trampoline_kernelINS0_14default_configENS1_35radix_sort_onesweep_config_selectorIiiEEZZNS1_29radix_sort_onesweep_iterationIS3_Lb1EN6thrust23THRUST_200600_302600_NS6detail15normal_iteratorINS8_10device_ptrIiEEEESD_SD_SD_jNS0_19identity_decomposerENS1_16block_id_wrapperIjLb0EEEEE10hipError_tT1_PNSt15iterator_traitsISI_E10value_typeET2_T3_PNSJ_ISO_E10value_typeET4_T5_PST_SU_PNS1_23onesweep_lookback_stateEbbT6_jjT7_P12ihipStream_tbENKUlT_T0_SI_SN_E_clISD_SD_SD_SD_EEDaS11_S12_SI_SN_EUlS11_E_NS1_11comp_targetILNS1_3genE0ELNS1_11target_archE4294967295ELNS1_3gpuE0ELNS1_3repE0EEENS1_47radix_sort_onesweep_sort_config_static_selectorELNS0_4arch9wavefront6targetE0EEEvSI_ ; -- Begin function _ZN7rocprim17ROCPRIM_400000_NS6detail17trampoline_kernelINS0_14default_configENS1_35radix_sort_onesweep_config_selectorIiiEEZZNS1_29radix_sort_onesweep_iterationIS3_Lb1EN6thrust23THRUST_200600_302600_NS6detail15normal_iteratorINS8_10device_ptrIiEEEESD_SD_SD_jNS0_19identity_decomposerENS1_16block_id_wrapperIjLb0EEEEE10hipError_tT1_PNSt15iterator_traitsISI_E10value_typeET2_T3_PNSJ_ISO_E10value_typeET4_T5_PST_SU_PNS1_23onesweep_lookback_stateEbbT6_jjT7_P12ihipStream_tbENKUlT_T0_SI_SN_E_clISD_SD_SD_SD_EEDaS11_S12_SI_SN_EUlS11_E_NS1_11comp_targetILNS1_3genE0ELNS1_11target_archE4294967295ELNS1_3gpuE0ELNS1_3repE0EEENS1_47radix_sort_onesweep_sort_config_static_selectorELNS0_4arch9wavefront6targetE0EEEvSI_
	.globl	_ZN7rocprim17ROCPRIM_400000_NS6detail17trampoline_kernelINS0_14default_configENS1_35radix_sort_onesweep_config_selectorIiiEEZZNS1_29radix_sort_onesweep_iterationIS3_Lb1EN6thrust23THRUST_200600_302600_NS6detail15normal_iteratorINS8_10device_ptrIiEEEESD_SD_SD_jNS0_19identity_decomposerENS1_16block_id_wrapperIjLb0EEEEE10hipError_tT1_PNSt15iterator_traitsISI_E10value_typeET2_T3_PNSJ_ISO_E10value_typeET4_T5_PST_SU_PNS1_23onesweep_lookback_stateEbbT6_jjT7_P12ihipStream_tbENKUlT_T0_SI_SN_E_clISD_SD_SD_SD_EEDaS11_S12_SI_SN_EUlS11_E_NS1_11comp_targetILNS1_3genE0ELNS1_11target_archE4294967295ELNS1_3gpuE0ELNS1_3repE0EEENS1_47radix_sort_onesweep_sort_config_static_selectorELNS0_4arch9wavefront6targetE0EEEvSI_
	.p2align	8
	.type	_ZN7rocprim17ROCPRIM_400000_NS6detail17trampoline_kernelINS0_14default_configENS1_35radix_sort_onesweep_config_selectorIiiEEZZNS1_29radix_sort_onesweep_iterationIS3_Lb1EN6thrust23THRUST_200600_302600_NS6detail15normal_iteratorINS8_10device_ptrIiEEEESD_SD_SD_jNS0_19identity_decomposerENS1_16block_id_wrapperIjLb0EEEEE10hipError_tT1_PNSt15iterator_traitsISI_E10value_typeET2_T3_PNSJ_ISO_E10value_typeET4_T5_PST_SU_PNS1_23onesweep_lookback_stateEbbT6_jjT7_P12ihipStream_tbENKUlT_T0_SI_SN_E_clISD_SD_SD_SD_EEDaS11_S12_SI_SN_EUlS11_E_NS1_11comp_targetILNS1_3genE0ELNS1_11target_archE4294967295ELNS1_3gpuE0ELNS1_3repE0EEENS1_47radix_sort_onesweep_sort_config_static_selectorELNS0_4arch9wavefront6targetE0EEEvSI_,@function
_ZN7rocprim17ROCPRIM_400000_NS6detail17trampoline_kernelINS0_14default_configENS1_35radix_sort_onesweep_config_selectorIiiEEZZNS1_29radix_sort_onesweep_iterationIS3_Lb1EN6thrust23THRUST_200600_302600_NS6detail15normal_iteratorINS8_10device_ptrIiEEEESD_SD_SD_jNS0_19identity_decomposerENS1_16block_id_wrapperIjLb0EEEEE10hipError_tT1_PNSt15iterator_traitsISI_E10value_typeET2_T3_PNSJ_ISO_E10value_typeET4_T5_PST_SU_PNS1_23onesweep_lookback_stateEbbT6_jjT7_P12ihipStream_tbENKUlT_T0_SI_SN_E_clISD_SD_SD_SD_EEDaS11_S12_SI_SN_EUlS11_E_NS1_11comp_targetILNS1_3genE0ELNS1_11target_archE4294967295ELNS1_3gpuE0ELNS1_3repE0EEENS1_47radix_sort_onesweep_sort_config_static_selectorELNS0_4arch9wavefront6targetE0EEEvSI_: ; @_ZN7rocprim17ROCPRIM_400000_NS6detail17trampoline_kernelINS0_14default_configENS1_35radix_sort_onesweep_config_selectorIiiEEZZNS1_29radix_sort_onesweep_iterationIS3_Lb1EN6thrust23THRUST_200600_302600_NS6detail15normal_iteratorINS8_10device_ptrIiEEEESD_SD_SD_jNS0_19identity_decomposerENS1_16block_id_wrapperIjLb0EEEEE10hipError_tT1_PNSt15iterator_traitsISI_E10value_typeET2_T3_PNSJ_ISO_E10value_typeET4_T5_PST_SU_PNS1_23onesweep_lookback_stateEbbT6_jjT7_P12ihipStream_tbENKUlT_T0_SI_SN_E_clISD_SD_SD_SD_EEDaS11_S12_SI_SN_EUlS11_E_NS1_11comp_targetILNS1_3genE0ELNS1_11target_archE4294967295ELNS1_3gpuE0ELNS1_3repE0EEENS1_47radix_sort_onesweep_sort_config_static_selectorELNS0_4arch9wavefront6targetE0EEEvSI_
; %bb.0:
	.section	.rodata,"a",@progbits
	.p2align	6, 0x0
	.amdhsa_kernel _ZN7rocprim17ROCPRIM_400000_NS6detail17trampoline_kernelINS0_14default_configENS1_35radix_sort_onesweep_config_selectorIiiEEZZNS1_29radix_sort_onesweep_iterationIS3_Lb1EN6thrust23THRUST_200600_302600_NS6detail15normal_iteratorINS8_10device_ptrIiEEEESD_SD_SD_jNS0_19identity_decomposerENS1_16block_id_wrapperIjLb0EEEEE10hipError_tT1_PNSt15iterator_traitsISI_E10value_typeET2_T3_PNSJ_ISO_E10value_typeET4_T5_PST_SU_PNS1_23onesweep_lookback_stateEbbT6_jjT7_P12ihipStream_tbENKUlT_T0_SI_SN_E_clISD_SD_SD_SD_EEDaS11_S12_SI_SN_EUlS11_E_NS1_11comp_targetILNS1_3genE0ELNS1_11target_archE4294967295ELNS1_3gpuE0ELNS1_3repE0EEENS1_47radix_sort_onesweep_sort_config_static_selectorELNS0_4arch9wavefront6targetE0EEEvSI_
		.amdhsa_group_segment_fixed_size 0
		.amdhsa_private_segment_fixed_size 0
		.amdhsa_kernarg_size 88
		.amdhsa_user_sgpr_count 6
		.amdhsa_user_sgpr_private_segment_buffer 1
		.amdhsa_user_sgpr_dispatch_ptr 0
		.amdhsa_user_sgpr_queue_ptr 0
		.amdhsa_user_sgpr_kernarg_segment_ptr 1
		.amdhsa_user_sgpr_dispatch_id 0
		.amdhsa_user_sgpr_flat_scratch_init 0
		.amdhsa_user_sgpr_private_segment_size 0
		.amdhsa_wavefront_size32 1
		.amdhsa_uses_dynamic_stack 0
		.amdhsa_system_sgpr_private_segment_wavefront_offset 0
		.amdhsa_system_sgpr_workgroup_id_x 1
		.amdhsa_system_sgpr_workgroup_id_y 0
		.amdhsa_system_sgpr_workgroup_id_z 0
		.amdhsa_system_sgpr_workgroup_info 0
		.amdhsa_system_vgpr_workitem_id 0
		.amdhsa_next_free_vgpr 1
		.amdhsa_next_free_sgpr 1
		.amdhsa_reserve_vcc 0
		.amdhsa_reserve_flat_scratch 0
		.amdhsa_float_round_mode_32 0
		.amdhsa_float_round_mode_16_64 0
		.amdhsa_float_denorm_mode_32 3
		.amdhsa_float_denorm_mode_16_64 3
		.amdhsa_dx10_clamp 1
		.amdhsa_ieee_mode 1
		.amdhsa_fp16_overflow 0
		.amdhsa_workgroup_processor_mode 1
		.amdhsa_memory_ordered 1
		.amdhsa_forward_progress 1
		.amdhsa_shared_vgpr_count 0
		.amdhsa_exception_fp_ieee_invalid_op 0
		.amdhsa_exception_fp_denorm_src 0
		.amdhsa_exception_fp_ieee_div_zero 0
		.amdhsa_exception_fp_ieee_overflow 0
		.amdhsa_exception_fp_ieee_underflow 0
		.amdhsa_exception_fp_ieee_inexact 0
		.amdhsa_exception_int_div_zero 0
	.end_amdhsa_kernel
	.section	.text._ZN7rocprim17ROCPRIM_400000_NS6detail17trampoline_kernelINS0_14default_configENS1_35radix_sort_onesweep_config_selectorIiiEEZZNS1_29radix_sort_onesweep_iterationIS3_Lb1EN6thrust23THRUST_200600_302600_NS6detail15normal_iteratorINS8_10device_ptrIiEEEESD_SD_SD_jNS0_19identity_decomposerENS1_16block_id_wrapperIjLb0EEEEE10hipError_tT1_PNSt15iterator_traitsISI_E10value_typeET2_T3_PNSJ_ISO_E10value_typeET4_T5_PST_SU_PNS1_23onesweep_lookback_stateEbbT6_jjT7_P12ihipStream_tbENKUlT_T0_SI_SN_E_clISD_SD_SD_SD_EEDaS11_S12_SI_SN_EUlS11_E_NS1_11comp_targetILNS1_3genE0ELNS1_11target_archE4294967295ELNS1_3gpuE0ELNS1_3repE0EEENS1_47radix_sort_onesweep_sort_config_static_selectorELNS0_4arch9wavefront6targetE0EEEvSI_,"axG",@progbits,_ZN7rocprim17ROCPRIM_400000_NS6detail17trampoline_kernelINS0_14default_configENS1_35radix_sort_onesweep_config_selectorIiiEEZZNS1_29radix_sort_onesweep_iterationIS3_Lb1EN6thrust23THRUST_200600_302600_NS6detail15normal_iteratorINS8_10device_ptrIiEEEESD_SD_SD_jNS0_19identity_decomposerENS1_16block_id_wrapperIjLb0EEEEE10hipError_tT1_PNSt15iterator_traitsISI_E10value_typeET2_T3_PNSJ_ISO_E10value_typeET4_T5_PST_SU_PNS1_23onesweep_lookback_stateEbbT6_jjT7_P12ihipStream_tbENKUlT_T0_SI_SN_E_clISD_SD_SD_SD_EEDaS11_S12_SI_SN_EUlS11_E_NS1_11comp_targetILNS1_3genE0ELNS1_11target_archE4294967295ELNS1_3gpuE0ELNS1_3repE0EEENS1_47radix_sort_onesweep_sort_config_static_selectorELNS0_4arch9wavefront6targetE0EEEvSI_,comdat
.Lfunc_end1026:
	.size	_ZN7rocprim17ROCPRIM_400000_NS6detail17trampoline_kernelINS0_14default_configENS1_35radix_sort_onesweep_config_selectorIiiEEZZNS1_29radix_sort_onesweep_iterationIS3_Lb1EN6thrust23THRUST_200600_302600_NS6detail15normal_iteratorINS8_10device_ptrIiEEEESD_SD_SD_jNS0_19identity_decomposerENS1_16block_id_wrapperIjLb0EEEEE10hipError_tT1_PNSt15iterator_traitsISI_E10value_typeET2_T3_PNSJ_ISO_E10value_typeET4_T5_PST_SU_PNS1_23onesweep_lookback_stateEbbT6_jjT7_P12ihipStream_tbENKUlT_T0_SI_SN_E_clISD_SD_SD_SD_EEDaS11_S12_SI_SN_EUlS11_E_NS1_11comp_targetILNS1_3genE0ELNS1_11target_archE4294967295ELNS1_3gpuE0ELNS1_3repE0EEENS1_47radix_sort_onesweep_sort_config_static_selectorELNS0_4arch9wavefront6targetE0EEEvSI_, .Lfunc_end1026-_ZN7rocprim17ROCPRIM_400000_NS6detail17trampoline_kernelINS0_14default_configENS1_35radix_sort_onesweep_config_selectorIiiEEZZNS1_29radix_sort_onesweep_iterationIS3_Lb1EN6thrust23THRUST_200600_302600_NS6detail15normal_iteratorINS8_10device_ptrIiEEEESD_SD_SD_jNS0_19identity_decomposerENS1_16block_id_wrapperIjLb0EEEEE10hipError_tT1_PNSt15iterator_traitsISI_E10value_typeET2_T3_PNSJ_ISO_E10value_typeET4_T5_PST_SU_PNS1_23onesweep_lookback_stateEbbT6_jjT7_P12ihipStream_tbENKUlT_T0_SI_SN_E_clISD_SD_SD_SD_EEDaS11_S12_SI_SN_EUlS11_E_NS1_11comp_targetILNS1_3genE0ELNS1_11target_archE4294967295ELNS1_3gpuE0ELNS1_3repE0EEENS1_47radix_sort_onesweep_sort_config_static_selectorELNS0_4arch9wavefront6targetE0EEEvSI_
                                        ; -- End function
	.set _ZN7rocprim17ROCPRIM_400000_NS6detail17trampoline_kernelINS0_14default_configENS1_35radix_sort_onesweep_config_selectorIiiEEZZNS1_29radix_sort_onesweep_iterationIS3_Lb1EN6thrust23THRUST_200600_302600_NS6detail15normal_iteratorINS8_10device_ptrIiEEEESD_SD_SD_jNS0_19identity_decomposerENS1_16block_id_wrapperIjLb0EEEEE10hipError_tT1_PNSt15iterator_traitsISI_E10value_typeET2_T3_PNSJ_ISO_E10value_typeET4_T5_PST_SU_PNS1_23onesweep_lookback_stateEbbT6_jjT7_P12ihipStream_tbENKUlT_T0_SI_SN_E_clISD_SD_SD_SD_EEDaS11_S12_SI_SN_EUlS11_E_NS1_11comp_targetILNS1_3genE0ELNS1_11target_archE4294967295ELNS1_3gpuE0ELNS1_3repE0EEENS1_47radix_sort_onesweep_sort_config_static_selectorELNS0_4arch9wavefront6targetE0EEEvSI_.num_vgpr, 0
	.set _ZN7rocprim17ROCPRIM_400000_NS6detail17trampoline_kernelINS0_14default_configENS1_35radix_sort_onesweep_config_selectorIiiEEZZNS1_29radix_sort_onesweep_iterationIS3_Lb1EN6thrust23THRUST_200600_302600_NS6detail15normal_iteratorINS8_10device_ptrIiEEEESD_SD_SD_jNS0_19identity_decomposerENS1_16block_id_wrapperIjLb0EEEEE10hipError_tT1_PNSt15iterator_traitsISI_E10value_typeET2_T3_PNSJ_ISO_E10value_typeET4_T5_PST_SU_PNS1_23onesweep_lookback_stateEbbT6_jjT7_P12ihipStream_tbENKUlT_T0_SI_SN_E_clISD_SD_SD_SD_EEDaS11_S12_SI_SN_EUlS11_E_NS1_11comp_targetILNS1_3genE0ELNS1_11target_archE4294967295ELNS1_3gpuE0ELNS1_3repE0EEENS1_47radix_sort_onesweep_sort_config_static_selectorELNS0_4arch9wavefront6targetE0EEEvSI_.num_agpr, 0
	.set _ZN7rocprim17ROCPRIM_400000_NS6detail17trampoline_kernelINS0_14default_configENS1_35radix_sort_onesweep_config_selectorIiiEEZZNS1_29radix_sort_onesweep_iterationIS3_Lb1EN6thrust23THRUST_200600_302600_NS6detail15normal_iteratorINS8_10device_ptrIiEEEESD_SD_SD_jNS0_19identity_decomposerENS1_16block_id_wrapperIjLb0EEEEE10hipError_tT1_PNSt15iterator_traitsISI_E10value_typeET2_T3_PNSJ_ISO_E10value_typeET4_T5_PST_SU_PNS1_23onesweep_lookback_stateEbbT6_jjT7_P12ihipStream_tbENKUlT_T0_SI_SN_E_clISD_SD_SD_SD_EEDaS11_S12_SI_SN_EUlS11_E_NS1_11comp_targetILNS1_3genE0ELNS1_11target_archE4294967295ELNS1_3gpuE0ELNS1_3repE0EEENS1_47radix_sort_onesweep_sort_config_static_selectorELNS0_4arch9wavefront6targetE0EEEvSI_.numbered_sgpr, 0
	.set _ZN7rocprim17ROCPRIM_400000_NS6detail17trampoline_kernelINS0_14default_configENS1_35radix_sort_onesweep_config_selectorIiiEEZZNS1_29radix_sort_onesweep_iterationIS3_Lb1EN6thrust23THRUST_200600_302600_NS6detail15normal_iteratorINS8_10device_ptrIiEEEESD_SD_SD_jNS0_19identity_decomposerENS1_16block_id_wrapperIjLb0EEEEE10hipError_tT1_PNSt15iterator_traitsISI_E10value_typeET2_T3_PNSJ_ISO_E10value_typeET4_T5_PST_SU_PNS1_23onesweep_lookback_stateEbbT6_jjT7_P12ihipStream_tbENKUlT_T0_SI_SN_E_clISD_SD_SD_SD_EEDaS11_S12_SI_SN_EUlS11_E_NS1_11comp_targetILNS1_3genE0ELNS1_11target_archE4294967295ELNS1_3gpuE0ELNS1_3repE0EEENS1_47radix_sort_onesweep_sort_config_static_selectorELNS0_4arch9wavefront6targetE0EEEvSI_.num_named_barrier, 0
	.set _ZN7rocprim17ROCPRIM_400000_NS6detail17trampoline_kernelINS0_14default_configENS1_35radix_sort_onesweep_config_selectorIiiEEZZNS1_29radix_sort_onesweep_iterationIS3_Lb1EN6thrust23THRUST_200600_302600_NS6detail15normal_iteratorINS8_10device_ptrIiEEEESD_SD_SD_jNS0_19identity_decomposerENS1_16block_id_wrapperIjLb0EEEEE10hipError_tT1_PNSt15iterator_traitsISI_E10value_typeET2_T3_PNSJ_ISO_E10value_typeET4_T5_PST_SU_PNS1_23onesweep_lookback_stateEbbT6_jjT7_P12ihipStream_tbENKUlT_T0_SI_SN_E_clISD_SD_SD_SD_EEDaS11_S12_SI_SN_EUlS11_E_NS1_11comp_targetILNS1_3genE0ELNS1_11target_archE4294967295ELNS1_3gpuE0ELNS1_3repE0EEENS1_47radix_sort_onesweep_sort_config_static_selectorELNS0_4arch9wavefront6targetE0EEEvSI_.private_seg_size, 0
	.set _ZN7rocprim17ROCPRIM_400000_NS6detail17trampoline_kernelINS0_14default_configENS1_35radix_sort_onesweep_config_selectorIiiEEZZNS1_29radix_sort_onesweep_iterationIS3_Lb1EN6thrust23THRUST_200600_302600_NS6detail15normal_iteratorINS8_10device_ptrIiEEEESD_SD_SD_jNS0_19identity_decomposerENS1_16block_id_wrapperIjLb0EEEEE10hipError_tT1_PNSt15iterator_traitsISI_E10value_typeET2_T3_PNSJ_ISO_E10value_typeET4_T5_PST_SU_PNS1_23onesweep_lookback_stateEbbT6_jjT7_P12ihipStream_tbENKUlT_T0_SI_SN_E_clISD_SD_SD_SD_EEDaS11_S12_SI_SN_EUlS11_E_NS1_11comp_targetILNS1_3genE0ELNS1_11target_archE4294967295ELNS1_3gpuE0ELNS1_3repE0EEENS1_47radix_sort_onesweep_sort_config_static_selectorELNS0_4arch9wavefront6targetE0EEEvSI_.uses_vcc, 0
	.set _ZN7rocprim17ROCPRIM_400000_NS6detail17trampoline_kernelINS0_14default_configENS1_35radix_sort_onesweep_config_selectorIiiEEZZNS1_29radix_sort_onesweep_iterationIS3_Lb1EN6thrust23THRUST_200600_302600_NS6detail15normal_iteratorINS8_10device_ptrIiEEEESD_SD_SD_jNS0_19identity_decomposerENS1_16block_id_wrapperIjLb0EEEEE10hipError_tT1_PNSt15iterator_traitsISI_E10value_typeET2_T3_PNSJ_ISO_E10value_typeET4_T5_PST_SU_PNS1_23onesweep_lookback_stateEbbT6_jjT7_P12ihipStream_tbENKUlT_T0_SI_SN_E_clISD_SD_SD_SD_EEDaS11_S12_SI_SN_EUlS11_E_NS1_11comp_targetILNS1_3genE0ELNS1_11target_archE4294967295ELNS1_3gpuE0ELNS1_3repE0EEENS1_47radix_sort_onesweep_sort_config_static_selectorELNS0_4arch9wavefront6targetE0EEEvSI_.uses_flat_scratch, 0
	.set _ZN7rocprim17ROCPRIM_400000_NS6detail17trampoline_kernelINS0_14default_configENS1_35radix_sort_onesweep_config_selectorIiiEEZZNS1_29radix_sort_onesweep_iterationIS3_Lb1EN6thrust23THRUST_200600_302600_NS6detail15normal_iteratorINS8_10device_ptrIiEEEESD_SD_SD_jNS0_19identity_decomposerENS1_16block_id_wrapperIjLb0EEEEE10hipError_tT1_PNSt15iterator_traitsISI_E10value_typeET2_T3_PNSJ_ISO_E10value_typeET4_T5_PST_SU_PNS1_23onesweep_lookback_stateEbbT6_jjT7_P12ihipStream_tbENKUlT_T0_SI_SN_E_clISD_SD_SD_SD_EEDaS11_S12_SI_SN_EUlS11_E_NS1_11comp_targetILNS1_3genE0ELNS1_11target_archE4294967295ELNS1_3gpuE0ELNS1_3repE0EEENS1_47radix_sort_onesweep_sort_config_static_selectorELNS0_4arch9wavefront6targetE0EEEvSI_.has_dyn_sized_stack, 0
	.set _ZN7rocprim17ROCPRIM_400000_NS6detail17trampoline_kernelINS0_14default_configENS1_35radix_sort_onesweep_config_selectorIiiEEZZNS1_29radix_sort_onesweep_iterationIS3_Lb1EN6thrust23THRUST_200600_302600_NS6detail15normal_iteratorINS8_10device_ptrIiEEEESD_SD_SD_jNS0_19identity_decomposerENS1_16block_id_wrapperIjLb0EEEEE10hipError_tT1_PNSt15iterator_traitsISI_E10value_typeET2_T3_PNSJ_ISO_E10value_typeET4_T5_PST_SU_PNS1_23onesweep_lookback_stateEbbT6_jjT7_P12ihipStream_tbENKUlT_T0_SI_SN_E_clISD_SD_SD_SD_EEDaS11_S12_SI_SN_EUlS11_E_NS1_11comp_targetILNS1_3genE0ELNS1_11target_archE4294967295ELNS1_3gpuE0ELNS1_3repE0EEENS1_47radix_sort_onesweep_sort_config_static_selectorELNS0_4arch9wavefront6targetE0EEEvSI_.has_recursion, 0
	.set _ZN7rocprim17ROCPRIM_400000_NS6detail17trampoline_kernelINS0_14default_configENS1_35radix_sort_onesweep_config_selectorIiiEEZZNS1_29radix_sort_onesweep_iterationIS3_Lb1EN6thrust23THRUST_200600_302600_NS6detail15normal_iteratorINS8_10device_ptrIiEEEESD_SD_SD_jNS0_19identity_decomposerENS1_16block_id_wrapperIjLb0EEEEE10hipError_tT1_PNSt15iterator_traitsISI_E10value_typeET2_T3_PNSJ_ISO_E10value_typeET4_T5_PST_SU_PNS1_23onesweep_lookback_stateEbbT6_jjT7_P12ihipStream_tbENKUlT_T0_SI_SN_E_clISD_SD_SD_SD_EEDaS11_S12_SI_SN_EUlS11_E_NS1_11comp_targetILNS1_3genE0ELNS1_11target_archE4294967295ELNS1_3gpuE0ELNS1_3repE0EEENS1_47radix_sort_onesweep_sort_config_static_selectorELNS0_4arch9wavefront6targetE0EEEvSI_.has_indirect_call, 0
	.section	.AMDGPU.csdata,"",@progbits
; Kernel info:
; codeLenInByte = 0
; TotalNumSgprs: 0
; NumVgprs: 0
; ScratchSize: 0
; MemoryBound: 0
; FloatMode: 240
; IeeeMode: 1
; LDSByteSize: 0 bytes/workgroup (compile time only)
; SGPRBlocks: 0
; VGPRBlocks: 0
; NumSGPRsForWavesPerEU: 1
; NumVGPRsForWavesPerEU: 1
; Occupancy: 16
; WaveLimiterHint : 0
; COMPUTE_PGM_RSRC2:SCRATCH_EN: 0
; COMPUTE_PGM_RSRC2:USER_SGPR: 6
; COMPUTE_PGM_RSRC2:TRAP_HANDLER: 0
; COMPUTE_PGM_RSRC2:TGID_X_EN: 1
; COMPUTE_PGM_RSRC2:TGID_Y_EN: 0
; COMPUTE_PGM_RSRC2:TGID_Z_EN: 0
; COMPUTE_PGM_RSRC2:TIDIG_COMP_CNT: 0
	.section	.text._ZN7rocprim17ROCPRIM_400000_NS6detail17trampoline_kernelINS0_14default_configENS1_35radix_sort_onesweep_config_selectorIiiEEZZNS1_29radix_sort_onesweep_iterationIS3_Lb1EN6thrust23THRUST_200600_302600_NS6detail15normal_iteratorINS8_10device_ptrIiEEEESD_SD_SD_jNS0_19identity_decomposerENS1_16block_id_wrapperIjLb0EEEEE10hipError_tT1_PNSt15iterator_traitsISI_E10value_typeET2_T3_PNSJ_ISO_E10value_typeET4_T5_PST_SU_PNS1_23onesweep_lookback_stateEbbT6_jjT7_P12ihipStream_tbENKUlT_T0_SI_SN_E_clISD_SD_SD_SD_EEDaS11_S12_SI_SN_EUlS11_E_NS1_11comp_targetILNS1_3genE6ELNS1_11target_archE950ELNS1_3gpuE13ELNS1_3repE0EEENS1_47radix_sort_onesweep_sort_config_static_selectorELNS0_4arch9wavefront6targetE0EEEvSI_,"axG",@progbits,_ZN7rocprim17ROCPRIM_400000_NS6detail17trampoline_kernelINS0_14default_configENS1_35radix_sort_onesweep_config_selectorIiiEEZZNS1_29radix_sort_onesweep_iterationIS3_Lb1EN6thrust23THRUST_200600_302600_NS6detail15normal_iteratorINS8_10device_ptrIiEEEESD_SD_SD_jNS0_19identity_decomposerENS1_16block_id_wrapperIjLb0EEEEE10hipError_tT1_PNSt15iterator_traitsISI_E10value_typeET2_T3_PNSJ_ISO_E10value_typeET4_T5_PST_SU_PNS1_23onesweep_lookback_stateEbbT6_jjT7_P12ihipStream_tbENKUlT_T0_SI_SN_E_clISD_SD_SD_SD_EEDaS11_S12_SI_SN_EUlS11_E_NS1_11comp_targetILNS1_3genE6ELNS1_11target_archE950ELNS1_3gpuE13ELNS1_3repE0EEENS1_47radix_sort_onesweep_sort_config_static_selectorELNS0_4arch9wavefront6targetE0EEEvSI_,comdat
	.protected	_ZN7rocprim17ROCPRIM_400000_NS6detail17trampoline_kernelINS0_14default_configENS1_35radix_sort_onesweep_config_selectorIiiEEZZNS1_29radix_sort_onesweep_iterationIS3_Lb1EN6thrust23THRUST_200600_302600_NS6detail15normal_iteratorINS8_10device_ptrIiEEEESD_SD_SD_jNS0_19identity_decomposerENS1_16block_id_wrapperIjLb0EEEEE10hipError_tT1_PNSt15iterator_traitsISI_E10value_typeET2_T3_PNSJ_ISO_E10value_typeET4_T5_PST_SU_PNS1_23onesweep_lookback_stateEbbT6_jjT7_P12ihipStream_tbENKUlT_T0_SI_SN_E_clISD_SD_SD_SD_EEDaS11_S12_SI_SN_EUlS11_E_NS1_11comp_targetILNS1_3genE6ELNS1_11target_archE950ELNS1_3gpuE13ELNS1_3repE0EEENS1_47radix_sort_onesweep_sort_config_static_selectorELNS0_4arch9wavefront6targetE0EEEvSI_ ; -- Begin function _ZN7rocprim17ROCPRIM_400000_NS6detail17trampoline_kernelINS0_14default_configENS1_35radix_sort_onesweep_config_selectorIiiEEZZNS1_29radix_sort_onesweep_iterationIS3_Lb1EN6thrust23THRUST_200600_302600_NS6detail15normal_iteratorINS8_10device_ptrIiEEEESD_SD_SD_jNS0_19identity_decomposerENS1_16block_id_wrapperIjLb0EEEEE10hipError_tT1_PNSt15iterator_traitsISI_E10value_typeET2_T3_PNSJ_ISO_E10value_typeET4_T5_PST_SU_PNS1_23onesweep_lookback_stateEbbT6_jjT7_P12ihipStream_tbENKUlT_T0_SI_SN_E_clISD_SD_SD_SD_EEDaS11_S12_SI_SN_EUlS11_E_NS1_11comp_targetILNS1_3genE6ELNS1_11target_archE950ELNS1_3gpuE13ELNS1_3repE0EEENS1_47radix_sort_onesweep_sort_config_static_selectorELNS0_4arch9wavefront6targetE0EEEvSI_
	.globl	_ZN7rocprim17ROCPRIM_400000_NS6detail17trampoline_kernelINS0_14default_configENS1_35radix_sort_onesweep_config_selectorIiiEEZZNS1_29radix_sort_onesweep_iterationIS3_Lb1EN6thrust23THRUST_200600_302600_NS6detail15normal_iteratorINS8_10device_ptrIiEEEESD_SD_SD_jNS0_19identity_decomposerENS1_16block_id_wrapperIjLb0EEEEE10hipError_tT1_PNSt15iterator_traitsISI_E10value_typeET2_T3_PNSJ_ISO_E10value_typeET4_T5_PST_SU_PNS1_23onesweep_lookback_stateEbbT6_jjT7_P12ihipStream_tbENKUlT_T0_SI_SN_E_clISD_SD_SD_SD_EEDaS11_S12_SI_SN_EUlS11_E_NS1_11comp_targetILNS1_3genE6ELNS1_11target_archE950ELNS1_3gpuE13ELNS1_3repE0EEENS1_47radix_sort_onesweep_sort_config_static_selectorELNS0_4arch9wavefront6targetE0EEEvSI_
	.p2align	8
	.type	_ZN7rocprim17ROCPRIM_400000_NS6detail17trampoline_kernelINS0_14default_configENS1_35radix_sort_onesweep_config_selectorIiiEEZZNS1_29radix_sort_onesweep_iterationIS3_Lb1EN6thrust23THRUST_200600_302600_NS6detail15normal_iteratorINS8_10device_ptrIiEEEESD_SD_SD_jNS0_19identity_decomposerENS1_16block_id_wrapperIjLb0EEEEE10hipError_tT1_PNSt15iterator_traitsISI_E10value_typeET2_T3_PNSJ_ISO_E10value_typeET4_T5_PST_SU_PNS1_23onesweep_lookback_stateEbbT6_jjT7_P12ihipStream_tbENKUlT_T0_SI_SN_E_clISD_SD_SD_SD_EEDaS11_S12_SI_SN_EUlS11_E_NS1_11comp_targetILNS1_3genE6ELNS1_11target_archE950ELNS1_3gpuE13ELNS1_3repE0EEENS1_47radix_sort_onesweep_sort_config_static_selectorELNS0_4arch9wavefront6targetE0EEEvSI_,@function
_ZN7rocprim17ROCPRIM_400000_NS6detail17trampoline_kernelINS0_14default_configENS1_35radix_sort_onesweep_config_selectorIiiEEZZNS1_29radix_sort_onesweep_iterationIS3_Lb1EN6thrust23THRUST_200600_302600_NS6detail15normal_iteratorINS8_10device_ptrIiEEEESD_SD_SD_jNS0_19identity_decomposerENS1_16block_id_wrapperIjLb0EEEEE10hipError_tT1_PNSt15iterator_traitsISI_E10value_typeET2_T3_PNSJ_ISO_E10value_typeET4_T5_PST_SU_PNS1_23onesweep_lookback_stateEbbT6_jjT7_P12ihipStream_tbENKUlT_T0_SI_SN_E_clISD_SD_SD_SD_EEDaS11_S12_SI_SN_EUlS11_E_NS1_11comp_targetILNS1_3genE6ELNS1_11target_archE950ELNS1_3gpuE13ELNS1_3repE0EEENS1_47radix_sort_onesweep_sort_config_static_selectorELNS0_4arch9wavefront6targetE0EEEvSI_: ; @_ZN7rocprim17ROCPRIM_400000_NS6detail17trampoline_kernelINS0_14default_configENS1_35radix_sort_onesweep_config_selectorIiiEEZZNS1_29radix_sort_onesweep_iterationIS3_Lb1EN6thrust23THRUST_200600_302600_NS6detail15normal_iteratorINS8_10device_ptrIiEEEESD_SD_SD_jNS0_19identity_decomposerENS1_16block_id_wrapperIjLb0EEEEE10hipError_tT1_PNSt15iterator_traitsISI_E10value_typeET2_T3_PNSJ_ISO_E10value_typeET4_T5_PST_SU_PNS1_23onesweep_lookback_stateEbbT6_jjT7_P12ihipStream_tbENKUlT_T0_SI_SN_E_clISD_SD_SD_SD_EEDaS11_S12_SI_SN_EUlS11_E_NS1_11comp_targetILNS1_3genE6ELNS1_11target_archE950ELNS1_3gpuE13ELNS1_3repE0EEENS1_47radix_sort_onesweep_sort_config_static_selectorELNS0_4arch9wavefront6targetE0EEEvSI_
; %bb.0:
	.section	.rodata,"a",@progbits
	.p2align	6, 0x0
	.amdhsa_kernel _ZN7rocprim17ROCPRIM_400000_NS6detail17trampoline_kernelINS0_14default_configENS1_35radix_sort_onesweep_config_selectorIiiEEZZNS1_29radix_sort_onesweep_iterationIS3_Lb1EN6thrust23THRUST_200600_302600_NS6detail15normal_iteratorINS8_10device_ptrIiEEEESD_SD_SD_jNS0_19identity_decomposerENS1_16block_id_wrapperIjLb0EEEEE10hipError_tT1_PNSt15iterator_traitsISI_E10value_typeET2_T3_PNSJ_ISO_E10value_typeET4_T5_PST_SU_PNS1_23onesweep_lookback_stateEbbT6_jjT7_P12ihipStream_tbENKUlT_T0_SI_SN_E_clISD_SD_SD_SD_EEDaS11_S12_SI_SN_EUlS11_E_NS1_11comp_targetILNS1_3genE6ELNS1_11target_archE950ELNS1_3gpuE13ELNS1_3repE0EEENS1_47radix_sort_onesweep_sort_config_static_selectorELNS0_4arch9wavefront6targetE0EEEvSI_
		.amdhsa_group_segment_fixed_size 0
		.amdhsa_private_segment_fixed_size 0
		.amdhsa_kernarg_size 88
		.amdhsa_user_sgpr_count 6
		.amdhsa_user_sgpr_private_segment_buffer 1
		.amdhsa_user_sgpr_dispatch_ptr 0
		.amdhsa_user_sgpr_queue_ptr 0
		.amdhsa_user_sgpr_kernarg_segment_ptr 1
		.amdhsa_user_sgpr_dispatch_id 0
		.amdhsa_user_sgpr_flat_scratch_init 0
		.amdhsa_user_sgpr_private_segment_size 0
		.amdhsa_wavefront_size32 1
		.amdhsa_uses_dynamic_stack 0
		.amdhsa_system_sgpr_private_segment_wavefront_offset 0
		.amdhsa_system_sgpr_workgroup_id_x 1
		.amdhsa_system_sgpr_workgroup_id_y 0
		.amdhsa_system_sgpr_workgroup_id_z 0
		.amdhsa_system_sgpr_workgroup_info 0
		.amdhsa_system_vgpr_workitem_id 0
		.amdhsa_next_free_vgpr 1
		.amdhsa_next_free_sgpr 1
		.amdhsa_reserve_vcc 0
		.amdhsa_reserve_flat_scratch 0
		.amdhsa_float_round_mode_32 0
		.amdhsa_float_round_mode_16_64 0
		.amdhsa_float_denorm_mode_32 3
		.amdhsa_float_denorm_mode_16_64 3
		.amdhsa_dx10_clamp 1
		.amdhsa_ieee_mode 1
		.amdhsa_fp16_overflow 0
		.amdhsa_workgroup_processor_mode 1
		.amdhsa_memory_ordered 1
		.amdhsa_forward_progress 1
		.amdhsa_shared_vgpr_count 0
		.amdhsa_exception_fp_ieee_invalid_op 0
		.amdhsa_exception_fp_denorm_src 0
		.amdhsa_exception_fp_ieee_div_zero 0
		.amdhsa_exception_fp_ieee_overflow 0
		.amdhsa_exception_fp_ieee_underflow 0
		.amdhsa_exception_fp_ieee_inexact 0
		.amdhsa_exception_int_div_zero 0
	.end_amdhsa_kernel
	.section	.text._ZN7rocprim17ROCPRIM_400000_NS6detail17trampoline_kernelINS0_14default_configENS1_35radix_sort_onesweep_config_selectorIiiEEZZNS1_29radix_sort_onesweep_iterationIS3_Lb1EN6thrust23THRUST_200600_302600_NS6detail15normal_iteratorINS8_10device_ptrIiEEEESD_SD_SD_jNS0_19identity_decomposerENS1_16block_id_wrapperIjLb0EEEEE10hipError_tT1_PNSt15iterator_traitsISI_E10value_typeET2_T3_PNSJ_ISO_E10value_typeET4_T5_PST_SU_PNS1_23onesweep_lookback_stateEbbT6_jjT7_P12ihipStream_tbENKUlT_T0_SI_SN_E_clISD_SD_SD_SD_EEDaS11_S12_SI_SN_EUlS11_E_NS1_11comp_targetILNS1_3genE6ELNS1_11target_archE950ELNS1_3gpuE13ELNS1_3repE0EEENS1_47radix_sort_onesweep_sort_config_static_selectorELNS0_4arch9wavefront6targetE0EEEvSI_,"axG",@progbits,_ZN7rocprim17ROCPRIM_400000_NS6detail17trampoline_kernelINS0_14default_configENS1_35radix_sort_onesweep_config_selectorIiiEEZZNS1_29radix_sort_onesweep_iterationIS3_Lb1EN6thrust23THRUST_200600_302600_NS6detail15normal_iteratorINS8_10device_ptrIiEEEESD_SD_SD_jNS0_19identity_decomposerENS1_16block_id_wrapperIjLb0EEEEE10hipError_tT1_PNSt15iterator_traitsISI_E10value_typeET2_T3_PNSJ_ISO_E10value_typeET4_T5_PST_SU_PNS1_23onesweep_lookback_stateEbbT6_jjT7_P12ihipStream_tbENKUlT_T0_SI_SN_E_clISD_SD_SD_SD_EEDaS11_S12_SI_SN_EUlS11_E_NS1_11comp_targetILNS1_3genE6ELNS1_11target_archE950ELNS1_3gpuE13ELNS1_3repE0EEENS1_47radix_sort_onesweep_sort_config_static_selectorELNS0_4arch9wavefront6targetE0EEEvSI_,comdat
.Lfunc_end1027:
	.size	_ZN7rocprim17ROCPRIM_400000_NS6detail17trampoline_kernelINS0_14default_configENS1_35radix_sort_onesweep_config_selectorIiiEEZZNS1_29radix_sort_onesweep_iterationIS3_Lb1EN6thrust23THRUST_200600_302600_NS6detail15normal_iteratorINS8_10device_ptrIiEEEESD_SD_SD_jNS0_19identity_decomposerENS1_16block_id_wrapperIjLb0EEEEE10hipError_tT1_PNSt15iterator_traitsISI_E10value_typeET2_T3_PNSJ_ISO_E10value_typeET4_T5_PST_SU_PNS1_23onesweep_lookback_stateEbbT6_jjT7_P12ihipStream_tbENKUlT_T0_SI_SN_E_clISD_SD_SD_SD_EEDaS11_S12_SI_SN_EUlS11_E_NS1_11comp_targetILNS1_3genE6ELNS1_11target_archE950ELNS1_3gpuE13ELNS1_3repE0EEENS1_47radix_sort_onesweep_sort_config_static_selectorELNS0_4arch9wavefront6targetE0EEEvSI_, .Lfunc_end1027-_ZN7rocprim17ROCPRIM_400000_NS6detail17trampoline_kernelINS0_14default_configENS1_35radix_sort_onesweep_config_selectorIiiEEZZNS1_29radix_sort_onesweep_iterationIS3_Lb1EN6thrust23THRUST_200600_302600_NS6detail15normal_iteratorINS8_10device_ptrIiEEEESD_SD_SD_jNS0_19identity_decomposerENS1_16block_id_wrapperIjLb0EEEEE10hipError_tT1_PNSt15iterator_traitsISI_E10value_typeET2_T3_PNSJ_ISO_E10value_typeET4_T5_PST_SU_PNS1_23onesweep_lookback_stateEbbT6_jjT7_P12ihipStream_tbENKUlT_T0_SI_SN_E_clISD_SD_SD_SD_EEDaS11_S12_SI_SN_EUlS11_E_NS1_11comp_targetILNS1_3genE6ELNS1_11target_archE950ELNS1_3gpuE13ELNS1_3repE0EEENS1_47radix_sort_onesweep_sort_config_static_selectorELNS0_4arch9wavefront6targetE0EEEvSI_
                                        ; -- End function
	.set _ZN7rocprim17ROCPRIM_400000_NS6detail17trampoline_kernelINS0_14default_configENS1_35radix_sort_onesweep_config_selectorIiiEEZZNS1_29radix_sort_onesweep_iterationIS3_Lb1EN6thrust23THRUST_200600_302600_NS6detail15normal_iteratorINS8_10device_ptrIiEEEESD_SD_SD_jNS0_19identity_decomposerENS1_16block_id_wrapperIjLb0EEEEE10hipError_tT1_PNSt15iterator_traitsISI_E10value_typeET2_T3_PNSJ_ISO_E10value_typeET4_T5_PST_SU_PNS1_23onesweep_lookback_stateEbbT6_jjT7_P12ihipStream_tbENKUlT_T0_SI_SN_E_clISD_SD_SD_SD_EEDaS11_S12_SI_SN_EUlS11_E_NS1_11comp_targetILNS1_3genE6ELNS1_11target_archE950ELNS1_3gpuE13ELNS1_3repE0EEENS1_47radix_sort_onesweep_sort_config_static_selectorELNS0_4arch9wavefront6targetE0EEEvSI_.num_vgpr, 0
	.set _ZN7rocprim17ROCPRIM_400000_NS6detail17trampoline_kernelINS0_14default_configENS1_35radix_sort_onesweep_config_selectorIiiEEZZNS1_29radix_sort_onesweep_iterationIS3_Lb1EN6thrust23THRUST_200600_302600_NS6detail15normal_iteratorINS8_10device_ptrIiEEEESD_SD_SD_jNS0_19identity_decomposerENS1_16block_id_wrapperIjLb0EEEEE10hipError_tT1_PNSt15iterator_traitsISI_E10value_typeET2_T3_PNSJ_ISO_E10value_typeET4_T5_PST_SU_PNS1_23onesweep_lookback_stateEbbT6_jjT7_P12ihipStream_tbENKUlT_T0_SI_SN_E_clISD_SD_SD_SD_EEDaS11_S12_SI_SN_EUlS11_E_NS1_11comp_targetILNS1_3genE6ELNS1_11target_archE950ELNS1_3gpuE13ELNS1_3repE0EEENS1_47radix_sort_onesweep_sort_config_static_selectorELNS0_4arch9wavefront6targetE0EEEvSI_.num_agpr, 0
	.set _ZN7rocprim17ROCPRIM_400000_NS6detail17trampoline_kernelINS0_14default_configENS1_35radix_sort_onesweep_config_selectorIiiEEZZNS1_29radix_sort_onesweep_iterationIS3_Lb1EN6thrust23THRUST_200600_302600_NS6detail15normal_iteratorINS8_10device_ptrIiEEEESD_SD_SD_jNS0_19identity_decomposerENS1_16block_id_wrapperIjLb0EEEEE10hipError_tT1_PNSt15iterator_traitsISI_E10value_typeET2_T3_PNSJ_ISO_E10value_typeET4_T5_PST_SU_PNS1_23onesweep_lookback_stateEbbT6_jjT7_P12ihipStream_tbENKUlT_T0_SI_SN_E_clISD_SD_SD_SD_EEDaS11_S12_SI_SN_EUlS11_E_NS1_11comp_targetILNS1_3genE6ELNS1_11target_archE950ELNS1_3gpuE13ELNS1_3repE0EEENS1_47radix_sort_onesweep_sort_config_static_selectorELNS0_4arch9wavefront6targetE0EEEvSI_.numbered_sgpr, 0
	.set _ZN7rocprim17ROCPRIM_400000_NS6detail17trampoline_kernelINS0_14default_configENS1_35radix_sort_onesweep_config_selectorIiiEEZZNS1_29radix_sort_onesweep_iterationIS3_Lb1EN6thrust23THRUST_200600_302600_NS6detail15normal_iteratorINS8_10device_ptrIiEEEESD_SD_SD_jNS0_19identity_decomposerENS1_16block_id_wrapperIjLb0EEEEE10hipError_tT1_PNSt15iterator_traitsISI_E10value_typeET2_T3_PNSJ_ISO_E10value_typeET4_T5_PST_SU_PNS1_23onesweep_lookback_stateEbbT6_jjT7_P12ihipStream_tbENKUlT_T0_SI_SN_E_clISD_SD_SD_SD_EEDaS11_S12_SI_SN_EUlS11_E_NS1_11comp_targetILNS1_3genE6ELNS1_11target_archE950ELNS1_3gpuE13ELNS1_3repE0EEENS1_47radix_sort_onesweep_sort_config_static_selectorELNS0_4arch9wavefront6targetE0EEEvSI_.num_named_barrier, 0
	.set _ZN7rocprim17ROCPRIM_400000_NS6detail17trampoline_kernelINS0_14default_configENS1_35radix_sort_onesweep_config_selectorIiiEEZZNS1_29radix_sort_onesweep_iterationIS3_Lb1EN6thrust23THRUST_200600_302600_NS6detail15normal_iteratorINS8_10device_ptrIiEEEESD_SD_SD_jNS0_19identity_decomposerENS1_16block_id_wrapperIjLb0EEEEE10hipError_tT1_PNSt15iterator_traitsISI_E10value_typeET2_T3_PNSJ_ISO_E10value_typeET4_T5_PST_SU_PNS1_23onesweep_lookback_stateEbbT6_jjT7_P12ihipStream_tbENKUlT_T0_SI_SN_E_clISD_SD_SD_SD_EEDaS11_S12_SI_SN_EUlS11_E_NS1_11comp_targetILNS1_3genE6ELNS1_11target_archE950ELNS1_3gpuE13ELNS1_3repE0EEENS1_47radix_sort_onesweep_sort_config_static_selectorELNS0_4arch9wavefront6targetE0EEEvSI_.private_seg_size, 0
	.set _ZN7rocprim17ROCPRIM_400000_NS6detail17trampoline_kernelINS0_14default_configENS1_35radix_sort_onesweep_config_selectorIiiEEZZNS1_29radix_sort_onesweep_iterationIS3_Lb1EN6thrust23THRUST_200600_302600_NS6detail15normal_iteratorINS8_10device_ptrIiEEEESD_SD_SD_jNS0_19identity_decomposerENS1_16block_id_wrapperIjLb0EEEEE10hipError_tT1_PNSt15iterator_traitsISI_E10value_typeET2_T3_PNSJ_ISO_E10value_typeET4_T5_PST_SU_PNS1_23onesweep_lookback_stateEbbT6_jjT7_P12ihipStream_tbENKUlT_T0_SI_SN_E_clISD_SD_SD_SD_EEDaS11_S12_SI_SN_EUlS11_E_NS1_11comp_targetILNS1_3genE6ELNS1_11target_archE950ELNS1_3gpuE13ELNS1_3repE0EEENS1_47radix_sort_onesweep_sort_config_static_selectorELNS0_4arch9wavefront6targetE0EEEvSI_.uses_vcc, 0
	.set _ZN7rocprim17ROCPRIM_400000_NS6detail17trampoline_kernelINS0_14default_configENS1_35radix_sort_onesweep_config_selectorIiiEEZZNS1_29radix_sort_onesweep_iterationIS3_Lb1EN6thrust23THRUST_200600_302600_NS6detail15normal_iteratorINS8_10device_ptrIiEEEESD_SD_SD_jNS0_19identity_decomposerENS1_16block_id_wrapperIjLb0EEEEE10hipError_tT1_PNSt15iterator_traitsISI_E10value_typeET2_T3_PNSJ_ISO_E10value_typeET4_T5_PST_SU_PNS1_23onesweep_lookback_stateEbbT6_jjT7_P12ihipStream_tbENKUlT_T0_SI_SN_E_clISD_SD_SD_SD_EEDaS11_S12_SI_SN_EUlS11_E_NS1_11comp_targetILNS1_3genE6ELNS1_11target_archE950ELNS1_3gpuE13ELNS1_3repE0EEENS1_47radix_sort_onesweep_sort_config_static_selectorELNS0_4arch9wavefront6targetE0EEEvSI_.uses_flat_scratch, 0
	.set _ZN7rocprim17ROCPRIM_400000_NS6detail17trampoline_kernelINS0_14default_configENS1_35radix_sort_onesweep_config_selectorIiiEEZZNS1_29radix_sort_onesweep_iterationIS3_Lb1EN6thrust23THRUST_200600_302600_NS6detail15normal_iteratorINS8_10device_ptrIiEEEESD_SD_SD_jNS0_19identity_decomposerENS1_16block_id_wrapperIjLb0EEEEE10hipError_tT1_PNSt15iterator_traitsISI_E10value_typeET2_T3_PNSJ_ISO_E10value_typeET4_T5_PST_SU_PNS1_23onesweep_lookback_stateEbbT6_jjT7_P12ihipStream_tbENKUlT_T0_SI_SN_E_clISD_SD_SD_SD_EEDaS11_S12_SI_SN_EUlS11_E_NS1_11comp_targetILNS1_3genE6ELNS1_11target_archE950ELNS1_3gpuE13ELNS1_3repE0EEENS1_47radix_sort_onesweep_sort_config_static_selectorELNS0_4arch9wavefront6targetE0EEEvSI_.has_dyn_sized_stack, 0
	.set _ZN7rocprim17ROCPRIM_400000_NS6detail17trampoline_kernelINS0_14default_configENS1_35radix_sort_onesweep_config_selectorIiiEEZZNS1_29radix_sort_onesweep_iterationIS3_Lb1EN6thrust23THRUST_200600_302600_NS6detail15normal_iteratorINS8_10device_ptrIiEEEESD_SD_SD_jNS0_19identity_decomposerENS1_16block_id_wrapperIjLb0EEEEE10hipError_tT1_PNSt15iterator_traitsISI_E10value_typeET2_T3_PNSJ_ISO_E10value_typeET4_T5_PST_SU_PNS1_23onesweep_lookback_stateEbbT6_jjT7_P12ihipStream_tbENKUlT_T0_SI_SN_E_clISD_SD_SD_SD_EEDaS11_S12_SI_SN_EUlS11_E_NS1_11comp_targetILNS1_3genE6ELNS1_11target_archE950ELNS1_3gpuE13ELNS1_3repE0EEENS1_47radix_sort_onesweep_sort_config_static_selectorELNS0_4arch9wavefront6targetE0EEEvSI_.has_recursion, 0
	.set _ZN7rocprim17ROCPRIM_400000_NS6detail17trampoline_kernelINS0_14default_configENS1_35radix_sort_onesweep_config_selectorIiiEEZZNS1_29radix_sort_onesweep_iterationIS3_Lb1EN6thrust23THRUST_200600_302600_NS6detail15normal_iteratorINS8_10device_ptrIiEEEESD_SD_SD_jNS0_19identity_decomposerENS1_16block_id_wrapperIjLb0EEEEE10hipError_tT1_PNSt15iterator_traitsISI_E10value_typeET2_T3_PNSJ_ISO_E10value_typeET4_T5_PST_SU_PNS1_23onesweep_lookback_stateEbbT6_jjT7_P12ihipStream_tbENKUlT_T0_SI_SN_E_clISD_SD_SD_SD_EEDaS11_S12_SI_SN_EUlS11_E_NS1_11comp_targetILNS1_3genE6ELNS1_11target_archE950ELNS1_3gpuE13ELNS1_3repE0EEENS1_47radix_sort_onesweep_sort_config_static_selectorELNS0_4arch9wavefront6targetE0EEEvSI_.has_indirect_call, 0
	.section	.AMDGPU.csdata,"",@progbits
; Kernel info:
; codeLenInByte = 0
; TotalNumSgprs: 0
; NumVgprs: 0
; ScratchSize: 0
; MemoryBound: 0
; FloatMode: 240
; IeeeMode: 1
; LDSByteSize: 0 bytes/workgroup (compile time only)
; SGPRBlocks: 0
; VGPRBlocks: 0
; NumSGPRsForWavesPerEU: 1
; NumVGPRsForWavesPerEU: 1
; Occupancy: 16
; WaveLimiterHint : 0
; COMPUTE_PGM_RSRC2:SCRATCH_EN: 0
; COMPUTE_PGM_RSRC2:USER_SGPR: 6
; COMPUTE_PGM_RSRC2:TRAP_HANDLER: 0
; COMPUTE_PGM_RSRC2:TGID_X_EN: 1
; COMPUTE_PGM_RSRC2:TGID_Y_EN: 0
; COMPUTE_PGM_RSRC2:TGID_Z_EN: 0
; COMPUTE_PGM_RSRC2:TIDIG_COMP_CNT: 0
	.section	.text._ZN7rocprim17ROCPRIM_400000_NS6detail17trampoline_kernelINS0_14default_configENS1_35radix_sort_onesweep_config_selectorIiiEEZZNS1_29radix_sort_onesweep_iterationIS3_Lb1EN6thrust23THRUST_200600_302600_NS6detail15normal_iteratorINS8_10device_ptrIiEEEESD_SD_SD_jNS0_19identity_decomposerENS1_16block_id_wrapperIjLb0EEEEE10hipError_tT1_PNSt15iterator_traitsISI_E10value_typeET2_T3_PNSJ_ISO_E10value_typeET4_T5_PST_SU_PNS1_23onesweep_lookback_stateEbbT6_jjT7_P12ihipStream_tbENKUlT_T0_SI_SN_E_clISD_SD_SD_SD_EEDaS11_S12_SI_SN_EUlS11_E_NS1_11comp_targetILNS1_3genE5ELNS1_11target_archE942ELNS1_3gpuE9ELNS1_3repE0EEENS1_47radix_sort_onesweep_sort_config_static_selectorELNS0_4arch9wavefront6targetE0EEEvSI_,"axG",@progbits,_ZN7rocprim17ROCPRIM_400000_NS6detail17trampoline_kernelINS0_14default_configENS1_35radix_sort_onesweep_config_selectorIiiEEZZNS1_29radix_sort_onesweep_iterationIS3_Lb1EN6thrust23THRUST_200600_302600_NS6detail15normal_iteratorINS8_10device_ptrIiEEEESD_SD_SD_jNS0_19identity_decomposerENS1_16block_id_wrapperIjLb0EEEEE10hipError_tT1_PNSt15iterator_traitsISI_E10value_typeET2_T3_PNSJ_ISO_E10value_typeET4_T5_PST_SU_PNS1_23onesweep_lookback_stateEbbT6_jjT7_P12ihipStream_tbENKUlT_T0_SI_SN_E_clISD_SD_SD_SD_EEDaS11_S12_SI_SN_EUlS11_E_NS1_11comp_targetILNS1_3genE5ELNS1_11target_archE942ELNS1_3gpuE9ELNS1_3repE0EEENS1_47radix_sort_onesweep_sort_config_static_selectorELNS0_4arch9wavefront6targetE0EEEvSI_,comdat
	.protected	_ZN7rocprim17ROCPRIM_400000_NS6detail17trampoline_kernelINS0_14default_configENS1_35radix_sort_onesweep_config_selectorIiiEEZZNS1_29radix_sort_onesweep_iterationIS3_Lb1EN6thrust23THRUST_200600_302600_NS6detail15normal_iteratorINS8_10device_ptrIiEEEESD_SD_SD_jNS0_19identity_decomposerENS1_16block_id_wrapperIjLb0EEEEE10hipError_tT1_PNSt15iterator_traitsISI_E10value_typeET2_T3_PNSJ_ISO_E10value_typeET4_T5_PST_SU_PNS1_23onesweep_lookback_stateEbbT6_jjT7_P12ihipStream_tbENKUlT_T0_SI_SN_E_clISD_SD_SD_SD_EEDaS11_S12_SI_SN_EUlS11_E_NS1_11comp_targetILNS1_3genE5ELNS1_11target_archE942ELNS1_3gpuE9ELNS1_3repE0EEENS1_47radix_sort_onesweep_sort_config_static_selectorELNS0_4arch9wavefront6targetE0EEEvSI_ ; -- Begin function _ZN7rocprim17ROCPRIM_400000_NS6detail17trampoline_kernelINS0_14default_configENS1_35radix_sort_onesweep_config_selectorIiiEEZZNS1_29radix_sort_onesweep_iterationIS3_Lb1EN6thrust23THRUST_200600_302600_NS6detail15normal_iteratorINS8_10device_ptrIiEEEESD_SD_SD_jNS0_19identity_decomposerENS1_16block_id_wrapperIjLb0EEEEE10hipError_tT1_PNSt15iterator_traitsISI_E10value_typeET2_T3_PNSJ_ISO_E10value_typeET4_T5_PST_SU_PNS1_23onesweep_lookback_stateEbbT6_jjT7_P12ihipStream_tbENKUlT_T0_SI_SN_E_clISD_SD_SD_SD_EEDaS11_S12_SI_SN_EUlS11_E_NS1_11comp_targetILNS1_3genE5ELNS1_11target_archE942ELNS1_3gpuE9ELNS1_3repE0EEENS1_47radix_sort_onesweep_sort_config_static_selectorELNS0_4arch9wavefront6targetE0EEEvSI_
	.globl	_ZN7rocprim17ROCPRIM_400000_NS6detail17trampoline_kernelINS0_14default_configENS1_35radix_sort_onesweep_config_selectorIiiEEZZNS1_29radix_sort_onesweep_iterationIS3_Lb1EN6thrust23THRUST_200600_302600_NS6detail15normal_iteratorINS8_10device_ptrIiEEEESD_SD_SD_jNS0_19identity_decomposerENS1_16block_id_wrapperIjLb0EEEEE10hipError_tT1_PNSt15iterator_traitsISI_E10value_typeET2_T3_PNSJ_ISO_E10value_typeET4_T5_PST_SU_PNS1_23onesweep_lookback_stateEbbT6_jjT7_P12ihipStream_tbENKUlT_T0_SI_SN_E_clISD_SD_SD_SD_EEDaS11_S12_SI_SN_EUlS11_E_NS1_11comp_targetILNS1_3genE5ELNS1_11target_archE942ELNS1_3gpuE9ELNS1_3repE0EEENS1_47radix_sort_onesweep_sort_config_static_selectorELNS0_4arch9wavefront6targetE0EEEvSI_
	.p2align	8
	.type	_ZN7rocprim17ROCPRIM_400000_NS6detail17trampoline_kernelINS0_14default_configENS1_35radix_sort_onesweep_config_selectorIiiEEZZNS1_29radix_sort_onesweep_iterationIS3_Lb1EN6thrust23THRUST_200600_302600_NS6detail15normal_iteratorINS8_10device_ptrIiEEEESD_SD_SD_jNS0_19identity_decomposerENS1_16block_id_wrapperIjLb0EEEEE10hipError_tT1_PNSt15iterator_traitsISI_E10value_typeET2_T3_PNSJ_ISO_E10value_typeET4_T5_PST_SU_PNS1_23onesweep_lookback_stateEbbT6_jjT7_P12ihipStream_tbENKUlT_T0_SI_SN_E_clISD_SD_SD_SD_EEDaS11_S12_SI_SN_EUlS11_E_NS1_11comp_targetILNS1_3genE5ELNS1_11target_archE942ELNS1_3gpuE9ELNS1_3repE0EEENS1_47radix_sort_onesweep_sort_config_static_selectorELNS0_4arch9wavefront6targetE0EEEvSI_,@function
_ZN7rocprim17ROCPRIM_400000_NS6detail17trampoline_kernelINS0_14default_configENS1_35radix_sort_onesweep_config_selectorIiiEEZZNS1_29radix_sort_onesweep_iterationIS3_Lb1EN6thrust23THRUST_200600_302600_NS6detail15normal_iteratorINS8_10device_ptrIiEEEESD_SD_SD_jNS0_19identity_decomposerENS1_16block_id_wrapperIjLb0EEEEE10hipError_tT1_PNSt15iterator_traitsISI_E10value_typeET2_T3_PNSJ_ISO_E10value_typeET4_T5_PST_SU_PNS1_23onesweep_lookback_stateEbbT6_jjT7_P12ihipStream_tbENKUlT_T0_SI_SN_E_clISD_SD_SD_SD_EEDaS11_S12_SI_SN_EUlS11_E_NS1_11comp_targetILNS1_3genE5ELNS1_11target_archE942ELNS1_3gpuE9ELNS1_3repE0EEENS1_47radix_sort_onesweep_sort_config_static_selectorELNS0_4arch9wavefront6targetE0EEEvSI_: ; @_ZN7rocprim17ROCPRIM_400000_NS6detail17trampoline_kernelINS0_14default_configENS1_35radix_sort_onesweep_config_selectorIiiEEZZNS1_29radix_sort_onesweep_iterationIS3_Lb1EN6thrust23THRUST_200600_302600_NS6detail15normal_iteratorINS8_10device_ptrIiEEEESD_SD_SD_jNS0_19identity_decomposerENS1_16block_id_wrapperIjLb0EEEEE10hipError_tT1_PNSt15iterator_traitsISI_E10value_typeET2_T3_PNSJ_ISO_E10value_typeET4_T5_PST_SU_PNS1_23onesweep_lookback_stateEbbT6_jjT7_P12ihipStream_tbENKUlT_T0_SI_SN_E_clISD_SD_SD_SD_EEDaS11_S12_SI_SN_EUlS11_E_NS1_11comp_targetILNS1_3genE5ELNS1_11target_archE942ELNS1_3gpuE9ELNS1_3repE0EEENS1_47radix_sort_onesweep_sort_config_static_selectorELNS0_4arch9wavefront6targetE0EEEvSI_
; %bb.0:
	.section	.rodata,"a",@progbits
	.p2align	6, 0x0
	.amdhsa_kernel _ZN7rocprim17ROCPRIM_400000_NS6detail17trampoline_kernelINS0_14default_configENS1_35radix_sort_onesweep_config_selectorIiiEEZZNS1_29radix_sort_onesweep_iterationIS3_Lb1EN6thrust23THRUST_200600_302600_NS6detail15normal_iteratorINS8_10device_ptrIiEEEESD_SD_SD_jNS0_19identity_decomposerENS1_16block_id_wrapperIjLb0EEEEE10hipError_tT1_PNSt15iterator_traitsISI_E10value_typeET2_T3_PNSJ_ISO_E10value_typeET4_T5_PST_SU_PNS1_23onesweep_lookback_stateEbbT6_jjT7_P12ihipStream_tbENKUlT_T0_SI_SN_E_clISD_SD_SD_SD_EEDaS11_S12_SI_SN_EUlS11_E_NS1_11comp_targetILNS1_3genE5ELNS1_11target_archE942ELNS1_3gpuE9ELNS1_3repE0EEENS1_47radix_sort_onesweep_sort_config_static_selectorELNS0_4arch9wavefront6targetE0EEEvSI_
		.amdhsa_group_segment_fixed_size 0
		.amdhsa_private_segment_fixed_size 0
		.amdhsa_kernarg_size 88
		.amdhsa_user_sgpr_count 6
		.amdhsa_user_sgpr_private_segment_buffer 1
		.amdhsa_user_sgpr_dispatch_ptr 0
		.amdhsa_user_sgpr_queue_ptr 0
		.amdhsa_user_sgpr_kernarg_segment_ptr 1
		.amdhsa_user_sgpr_dispatch_id 0
		.amdhsa_user_sgpr_flat_scratch_init 0
		.amdhsa_user_sgpr_private_segment_size 0
		.amdhsa_wavefront_size32 1
		.amdhsa_uses_dynamic_stack 0
		.amdhsa_system_sgpr_private_segment_wavefront_offset 0
		.amdhsa_system_sgpr_workgroup_id_x 1
		.amdhsa_system_sgpr_workgroup_id_y 0
		.amdhsa_system_sgpr_workgroup_id_z 0
		.amdhsa_system_sgpr_workgroup_info 0
		.amdhsa_system_vgpr_workitem_id 0
		.amdhsa_next_free_vgpr 1
		.amdhsa_next_free_sgpr 1
		.amdhsa_reserve_vcc 0
		.amdhsa_reserve_flat_scratch 0
		.amdhsa_float_round_mode_32 0
		.amdhsa_float_round_mode_16_64 0
		.amdhsa_float_denorm_mode_32 3
		.amdhsa_float_denorm_mode_16_64 3
		.amdhsa_dx10_clamp 1
		.amdhsa_ieee_mode 1
		.amdhsa_fp16_overflow 0
		.amdhsa_workgroup_processor_mode 1
		.amdhsa_memory_ordered 1
		.amdhsa_forward_progress 1
		.amdhsa_shared_vgpr_count 0
		.amdhsa_exception_fp_ieee_invalid_op 0
		.amdhsa_exception_fp_denorm_src 0
		.amdhsa_exception_fp_ieee_div_zero 0
		.amdhsa_exception_fp_ieee_overflow 0
		.amdhsa_exception_fp_ieee_underflow 0
		.amdhsa_exception_fp_ieee_inexact 0
		.amdhsa_exception_int_div_zero 0
	.end_amdhsa_kernel
	.section	.text._ZN7rocprim17ROCPRIM_400000_NS6detail17trampoline_kernelINS0_14default_configENS1_35radix_sort_onesweep_config_selectorIiiEEZZNS1_29radix_sort_onesweep_iterationIS3_Lb1EN6thrust23THRUST_200600_302600_NS6detail15normal_iteratorINS8_10device_ptrIiEEEESD_SD_SD_jNS0_19identity_decomposerENS1_16block_id_wrapperIjLb0EEEEE10hipError_tT1_PNSt15iterator_traitsISI_E10value_typeET2_T3_PNSJ_ISO_E10value_typeET4_T5_PST_SU_PNS1_23onesweep_lookback_stateEbbT6_jjT7_P12ihipStream_tbENKUlT_T0_SI_SN_E_clISD_SD_SD_SD_EEDaS11_S12_SI_SN_EUlS11_E_NS1_11comp_targetILNS1_3genE5ELNS1_11target_archE942ELNS1_3gpuE9ELNS1_3repE0EEENS1_47radix_sort_onesweep_sort_config_static_selectorELNS0_4arch9wavefront6targetE0EEEvSI_,"axG",@progbits,_ZN7rocprim17ROCPRIM_400000_NS6detail17trampoline_kernelINS0_14default_configENS1_35radix_sort_onesweep_config_selectorIiiEEZZNS1_29radix_sort_onesweep_iterationIS3_Lb1EN6thrust23THRUST_200600_302600_NS6detail15normal_iteratorINS8_10device_ptrIiEEEESD_SD_SD_jNS0_19identity_decomposerENS1_16block_id_wrapperIjLb0EEEEE10hipError_tT1_PNSt15iterator_traitsISI_E10value_typeET2_T3_PNSJ_ISO_E10value_typeET4_T5_PST_SU_PNS1_23onesweep_lookback_stateEbbT6_jjT7_P12ihipStream_tbENKUlT_T0_SI_SN_E_clISD_SD_SD_SD_EEDaS11_S12_SI_SN_EUlS11_E_NS1_11comp_targetILNS1_3genE5ELNS1_11target_archE942ELNS1_3gpuE9ELNS1_3repE0EEENS1_47radix_sort_onesweep_sort_config_static_selectorELNS0_4arch9wavefront6targetE0EEEvSI_,comdat
.Lfunc_end1028:
	.size	_ZN7rocprim17ROCPRIM_400000_NS6detail17trampoline_kernelINS0_14default_configENS1_35radix_sort_onesweep_config_selectorIiiEEZZNS1_29radix_sort_onesweep_iterationIS3_Lb1EN6thrust23THRUST_200600_302600_NS6detail15normal_iteratorINS8_10device_ptrIiEEEESD_SD_SD_jNS0_19identity_decomposerENS1_16block_id_wrapperIjLb0EEEEE10hipError_tT1_PNSt15iterator_traitsISI_E10value_typeET2_T3_PNSJ_ISO_E10value_typeET4_T5_PST_SU_PNS1_23onesweep_lookback_stateEbbT6_jjT7_P12ihipStream_tbENKUlT_T0_SI_SN_E_clISD_SD_SD_SD_EEDaS11_S12_SI_SN_EUlS11_E_NS1_11comp_targetILNS1_3genE5ELNS1_11target_archE942ELNS1_3gpuE9ELNS1_3repE0EEENS1_47radix_sort_onesweep_sort_config_static_selectorELNS0_4arch9wavefront6targetE0EEEvSI_, .Lfunc_end1028-_ZN7rocprim17ROCPRIM_400000_NS6detail17trampoline_kernelINS0_14default_configENS1_35radix_sort_onesweep_config_selectorIiiEEZZNS1_29radix_sort_onesweep_iterationIS3_Lb1EN6thrust23THRUST_200600_302600_NS6detail15normal_iteratorINS8_10device_ptrIiEEEESD_SD_SD_jNS0_19identity_decomposerENS1_16block_id_wrapperIjLb0EEEEE10hipError_tT1_PNSt15iterator_traitsISI_E10value_typeET2_T3_PNSJ_ISO_E10value_typeET4_T5_PST_SU_PNS1_23onesweep_lookback_stateEbbT6_jjT7_P12ihipStream_tbENKUlT_T0_SI_SN_E_clISD_SD_SD_SD_EEDaS11_S12_SI_SN_EUlS11_E_NS1_11comp_targetILNS1_3genE5ELNS1_11target_archE942ELNS1_3gpuE9ELNS1_3repE0EEENS1_47radix_sort_onesweep_sort_config_static_selectorELNS0_4arch9wavefront6targetE0EEEvSI_
                                        ; -- End function
	.set _ZN7rocprim17ROCPRIM_400000_NS6detail17trampoline_kernelINS0_14default_configENS1_35radix_sort_onesweep_config_selectorIiiEEZZNS1_29radix_sort_onesweep_iterationIS3_Lb1EN6thrust23THRUST_200600_302600_NS6detail15normal_iteratorINS8_10device_ptrIiEEEESD_SD_SD_jNS0_19identity_decomposerENS1_16block_id_wrapperIjLb0EEEEE10hipError_tT1_PNSt15iterator_traitsISI_E10value_typeET2_T3_PNSJ_ISO_E10value_typeET4_T5_PST_SU_PNS1_23onesweep_lookback_stateEbbT6_jjT7_P12ihipStream_tbENKUlT_T0_SI_SN_E_clISD_SD_SD_SD_EEDaS11_S12_SI_SN_EUlS11_E_NS1_11comp_targetILNS1_3genE5ELNS1_11target_archE942ELNS1_3gpuE9ELNS1_3repE0EEENS1_47radix_sort_onesweep_sort_config_static_selectorELNS0_4arch9wavefront6targetE0EEEvSI_.num_vgpr, 0
	.set _ZN7rocprim17ROCPRIM_400000_NS6detail17trampoline_kernelINS0_14default_configENS1_35radix_sort_onesweep_config_selectorIiiEEZZNS1_29radix_sort_onesweep_iterationIS3_Lb1EN6thrust23THRUST_200600_302600_NS6detail15normal_iteratorINS8_10device_ptrIiEEEESD_SD_SD_jNS0_19identity_decomposerENS1_16block_id_wrapperIjLb0EEEEE10hipError_tT1_PNSt15iterator_traitsISI_E10value_typeET2_T3_PNSJ_ISO_E10value_typeET4_T5_PST_SU_PNS1_23onesweep_lookback_stateEbbT6_jjT7_P12ihipStream_tbENKUlT_T0_SI_SN_E_clISD_SD_SD_SD_EEDaS11_S12_SI_SN_EUlS11_E_NS1_11comp_targetILNS1_3genE5ELNS1_11target_archE942ELNS1_3gpuE9ELNS1_3repE0EEENS1_47radix_sort_onesweep_sort_config_static_selectorELNS0_4arch9wavefront6targetE0EEEvSI_.num_agpr, 0
	.set _ZN7rocprim17ROCPRIM_400000_NS6detail17trampoline_kernelINS0_14default_configENS1_35radix_sort_onesweep_config_selectorIiiEEZZNS1_29radix_sort_onesweep_iterationIS3_Lb1EN6thrust23THRUST_200600_302600_NS6detail15normal_iteratorINS8_10device_ptrIiEEEESD_SD_SD_jNS0_19identity_decomposerENS1_16block_id_wrapperIjLb0EEEEE10hipError_tT1_PNSt15iterator_traitsISI_E10value_typeET2_T3_PNSJ_ISO_E10value_typeET4_T5_PST_SU_PNS1_23onesweep_lookback_stateEbbT6_jjT7_P12ihipStream_tbENKUlT_T0_SI_SN_E_clISD_SD_SD_SD_EEDaS11_S12_SI_SN_EUlS11_E_NS1_11comp_targetILNS1_3genE5ELNS1_11target_archE942ELNS1_3gpuE9ELNS1_3repE0EEENS1_47radix_sort_onesweep_sort_config_static_selectorELNS0_4arch9wavefront6targetE0EEEvSI_.numbered_sgpr, 0
	.set _ZN7rocprim17ROCPRIM_400000_NS6detail17trampoline_kernelINS0_14default_configENS1_35radix_sort_onesweep_config_selectorIiiEEZZNS1_29radix_sort_onesweep_iterationIS3_Lb1EN6thrust23THRUST_200600_302600_NS6detail15normal_iteratorINS8_10device_ptrIiEEEESD_SD_SD_jNS0_19identity_decomposerENS1_16block_id_wrapperIjLb0EEEEE10hipError_tT1_PNSt15iterator_traitsISI_E10value_typeET2_T3_PNSJ_ISO_E10value_typeET4_T5_PST_SU_PNS1_23onesweep_lookback_stateEbbT6_jjT7_P12ihipStream_tbENKUlT_T0_SI_SN_E_clISD_SD_SD_SD_EEDaS11_S12_SI_SN_EUlS11_E_NS1_11comp_targetILNS1_3genE5ELNS1_11target_archE942ELNS1_3gpuE9ELNS1_3repE0EEENS1_47radix_sort_onesweep_sort_config_static_selectorELNS0_4arch9wavefront6targetE0EEEvSI_.num_named_barrier, 0
	.set _ZN7rocprim17ROCPRIM_400000_NS6detail17trampoline_kernelINS0_14default_configENS1_35radix_sort_onesweep_config_selectorIiiEEZZNS1_29radix_sort_onesweep_iterationIS3_Lb1EN6thrust23THRUST_200600_302600_NS6detail15normal_iteratorINS8_10device_ptrIiEEEESD_SD_SD_jNS0_19identity_decomposerENS1_16block_id_wrapperIjLb0EEEEE10hipError_tT1_PNSt15iterator_traitsISI_E10value_typeET2_T3_PNSJ_ISO_E10value_typeET4_T5_PST_SU_PNS1_23onesweep_lookback_stateEbbT6_jjT7_P12ihipStream_tbENKUlT_T0_SI_SN_E_clISD_SD_SD_SD_EEDaS11_S12_SI_SN_EUlS11_E_NS1_11comp_targetILNS1_3genE5ELNS1_11target_archE942ELNS1_3gpuE9ELNS1_3repE0EEENS1_47radix_sort_onesweep_sort_config_static_selectorELNS0_4arch9wavefront6targetE0EEEvSI_.private_seg_size, 0
	.set _ZN7rocprim17ROCPRIM_400000_NS6detail17trampoline_kernelINS0_14default_configENS1_35radix_sort_onesweep_config_selectorIiiEEZZNS1_29radix_sort_onesweep_iterationIS3_Lb1EN6thrust23THRUST_200600_302600_NS6detail15normal_iteratorINS8_10device_ptrIiEEEESD_SD_SD_jNS0_19identity_decomposerENS1_16block_id_wrapperIjLb0EEEEE10hipError_tT1_PNSt15iterator_traitsISI_E10value_typeET2_T3_PNSJ_ISO_E10value_typeET4_T5_PST_SU_PNS1_23onesweep_lookback_stateEbbT6_jjT7_P12ihipStream_tbENKUlT_T0_SI_SN_E_clISD_SD_SD_SD_EEDaS11_S12_SI_SN_EUlS11_E_NS1_11comp_targetILNS1_3genE5ELNS1_11target_archE942ELNS1_3gpuE9ELNS1_3repE0EEENS1_47radix_sort_onesweep_sort_config_static_selectorELNS0_4arch9wavefront6targetE0EEEvSI_.uses_vcc, 0
	.set _ZN7rocprim17ROCPRIM_400000_NS6detail17trampoline_kernelINS0_14default_configENS1_35radix_sort_onesweep_config_selectorIiiEEZZNS1_29radix_sort_onesweep_iterationIS3_Lb1EN6thrust23THRUST_200600_302600_NS6detail15normal_iteratorINS8_10device_ptrIiEEEESD_SD_SD_jNS0_19identity_decomposerENS1_16block_id_wrapperIjLb0EEEEE10hipError_tT1_PNSt15iterator_traitsISI_E10value_typeET2_T3_PNSJ_ISO_E10value_typeET4_T5_PST_SU_PNS1_23onesweep_lookback_stateEbbT6_jjT7_P12ihipStream_tbENKUlT_T0_SI_SN_E_clISD_SD_SD_SD_EEDaS11_S12_SI_SN_EUlS11_E_NS1_11comp_targetILNS1_3genE5ELNS1_11target_archE942ELNS1_3gpuE9ELNS1_3repE0EEENS1_47radix_sort_onesweep_sort_config_static_selectorELNS0_4arch9wavefront6targetE0EEEvSI_.uses_flat_scratch, 0
	.set _ZN7rocprim17ROCPRIM_400000_NS6detail17trampoline_kernelINS0_14default_configENS1_35radix_sort_onesweep_config_selectorIiiEEZZNS1_29radix_sort_onesweep_iterationIS3_Lb1EN6thrust23THRUST_200600_302600_NS6detail15normal_iteratorINS8_10device_ptrIiEEEESD_SD_SD_jNS0_19identity_decomposerENS1_16block_id_wrapperIjLb0EEEEE10hipError_tT1_PNSt15iterator_traitsISI_E10value_typeET2_T3_PNSJ_ISO_E10value_typeET4_T5_PST_SU_PNS1_23onesweep_lookback_stateEbbT6_jjT7_P12ihipStream_tbENKUlT_T0_SI_SN_E_clISD_SD_SD_SD_EEDaS11_S12_SI_SN_EUlS11_E_NS1_11comp_targetILNS1_3genE5ELNS1_11target_archE942ELNS1_3gpuE9ELNS1_3repE0EEENS1_47radix_sort_onesweep_sort_config_static_selectorELNS0_4arch9wavefront6targetE0EEEvSI_.has_dyn_sized_stack, 0
	.set _ZN7rocprim17ROCPRIM_400000_NS6detail17trampoline_kernelINS0_14default_configENS1_35radix_sort_onesweep_config_selectorIiiEEZZNS1_29radix_sort_onesweep_iterationIS3_Lb1EN6thrust23THRUST_200600_302600_NS6detail15normal_iteratorINS8_10device_ptrIiEEEESD_SD_SD_jNS0_19identity_decomposerENS1_16block_id_wrapperIjLb0EEEEE10hipError_tT1_PNSt15iterator_traitsISI_E10value_typeET2_T3_PNSJ_ISO_E10value_typeET4_T5_PST_SU_PNS1_23onesweep_lookback_stateEbbT6_jjT7_P12ihipStream_tbENKUlT_T0_SI_SN_E_clISD_SD_SD_SD_EEDaS11_S12_SI_SN_EUlS11_E_NS1_11comp_targetILNS1_3genE5ELNS1_11target_archE942ELNS1_3gpuE9ELNS1_3repE0EEENS1_47radix_sort_onesweep_sort_config_static_selectorELNS0_4arch9wavefront6targetE0EEEvSI_.has_recursion, 0
	.set _ZN7rocprim17ROCPRIM_400000_NS6detail17trampoline_kernelINS0_14default_configENS1_35radix_sort_onesweep_config_selectorIiiEEZZNS1_29radix_sort_onesweep_iterationIS3_Lb1EN6thrust23THRUST_200600_302600_NS6detail15normal_iteratorINS8_10device_ptrIiEEEESD_SD_SD_jNS0_19identity_decomposerENS1_16block_id_wrapperIjLb0EEEEE10hipError_tT1_PNSt15iterator_traitsISI_E10value_typeET2_T3_PNSJ_ISO_E10value_typeET4_T5_PST_SU_PNS1_23onesweep_lookback_stateEbbT6_jjT7_P12ihipStream_tbENKUlT_T0_SI_SN_E_clISD_SD_SD_SD_EEDaS11_S12_SI_SN_EUlS11_E_NS1_11comp_targetILNS1_3genE5ELNS1_11target_archE942ELNS1_3gpuE9ELNS1_3repE0EEENS1_47radix_sort_onesweep_sort_config_static_selectorELNS0_4arch9wavefront6targetE0EEEvSI_.has_indirect_call, 0
	.section	.AMDGPU.csdata,"",@progbits
; Kernel info:
; codeLenInByte = 0
; TotalNumSgprs: 0
; NumVgprs: 0
; ScratchSize: 0
; MemoryBound: 0
; FloatMode: 240
; IeeeMode: 1
; LDSByteSize: 0 bytes/workgroup (compile time only)
; SGPRBlocks: 0
; VGPRBlocks: 0
; NumSGPRsForWavesPerEU: 1
; NumVGPRsForWavesPerEU: 1
; Occupancy: 16
; WaveLimiterHint : 0
; COMPUTE_PGM_RSRC2:SCRATCH_EN: 0
; COMPUTE_PGM_RSRC2:USER_SGPR: 6
; COMPUTE_PGM_RSRC2:TRAP_HANDLER: 0
; COMPUTE_PGM_RSRC2:TGID_X_EN: 1
; COMPUTE_PGM_RSRC2:TGID_Y_EN: 0
; COMPUTE_PGM_RSRC2:TGID_Z_EN: 0
; COMPUTE_PGM_RSRC2:TIDIG_COMP_CNT: 0
	.section	.text._ZN7rocprim17ROCPRIM_400000_NS6detail17trampoline_kernelINS0_14default_configENS1_35radix_sort_onesweep_config_selectorIiiEEZZNS1_29radix_sort_onesweep_iterationIS3_Lb1EN6thrust23THRUST_200600_302600_NS6detail15normal_iteratorINS8_10device_ptrIiEEEESD_SD_SD_jNS0_19identity_decomposerENS1_16block_id_wrapperIjLb0EEEEE10hipError_tT1_PNSt15iterator_traitsISI_E10value_typeET2_T3_PNSJ_ISO_E10value_typeET4_T5_PST_SU_PNS1_23onesweep_lookback_stateEbbT6_jjT7_P12ihipStream_tbENKUlT_T0_SI_SN_E_clISD_SD_SD_SD_EEDaS11_S12_SI_SN_EUlS11_E_NS1_11comp_targetILNS1_3genE2ELNS1_11target_archE906ELNS1_3gpuE6ELNS1_3repE0EEENS1_47radix_sort_onesweep_sort_config_static_selectorELNS0_4arch9wavefront6targetE0EEEvSI_,"axG",@progbits,_ZN7rocprim17ROCPRIM_400000_NS6detail17trampoline_kernelINS0_14default_configENS1_35radix_sort_onesweep_config_selectorIiiEEZZNS1_29radix_sort_onesweep_iterationIS3_Lb1EN6thrust23THRUST_200600_302600_NS6detail15normal_iteratorINS8_10device_ptrIiEEEESD_SD_SD_jNS0_19identity_decomposerENS1_16block_id_wrapperIjLb0EEEEE10hipError_tT1_PNSt15iterator_traitsISI_E10value_typeET2_T3_PNSJ_ISO_E10value_typeET4_T5_PST_SU_PNS1_23onesweep_lookback_stateEbbT6_jjT7_P12ihipStream_tbENKUlT_T0_SI_SN_E_clISD_SD_SD_SD_EEDaS11_S12_SI_SN_EUlS11_E_NS1_11comp_targetILNS1_3genE2ELNS1_11target_archE906ELNS1_3gpuE6ELNS1_3repE0EEENS1_47radix_sort_onesweep_sort_config_static_selectorELNS0_4arch9wavefront6targetE0EEEvSI_,comdat
	.protected	_ZN7rocprim17ROCPRIM_400000_NS6detail17trampoline_kernelINS0_14default_configENS1_35radix_sort_onesweep_config_selectorIiiEEZZNS1_29radix_sort_onesweep_iterationIS3_Lb1EN6thrust23THRUST_200600_302600_NS6detail15normal_iteratorINS8_10device_ptrIiEEEESD_SD_SD_jNS0_19identity_decomposerENS1_16block_id_wrapperIjLb0EEEEE10hipError_tT1_PNSt15iterator_traitsISI_E10value_typeET2_T3_PNSJ_ISO_E10value_typeET4_T5_PST_SU_PNS1_23onesweep_lookback_stateEbbT6_jjT7_P12ihipStream_tbENKUlT_T0_SI_SN_E_clISD_SD_SD_SD_EEDaS11_S12_SI_SN_EUlS11_E_NS1_11comp_targetILNS1_3genE2ELNS1_11target_archE906ELNS1_3gpuE6ELNS1_3repE0EEENS1_47radix_sort_onesweep_sort_config_static_selectorELNS0_4arch9wavefront6targetE0EEEvSI_ ; -- Begin function _ZN7rocprim17ROCPRIM_400000_NS6detail17trampoline_kernelINS0_14default_configENS1_35radix_sort_onesweep_config_selectorIiiEEZZNS1_29radix_sort_onesweep_iterationIS3_Lb1EN6thrust23THRUST_200600_302600_NS6detail15normal_iteratorINS8_10device_ptrIiEEEESD_SD_SD_jNS0_19identity_decomposerENS1_16block_id_wrapperIjLb0EEEEE10hipError_tT1_PNSt15iterator_traitsISI_E10value_typeET2_T3_PNSJ_ISO_E10value_typeET4_T5_PST_SU_PNS1_23onesweep_lookback_stateEbbT6_jjT7_P12ihipStream_tbENKUlT_T0_SI_SN_E_clISD_SD_SD_SD_EEDaS11_S12_SI_SN_EUlS11_E_NS1_11comp_targetILNS1_3genE2ELNS1_11target_archE906ELNS1_3gpuE6ELNS1_3repE0EEENS1_47radix_sort_onesweep_sort_config_static_selectorELNS0_4arch9wavefront6targetE0EEEvSI_
	.globl	_ZN7rocprim17ROCPRIM_400000_NS6detail17trampoline_kernelINS0_14default_configENS1_35radix_sort_onesweep_config_selectorIiiEEZZNS1_29radix_sort_onesweep_iterationIS3_Lb1EN6thrust23THRUST_200600_302600_NS6detail15normal_iteratorINS8_10device_ptrIiEEEESD_SD_SD_jNS0_19identity_decomposerENS1_16block_id_wrapperIjLb0EEEEE10hipError_tT1_PNSt15iterator_traitsISI_E10value_typeET2_T3_PNSJ_ISO_E10value_typeET4_T5_PST_SU_PNS1_23onesweep_lookback_stateEbbT6_jjT7_P12ihipStream_tbENKUlT_T0_SI_SN_E_clISD_SD_SD_SD_EEDaS11_S12_SI_SN_EUlS11_E_NS1_11comp_targetILNS1_3genE2ELNS1_11target_archE906ELNS1_3gpuE6ELNS1_3repE0EEENS1_47radix_sort_onesweep_sort_config_static_selectorELNS0_4arch9wavefront6targetE0EEEvSI_
	.p2align	8
	.type	_ZN7rocprim17ROCPRIM_400000_NS6detail17trampoline_kernelINS0_14default_configENS1_35radix_sort_onesweep_config_selectorIiiEEZZNS1_29radix_sort_onesweep_iterationIS3_Lb1EN6thrust23THRUST_200600_302600_NS6detail15normal_iteratorINS8_10device_ptrIiEEEESD_SD_SD_jNS0_19identity_decomposerENS1_16block_id_wrapperIjLb0EEEEE10hipError_tT1_PNSt15iterator_traitsISI_E10value_typeET2_T3_PNSJ_ISO_E10value_typeET4_T5_PST_SU_PNS1_23onesweep_lookback_stateEbbT6_jjT7_P12ihipStream_tbENKUlT_T0_SI_SN_E_clISD_SD_SD_SD_EEDaS11_S12_SI_SN_EUlS11_E_NS1_11comp_targetILNS1_3genE2ELNS1_11target_archE906ELNS1_3gpuE6ELNS1_3repE0EEENS1_47radix_sort_onesweep_sort_config_static_selectorELNS0_4arch9wavefront6targetE0EEEvSI_,@function
_ZN7rocprim17ROCPRIM_400000_NS6detail17trampoline_kernelINS0_14default_configENS1_35radix_sort_onesweep_config_selectorIiiEEZZNS1_29radix_sort_onesweep_iterationIS3_Lb1EN6thrust23THRUST_200600_302600_NS6detail15normal_iteratorINS8_10device_ptrIiEEEESD_SD_SD_jNS0_19identity_decomposerENS1_16block_id_wrapperIjLb0EEEEE10hipError_tT1_PNSt15iterator_traitsISI_E10value_typeET2_T3_PNSJ_ISO_E10value_typeET4_T5_PST_SU_PNS1_23onesweep_lookback_stateEbbT6_jjT7_P12ihipStream_tbENKUlT_T0_SI_SN_E_clISD_SD_SD_SD_EEDaS11_S12_SI_SN_EUlS11_E_NS1_11comp_targetILNS1_3genE2ELNS1_11target_archE906ELNS1_3gpuE6ELNS1_3repE0EEENS1_47radix_sort_onesweep_sort_config_static_selectorELNS0_4arch9wavefront6targetE0EEEvSI_: ; @_ZN7rocprim17ROCPRIM_400000_NS6detail17trampoline_kernelINS0_14default_configENS1_35radix_sort_onesweep_config_selectorIiiEEZZNS1_29radix_sort_onesweep_iterationIS3_Lb1EN6thrust23THRUST_200600_302600_NS6detail15normal_iteratorINS8_10device_ptrIiEEEESD_SD_SD_jNS0_19identity_decomposerENS1_16block_id_wrapperIjLb0EEEEE10hipError_tT1_PNSt15iterator_traitsISI_E10value_typeET2_T3_PNSJ_ISO_E10value_typeET4_T5_PST_SU_PNS1_23onesweep_lookback_stateEbbT6_jjT7_P12ihipStream_tbENKUlT_T0_SI_SN_E_clISD_SD_SD_SD_EEDaS11_S12_SI_SN_EUlS11_E_NS1_11comp_targetILNS1_3genE2ELNS1_11target_archE906ELNS1_3gpuE6ELNS1_3repE0EEENS1_47radix_sort_onesweep_sort_config_static_selectorELNS0_4arch9wavefront6targetE0EEEvSI_
; %bb.0:
	.section	.rodata,"a",@progbits
	.p2align	6, 0x0
	.amdhsa_kernel _ZN7rocprim17ROCPRIM_400000_NS6detail17trampoline_kernelINS0_14default_configENS1_35radix_sort_onesweep_config_selectorIiiEEZZNS1_29radix_sort_onesweep_iterationIS3_Lb1EN6thrust23THRUST_200600_302600_NS6detail15normal_iteratorINS8_10device_ptrIiEEEESD_SD_SD_jNS0_19identity_decomposerENS1_16block_id_wrapperIjLb0EEEEE10hipError_tT1_PNSt15iterator_traitsISI_E10value_typeET2_T3_PNSJ_ISO_E10value_typeET4_T5_PST_SU_PNS1_23onesweep_lookback_stateEbbT6_jjT7_P12ihipStream_tbENKUlT_T0_SI_SN_E_clISD_SD_SD_SD_EEDaS11_S12_SI_SN_EUlS11_E_NS1_11comp_targetILNS1_3genE2ELNS1_11target_archE906ELNS1_3gpuE6ELNS1_3repE0EEENS1_47radix_sort_onesweep_sort_config_static_selectorELNS0_4arch9wavefront6targetE0EEEvSI_
		.amdhsa_group_segment_fixed_size 0
		.amdhsa_private_segment_fixed_size 0
		.amdhsa_kernarg_size 88
		.amdhsa_user_sgpr_count 6
		.amdhsa_user_sgpr_private_segment_buffer 1
		.amdhsa_user_sgpr_dispatch_ptr 0
		.amdhsa_user_sgpr_queue_ptr 0
		.amdhsa_user_sgpr_kernarg_segment_ptr 1
		.amdhsa_user_sgpr_dispatch_id 0
		.amdhsa_user_sgpr_flat_scratch_init 0
		.amdhsa_user_sgpr_private_segment_size 0
		.amdhsa_wavefront_size32 1
		.amdhsa_uses_dynamic_stack 0
		.amdhsa_system_sgpr_private_segment_wavefront_offset 0
		.amdhsa_system_sgpr_workgroup_id_x 1
		.amdhsa_system_sgpr_workgroup_id_y 0
		.amdhsa_system_sgpr_workgroup_id_z 0
		.amdhsa_system_sgpr_workgroup_info 0
		.amdhsa_system_vgpr_workitem_id 0
		.amdhsa_next_free_vgpr 1
		.amdhsa_next_free_sgpr 1
		.amdhsa_reserve_vcc 0
		.amdhsa_reserve_flat_scratch 0
		.amdhsa_float_round_mode_32 0
		.amdhsa_float_round_mode_16_64 0
		.amdhsa_float_denorm_mode_32 3
		.amdhsa_float_denorm_mode_16_64 3
		.amdhsa_dx10_clamp 1
		.amdhsa_ieee_mode 1
		.amdhsa_fp16_overflow 0
		.amdhsa_workgroup_processor_mode 1
		.amdhsa_memory_ordered 1
		.amdhsa_forward_progress 1
		.amdhsa_shared_vgpr_count 0
		.amdhsa_exception_fp_ieee_invalid_op 0
		.amdhsa_exception_fp_denorm_src 0
		.amdhsa_exception_fp_ieee_div_zero 0
		.amdhsa_exception_fp_ieee_overflow 0
		.amdhsa_exception_fp_ieee_underflow 0
		.amdhsa_exception_fp_ieee_inexact 0
		.amdhsa_exception_int_div_zero 0
	.end_amdhsa_kernel
	.section	.text._ZN7rocprim17ROCPRIM_400000_NS6detail17trampoline_kernelINS0_14default_configENS1_35radix_sort_onesweep_config_selectorIiiEEZZNS1_29radix_sort_onesweep_iterationIS3_Lb1EN6thrust23THRUST_200600_302600_NS6detail15normal_iteratorINS8_10device_ptrIiEEEESD_SD_SD_jNS0_19identity_decomposerENS1_16block_id_wrapperIjLb0EEEEE10hipError_tT1_PNSt15iterator_traitsISI_E10value_typeET2_T3_PNSJ_ISO_E10value_typeET4_T5_PST_SU_PNS1_23onesweep_lookback_stateEbbT6_jjT7_P12ihipStream_tbENKUlT_T0_SI_SN_E_clISD_SD_SD_SD_EEDaS11_S12_SI_SN_EUlS11_E_NS1_11comp_targetILNS1_3genE2ELNS1_11target_archE906ELNS1_3gpuE6ELNS1_3repE0EEENS1_47radix_sort_onesweep_sort_config_static_selectorELNS0_4arch9wavefront6targetE0EEEvSI_,"axG",@progbits,_ZN7rocprim17ROCPRIM_400000_NS6detail17trampoline_kernelINS0_14default_configENS1_35radix_sort_onesweep_config_selectorIiiEEZZNS1_29radix_sort_onesweep_iterationIS3_Lb1EN6thrust23THRUST_200600_302600_NS6detail15normal_iteratorINS8_10device_ptrIiEEEESD_SD_SD_jNS0_19identity_decomposerENS1_16block_id_wrapperIjLb0EEEEE10hipError_tT1_PNSt15iterator_traitsISI_E10value_typeET2_T3_PNSJ_ISO_E10value_typeET4_T5_PST_SU_PNS1_23onesweep_lookback_stateEbbT6_jjT7_P12ihipStream_tbENKUlT_T0_SI_SN_E_clISD_SD_SD_SD_EEDaS11_S12_SI_SN_EUlS11_E_NS1_11comp_targetILNS1_3genE2ELNS1_11target_archE906ELNS1_3gpuE6ELNS1_3repE0EEENS1_47radix_sort_onesweep_sort_config_static_selectorELNS0_4arch9wavefront6targetE0EEEvSI_,comdat
.Lfunc_end1029:
	.size	_ZN7rocprim17ROCPRIM_400000_NS6detail17trampoline_kernelINS0_14default_configENS1_35radix_sort_onesweep_config_selectorIiiEEZZNS1_29radix_sort_onesweep_iterationIS3_Lb1EN6thrust23THRUST_200600_302600_NS6detail15normal_iteratorINS8_10device_ptrIiEEEESD_SD_SD_jNS0_19identity_decomposerENS1_16block_id_wrapperIjLb0EEEEE10hipError_tT1_PNSt15iterator_traitsISI_E10value_typeET2_T3_PNSJ_ISO_E10value_typeET4_T5_PST_SU_PNS1_23onesweep_lookback_stateEbbT6_jjT7_P12ihipStream_tbENKUlT_T0_SI_SN_E_clISD_SD_SD_SD_EEDaS11_S12_SI_SN_EUlS11_E_NS1_11comp_targetILNS1_3genE2ELNS1_11target_archE906ELNS1_3gpuE6ELNS1_3repE0EEENS1_47radix_sort_onesweep_sort_config_static_selectorELNS0_4arch9wavefront6targetE0EEEvSI_, .Lfunc_end1029-_ZN7rocprim17ROCPRIM_400000_NS6detail17trampoline_kernelINS0_14default_configENS1_35radix_sort_onesweep_config_selectorIiiEEZZNS1_29radix_sort_onesweep_iterationIS3_Lb1EN6thrust23THRUST_200600_302600_NS6detail15normal_iteratorINS8_10device_ptrIiEEEESD_SD_SD_jNS0_19identity_decomposerENS1_16block_id_wrapperIjLb0EEEEE10hipError_tT1_PNSt15iterator_traitsISI_E10value_typeET2_T3_PNSJ_ISO_E10value_typeET4_T5_PST_SU_PNS1_23onesweep_lookback_stateEbbT6_jjT7_P12ihipStream_tbENKUlT_T0_SI_SN_E_clISD_SD_SD_SD_EEDaS11_S12_SI_SN_EUlS11_E_NS1_11comp_targetILNS1_3genE2ELNS1_11target_archE906ELNS1_3gpuE6ELNS1_3repE0EEENS1_47radix_sort_onesweep_sort_config_static_selectorELNS0_4arch9wavefront6targetE0EEEvSI_
                                        ; -- End function
	.set _ZN7rocprim17ROCPRIM_400000_NS6detail17trampoline_kernelINS0_14default_configENS1_35radix_sort_onesweep_config_selectorIiiEEZZNS1_29radix_sort_onesweep_iterationIS3_Lb1EN6thrust23THRUST_200600_302600_NS6detail15normal_iteratorINS8_10device_ptrIiEEEESD_SD_SD_jNS0_19identity_decomposerENS1_16block_id_wrapperIjLb0EEEEE10hipError_tT1_PNSt15iterator_traitsISI_E10value_typeET2_T3_PNSJ_ISO_E10value_typeET4_T5_PST_SU_PNS1_23onesweep_lookback_stateEbbT6_jjT7_P12ihipStream_tbENKUlT_T0_SI_SN_E_clISD_SD_SD_SD_EEDaS11_S12_SI_SN_EUlS11_E_NS1_11comp_targetILNS1_3genE2ELNS1_11target_archE906ELNS1_3gpuE6ELNS1_3repE0EEENS1_47radix_sort_onesweep_sort_config_static_selectorELNS0_4arch9wavefront6targetE0EEEvSI_.num_vgpr, 0
	.set _ZN7rocprim17ROCPRIM_400000_NS6detail17trampoline_kernelINS0_14default_configENS1_35radix_sort_onesweep_config_selectorIiiEEZZNS1_29radix_sort_onesweep_iterationIS3_Lb1EN6thrust23THRUST_200600_302600_NS6detail15normal_iteratorINS8_10device_ptrIiEEEESD_SD_SD_jNS0_19identity_decomposerENS1_16block_id_wrapperIjLb0EEEEE10hipError_tT1_PNSt15iterator_traitsISI_E10value_typeET2_T3_PNSJ_ISO_E10value_typeET4_T5_PST_SU_PNS1_23onesweep_lookback_stateEbbT6_jjT7_P12ihipStream_tbENKUlT_T0_SI_SN_E_clISD_SD_SD_SD_EEDaS11_S12_SI_SN_EUlS11_E_NS1_11comp_targetILNS1_3genE2ELNS1_11target_archE906ELNS1_3gpuE6ELNS1_3repE0EEENS1_47radix_sort_onesweep_sort_config_static_selectorELNS0_4arch9wavefront6targetE0EEEvSI_.num_agpr, 0
	.set _ZN7rocprim17ROCPRIM_400000_NS6detail17trampoline_kernelINS0_14default_configENS1_35radix_sort_onesweep_config_selectorIiiEEZZNS1_29radix_sort_onesweep_iterationIS3_Lb1EN6thrust23THRUST_200600_302600_NS6detail15normal_iteratorINS8_10device_ptrIiEEEESD_SD_SD_jNS0_19identity_decomposerENS1_16block_id_wrapperIjLb0EEEEE10hipError_tT1_PNSt15iterator_traitsISI_E10value_typeET2_T3_PNSJ_ISO_E10value_typeET4_T5_PST_SU_PNS1_23onesweep_lookback_stateEbbT6_jjT7_P12ihipStream_tbENKUlT_T0_SI_SN_E_clISD_SD_SD_SD_EEDaS11_S12_SI_SN_EUlS11_E_NS1_11comp_targetILNS1_3genE2ELNS1_11target_archE906ELNS1_3gpuE6ELNS1_3repE0EEENS1_47radix_sort_onesweep_sort_config_static_selectorELNS0_4arch9wavefront6targetE0EEEvSI_.numbered_sgpr, 0
	.set _ZN7rocprim17ROCPRIM_400000_NS6detail17trampoline_kernelINS0_14default_configENS1_35radix_sort_onesweep_config_selectorIiiEEZZNS1_29radix_sort_onesweep_iterationIS3_Lb1EN6thrust23THRUST_200600_302600_NS6detail15normal_iteratorINS8_10device_ptrIiEEEESD_SD_SD_jNS0_19identity_decomposerENS1_16block_id_wrapperIjLb0EEEEE10hipError_tT1_PNSt15iterator_traitsISI_E10value_typeET2_T3_PNSJ_ISO_E10value_typeET4_T5_PST_SU_PNS1_23onesweep_lookback_stateEbbT6_jjT7_P12ihipStream_tbENKUlT_T0_SI_SN_E_clISD_SD_SD_SD_EEDaS11_S12_SI_SN_EUlS11_E_NS1_11comp_targetILNS1_3genE2ELNS1_11target_archE906ELNS1_3gpuE6ELNS1_3repE0EEENS1_47radix_sort_onesweep_sort_config_static_selectorELNS0_4arch9wavefront6targetE0EEEvSI_.num_named_barrier, 0
	.set _ZN7rocprim17ROCPRIM_400000_NS6detail17trampoline_kernelINS0_14default_configENS1_35radix_sort_onesweep_config_selectorIiiEEZZNS1_29radix_sort_onesweep_iterationIS3_Lb1EN6thrust23THRUST_200600_302600_NS6detail15normal_iteratorINS8_10device_ptrIiEEEESD_SD_SD_jNS0_19identity_decomposerENS1_16block_id_wrapperIjLb0EEEEE10hipError_tT1_PNSt15iterator_traitsISI_E10value_typeET2_T3_PNSJ_ISO_E10value_typeET4_T5_PST_SU_PNS1_23onesweep_lookback_stateEbbT6_jjT7_P12ihipStream_tbENKUlT_T0_SI_SN_E_clISD_SD_SD_SD_EEDaS11_S12_SI_SN_EUlS11_E_NS1_11comp_targetILNS1_3genE2ELNS1_11target_archE906ELNS1_3gpuE6ELNS1_3repE0EEENS1_47radix_sort_onesweep_sort_config_static_selectorELNS0_4arch9wavefront6targetE0EEEvSI_.private_seg_size, 0
	.set _ZN7rocprim17ROCPRIM_400000_NS6detail17trampoline_kernelINS0_14default_configENS1_35radix_sort_onesweep_config_selectorIiiEEZZNS1_29radix_sort_onesweep_iterationIS3_Lb1EN6thrust23THRUST_200600_302600_NS6detail15normal_iteratorINS8_10device_ptrIiEEEESD_SD_SD_jNS0_19identity_decomposerENS1_16block_id_wrapperIjLb0EEEEE10hipError_tT1_PNSt15iterator_traitsISI_E10value_typeET2_T3_PNSJ_ISO_E10value_typeET4_T5_PST_SU_PNS1_23onesweep_lookback_stateEbbT6_jjT7_P12ihipStream_tbENKUlT_T0_SI_SN_E_clISD_SD_SD_SD_EEDaS11_S12_SI_SN_EUlS11_E_NS1_11comp_targetILNS1_3genE2ELNS1_11target_archE906ELNS1_3gpuE6ELNS1_3repE0EEENS1_47radix_sort_onesweep_sort_config_static_selectorELNS0_4arch9wavefront6targetE0EEEvSI_.uses_vcc, 0
	.set _ZN7rocprim17ROCPRIM_400000_NS6detail17trampoline_kernelINS0_14default_configENS1_35radix_sort_onesweep_config_selectorIiiEEZZNS1_29radix_sort_onesweep_iterationIS3_Lb1EN6thrust23THRUST_200600_302600_NS6detail15normal_iteratorINS8_10device_ptrIiEEEESD_SD_SD_jNS0_19identity_decomposerENS1_16block_id_wrapperIjLb0EEEEE10hipError_tT1_PNSt15iterator_traitsISI_E10value_typeET2_T3_PNSJ_ISO_E10value_typeET4_T5_PST_SU_PNS1_23onesweep_lookback_stateEbbT6_jjT7_P12ihipStream_tbENKUlT_T0_SI_SN_E_clISD_SD_SD_SD_EEDaS11_S12_SI_SN_EUlS11_E_NS1_11comp_targetILNS1_3genE2ELNS1_11target_archE906ELNS1_3gpuE6ELNS1_3repE0EEENS1_47radix_sort_onesweep_sort_config_static_selectorELNS0_4arch9wavefront6targetE0EEEvSI_.uses_flat_scratch, 0
	.set _ZN7rocprim17ROCPRIM_400000_NS6detail17trampoline_kernelINS0_14default_configENS1_35radix_sort_onesweep_config_selectorIiiEEZZNS1_29radix_sort_onesweep_iterationIS3_Lb1EN6thrust23THRUST_200600_302600_NS6detail15normal_iteratorINS8_10device_ptrIiEEEESD_SD_SD_jNS0_19identity_decomposerENS1_16block_id_wrapperIjLb0EEEEE10hipError_tT1_PNSt15iterator_traitsISI_E10value_typeET2_T3_PNSJ_ISO_E10value_typeET4_T5_PST_SU_PNS1_23onesweep_lookback_stateEbbT6_jjT7_P12ihipStream_tbENKUlT_T0_SI_SN_E_clISD_SD_SD_SD_EEDaS11_S12_SI_SN_EUlS11_E_NS1_11comp_targetILNS1_3genE2ELNS1_11target_archE906ELNS1_3gpuE6ELNS1_3repE0EEENS1_47radix_sort_onesweep_sort_config_static_selectorELNS0_4arch9wavefront6targetE0EEEvSI_.has_dyn_sized_stack, 0
	.set _ZN7rocprim17ROCPRIM_400000_NS6detail17trampoline_kernelINS0_14default_configENS1_35radix_sort_onesweep_config_selectorIiiEEZZNS1_29radix_sort_onesweep_iterationIS3_Lb1EN6thrust23THRUST_200600_302600_NS6detail15normal_iteratorINS8_10device_ptrIiEEEESD_SD_SD_jNS0_19identity_decomposerENS1_16block_id_wrapperIjLb0EEEEE10hipError_tT1_PNSt15iterator_traitsISI_E10value_typeET2_T3_PNSJ_ISO_E10value_typeET4_T5_PST_SU_PNS1_23onesweep_lookback_stateEbbT6_jjT7_P12ihipStream_tbENKUlT_T0_SI_SN_E_clISD_SD_SD_SD_EEDaS11_S12_SI_SN_EUlS11_E_NS1_11comp_targetILNS1_3genE2ELNS1_11target_archE906ELNS1_3gpuE6ELNS1_3repE0EEENS1_47radix_sort_onesweep_sort_config_static_selectorELNS0_4arch9wavefront6targetE0EEEvSI_.has_recursion, 0
	.set _ZN7rocprim17ROCPRIM_400000_NS6detail17trampoline_kernelINS0_14default_configENS1_35radix_sort_onesweep_config_selectorIiiEEZZNS1_29radix_sort_onesweep_iterationIS3_Lb1EN6thrust23THRUST_200600_302600_NS6detail15normal_iteratorINS8_10device_ptrIiEEEESD_SD_SD_jNS0_19identity_decomposerENS1_16block_id_wrapperIjLb0EEEEE10hipError_tT1_PNSt15iterator_traitsISI_E10value_typeET2_T3_PNSJ_ISO_E10value_typeET4_T5_PST_SU_PNS1_23onesweep_lookback_stateEbbT6_jjT7_P12ihipStream_tbENKUlT_T0_SI_SN_E_clISD_SD_SD_SD_EEDaS11_S12_SI_SN_EUlS11_E_NS1_11comp_targetILNS1_3genE2ELNS1_11target_archE906ELNS1_3gpuE6ELNS1_3repE0EEENS1_47radix_sort_onesweep_sort_config_static_selectorELNS0_4arch9wavefront6targetE0EEEvSI_.has_indirect_call, 0
	.section	.AMDGPU.csdata,"",@progbits
; Kernel info:
; codeLenInByte = 0
; TotalNumSgprs: 0
; NumVgprs: 0
; ScratchSize: 0
; MemoryBound: 0
; FloatMode: 240
; IeeeMode: 1
; LDSByteSize: 0 bytes/workgroup (compile time only)
; SGPRBlocks: 0
; VGPRBlocks: 0
; NumSGPRsForWavesPerEU: 1
; NumVGPRsForWavesPerEU: 1
; Occupancy: 16
; WaveLimiterHint : 0
; COMPUTE_PGM_RSRC2:SCRATCH_EN: 0
; COMPUTE_PGM_RSRC2:USER_SGPR: 6
; COMPUTE_PGM_RSRC2:TRAP_HANDLER: 0
; COMPUTE_PGM_RSRC2:TGID_X_EN: 1
; COMPUTE_PGM_RSRC2:TGID_Y_EN: 0
; COMPUTE_PGM_RSRC2:TGID_Z_EN: 0
; COMPUTE_PGM_RSRC2:TIDIG_COMP_CNT: 0
	.section	.text._ZN7rocprim17ROCPRIM_400000_NS6detail17trampoline_kernelINS0_14default_configENS1_35radix_sort_onesweep_config_selectorIiiEEZZNS1_29radix_sort_onesweep_iterationIS3_Lb1EN6thrust23THRUST_200600_302600_NS6detail15normal_iteratorINS8_10device_ptrIiEEEESD_SD_SD_jNS0_19identity_decomposerENS1_16block_id_wrapperIjLb0EEEEE10hipError_tT1_PNSt15iterator_traitsISI_E10value_typeET2_T3_PNSJ_ISO_E10value_typeET4_T5_PST_SU_PNS1_23onesweep_lookback_stateEbbT6_jjT7_P12ihipStream_tbENKUlT_T0_SI_SN_E_clISD_SD_SD_SD_EEDaS11_S12_SI_SN_EUlS11_E_NS1_11comp_targetILNS1_3genE4ELNS1_11target_archE910ELNS1_3gpuE8ELNS1_3repE0EEENS1_47radix_sort_onesweep_sort_config_static_selectorELNS0_4arch9wavefront6targetE0EEEvSI_,"axG",@progbits,_ZN7rocprim17ROCPRIM_400000_NS6detail17trampoline_kernelINS0_14default_configENS1_35radix_sort_onesweep_config_selectorIiiEEZZNS1_29radix_sort_onesweep_iterationIS3_Lb1EN6thrust23THRUST_200600_302600_NS6detail15normal_iteratorINS8_10device_ptrIiEEEESD_SD_SD_jNS0_19identity_decomposerENS1_16block_id_wrapperIjLb0EEEEE10hipError_tT1_PNSt15iterator_traitsISI_E10value_typeET2_T3_PNSJ_ISO_E10value_typeET4_T5_PST_SU_PNS1_23onesweep_lookback_stateEbbT6_jjT7_P12ihipStream_tbENKUlT_T0_SI_SN_E_clISD_SD_SD_SD_EEDaS11_S12_SI_SN_EUlS11_E_NS1_11comp_targetILNS1_3genE4ELNS1_11target_archE910ELNS1_3gpuE8ELNS1_3repE0EEENS1_47radix_sort_onesweep_sort_config_static_selectorELNS0_4arch9wavefront6targetE0EEEvSI_,comdat
	.protected	_ZN7rocprim17ROCPRIM_400000_NS6detail17trampoline_kernelINS0_14default_configENS1_35radix_sort_onesweep_config_selectorIiiEEZZNS1_29radix_sort_onesweep_iterationIS3_Lb1EN6thrust23THRUST_200600_302600_NS6detail15normal_iteratorINS8_10device_ptrIiEEEESD_SD_SD_jNS0_19identity_decomposerENS1_16block_id_wrapperIjLb0EEEEE10hipError_tT1_PNSt15iterator_traitsISI_E10value_typeET2_T3_PNSJ_ISO_E10value_typeET4_T5_PST_SU_PNS1_23onesweep_lookback_stateEbbT6_jjT7_P12ihipStream_tbENKUlT_T0_SI_SN_E_clISD_SD_SD_SD_EEDaS11_S12_SI_SN_EUlS11_E_NS1_11comp_targetILNS1_3genE4ELNS1_11target_archE910ELNS1_3gpuE8ELNS1_3repE0EEENS1_47radix_sort_onesweep_sort_config_static_selectorELNS0_4arch9wavefront6targetE0EEEvSI_ ; -- Begin function _ZN7rocprim17ROCPRIM_400000_NS6detail17trampoline_kernelINS0_14default_configENS1_35radix_sort_onesweep_config_selectorIiiEEZZNS1_29radix_sort_onesweep_iterationIS3_Lb1EN6thrust23THRUST_200600_302600_NS6detail15normal_iteratorINS8_10device_ptrIiEEEESD_SD_SD_jNS0_19identity_decomposerENS1_16block_id_wrapperIjLb0EEEEE10hipError_tT1_PNSt15iterator_traitsISI_E10value_typeET2_T3_PNSJ_ISO_E10value_typeET4_T5_PST_SU_PNS1_23onesweep_lookback_stateEbbT6_jjT7_P12ihipStream_tbENKUlT_T0_SI_SN_E_clISD_SD_SD_SD_EEDaS11_S12_SI_SN_EUlS11_E_NS1_11comp_targetILNS1_3genE4ELNS1_11target_archE910ELNS1_3gpuE8ELNS1_3repE0EEENS1_47radix_sort_onesweep_sort_config_static_selectorELNS0_4arch9wavefront6targetE0EEEvSI_
	.globl	_ZN7rocprim17ROCPRIM_400000_NS6detail17trampoline_kernelINS0_14default_configENS1_35radix_sort_onesweep_config_selectorIiiEEZZNS1_29radix_sort_onesweep_iterationIS3_Lb1EN6thrust23THRUST_200600_302600_NS6detail15normal_iteratorINS8_10device_ptrIiEEEESD_SD_SD_jNS0_19identity_decomposerENS1_16block_id_wrapperIjLb0EEEEE10hipError_tT1_PNSt15iterator_traitsISI_E10value_typeET2_T3_PNSJ_ISO_E10value_typeET4_T5_PST_SU_PNS1_23onesweep_lookback_stateEbbT6_jjT7_P12ihipStream_tbENKUlT_T0_SI_SN_E_clISD_SD_SD_SD_EEDaS11_S12_SI_SN_EUlS11_E_NS1_11comp_targetILNS1_3genE4ELNS1_11target_archE910ELNS1_3gpuE8ELNS1_3repE0EEENS1_47radix_sort_onesweep_sort_config_static_selectorELNS0_4arch9wavefront6targetE0EEEvSI_
	.p2align	8
	.type	_ZN7rocprim17ROCPRIM_400000_NS6detail17trampoline_kernelINS0_14default_configENS1_35radix_sort_onesweep_config_selectorIiiEEZZNS1_29radix_sort_onesweep_iterationIS3_Lb1EN6thrust23THRUST_200600_302600_NS6detail15normal_iteratorINS8_10device_ptrIiEEEESD_SD_SD_jNS0_19identity_decomposerENS1_16block_id_wrapperIjLb0EEEEE10hipError_tT1_PNSt15iterator_traitsISI_E10value_typeET2_T3_PNSJ_ISO_E10value_typeET4_T5_PST_SU_PNS1_23onesweep_lookback_stateEbbT6_jjT7_P12ihipStream_tbENKUlT_T0_SI_SN_E_clISD_SD_SD_SD_EEDaS11_S12_SI_SN_EUlS11_E_NS1_11comp_targetILNS1_3genE4ELNS1_11target_archE910ELNS1_3gpuE8ELNS1_3repE0EEENS1_47radix_sort_onesweep_sort_config_static_selectorELNS0_4arch9wavefront6targetE0EEEvSI_,@function
_ZN7rocprim17ROCPRIM_400000_NS6detail17trampoline_kernelINS0_14default_configENS1_35radix_sort_onesweep_config_selectorIiiEEZZNS1_29radix_sort_onesweep_iterationIS3_Lb1EN6thrust23THRUST_200600_302600_NS6detail15normal_iteratorINS8_10device_ptrIiEEEESD_SD_SD_jNS0_19identity_decomposerENS1_16block_id_wrapperIjLb0EEEEE10hipError_tT1_PNSt15iterator_traitsISI_E10value_typeET2_T3_PNSJ_ISO_E10value_typeET4_T5_PST_SU_PNS1_23onesweep_lookback_stateEbbT6_jjT7_P12ihipStream_tbENKUlT_T0_SI_SN_E_clISD_SD_SD_SD_EEDaS11_S12_SI_SN_EUlS11_E_NS1_11comp_targetILNS1_3genE4ELNS1_11target_archE910ELNS1_3gpuE8ELNS1_3repE0EEENS1_47radix_sort_onesweep_sort_config_static_selectorELNS0_4arch9wavefront6targetE0EEEvSI_: ; @_ZN7rocprim17ROCPRIM_400000_NS6detail17trampoline_kernelINS0_14default_configENS1_35radix_sort_onesweep_config_selectorIiiEEZZNS1_29radix_sort_onesweep_iterationIS3_Lb1EN6thrust23THRUST_200600_302600_NS6detail15normal_iteratorINS8_10device_ptrIiEEEESD_SD_SD_jNS0_19identity_decomposerENS1_16block_id_wrapperIjLb0EEEEE10hipError_tT1_PNSt15iterator_traitsISI_E10value_typeET2_T3_PNSJ_ISO_E10value_typeET4_T5_PST_SU_PNS1_23onesweep_lookback_stateEbbT6_jjT7_P12ihipStream_tbENKUlT_T0_SI_SN_E_clISD_SD_SD_SD_EEDaS11_S12_SI_SN_EUlS11_E_NS1_11comp_targetILNS1_3genE4ELNS1_11target_archE910ELNS1_3gpuE8ELNS1_3repE0EEENS1_47radix_sort_onesweep_sort_config_static_selectorELNS0_4arch9wavefront6targetE0EEEvSI_
; %bb.0:
	.section	.rodata,"a",@progbits
	.p2align	6, 0x0
	.amdhsa_kernel _ZN7rocprim17ROCPRIM_400000_NS6detail17trampoline_kernelINS0_14default_configENS1_35radix_sort_onesweep_config_selectorIiiEEZZNS1_29radix_sort_onesweep_iterationIS3_Lb1EN6thrust23THRUST_200600_302600_NS6detail15normal_iteratorINS8_10device_ptrIiEEEESD_SD_SD_jNS0_19identity_decomposerENS1_16block_id_wrapperIjLb0EEEEE10hipError_tT1_PNSt15iterator_traitsISI_E10value_typeET2_T3_PNSJ_ISO_E10value_typeET4_T5_PST_SU_PNS1_23onesweep_lookback_stateEbbT6_jjT7_P12ihipStream_tbENKUlT_T0_SI_SN_E_clISD_SD_SD_SD_EEDaS11_S12_SI_SN_EUlS11_E_NS1_11comp_targetILNS1_3genE4ELNS1_11target_archE910ELNS1_3gpuE8ELNS1_3repE0EEENS1_47radix_sort_onesweep_sort_config_static_selectorELNS0_4arch9wavefront6targetE0EEEvSI_
		.amdhsa_group_segment_fixed_size 0
		.amdhsa_private_segment_fixed_size 0
		.amdhsa_kernarg_size 88
		.amdhsa_user_sgpr_count 6
		.amdhsa_user_sgpr_private_segment_buffer 1
		.amdhsa_user_sgpr_dispatch_ptr 0
		.amdhsa_user_sgpr_queue_ptr 0
		.amdhsa_user_sgpr_kernarg_segment_ptr 1
		.amdhsa_user_sgpr_dispatch_id 0
		.amdhsa_user_sgpr_flat_scratch_init 0
		.amdhsa_user_sgpr_private_segment_size 0
		.amdhsa_wavefront_size32 1
		.amdhsa_uses_dynamic_stack 0
		.amdhsa_system_sgpr_private_segment_wavefront_offset 0
		.amdhsa_system_sgpr_workgroup_id_x 1
		.amdhsa_system_sgpr_workgroup_id_y 0
		.amdhsa_system_sgpr_workgroup_id_z 0
		.amdhsa_system_sgpr_workgroup_info 0
		.amdhsa_system_vgpr_workitem_id 0
		.amdhsa_next_free_vgpr 1
		.amdhsa_next_free_sgpr 1
		.amdhsa_reserve_vcc 0
		.amdhsa_reserve_flat_scratch 0
		.amdhsa_float_round_mode_32 0
		.amdhsa_float_round_mode_16_64 0
		.amdhsa_float_denorm_mode_32 3
		.amdhsa_float_denorm_mode_16_64 3
		.amdhsa_dx10_clamp 1
		.amdhsa_ieee_mode 1
		.amdhsa_fp16_overflow 0
		.amdhsa_workgroup_processor_mode 1
		.amdhsa_memory_ordered 1
		.amdhsa_forward_progress 1
		.amdhsa_shared_vgpr_count 0
		.amdhsa_exception_fp_ieee_invalid_op 0
		.amdhsa_exception_fp_denorm_src 0
		.amdhsa_exception_fp_ieee_div_zero 0
		.amdhsa_exception_fp_ieee_overflow 0
		.amdhsa_exception_fp_ieee_underflow 0
		.amdhsa_exception_fp_ieee_inexact 0
		.amdhsa_exception_int_div_zero 0
	.end_amdhsa_kernel
	.section	.text._ZN7rocprim17ROCPRIM_400000_NS6detail17trampoline_kernelINS0_14default_configENS1_35radix_sort_onesweep_config_selectorIiiEEZZNS1_29radix_sort_onesweep_iterationIS3_Lb1EN6thrust23THRUST_200600_302600_NS6detail15normal_iteratorINS8_10device_ptrIiEEEESD_SD_SD_jNS0_19identity_decomposerENS1_16block_id_wrapperIjLb0EEEEE10hipError_tT1_PNSt15iterator_traitsISI_E10value_typeET2_T3_PNSJ_ISO_E10value_typeET4_T5_PST_SU_PNS1_23onesweep_lookback_stateEbbT6_jjT7_P12ihipStream_tbENKUlT_T0_SI_SN_E_clISD_SD_SD_SD_EEDaS11_S12_SI_SN_EUlS11_E_NS1_11comp_targetILNS1_3genE4ELNS1_11target_archE910ELNS1_3gpuE8ELNS1_3repE0EEENS1_47radix_sort_onesweep_sort_config_static_selectorELNS0_4arch9wavefront6targetE0EEEvSI_,"axG",@progbits,_ZN7rocprim17ROCPRIM_400000_NS6detail17trampoline_kernelINS0_14default_configENS1_35radix_sort_onesweep_config_selectorIiiEEZZNS1_29radix_sort_onesweep_iterationIS3_Lb1EN6thrust23THRUST_200600_302600_NS6detail15normal_iteratorINS8_10device_ptrIiEEEESD_SD_SD_jNS0_19identity_decomposerENS1_16block_id_wrapperIjLb0EEEEE10hipError_tT1_PNSt15iterator_traitsISI_E10value_typeET2_T3_PNSJ_ISO_E10value_typeET4_T5_PST_SU_PNS1_23onesweep_lookback_stateEbbT6_jjT7_P12ihipStream_tbENKUlT_T0_SI_SN_E_clISD_SD_SD_SD_EEDaS11_S12_SI_SN_EUlS11_E_NS1_11comp_targetILNS1_3genE4ELNS1_11target_archE910ELNS1_3gpuE8ELNS1_3repE0EEENS1_47radix_sort_onesweep_sort_config_static_selectorELNS0_4arch9wavefront6targetE0EEEvSI_,comdat
.Lfunc_end1030:
	.size	_ZN7rocprim17ROCPRIM_400000_NS6detail17trampoline_kernelINS0_14default_configENS1_35radix_sort_onesweep_config_selectorIiiEEZZNS1_29radix_sort_onesweep_iterationIS3_Lb1EN6thrust23THRUST_200600_302600_NS6detail15normal_iteratorINS8_10device_ptrIiEEEESD_SD_SD_jNS0_19identity_decomposerENS1_16block_id_wrapperIjLb0EEEEE10hipError_tT1_PNSt15iterator_traitsISI_E10value_typeET2_T3_PNSJ_ISO_E10value_typeET4_T5_PST_SU_PNS1_23onesweep_lookback_stateEbbT6_jjT7_P12ihipStream_tbENKUlT_T0_SI_SN_E_clISD_SD_SD_SD_EEDaS11_S12_SI_SN_EUlS11_E_NS1_11comp_targetILNS1_3genE4ELNS1_11target_archE910ELNS1_3gpuE8ELNS1_3repE0EEENS1_47radix_sort_onesweep_sort_config_static_selectorELNS0_4arch9wavefront6targetE0EEEvSI_, .Lfunc_end1030-_ZN7rocprim17ROCPRIM_400000_NS6detail17trampoline_kernelINS0_14default_configENS1_35radix_sort_onesweep_config_selectorIiiEEZZNS1_29radix_sort_onesweep_iterationIS3_Lb1EN6thrust23THRUST_200600_302600_NS6detail15normal_iteratorINS8_10device_ptrIiEEEESD_SD_SD_jNS0_19identity_decomposerENS1_16block_id_wrapperIjLb0EEEEE10hipError_tT1_PNSt15iterator_traitsISI_E10value_typeET2_T3_PNSJ_ISO_E10value_typeET4_T5_PST_SU_PNS1_23onesweep_lookback_stateEbbT6_jjT7_P12ihipStream_tbENKUlT_T0_SI_SN_E_clISD_SD_SD_SD_EEDaS11_S12_SI_SN_EUlS11_E_NS1_11comp_targetILNS1_3genE4ELNS1_11target_archE910ELNS1_3gpuE8ELNS1_3repE0EEENS1_47radix_sort_onesweep_sort_config_static_selectorELNS0_4arch9wavefront6targetE0EEEvSI_
                                        ; -- End function
	.set _ZN7rocprim17ROCPRIM_400000_NS6detail17trampoline_kernelINS0_14default_configENS1_35radix_sort_onesweep_config_selectorIiiEEZZNS1_29radix_sort_onesweep_iterationIS3_Lb1EN6thrust23THRUST_200600_302600_NS6detail15normal_iteratorINS8_10device_ptrIiEEEESD_SD_SD_jNS0_19identity_decomposerENS1_16block_id_wrapperIjLb0EEEEE10hipError_tT1_PNSt15iterator_traitsISI_E10value_typeET2_T3_PNSJ_ISO_E10value_typeET4_T5_PST_SU_PNS1_23onesweep_lookback_stateEbbT6_jjT7_P12ihipStream_tbENKUlT_T0_SI_SN_E_clISD_SD_SD_SD_EEDaS11_S12_SI_SN_EUlS11_E_NS1_11comp_targetILNS1_3genE4ELNS1_11target_archE910ELNS1_3gpuE8ELNS1_3repE0EEENS1_47radix_sort_onesweep_sort_config_static_selectorELNS0_4arch9wavefront6targetE0EEEvSI_.num_vgpr, 0
	.set _ZN7rocprim17ROCPRIM_400000_NS6detail17trampoline_kernelINS0_14default_configENS1_35radix_sort_onesweep_config_selectorIiiEEZZNS1_29radix_sort_onesweep_iterationIS3_Lb1EN6thrust23THRUST_200600_302600_NS6detail15normal_iteratorINS8_10device_ptrIiEEEESD_SD_SD_jNS0_19identity_decomposerENS1_16block_id_wrapperIjLb0EEEEE10hipError_tT1_PNSt15iterator_traitsISI_E10value_typeET2_T3_PNSJ_ISO_E10value_typeET4_T5_PST_SU_PNS1_23onesweep_lookback_stateEbbT6_jjT7_P12ihipStream_tbENKUlT_T0_SI_SN_E_clISD_SD_SD_SD_EEDaS11_S12_SI_SN_EUlS11_E_NS1_11comp_targetILNS1_3genE4ELNS1_11target_archE910ELNS1_3gpuE8ELNS1_3repE0EEENS1_47radix_sort_onesweep_sort_config_static_selectorELNS0_4arch9wavefront6targetE0EEEvSI_.num_agpr, 0
	.set _ZN7rocprim17ROCPRIM_400000_NS6detail17trampoline_kernelINS0_14default_configENS1_35radix_sort_onesweep_config_selectorIiiEEZZNS1_29radix_sort_onesweep_iterationIS3_Lb1EN6thrust23THRUST_200600_302600_NS6detail15normal_iteratorINS8_10device_ptrIiEEEESD_SD_SD_jNS0_19identity_decomposerENS1_16block_id_wrapperIjLb0EEEEE10hipError_tT1_PNSt15iterator_traitsISI_E10value_typeET2_T3_PNSJ_ISO_E10value_typeET4_T5_PST_SU_PNS1_23onesweep_lookback_stateEbbT6_jjT7_P12ihipStream_tbENKUlT_T0_SI_SN_E_clISD_SD_SD_SD_EEDaS11_S12_SI_SN_EUlS11_E_NS1_11comp_targetILNS1_3genE4ELNS1_11target_archE910ELNS1_3gpuE8ELNS1_3repE0EEENS1_47radix_sort_onesweep_sort_config_static_selectorELNS0_4arch9wavefront6targetE0EEEvSI_.numbered_sgpr, 0
	.set _ZN7rocprim17ROCPRIM_400000_NS6detail17trampoline_kernelINS0_14default_configENS1_35radix_sort_onesweep_config_selectorIiiEEZZNS1_29radix_sort_onesweep_iterationIS3_Lb1EN6thrust23THRUST_200600_302600_NS6detail15normal_iteratorINS8_10device_ptrIiEEEESD_SD_SD_jNS0_19identity_decomposerENS1_16block_id_wrapperIjLb0EEEEE10hipError_tT1_PNSt15iterator_traitsISI_E10value_typeET2_T3_PNSJ_ISO_E10value_typeET4_T5_PST_SU_PNS1_23onesweep_lookback_stateEbbT6_jjT7_P12ihipStream_tbENKUlT_T0_SI_SN_E_clISD_SD_SD_SD_EEDaS11_S12_SI_SN_EUlS11_E_NS1_11comp_targetILNS1_3genE4ELNS1_11target_archE910ELNS1_3gpuE8ELNS1_3repE0EEENS1_47radix_sort_onesweep_sort_config_static_selectorELNS0_4arch9wavefront6targetE0EEEvSI_.num_named_barrier, 0
	.set _ZN7rocprim17ROCPRIM_400000_NS6detail17trampoline_kernelINS0_14default_configENS1_35radix_sort_onesweep_config_selectorIiiEEZZNS1_29radix_sort_onesweep_iterationIS3_Lb1EN6thrust23THRUST_200600_302600_NS6detail15normal_iteratorINS8_10device_ptrIiEEEESD_SD_SD_jNS0_19identity_decomposerENS1_16block_id_wrapperIjLb0EEEEE10hipError_tT1_PNSt15iterator_traitsISI_E10value_typeET2_T3_PNSJ_ISO_E10value_typeET4_T5_PST_SU_PNS1_23onesweep_lookback_stateEbbT6_jjT7_P12ihipStream_tbENKUlT_T0_SI_SN_E_clISD_SD_SD_SD_EEDaS11_S12_SI_SN_EUlS11_E_NS1_11comp_targetILNS1_3genE4ELNS1_11target_archE910ELNS1_3gpuE8ELNS1_3repE0EEENS1_47radix_sort_onesweep_sort_config_static_selectorELNS0_4arch9wavefront6targetE0EEEvSI_.private_seg_size, 0
	.set _ZN7rocprim17ROCPRIM_400000_NS6detail17trampoline_kernelINS0_14default_configENS1_35radix_sort_onesweep_config_selectorIiiEEZZNS1_29radix_sort_onesweep_iterationIS3_Lb1EN6thrust23THRUST_200600_302600_NS6detail15normal_iteratorINS8_10device_ptrIiEEEESD_SD_SD_jNS0_19identity_decomposerENS1_16block_id_wrapperIjLb0EEEEE10hipError_tT1_PNSt15iterator_traitsISI_E10value_typeET2_T3_PNSJ_ISO_E10value_typeET4_T5_PST_SU_PNS1_23onesweep_lookback_stateEbbT6_jjT7_P12ihipStream_tbENKUlT_T0_SI_SN_E_clISD_SD_SD_SD_EEDaS11_S12_SI_SN_EUlS11_E_NS1_11comp_targetILNS1_3genE4ELNS1_11target_archE910ELNS1_3gpuE8ELNS1_3repE0EEENS1_47radix_sort_onesweep_sort_config_static_selectorELNS0_4arch9wavefront6targetE0EEEvSI_.uses_vcc, 0
	.set _ZN7rocprim17ROCPRIM_400000_NS6detail17trampoline_kernelINS0_14default_configENS1_35radix_sort_onesweep_config_selectorIiiEEZZNS1_29radix_sort_onesweep_iterationIS3_Lb1EN6thrust23THRUST_200600_302600_NS6detail15normal_iteratorINS8_10device_ptrIiEEEESD_SD_SD_jNS0_19identity_decomposerENS1_16block_id_wrapperIjLb0EEEEE10hipError_tT1_PNSt15iterator_traitsISI_E10value_typeET2_T3_PNSJ_ISO_E10value_typeET4_T5_PST_SU_PNS1_23onesweep_lookback_stateEbbT6_jjT7_P12ihipStream_tbENKUlT_T0_SI_SN_E_clISD_SD_SD_SD_EEDaS11_S12_SI_SN_EUlS11_E_NS1_11comp_targetILNS1_3genE4ELNS1_11target_archE910ELNS1_3gpuE8ELNS1_3repE0EEENS1_47radix_sort_onesweep_sort_config_static_selectorELNS0_4arch9wavefront6targetE0EEEvSI_.uses_flat_scratch, 0
	.set _ZN7rocprim17ROCPRIM_400000_NS6detail17trampoline_kernelINS0_14default_configENS1_35radix_sort_onesweep_config_selectorIiiEEZZNS1_29radix_sort_onesweep_iterationIS3_Lb1EN6thrust23THRUST_200600_302600_NS6detail15normal_iteratorINS8_10device_ptrIiEEEESD_SD_SD_jNS0_19identity_decomposerENS1_16block_id_wrapperIjLb0EEEEE10hipError_tT1_PNSt15iterator_traitsISI_E10value_typeET2_T3_PNSJ_ISO_E10value_typeET4_T5_PST_SU_PNS1_23onesweep_lookback_stateEbbT6_jjT7_P12ihipStream_tbENKUlT_T0_SI_SN_E_clISD_SD_SD_SD_EEDaS11_S12_SI_SN_EUlS11_E_NS1_11comp_targetILNS1_3genE4ELNS1_11target_archE910ELNS1_3gpuE8ELNS1_3repE0EEENS1_47radix_sort_onesweep_sort_config_static_selectorELNS0_4arch9wavefront6targetE0EEEvSI_.has_dyn_sized_stack, 0
	.set _ZN7rocprim17ROCPRIM_400000_NS6detail17trampoline_kernelINS0_14default_configENS1_35radix_sort_onesweep_config_selectorIiiEEZZNS1_29radix_sort_onesweep_iterationIS3_Lb1EN6thrust23THRUST_200600_302600_NS6detail15normal_iteratorINS8_10device_ptrIiEEEESD_SD_SD_jNS0_19identity_decomposerENS1_16block_id_wrapperIjLb0EEEEE10hipError_tT1_PNSt15iterator_traitsISI_E10value_typeET2_T3_PNSJ_ISO_E10value_typeET4_T5_PST_SU_PNS1_23onesweep_lookback_stateEbbT6_jjT7_P12ihipStream_tbENKUlT_T0_SI_SN_E_clISD_SD_SD_SD_EEDaS11_S12_SI_SN_EUlS11_E_NS1_11comp_targetILNS1_3genE4ELNS1_11target_archE910ELNS1_3gpuE8ELNS1_3repE0EEENS1_47radix_sort_onesweep_sort_config_static_selectorELNS0_4arch9wavefront6targetE0EEEvSI_.has_recursion, 0
	.set _ZN7rocprim17ROCPRIM_400000_NS6detail17trampoline_kernelINS0_14default_configENS1_35radix_sort_onesweep_config_selectorIiiEEZZNS1_29radix_sort_onesweep_iterationIS3_Lb1EN6thrust23THRUST_200600_302600_NS6detail15normal_iteratorINS8_10device_ptrIiEEEESD_SD_SD_jNS0_19identity_decomposerENS1_16block_id_wrapperIjLb0EEEEE10hipError_tT1_PNSt15iterator_traitsISI_E10value_typeET2_T3_PNSJ_ISO_E10value_typeET4_T5_PST_SU_PNS1_23onesweep_lookback_stateEbbT6_jjT7_P12ihipStream_tbENKUlT_T0_SI_SN_E_clISD_SD_SD_SD_EEDaS11_S12_SI_SN_EUlS11_E_NS1_11comp_targetILNS1_3genE4ELNS1_11target_archE910ELNS1_3gpuE8ELNS1_3repE0EEENS1_47radix_sort_onesweep_sort_config_static_selectorELNS0_4arch9wavefront6targetE0EEEvSI_.has_indirect_call, 0
	.section	.AMDGPU.csdata,"",@progbits
; Kernel info:
; codeLenInByte = 0
; TotalNumSgprs: 0
; NumVgprs: 0
; ScratchSize: 0
; MemoryBound: 0
; FloatMode: 240
; IeeeMode: 1
; LDSByteSize: 0 bytes/workgroup (compile time only)
; SGPRBlocks: 0
; VGPRBlocks: 0
; NumSGPRsForWavesPerEU: 1
; NumVGPRsForWavesPerEU: 1
; Occupancy: 16
; WaveLimiterHint : 0
; COMPUTE_PGM_RSRC2:SCRATCH_EN: 0
; COMPUTE_PGM_RSRC2:USER_SGPR: 6
; COMPUTE_PGM_RSRC2:TRAP_HANDLER: 0
; COMPUTE_PGM_RSRC2:TGID_X_EN: 1
; COMPUTE_PGM_RSRC2:TGID_Y_EN: 0
; COMPUTE_PGM_RSRC2:TGID_Z_EN: 0
; COMPUTE_PGM_RSRC2:TIDIG_COMP_CNT: 0
	.section	.text._ZN7rocprim17ROCPRIM_400000_NS6detail17trampoline_kernelINS0_14default_configENS1_35radix_sort_onesweep_config_selectorIiiEEZZNS1_29radix_sort_onesweep_iterationIS3_Lb1EN6thrust23THRUST_200600_302600_NS6detail15normal_iteratorINS8_10device_ptrIiEEEESD_SD_SD_jNS0_19identity_decomposerENS1_16block_id_wrapperIjLb0EEEEE10hipError_tT1_PNSt15iterator_traitsISI_E10value_typeET2_T3_PNSJ_ISO_E10value_typeET4_T5_PST_SU_PNS1_23onesweep_lookback_stateEbbT6_jjT7_P12ihipStream_tbENKUlT_T0_SI_SN_E_clISD_SD_SD_SD_EEDaS11_S12_SI_SN_EUlS11_E_NS1_11comp_targetILNS1_3genE3ELNS1_11target_archE908ELNS1_3gpuE7ELNS1_3repE0EEENS1_47radix_sort_onesweep_sort_config_static_selectorELNS0_4arch9wavefront6targetE0EEEvSI_,"axG",@progbits,_ZN7rocprim17ROCPRIM_400000_NS6detail17trampoline_kernelINS0_14default_configENS1_35radix_sort_onesweep_config_selectorIiiEEZZNS1_29radix_sort_onesweep_iterationIS3_Lb1EN6thrust23THRUST_200600_302600_NS6detail15normal_iteratorINS8_10device_ptrIiEEEESD_SD_SD_jNS0_19identity_decomposerENS1_16block_id_wrapperIjLb0EEEEE10hipError_tT1_PNSt15iterator_traitsISI_E10value_typeET2_T3_PNSJ_ISO_E10value_typeET4_T5_PST_SU_PNS1_23onesweep_lookback_stateEbbT6_jjT7_P12ihipStream_tbENKUlT_T0_SI_SN_E_clISD_SD_SD_SD_EEDaS11_S12_SI_SN_EUlS11_E_NS1_11comp_targetILNS1_3genE3ELNS1_11target_archE908ELNS1_3gpuE7ELNS1_3repE0EEENS1_47radix_sort_onesweep_sort_config_static_selectorELNS0_4arch9wavefront6targetE0EEEvSI_,comdat
	.protected	_ZN7rocprim17ROCPRIM_400000_NS6detail17trampoline_kernelINS0_14default_configENS1_35radix_sort_onesweep_config_selectorIiiEEZZNS1_29radix_sort_onesweep_iterationIS3_Lb1EN6thrust23THRUST_200600_302600_NS6detail15normal_iteratorINS8_10device_ptrIiEEEESD_SD_SD_jNS0_19identity_decomposerENS1_16block_id_wrapperIjLb0EEEEE10hipError_tT1_PNSt15iterator_traitsISI_E10value_typeET2_T3_PNSJ_ISO_E10value_typeET4_T5_PST_SU_PNS1_23onesweep_lookback_stateEbbT6_jjT7_P12ihipStream_tbENKUlT_T0_SI_SN_E_clISD_SD_SD_SD_EEDaS11_S12_SI_SN_EUlS11_E_NS1_11comp_targetILNS1_3genE3ELNS1_11target_archE908ELNS1_3gpuE7ELNS1_3repE0EEENS1_47radix_sort_onesweep_sort_config_static_selectorELNS0_4arch9wavefront6targetE0EEEvSI_ ; -- Begin function _ZN7rocprim17ROCPRIM_400000_NS6detail17trampoline_kernelINS0_14default_configENS1_35radix_sort_onesweep_config_selectorIiiEEZZNS1_29radix_sort_onesweep_iterationIS3_Lb1EN6thrust23THRUST_200600_302600_NS6detail15normal_iteratorINS8_10device_ptrIiEEEESD_SD_SD_jNS0_19identity_decomposerENS1_16block_id_wrapperIjLb0EEEEE10hipError_tT1_PNSt15iterator_traitsISI_E10value_typeET2_T3_PNSJ_ISO_E10value_typeET4_T5_PST_SU_PNS1_23onesweep_lookback_stateEbbT6_jjT7_P12ihipStream_tbENKUlT_T0_SI_SN_E_clISD_SD_SD_SD_EEDaS11_S12_SI_SN_EUlS11_E_NS1_11comp_targetILNS1_3genE3ELNS1_11target_archE908ELNS1_3gpuE7ELNS1_3repE0EEENS1_47radix_sort_onesweep_sort_config_static_selectorELNS0_4arch9wavefront6targetE0EEEvSI_
	.globl	_ZN7rocprim17ROCPRIM_400000_NS6detail17trampoline_kernelINS0_14default_configENS1_35radix_sort_onesweep_config_selectorIiiEEZZNS1_29radix_sort_onesweep_iterationIS3_Lb1EN6thrust23THRUST_200600_302600_NS6detail15normal_iteratorINS8_10device_ptrIiEEEESD_SD_SD_jNS0_19identity_decomposerENS1_16block_id_wrapperIjLb0EEEEE10hipError_tT1_PNSt15iterator_traitsISI_E10value_typeET2_T3_PNSJ_ISO_E10value_typeET4_T5_PST_SU_PNS1_23onesweep_lookback_stateEbbT6_jjT7_P12ihipStream_tbENKUlT_T0_SI_SN_E_clISD_SD_SD_SD_EEDaS11_S12_SI_SN_EUlS11_E_NS1_11comp_targetILNS1_3genE3ELNS1_11target_archE908ELNS1_3gpuE7ELNS1_3repE0EEENS1_47radix_sort_onesweep_sort_config_static_selectorELNS0_4arch9wavefront6targetE0EEEvSI_
	.p2align	8
	.type	_ZN7rocprim17ROCPRIM_400000_NS6detail17trampoline_kernelINS0_14default_configENS1_35radix_sort_onesweep_config_selectorIiiEEZZNS1_29radix_sort_onesweep_iterationIS3_Lb1EN6thrust23THRUST_200600_302600_NS6detail15normal_iteratorINS8_10device_ptrIiEEEESD_SD_SD_jNS0_19identity_decomposerENS1_16block_id_wrapperIjLb0EEEEE10hipError_tT1_PNSt15iterator_traitsISI_E10value_typeET2_T3_PNSJ_ISO_E10value_typeET4_T5_PST_SU_PNS1_23onesweep_lookback_stateEbbT6_jjT7_P12ihipStream_tbENKUlT_T0_SI_SN_E_clISD_SD_SD_SD_EEDaS11_S12_SI_SN_EUlS11_E_NS1_11comp_targetILNS1_3genE3ELNS1_11target_archE908ELNS1_3gpuE7ELNS1_3repE0EEENS1_47radix_sort_onesweep_sort_config_static_selectorELNS0_4arch9wavefront6targetE0EEEvSI_,@function
_ZN7rocprim17ROCPRIM_400000_NS6detail17trampoline_kernelINS0_14default_configENS1_35radix_sort_onesweep_config_selectorIiiEEZZNS1_29radix_sort_onesweep_iterationIS3_Lb1EN6thrust23THRUST_200600_302600_NS6detail15normal_iteratorINS8_10device_ptrIiEEEESD_SD_SD_jNS0_19identity_decomposerENS1_16block_id_wrapperIjLb0EEEEE10hipError_tT1_PNSt15iterator_traitsISI_E10value_typeET2_T3_PNSJ_ISO_E10value_typeET4_T5_PST_SU_PNS1_23onesweep_lookback_stateEbbT6_jjT7_P12ihipStream_tbENKUlT_T0_SI_SN_E_clISD_SD_SD_SD_EEDaS11_S12_SI_SN_EUlS11_E_NS1_11comp_targetILNS1_3genE3ELNS1_11target_archE908ELNS1_3gpuE7ELNS1_3repE0EEENS1_47radix_sort_onesweep_sort_config_static_selectorELNS0_4arch9wavefront6targetE0EEEvSI_: ; @_ZN7rocprim17ROCPRIM_400000_NS6detail17trampoline_kernelINS0_14default_configENS1_35radix_sort_onesweep_config_selectorIiiEEZZNS1_29radix_sort_onesweep_iterationIS3_Lb1EN6thrust23THRUST_200600_302600_NS6detail15normal_iteratorINS8_10device_ptrIiEEEESD_SD_SD_jNS0_19identity_decomposerENS1_16block_id_wrapperIjLb0EEEEE10hipError_tT1_PNSt15iterator_traitsISI_E10value_typeET2_T3_PNSJ_ISO_E10value_typeET4_T5_PST_SU_PNS1_23onesweep_lookback_stateEbbT6_jjT7_P12ihipStream_tbENKUlT_T0_SI_SN_E_clISD_SD_SD_SD_EEDaS11_S12_SI_SN_EUlS11_E_NS1_11comp_targetILNS1_3genE3ELNS1_11target_archE908ELNS1_3gpuE7ELNS1_3repE0EEENS1_47radix_sort_onesweep_sort_config_static_selectorELNS0_4arch9wavefront6targetE0EEEvSI_
; %bb.0:
	.section	.rodata,"a",@progbits
	.p2align	6, 0x0
	.amdhsa_kernel _ZN7rocprim17ROCPRIM_400000_NS6detail17trampoline_kernelINS0_14default_configENS1_35radix_sort_onesweep_config_selectorIiiEEZZNS1_29radix_sort_onesweep_iterationIS3_Lb1EN6thrust23THRUST_200600_302600_NS6detail15normal_iteratorINS8_10device_ptrIiEEEESD_SD_SD_jNS0_19identity_decomposerENS1_16block_id_wrapperIjLb0EEEEE10hipError_tT1_PNSt15iterator_traitsISI_E10value_typeET2_T3_PNSJ_ISO_E10value_typeET4_T5_PST_SU_PNS1_23onesweep_lookback_stateEbbT6_jjT7_P12ihipStream_tbENKUlT_T0_SI_SN_E_clISD_SD_SD_SD_EEDaS11_S12_SI_SN_EUlS11_E_NS1_11comp_targetILNS1_3genE3ELNS1_11target_archE908ELNS1_3gpuE7ELNS1_3repE0EEENS1_47radix_sort_onesweep_sort_config_static_selectorELNS0_4arch9wavefront6targetE0EEEvSI_
		.amdhsa_group_segment_fixed_size 0
		.amdhsa_private_segment_fixed_size 0
		.amdhsa_kernarg_size 88
		.amdhsa_user_sgpr_count 6
		.amdhsa_user_sgpr_private_segment_buffer 1
		.amdhsa_user_sgpr_dispatch_ptr 0
		.amdhsa_user_sgpr_queue_ptr 0
		.amdhsa_user_sgpr_kernarg_segment_ptr 1
		.amdhsa_user_sgpr_dispatch_id 0
		.amdhsa_user_sgpr_flat_scratch_init 0
		.amdhsa_user_sgpr_private_segment_size 0
		.amdhsa_wavefront_size32 1
		.amdhsa_uses_dynamic_stack 0
		.amdhsa_system_sgpr_private_segment_wavefront_offset 0
		.amdhsa_system_sgpr_workgroup_id_x 1
		.amdhsa_system_sgpr_workgroup_id_y 0
		.amdhsa_system_sgpr_workgroup_id_z 0
		.amdhsa_system_sgpr_workgroup_info 0
		.amdhsa_system_vgpr_workitem_id 0
		.amdhsa_next_free_vgpr 1
		.amdhsa_next_free_sgpr 1
		.amdhsa_reserve_vcc 0
		.amdhsa_reserve_flat_scratch 0
		.amdhsa_float_round_mode_32 0
		.amdhsa_float_round_mode_16_64 0
		.amdhsa_float_denorm_mode_32 3
		.amdhsa_float_denorm_mode_16_64 3
		.amdhsa_dx10_clamp 1
		.amdhsa_ieee_mode 1
		.amdhsa_fp16_overflow 0
		.amdhsa_workgroup_processor_mode 1
		.amdhsa_memory_ordered 1
		.amdhsa_forward_progress 1
		.amdhsa_shared_vgpr_count 0
		.amdhsa_exception_fp_ieee_invalid_op 0
		.amdhsa_exception_fp_denorm_src 0
		.amdhsa_exception_fp_ieee_div_zero 0
		.amdhsa_exception_fp_ieee_overflow 0
		.amdhsa_exception_fp_ieee_underflow 0
		.amdhsa_exception_fp_ieee_inexact 0
		.amdhsa_exception_int_div_zero 0
	.end_amdhsa_kernel
	.section	.text._ZN7rocprim17ROCPRIM_400000_NS6detail17trampoline_kernelINS0_14default_configENS1_35radix_sort_onesweep_config_selectorIiiEEZZNS1_29radix_sort_onesweep_iterationIS3_Lb1EN6thrust23THRUST_200600_302600_NS6detail15normal_iteratorINS8_10device_ptrIiEEEESD_SD_SD_jNS0_19identity_decomposerENS1_16block_id_wrapperIjLb0EEEEE10hipError_tT1_PNSt15iterator_traitsISI_E10value_typeET2_T3_PNSJ_ISO_E10value_typeET4_T5_PST_SU_PNS1_23onesweep_lookback_stateEbbT6_jjT7_P12ihipStream_tbENKUlT_T0_SI_SN_E_clISD_SD_SD_SD_EEDaS11_S12_SI_SN_EUlS11_E_NS1_11comp_targetILNS1_3genE3ELNS1_11target_archE908ELNS1_3gpuE7ELNS1_3repE0EEENS1_47radix_sort_onesweep_sort_config_static_selectorELNS0_4arch9wavefront6targetE0EEEvSI_,"axG",@progbits,_ZN7rocprim17ROCPRIM_400000_NS6detail17trampoline_kernelINS0_14default_configENS1_35radix_sort_onesweep_config_selectorIiiEEZZNS1_29radix_sort_onesweep_iterationIS3_Lb1EN6thrust23THRUST_200600_302600_NS6detail15normal_iteratorINS8_10device_ptrIiEEEESD_SD_SD_jNS0_19identity_decomposerENS1_16block_id_wrapperIjLb0EEEEE10hipError_tT1_PNSt15iterator_traitsISI_E10value_typeET2_T3_PNSJ_ISO_E10value_typeET4_T5_PST_SU_PNS1_23onesweep_lookback_stateEbbT6_jjT7_P12ihipStream_tbENKUlT_T0_SI_SN_E_clISD_SD_SD_SD_EEDaS11_S12_SI_SN_EUlS11_E_NS1_11comp_targetILNS1_3genE3ELNS1_11target_archE908ELNS1_3gpuE7ELNS1_3repE0EEENS1_47radix_sort_onesweep_sort_config_static_selectorELNS0_4arch9wavefront6targetE0EEEvSI_,comdat
.Lfunc_end1031:
	.size	_ZN7rocprim17ROCPRIM_400000_NS6detail17trampoline_kernelINS0_14default_configENS1_35radix_sort_onesweep_config_selectorIiiEEZZNS1_29radix_sort_onesweep_iterationIS3_Lb1EN6thrust23THRUST_200600_302600_NS6detail15normal_iteratorINS8_10device_ptrIiEEEESD_SD_SD_jNS0_19identity_decomposerENS1_16block_id_wrapperIjLb0EEEEE10hipError_tT1_PNSt15iterator_traitsISI_E10value_typeET2_T3_PNSJ_ISO_E10value_typeET4_T5_PST_SU_PNS1_23onesweep_lookback_stateEbbT6_jjT7_P12ihipStream_tbENKUlT_T0_SI_SN_E_clISD_SD_SD_SD_EEDaS11_S12_SI_SN_EUlS11_E_NS1_11comp_targetILNS1_3genE3ELNS1_11target_archE908ELNS1_3gpuE7ELNS1_3repE0EEENS1_47radix_sort_onesweep_sort_config_static_selectorELNS0_4arch9wavefront6targetE0EEEvSI_, .Lfunc_end1031-_ZN7rocprim17ROCPRIM_400000_NS6detail17trampoline_kernelINS0_14default_configENS1_35radix_sort_onesweep_config_selectorIiiEEZZNS1_29radix_sort_onesweep_iterationIS3_Lb1EN6thrust23THRUST_200600_302600_NS6detail15normal_iteratorINS8_10device_ptrIiEEEESD_SD_SD_jNS0_19identity_decomposerENS1_16block_id_wrapperIjLb0EEEEE10hipError_tT1_PNSt15iterator_traitsISI_E10value_typeET2_T3_PNSJ_ISO_E10value_typeET4_T5_PST_SU_PNS1_23onesweep_lookback_stateEbbT6_jjT7_P12ihipStream_tbENKUlT_T0_SI_SN_E_clISD_SD_SD_SD_EEDaS11_S12_SI_SN_EUlS11_E_NS1_11comp_targetILNS1_3genE3ELNS1_11target_archE908ELNS1_3gpuE7ELNS1_3repE0EEENS1_47radix_sort_onesweep_sort_config_static_selectorELNS0_4arch9wavefront6targetE0EEEvSI_
                                        ; -- End function
	.set _ZN7rocprim17ROCPRIM_400000_NS6detail17trampoline_kernelINS0_14default_configENS1_35radix_sort_onesweep_config_selectorIiiEEZZNS1_29radix_sort_onesweep_iterationIS3_Lb1EN6thrust23THRUST_200600_302600_NS6detail15normal_iteratorINS8_10device_ptrIiEEEESD_SD_SD_jNS0_19identity_decomposerENS1_16block_id_wrapperIjLb0EEEEE10hipError_tT1_PNSt15iterator_traitsISI_E10value_typeET2_T3_PNSJ_ISO_E10value_typeET4_T5_PST_SU_PNS1_23onesweep_lookback_stateEbbT6_jjT7_P12ihipStream_tbENKUlT_T0_SI_SN_E_clISD_SD_SD_SD_EEDaS11_S12_SI_SN_EUlS11_E_NS1_11comp_targetILNS1_3genE3ELNS1_11target_archE908ELNS1_3gpuE7ELNS1_3repE0EEENS1_47radix_sort_onesweep_sort_config_static_selectorELNS0_4arch9wavefront6targetE0EEEvSI_.num_vgpr, 0
	.set _ZN7rocprim17ROCPRIM_400000_NS6detail17trampoline_kernelINS0_14default_configENS1_35radix_sort_onesweep_config_selectorIiiEEZZNS1_29radix_sort_onesweep_iterationIS3_Lb1EN6thrust23THRUST_200600_302600_NS6detail15normal_iteratorINS8_10device_ptrIiEEEESD_SD_SD_jNS0_19identity_decomposerENS1_16block_id_wrapperIjLb0EEEEE10hipError_tT1_PNSt15iterator_traitsISI_E10value_typeET2_T3_PNSJ_ISO_E10value_typeET4_T5_PST_SU_PNS1_23onesweep_lookback_stateEbbT6_jjT7_P12ihipStream_tbENKUlT_T0_SI_SN_E_clISD_SD_SD_SD_EEDaS11_S12_SI_SN_EUlS11_E_NS1_11comp_targetILNS1_3genE3ELNS1_11target_archE908ELNS1_3gpuE7ELNS1_3repE0EEENS1_47radix_sort_onesweep_sort_config_static_selectorELNS0_4arch9wavefront6targetE0EEEvSI_.num_agpr, 0
	.set _ZN7rocprim17ROCPRIM_400000_NS6detail17trampoline_kernelINS0_14default_configENS1_35radix_sort_onesweep_config_selectorIiiEEZZNS1_29radix_sort_onesweep_iterationIS3_Lb1EN6thrust23THRUST_200600_302600_NS6detail15normal_iteratorINS8_10device_ptrIiEEEESD_SD_SD_jNS0_19identity_decomposerENS1_16block_id_wrapperIjLb0EEEEE10hipError_tT1_PNSt15iterator_traitsISI_E10value_typeET2_T3_PNSJ_ISO_E10value_typeET4_T5_PST_SU_PNS1_23onesweep_lookback_stateEbbT6_jjT7_P12ihipStream_tbENKUlT_T0_SI_SN_E_clISD_SD_SD_SD_EEDaS11_S12_SI_SN_EUlS11_E_NS1_11comp_targetILNS1_3genE3ELNS1_11target_archE908ELNS1_3gpuE7ELNS1_3repE0EEENS1_47radix_sort_onesweep_sort_config_static_selectorELNS0_4arch9wavefront6targetE0EEEvSI_.numbered_sgpr, 0
	.set _ZN7rocprim17ROCPRIM_400000_NS6detail17trampoline_kernelINS0_14default_configENS1_35radix_sort_onesweep_config_selectorIiiEEZZNS1_29radix_sort_onesweep_iterationIS3_Lb1EN6thrust23THRUST_200600_302600_NS6detail15normal_iteratorINS8_10device_ptrIiEEEESD_SD_SD_jNS0_19identity_decomposerENS1_16block_id_wrapperIjLb0EEEEE10hipError_tT1_PNSt15iterator_traitsISI_E10value_typeET2_T3_PNSJ_ISO_E10value_typeET4_T5_PST_SU_PNS1_23onesweep_lookback_stateEbbT6_jjT7_P12ihipStream_tbENKUlT_T0_SI_SN_E_clISD_SD_SD_SD_EEDaS11_S12_SI_SN_EUlS11_E_NS1_11comp_targetILNS1_3genE3ELNS1_11target_archE908ELNS1_3gpuE7ELNS1_3repE0EEENS1_47radix_sort_onesweep_sort_config_static_selectorELNS0_4arch9wavefront6targetE0EEEvSI_.num_named_barrier, 0
	.set _ZN7rocprim17ROCPRIM_400000_NS6detail17trampoline_kernelINS0_14default_configENS1_35radix_sort_onesweep_config_selectorIiiEEZZNS1_29radix_sort_onesweep_iterationIS3_Lb1EN6thrust23THRUST_200600_302600_NS6detail15normal_iteratorINS8_10device_ptrIiEEEESD_SD_SD_jNS0_19identity_decomposerENS1_16block_id_wrapperIjLb0EEEEE10hipError_tT1_PNSt15iterator_traitsISI_E10value_typeET2_T3_PNSJ_ISO_E10value_typeET4_T5_PST_SU_PNS1_23onesweep_lookback_stateEbbT6_jjT7_P12ihipStream_tbENKUlT_T0_SI_SN_E_clISD_SD_SD_SD_EEDaS11_S12_SI_SN_EUlS11_E_NS1_11comp_targetILNS1_3genE3ELNS1_11target_archE908ELNS1_3gpuE7ELNS1_3repE0EEENS1_47radix_sort_onesweep_sort_config_static_selectorELNS0_4arch9wavefront6targetE0EEEvSI_.private_seg_size, 0
	.set _ZN7rocprim17ROCPRIM_400000_NS6detail17trampoline_kernelINS0_14default_configENS1_35radix_sort_onesweep_config_selectorIiiEEZZNS1_29radix_sort_onesweep_iterationIS3_Lb1EN6thrust23THRUST_200600_302600_NS6detail15normal_iteratorINS8_10device_ptrIiEEEESD_SD_SD_jNS0_19identity_decomposerENS1_16block_id_wrapperIjLb0EEEEE10hipError_tT1_PNSt15iterator_traitsISI_E10value_typeET2_T3_PNSJ_ISO_E10value_typeET4_T5_PST_SU_PNS1_23onesweep_lookback_stateEbbT6_jjT7_P12ihipStream_tbENKUlT_T0_SI_SN_E_clISD_SD_SD_SD_EEDaS11_S12_SI_SN_EUlS11_E_NS1_11comp_targetILNS1_3genE3ELNS1_11target_archE908ELNS1_3gpuE7ELNS1_3repE0EEENS1_47radix_sort_onesweep_sort_config_static_selectorELNS0_4arch9wavefront6targetE0EEEvSI_.uses_vcc, 0
	.set _ZN7rocprim17ROCPRIM_400000_NS6detail17trampoline_kernelINS0_14default_configENS1_35radix_sort_onesweep_config_selectorIiiEEZZNS1_29radix_sort_onesweep_iterationIS3_Lb1EN6thrust23THRUST_200600_302600_NS6detail15normal_iteratorINS8_10device_ptrIiEEEESD_SD_SD_jNS0_19identity_decomposerENS1_16block_id_wrapperIjLb0EEEEE10hipError_tT1_PNSt15iterator_traitsISI_E10value_typeET2_T3_PNSJ_ISO_E10value_typeET4_T5_PST_SU_PNS1_23onesweep_lookback_stateEbbT6_jjT7_P12ihipStream_tbENKUlT_T0_SI_SN_E_clISD_SD_SD_SD_EEDaS11_S12_SI_SN_EUlS11_E_NS1_11comp_targetILNS1_3genE3ELNS1_11target_archE908ELNS1_3gpuE7ELNS1_3repE0EEENS1_47radix_sort_onesweep_sort_config_static_selectorELNS0_4arch9wavefront6targetE0EEEvSI_.uses_flat_scratch, 0
	.set _ZN7rocprim17ROCPRIM_400000_NS6detail17trampoline_kernelINS0_14default_configENS1_35radix_sort_onesweep_config_selectorIiiEEZZNS1_29radix_sort_onesweep_iterationIS3_Lb1EN6thrust23THRUST_200600_302600_NS6detail15normal_iteratorINS8_10device_ptrIiEEEESD_SD_SD_jNS0_19identity_decomposerENS1_16block_id_wrapperIjLb0EEEEE10hipError_tT1_PNSt15iterator_traitsISI_E10value_typeET2_T3_PNSJ_ISO_E10value_typeET4_T5_PST_SU_PNS1_23onesweep_lookback_stateEbbT6_jjT7_P12ihipStream_tbENKUlT_T0_SI_SN_E_clISD_SD_SD_SD_EEDaS11_S12_SI_SN_EUlS11_E_NS1_11comp_targetILNS1_3genE3ELNS1_11target_archE908ELNS1_3gpuE7ELNS1_3repE0EEENS1_47radix_sort_onesweep_sort_config_static_selectorELNS0_4arch9wavefront6targetE0EEEvSI_.has_dyn_sized_stack, 0
	.set _ZN7rocprim17ROCPRIM_400000_NS6detail17trampoline_kernelINS0_14default_configENS1_35radix_sort_onesweep_config_selectorIiiEEZZNS1_29radix_sort_onesweep_iterationIS3_Lb1EN6thrust23THRUST_200600_302600_NS6detail15normal_iteratorINS8_10device_ptrIiEEEESD_SD_SD_jNS0_19identity_decomposerENS1_16block_id_wrapperIjLb0EEEEE10hipError_tT1_PNSt15iterator_traitsISI_E10value_typeET2_T3_PNSJ_ISO_E10value_typeET4_T5_PST_SU_PNS1_23onesweep_lookback_stateEbbT6_jjT7_P12ihipStream_tbENKUlT_T0_SI_SN_E_clISD_SD_SD_SD_EEDaS11_S12_SI_SN_EUlS11_E_NS1_11comp_targetILNS1_3genE3ELNS1_11target_archE908ELNS1_3gpuE7ELNS1_3repE0EEENS1_47radix_sort_onesweep_sort_config_static_selectorELNS0_4arch9wavefront6targetE0EEEvSI_.has_recursion, 0
	.set _ZN7rocprim17ROCPRIM_400000_NS6detail17trampoline_kernelINS0_14default_configENS1_35radix_sort_onesweep_config_selectorIiiEEZZNS1_29radix_sort_onesweep_iterationIS3_Lb1EN6thrust23THRUST_200600_302600_NS6detail15normal_iteratorINS8_10device_ptrIiEEEESD_SD_SD_jNS0_19identity_decomposerENS1_16block_id_wrapperIjLb0EEEEE10hipError_tT1_PNSt15iterator_traitsISI_E10value_typeET2_T3_PNSJ_ISO_E10value_typeET4_T5_PST_SU_PNS1_23onesweep_lookback_stateEbbT6_jjT7_P12ihipStream_tbENKUlT_T0_SI_SN_E_clISD_SD_SD_SD_EEDaS11_S12_SI_SN_EUlS11_E_NS1_11comp_targetILNS1_3genE3ELNS1_11target_archE908ELNS1_3gpuE7ELNS1_3repE0EEENS1_47radix_sort_onesweep_sort_config_static_selectorELNS0_4arch9wavefront6targetE0EEEvSI_.has_indirect_call, 0
	.section	.AMDGPU.csdata,"",@progbits
; Kernel info:
; codeLenInByte = 0
; TotalNumSgprs: 0
; NumVgprs: 0
; ScratchSize: 0
; MemoryBound: 0
; FloatMode: 240
; IeeeMode: 1
; LDSByteSize: 0 bytes/workgroup (compile time only)
; SGPRBlocks: 0
; VGPRBlocks: 0
; NumSGPRsForWavesPerEU: 1
; NumVGPRsForWavesPerEU: 1
; Occupancy: 16
; WaveLimiterHint : 0
; COMPUTE_PGM_RSRC2:SCRATCH_EN: 0
; COMPUTE_PGM_RSRC2:USER_SGPR: 6
; COMPUTE_PGM_RSRC2:TRAP_HANDLER: 0
; COMPUTE_PGM_RSRC2:TGID_X_EN: 1
; COMPUTE_PGM_RSRC2:TGID_Y_EN: 0
; COMPUTE_PGM_RSRC2:TGID_Z_EN: 0
; COMPUTE_PGM_RSRC2:TIDIG_COMP_CNT: 0
	.section	.text._ZN7rocprim17ROCPRIM_400000_NS6detail17trampoline_kernelINS0_14default_configENS1_35radix_sort_onesweep_config_selectorIiiEEZZNS1_29radix_sort_onesweep_iterationIS3_Lb1EN6thrust23THRUST_200600_302600_NS6detail15normal_iteratorINS8_10device_ptrIiEEEESD_SD_SD_jNS0_19identity_decomposerENS1_16block_id_wrapperIjLb0EEEEE10hipError_tT1_PNSt15iterator_traitsISI_E10value_typeET2_T3_PNSJ_ISO_E10value_typeET4_T5_PST_SU_PNS1_23onesweep_lookback_stateEbbT6_jjT7_P12ihipStream_tbENKUlT_T0_SI_SN_E_clISD_SD_SD_SD_EEDaS11_S12_SI_SN_EUlS11_E_NS1_11comp_targetILNS1_3genE10ELNS1_11target_archE1201ELNS1_3gpuE5ELNS1_3repE0EEENS1_47radix_sort_onesweep_sort_config_static_selectorELNS0_4arch9wavefront6targetE0EEEvSI_,"axG",@progbits,_ZN7rocprim17ROCPRIM_400000_NS6detail17trampoline_kernelINS0_14default_configENS1_35radix_sort_onesweep_config_selectorIiiEEZZNS1_29radix_sort_onesweep_iterationIS3_Lb1EN6thrust23THRUST_200600_302600_NS6detail15normal_iteratorINS8_10device_ptrIiEEEESD_SD_SD_jNS0_19identity_decomposerENS1_16block_id_wrapperIjLb0EEEEE10hipError_tT1_PNSt15iterator_traitsISI_E10value_typeET2_T3_PNSJ_ISO_E10value_typeET4_T5_PST_SU_PNS1_23onesweep_lookback_stateEbbT6_jjT7_P12ihipStream_tbENKUlT_T0_SI_SN_E_clISD_SD_SD_SD_EEDaS11_S12_SI_SN_EUlS11_E_NS1_11comp_targetILNS1_3genE10ELNS1_11target_archE1201ELNS1_3gpuE5ELNS1_3repE0EEENS1_47radix_sort_onesweep_sort_config_static_selectorELNS0_4arch9wavefront6targetE0EEEvSI_,comdat
	.protected	_ZN7rocprim17ROCPRIM_400000_NS6detail17trampoline_kernelINS0_14default_configENS1_35radix_sort_onesweep_config_selectorIiiEEZZNS1_29radix_sort_onesweep_iterationIS3_Lb1EN6thrust23THRUST_200600_302600_NS6detail15normal_iteratorINS8_10device_ptrIiEEEESD_SD_SD_jNS0_19identity_decomposerENS1_16block_id_wrapperIjLb0EEEEE10hipError_tT1_PNSt15iterator_traitsISI_E10value_typeET2_T3_PNSJ_ISO_E10value_typeET4_T5_PST_SU_PNS1_23onesweep_lookback_stateEbbT6_jjT7_P12ihipStream_tbENKUlT_T0_SI_SN_E_clISD_SD_SD_SD_EEDaS11_S12_SI_SN_EUlS11_E_NS1_11comp_targetILNS1_3genE10ELNS1_11target_archE1201ELNS1_3gpuE5ELNS1_3repE0EEENS1_47radix_sort_onesweep_sort_config_static_selectorELNS0_4arch9wavefront6targetE0EEEvSI_ ; -- Begin function _ZN7rocprim17ROCPRIM_400000_NS6detail17trampoline_kernelINS0_14default_configENS1_35radix_sort_onesweep_config_selectorIiiEEZZNS1_29radix_sort_onesweep_iterationIS3_Lb1EN6thrust23THRUST_200600_302600_NS6detail15normal_iteratorINS8_10device_ptrIiEEEESD_SD_SD_jNS0_19identity_decomposerENS1_16block_id_wrapperIjLb0EEEEE10hipError_tT1_PNSt15iterator_traitsISI_E10value_typeET2_T3_PNSJ_ISO_E10value_typeET4_T5_PST_SU_PNS1_23onesweep_lookback_stateEbbT6_jjT7_P12ihipStream_tbENKUlT_T0_SI_SN_E_clISD_SD_SD_SD_EEDaS11_S12_SI_SN_EUlS11_E_NS1_11comp_targetILNS1_3genE10ELNS1_11target_archE1201ELNS1_3gpuE5ELNS1_3repE0EEENS1_47radix_sort_onesweep_sort_config_static_selectorELNS0_4arch9wavefront6targetE0EEEvSI_
	.globl	_ZN7rocprim17ROCPRIM_400000_NS6detail17trampoline_kernelINS0_14default_configENS1_35radix_sort_onesweep_config_selectorIiiEEZZNS1_29radix_sort_onesweep_iterationIS3_Lb1EN6thrust23THRUST_200600_302600_NS6detail15normal_iteratorINS8_10device_ptrIiEEEESD_SD_SD_jNS0_19identity_decomposerENS1_16block_id_wrapperIjLb0EEEEE10hipError_tT1_PNSt15iterator_traitsISI_E10value_typeET2_T3_PNSJ_ISO_E10value_typeET4_T5_PST_SU_PNS1_23onesweep_lookback_stateEbbT6_jjT7_P12ihipStream_tbENKUlT_T0_SI_SN_E_clISD_SD_SD_SD_EEDaS11_S12_SI_SN_EUlS11_E_NS1_11comp_targetILNS1_3genE10ELNS1_11target_archE1201ELNS1_3gpuE5ELNS1_3repE0EEENS1_47radix_sort_onesweep_sort_config_static_selectorELNS0_4arch9wavefront6targetE0EEEvSI_
	.p2align	8
	.type	_ZN7rocprim17ROCPRIM_400000_NS6detail17trampoline_kernelINS0_14default_configENS1_35radix_sort_onesweep_config_selectorIiiEEZZNS1_29radix_sort_onesweep_iterationIS3_Lb1EN6thrust23THRUST_200600_302600_NS6detail15normal_iteratorINS8_10device_ptrIiEEEESD_SD_SD_jNS0_19identity_decomposerENS1_16block_id_wrapperIjLb0EEEEE10hipError_tT1_PNSt15iterator_traitsISI_E10value_typeET2_T3_PNSJ_ISO_E10value_typeET4_T5_PST_SU_PNS1_23onesweep_lookback_stateEbbT6_jjT7_P12ihipStream_tbENKUlT_T0_SI_SN_E_clISD_SD_SD_SD_EEDaS11_S12_SI_SN_EUlS11_E_NS1_11comp_targetILNS1_3genE10ELNS1_11target_archE1201ELNS1_3gpuE5ELNS1_3repE0EEENS1_47radix_sort_onesweep_sort_config_static_selectorELNS0_4arch9wavefront6targetE0EEEvSI_,@function
_ZN7rocprim17ROCPRIM_400000_NS6detail17trampoline_kernelINS0_14default_configENS1_35radix_sort_onesweep_config_selectorIiiEEZZNS1_29radix_sort_onesweep_iterationIS3_Lb1EN6thrust23THRUST_200600_302600_NS6detail15normal_iteratorINS8_10device_ptrIiEEEESD_SD_SD_jNS0_19identity_decomposerENS1_16block_id_wrapperIjLb0EEEEE10hipError_tT1_PNSt15iterator_traitsISI_E10value_typeET2_T3_PNSJ_ISO_E10value_typeET4_T5_PST_SU_PNS1_23onesweep_lookback_stateEbbT6_jjT7_P12ihipStream_tbENKUlT_T0_SI_SN_E_clISD_SD_SD_SD_EEDaS11_S12_SI_SN_EUlS11_E_NS1_11comp_targetILNS1_3genE10ELNS1_11target_archE1201ELNS1_3gpuE5ELNS1_3repE0EEENS1_47radix_sort_onesweep_sort_config_static_selectorELNS0_4arch9wavefront6targetE0EEEvSI_: ; @_ZN7rocprim17ROCPRIM_400000_NS6detail17trampoline_kernelINS0_14default_configENS1_35radix_sort_onesweep_config_selectorIiiEEZZNS1_29radix_sort_onesweep_iterationIS3_Lb1EN6thrust23THRUST_200600_302600_NS6detail15normal_iteratorINS8_10device_ptrIiEEEESD_SD_SD_jNS0_19identity_decomposerENS1_16block_id_wrapperIjLb0EEEEE10hipError_tT1_PNSt15iterator_traitsISI_E10value_typeET2_T3_PNSJ_ISO_E10value_typeET4_T5_PST_SU_PNS1_23onesweep_lookback_stateEbbT6_jjT7_P12ihipStream_tbENKUlT_T0_SI_SN_E_clISD_SD_SD_SD_EEDaS11_S12_SI_SN_EUlS11_E_NS1_11comp_targetILNS1_3genE10ELNS1_11target_archE1201ELNS1_3gpuE5ELNS1_3repE0EEENS1_47radix_sort_onesweep_sort_config_static_selectorELNS0_4arch9wavefront6targetE0EEEvSI_
; %bb.0:
	.section	.rodata,"a",@progbits
	.p2align	6, 0x0
	.amdhsa_kernel _ZN7rocprim17ROCPRIM_400000_NS6detail17trampoline_kernelINS0_14default_configENS1_35radix_sort_onesweep_config_selectorIiiEEZZNS1_29radix_sort_onesweep_iterationIS3_Lb1EN6thrust23THRUST_200600_302600_NS6detail15normal_iteratorINS8_10device_ptrIiEEEESD_SD_SD_jNS0_19identity_decomposerENS1_16block_id_wrapperIjLb0EEEEE10hipError_tT1_PNSt15iterator_traitsISI_E10value_typeET2_T3_PNSJ_ISO_E10value_typeET4_T5_PST_SU_PNS1_23onesweep_lookback_stateEbbT6_jjT7_P12ihipStream_tbENKUlT_T0_SI_SN_E_clISD_SD_SD_SD_EEDaS11_S12_SI_SN_EUlS11_E_NS1_11comp_targetILNS1_3genE10ELNS1_11target_archE1201ELNS1_3gpuE5ELNS1_3repE0EEENS1_47radix_sort_onesweep_sort_config_static_selectorELNS0_4arch9wavefront6targetE0EEEvSI_
		.amdhsa_group_segment_fixed_size 0
		.amdhsa_private_segment_fixed_size 0
		.amdhsa_kernarg_size 88
		.amdhsa_user_sgpr_count 6
		.amdhsa_user_sgpr_private_segment_buffer 1
		.amdhsa_user_sgpr_dispatch_ptr 0
		.amdhsa_user_sgpr_queue_ptr 0
		.amdhsa_user_sgpr_kernarg_segment_ptr 1
		.amdhsa_user_sgpr_dispatch_id 0
		.amdhsa_user_sgpr_flat_scratch_init 0
		.amdhsa_user_sgpr_private_segment_size 0
		.amdhsa_wavefront_size32 1
		.amdhsa_uses_dynamic_stack 0
		.amdhsa_system_sgpr_private_segment_wavefront_offset 0
		.amdhsa_system_sgpr_workgroup_id_x 1
		.amdhsa_system_sgpr_workgroup_id_y 0
		.amdhsa_system_sgpr_workgroup_id_z 0
		.amdhsa_system_sgpr_workgroup_info 0
		.amdhsa_system_vgpr_workitem_id 0
		.amdhsa_next_free_vgpr 1
		.amdhsa_next_free_sgpr 1
		.amdhsa_reserve_vcc 0
		.amdhsa_reserve_flat_scratch 0
		.amdhsa_float_round_mode_32 0
		.amdhsa_float_round_mode_16_64 0
		.amdhsa_float_denorm_mode_32 3
		.amdhsa_float_denorm_mode_16_64 3
		.amdhsa_dx10_clamp 1
		.amdhsa_ieee_mode 1
		.amdhsa_fp16_overflow 0
		.amdhsa_workgroup_processor_mode 1
		.amdhsa_memory_ordered 1
		.amdhsa_forward_progress 1
		.amdhsa_shared_vgpr_count 0
		.amdhsa_exception_fp_ieee_invalid_op 0
		.amdhsa_exception_fp_denorm_src 0
		.amdhsa_exception_fp_ieee_div_zero 0
		.amdhsa_exception_fp_ieee_overflow 0
		.amdhsa_exception_fp_ieee_underflow 0
		.amdhsa_exception_fp_ieee_inexact 0
		.amdhsa_exception_int_div_zero 0
	.end_amdhsa_kernel
	.section	.text._ZN7rocprim17ROCPRIM_400000_NS6detail17trampoline_kernelINS0_14default_configENS1_35radix_sort_onesweep_config_selectorIiiEEZZNS1_29radix_sort_onesweep_iterationIS3_Lb1EN6thrust23THRUST_200600_302600_NS6detail15normal_iteratorINS8_10device_ptrIiEEEESD_SD_SD_jNS0_19identity_decomposerENS1_16block_id_wrapperIjLb0EEEEE10hipError_tT1_PNSt15iterator_traitsISI_E10value_typeET2_T3_PNSJ_ISO_E10value_typeET4_T5_PST_SU_PNS1_23onesweep_lookback_stateEbbT6_jjT7_P12ihipStream_tbENKUlT_T0_SI_SN_E_clISD_SD_SD_SD_EEDaS11_S12_SI_SN_EUlS11_E_NS1_11comp_targetILNS1_3genE10ELNS1_11target_archE1201ELNS1_3gpuE5ELNS1_3repE0EEENS1_47radix_sort_onesweep_sort_config_static_selectorELNS0_4arch9wavefront6targetE0EEEvSI_,"axG",@progbits,_ZN7rocprim17ROCPRIM_400000_NS6detail17trampoline_kernelINS0_14default_configENS1_35radix_sort_onesweep_config_selectorIiiEEZZNS1_29radix_sort_onesweep_iterationIS3_Lb1EN6thrust23THRUST_200600_302600_NS6detail15normal_iteratorINS8_10device_ptrIiEEEESD_SD_SD_jNS0_19identity_decomposerENS1_16block_id_wrapperIjLb0EEEEE10hipError_tT1_PNSt15iterator_traitsISI_E10value_typeET2_T3_PNSJ_ISO_E10value_typeET4_T5_PST_SU_PNS1_23onesweep_lookback_stateEbbT6_jjT7_P12ihipStream_tbENKUlT_T0_SI_SN_E_clISD_SD_SD_SD_EEDaS11_S12_SI_SN_EUlS11_E_NS1_11comp_targetILNS1_3genE10ELNS1_11target_archE1201ELNS1_3gpuE5ELNS1_3repE0EEENS1_47radix_sort_onesweep_sort_config_static_selectorELNS0_4arch9wavefront6targetE0EEEvSI_,comdat
.Lfunc_end1032:
	.size	_ZN7rocprim17ROCPRIM_400000_NS6detail17trampoline_kernelINS0_14default_configENS1_35radix_sort_onesweep_config_selectorIiiEEZZNS1_29radix_sort_onesweep_iterationIS3_Lb1EN6thrust23THRUST_200600_302600_NS6detail15normal_iteratorINS8_10device_ptrIiEEEESD_SD_SD_jNS0_19identity_decomposerENS1_16block_id_wrapperIjLb0EEEEE10hipError_tT1_PNSt15iterator_traitsISI_E10value_typeET2_T3_PNSJ_ISO_E10value_typeET4_T5_PST_SU_PNS1_23onesweep_lookback_stateEbbT6_jjT7_P12ihipStream_tbENKUlT_T0_SI_SN_E_clISD_SD_SD_SD_EEDaS11_S12_SI_SN_EUlS11_E_NS1_11comp_targetILNS1_3genE10ELNS1_11target_archE1201ELNS1_3gpuE5ELNS1_3repE0EEENS1_47radix_sort_onesweep_sort_config_static_selectorELNS0_4arch9wavefront6targetE0EEEvSI_, .Lfunc_end1032-_ZN7rocprim17ROCPRIM_400000_NS6detail17trampoline_kernelINS0_14default_configENS1_35radix_sort_onesweep_config_selectorIiiEEZZNS1_29radix_sort_onesweep_iterationIS3_Lb1EN6thrust23THRUST_200600_302600_NS6detail15normal_iteratorINS8_10device_ptrIiEEEESD_SD_SD_jNS0_19identity_decomposerENS1_16block_id_wrapperIjLb0EEEEE10hipError_tT1_PNSt15iterator_traitsISI_E10value_typeET2_T3_PNSJ_ISO_E10value_typeET4_T5_PST_SU_PNS1_23onesweep_lookback_stateEbbT6_jjT7_P12ihipStream_tbENKUlT_T0_SI_SN_E_clISD_SD_SD_SD_EEDaS11_S12_SI_SN_EUlS11_E_NS1_11comp_targetILNS1_3genE10ELNS1_11target_archE1201ELNS1_3gpuE5ELNS1_3repE0EEENS1_47radix_sort_onesweep_sort_config_static_selectorELNS0_4arch9wavefront6targetE0EEEvSI_
                                        ; -- End function
	.set _ZN7rocprim17ROCPRIM_400000_NS6detail17trampoline_kernelINS0_14default_configENS1_35radix_sort_onesweep_config_selectorIiiEEZZNS1_29radix_sort_onesweep_iterationIS3_Lb1EN6thrust23THRUST_200600_302600_NS6detail15normal_iteratorINS8_10device_ptrIiEEEESD_SD_SD_jNS0_19identity_decomposerENS1_16block_id_wrapperIjLb0EEEEE10hipError_tT1_PNSt15iterator_traitsISI_E10value_typeET2_T3_PNSJ_ISO_E10value_typeET4_T5_PST_SU_PNS1_23onesweep_lookback_stateEbbT6_jjT7_P12ihipStream_tbENKUlT_T0_SI_SN_E_clISD_SD_SD_SD_EEDaS11_S12_SI_SN_EUlS11_E_NS1_11comp_targetILNS1_3genE10ELNS1_11target_archE1201ELNS1_3gpuE5ELNS1_3repE0EEENS1_47radix_sort_onesweep_sort_config_static_selectorELNS0_4arch9wavefront6targetE0EEEvSI_.num_vgpr, 0
	.set _ZN7rocprim17ROCPRIM_400000_NS6detail17trampoline_kernelINS0_14default_configENS1_35radix_sort_onesweep_config_selectorIiiEEZZNS1_29radix_sort_onesweep_iterationIS3_Lb1EN6thrust23THRUST_200600_302600_NS6detail15normal_iteratorINS8_10device_ptrIiEEEESD_SD_SD_jNS0_19identity_decomposerENS1_16block_id_wrapperIjLb0EEEEE10hipError_tT1_PNSt15iterator_traitsISI_E10value_typeET2_T3_PNSJ_ISO_E10value_typeET4_T5_PST_SU_PNS1_23onesweep_lookback_stateEbbT6_jjT7_P12ihipStream_tbENKUlT_T0_SI_SN_E_clISD_SD_SD_SD_EEDaS11_S12_SI_SN_EUlS11_E_NS1_11comp_targetILNS1_3genE10ELNS1_11target_archE1201ELNS1_3gpuE5ELNS1_3repE0EEENS1_47radix_sort_onesweep_sort_config_static_selectorELNS0_4arch9wavefront6targetE0EEEvSI_.num_agpr, 0
	.set _ZN7rocprim17ROCPRIM_400000_NS6detail17trampoline_kernelINS0_14default_configENS1_35radix_sort_onesweep_config_selectorIiiEEZZNS1_29radix_sort_onesweep_iterationIS3_Lb1EN6thrust23THRUST_200600_302600_NS6detail15normal_iteratorINS8_10device_ptrIiEEEESD_SD_SD_jNS0_19identity_decomposerENS1_16block_id_wrapperIjLb0EEEEE10hipError_tT1_PNSt15iterator_traitsISI_E10value_typeET2_T3_PNSJ_ISO_E10value_typeET4_T5_PST_SU_PNS1_23onesweep_lookback_stateEbbT6_jjT7_P12ihipStream_tbENKUlT_T0_SI_SN_E_clISD_SD_SD_SD_EEDaS11_S12_SI_SN_EUlS11_E_NS1_11comp_targetILNS1_3genE10ELNS1_11target_archE1201ELNS1_3gpuE5ELNS1_3repE0EEENS1_47radix_sort_onesweep_sort_config_static_selectorELNS0_4arch9wavefront6targetE0EEEvSI_.numbered_sgpr, 0
	.set _ZN7rocprim17ROCPRIM_400000_NS6detail17trampoline_kernelINS0_14default_configENS1_35radix_sort_onesweep_config_selectorIiiEEZZNS1_29radix_sort_onesweep_iterationIS3_Lb1EN6thrust23THRUST_200600_302600_NS6detail15normal_iteratorINS8_10device_ptrIiEEEESD_SD_SD_jNS0_19identity_decomposerENS1_16block_id_wrapperIjLb0EEEEE10hipError_tT1_PNSt15iterator_traitsISI_E10value_typeET2_T3_PNSJ_ISO_E10value_typeET4_T5_PST_SU_PNS1_23onesweep_lookback_stateEbbT6_jjT7_P12ihipStream_tbENKUlT_T0_SI_SN_E_clISD_SD_SD_SD_EEDaS11_S12_SI_SN_EUlS11_E_NS1_11comp_targetILNS1_3genE10ELNS1_11target_archE1201ELNS1_3gpuE5ELNS1_3repE0EEENS1_47radix_sort_onesweep_sort_config_static_selectorELNS0_4arch9wavefront6targetE0EEEvSI_.num_named_barrier, 0
	.set _ZN7rocprim17ROCPRIM_400000_NS6detail17trampoline_kernelINS0_14default_configENS1_35radix_sort_onesweep_config_selectorIiiEEZZNS1_29radix_sort_onesweep_iterationIS3_Lb1EN6thrust23THRUST_200600_302600_NS6detail15normal_iteratorINS8_10device_ptrIiEEEESD_SD_SD_jNS0_19identity_decomposerENS1_16block_id_wrapperIjLb0EEEEE10hipError_tT1_PNSt15iterator_traitsISI_E10value_typeET2_T3_PNSJ_ISO_E10value_typeET4_T5_PST_SU_PNS1_23onesweep_lookback_stateEbbT6_jjT7_P12ihipStream_tbENKUlT_T0_SI_SN_E_clISD_SD_SD_SD_EEDaS11_S12_SI_SN_EUlS11_E_NS1_11comp_targetILNS1_3genE10ELNS1_11target_archE1201ELNS1_3gpuE5ELNS1_3repE0EEENS1_47radix_sort_onesweep_sort_config_static_selectorELNS0_4arch9wavefront6targetE0EEEvSI_.private_seg_size, 0
	.set _ZN7rocprim17ROCPRIM_400000_NS6detail17trampoline_kernelINS0_14default_configENS1_35radix_sort_onesweep_config_selectorIiiEEZZNS1_29radix_sort_onesweep_iterationIS3_Lb1EN6thrust23THRUST_200600_302600_NS6detail15normal_iteratorINS8_10device_ptrIiEEEESD_SD_SD_jNS0_19identity_decomposerENS1_16block_id_wrapperIjLb0EEEEE10hipError_tT1_PNSt15iterator_traitsISI_E10value_typeET2_T3_PNSJ_ISO_E10value_typeET4_T5_PST_SU_PNS1_23onesweep_lookback_stateEbbT6_jjT7_P12ihipStream_tbENKUlT_T0_SI_SN_E_clISD_SD_SD_SD_EEDaS11_S12_SI_SN_EUlS11_E_NS1_11comp_targetILNS1_3genE10ELNS1_11target_archE1201ELNS1_3gpuE5ELNS1_3repE0EEENS1_47radix_sort_onesweep_sort_config_static_selectorELNS0_4arch9wavefront6targetE0EEEvSI_.uses_vcc, 0
	.set _ZN7rocprim17ROCPRIM_400000_NS6detail17trampoline_kernelINS0_14default_configENS1_35radix_sort_onesweep_config_selectorIiiEEZZNS1_29radix_sort_onesweep_iterationIS3_Lb1EN6thrust23THRUST_200600_302600_NS6detail15normal_iteratorINS8_10device_ptrIiEEEESD_SD_SD_jNS0_19identity_decomposerENS1_16block_id_wrapperIjLb0EEEEE10hipError_tT1_PNSt15iterator_traitsISI_E10value_typeET2_T3_PNSJ_ISO_E10value_typeET4_T5_PST_SU_PNS1_23onesweep_lookback_stateEbbT6_jjT7_P12ihipStream_tbENKUlT_T0_SI_SN_E_clISD_SD_SD_SD_EEDaS11_S12_SI_SN_EUlS11_E_NS1_11comp_targetILNS1_3genE10ELNS1_11target_archE1201ELNS1_3gpuE5ELNS1_3repE0EEENS1_47radix_sort_onesweep_sort_config_static_selectorELNS0_4arch9wavefront6targetE0EEEvSI_.uses_flat_scratch, 0
	.set _ZN7rocprim17ROCPRIM_400000_NS6detail17trampoline_kernelINS0_14default_configENS1_35radix_sort_onesweep_config_selectorIiiEEZZNS1_29radix_sort_onesweep_iterationIS3_Lb1EN6thrust23THRUST_200600_302600_NS6detail15normal_iteratorINS8_10device_ptrIiEEEESD_SD_SD_jNS0_19identity_decomposerENS1_16block_id_wrapperIjLb0EEEEE10hipError_tT1_PNSt15iterator_traitsISI_E10value_typeET2_T3_PNSJ_ISO_E10value_typeET4_T5_PST_SU_PNS1_23onesweep_lookback_stateEbbT6_jjT7_P12ihipStream_tbENKUlT_T0_SI_SN_E_clISD_SD_SD_SD_EEDaS11_S12_SI_SN_EUlS11_E_NS1_11comp_targetILNS1_3genE10ELNS1_11target_archE1201ELNS1_3gpuE5ELNS1_3repE0EEENS1_47radix_sort_onesweep_sort_config_static_selectorELNS0_4arch9wavefront6targetE0EEEvSI_.has_dyn_sized_stack, 0
	.set _ZN7rocprim17ROCPRIM_400000_NS6detail17trampoline_kernelINS0_14default_configENS1_35radix_sort_onesweep_config_selectorIiiEEZZNS1_29radix_sort_onesweep_iterationIS3_Lb1EN6thrust23THRUST_200600_302600_NS6detail15normal_iteratorINS8_10device_ptrIiEEEESD_SD_SD_jNS0_19identity_decomposerENS1_16block_id_wrapperIjLb0EEEEE10hipError_tT1_PNSt15iterator_traitsISI_E10value_typeET2_T3_PNSJ_ISO_E10value_typeET4_T5_PST_SU_PNS1_23onesweep_lookback_stateEbbT6_jjT7_P12ihipStream_tbENKUlT_T0_SI_SN_E_clISD_SD_SD_SD_EEDaS11_S12_SI_SN_EUlS11_E_NS1_11comp_targetILNS1_3genE10ELNS1_11target_archE1201ELNS1_3gpuE5ELNS1_3repE0EEENS1_47radix_sort_onesweep_sort_config_static_selectorELNS0_4arch9wavefront6targetE0EEEvSI_.has_recursion, 0
	.set _ZN7rocprim17ROCPRIM_400000_NS6detail17trampoline_kernelINS0_14default_configENS1_35radix_sort_onesweep_config_selectorIiiEEZZNS1_29radix_sort_onesweep_iterationIS3_Lb1EN6thrust23THRUST_200600_302600_NS6detail15normal_iteratorINS8_10device_ptrIiEEEESD_SD_SD_jNS0_19identity_decomposerENS1_16block_id_wrapperIjLb0EEEEE10hipError_tT1_PNSt15iterator_traitsISI_E10value_typeET2_T3_PNSJ_ISO_E10value_typeET4_T5_PST_SU_PNS1_23onesweep_lookback_stateEbbT6_jjT7_P12ihipStream_tbENKUlT_T0_SI_SN_E_clISD_SD_SD_SD_EEDaS11_S12_SI_SN_EUlS11_E_NS1_11comp_targetILNS1_3genE10ELNS1_11target_archE1201ELNS1_3gpuE5ELNS1_3repE0EEENS1_47radix_sort_onesweep_sort_config_static_selectorELNS0_4arch9wavefront6targetE0EEEvSI_.has_indirect_call, 0
	.section	.AMDGPU.csdata,"",@progbits
; Kernel info:
; codeLenInByte = 0
; TotalNumSgprs: 0
; NumVgprs: 0
; ScratchSize: 0
; MemoryBound: 0
; FloatMode: 240
; IeeeMode: 1
; LDSByteSize: 0 bytes/workgroup (compile time only)
; SGPRBlocks: 0
; VGPRBlocks: 0
; NumSGPRsForWavesPerEU: 1
; NumVGPRsForWavesPerEU: 1
; Occupancy: 16
; WaveLimiterHint : 0
; COMPUTE_PGM_RSRC2:SCRATCH_EN: 0
; COMPUTE_PGM_RSRC2:USER_SGPR: 6
; COMPUTE_PGM_RSRC2:TRAP_HANDLER: 0
; COMPUTE_PGM_RSRC2:TGID_X_EN: 1
; COMPUTE_PGM_RSRC2:TGID_Y_EN: 0
; COMPUTE_PGM_RSRC2:TGID_Z_EN: 0
; COMPUTE_PGM_RSRC2:TIDIG_COMP_CNT: 0
	.section	.text._ZN7rocprim17ROCPRIM_400000_NS6detail17trampoline_kernelINS0_14default_configENS1_35radix_sort_onesweep_config_selectorIiiEEZZNS1_29radix_sort_onesweep_iterationIS3_Lb1EN6thrust23THRUST_200600_302600_NS6detail15normal_iteratorINS8_10device_ptrIiEEEESD_SD_SD_jNS0_19identity_decomposerENS1_16block_id_wrapperIjLb0EEEEE10hipError_tT1_PNSt15iterator_traitsISI_E10value_typeET2_T3_PNSJ_ISO_E10value_typeET4_T5_PST_SU_PNS1_23onesweep_lookback_stateEbbT6_jjT7_P12ihipStream_tbENKUlT_T0_SI_SN_E_clISD_SD_SD_SD_EEDaS11_S12_SI_SN_EUlS11_E_NS1_11comp_targetILNS1_3genE9ELNS1_11target_archE1100ELNS1_3gpuE3ELNS1_3repE0EEENS1_47radix_sort_onesweep_sort_config_static_selectorELNS0_4arch9wavefront6targetE0EEEvSI_,"axG",@progbits,_ZN7rocprim17ROCPRIM_400000_NS6detail17trampoline_kernelINS0_14default_configENS1_35radix_sort_onesweep_config_selectorIiiEEZZNS1_29radix_sort_onesweep_iterationIS3_Lb1EN6thrust23THRUST_200600_302600_NS6detail15normal_iteratorINS8_10device_ptrIiEEEESD_SD_SD_jNS0_19identity_decomposerENS1_16block_id_wrapperIjLb0EEEEE10hipError_tT1_PNSt15iterator_traitsISI_E10value_typeET2_T3_PNSJ_ISO_E10value_typeET4_T5_PST_SU_PNS1_23onesweep_lookback_stateEbbT6_jjT7_P12ihipStream_tbENKUlT_T0_SI_SN_E_clISD_SD_SD_SD_EEDaS11_S12_SI_SN_EUlS11_E_NS1_11comp_targetILNS1_3genE9ELNS1_11target_archE1100ELNS1_3gpuE3ELNS1_3repE0EEENS1_47radix_sort_onesweep_sort_config_static_selectorELNS0_4arch9wavefront6targetE0EEEvSI_,comdat
	.protected	_ZN7rocprim17ROCPRIM_400000_NS6detail17trampoline_kernelINS0_14default_configENS1_35radix_sort_onesweep_config_selectorIiiEEZZNS1_29radix_sort_onesweep_iterationIS3_Lb1EN6thrust23THRUST_200600_302600_NS6detail15normal_iteratorINS8_10device_ptrIiEEEESD_SD_SD_jNS0_19identity_decomposerENS1_16block_id_wrapperIjLb0EEEEE10hipError_tT1_PNSt15iterator_traitsISI_E10value_typeET2_T3_PNSJ_ISO_E10value_typeET4_T5_PST_SU_PNS1_23onesweep_lookback_stateEbbT6_jjT7_P12ihipStream_tbENKUlT_T0_SI_SN_E_clISD_SD_SD_SD_EEDaS11_S12_SI_SN_EUlS11_E_NS1_11comp_targetILNS1_3genE9ELNS1_11target_archE1100ELNS1_3gpuE3ELNS1_3repE0EEENS1_47radix_sort_onesweep_sort_config_static_selectorELNS0_4arch9wavefront6targetE0EEEvSI_ ; -- Begin function _ZN7rocprim17ROCPRIM_400000_NS6detail17trampoline_kernelINS0_14default_configENS1_35radix_sort_onesweep_config_selectorIiiEEZZNS1_29radix_sort_onesweep_iterationIS3_Lb1EN6thrust23THRUST_200600_302600_NS6detail15normal_iteratorINS8_10device_ptrIiEEEESD_SD_SD_jNS0_19identity_decomposerENS1_16block_id_wrapperIjLb0EEEEE10hipError_tT1_PNSt15iterator_traitsISI_E10value_typeET2_T3_PNSJ_ISO_E10value_typeET4_T5_PST_SU_PNS1_23onesweep_lookback_stateEbbT6_jjT7_P12ihipStream_tbENKUlT_T0_SI_SN_E_clISD_SD_SD_SD_EEDaS11_S12_SI_SN_EUlS11_E_NS1_11comp_targetILNS1_3genE9ELNS1_11target_archE1100ELNS1_3gpuE3ELNS1_3repE0EEENS1_47radix_sort_onesweep_sort_config_static_selectorELNS0_4arch9wavefront6targetE0EEEvSI_
	.globl	_ZN7rocprim17ROCPRIM_400000_NS6detail17trampoline_kernelINS0_14default_configENS1_35radix_sort_onesweep_config_selectorIiiEEZZNS1_29radix_sort_onesweep_iterationIS3_Lb1EN6thrust23THRUST_200600_302600_NS6detail15normal_iteratorINS8_10device_ptrIiEEEESD_SD_SD_jNS0_19identity_decomposerENS1_16block_id_wrapperIjLb0EEEEE10hipError_tT1_PNSt15iterator_traitsISI_E10value_typeET2_T3_PNSJ_ISO_E10value_typeET4_T5_PST_SU_PNS1_23onesweep_lookback_stateEbbT6_jjT7_P12ihipStream_tbENKUlT_T0_SI_SN_E_clISD_SD_SD_SD_EEDaS11_S12_SI_SN_EUlS11_E_NS1_11comp_targetILNS1_3genE9ELNS1_11target_archE1100ELNS1_3gpuE3ELNS1_3repE0EEENS1_47radix_sort_onesweep_sort_config_static_selectorELNS0_4arch9wavefront6targetE0EEEvSI_
	.p2align	8
	.type	_ZN7rocprim17ROCPRIM_400000_NS6detail17trampoline_kernelINS0_14default_configENS1_35radix_sort_onesweep_config_selectorIiiEEZZNS1_29radix_sort_onesweep_iterationIS3_Lb1EN6thrust23THRUST_200600_302600_NS6detail15normal_iteratorINS8_10device_ptrIiEEEESD_SD_SD_jNS0_19identity_decomposerENS1_16block_id_wrapperIjLb0EEEEE10hipError_tT1_PNSt15iterator_traitsISI_E10value_typeET2_T3_PNSJ_ISO_E10value_typeET4_T5_PST_SU_PNS1_23onesweep_lookback_stateEbbT6_jjT7_P12ihipStream_tbENKUlT_T0_SI_SN_E_clISD_SD_SD_SD_EEDaS11_S12_SI_SN_EUlS11_E_NS1_11comp_targetILNS1_3genE9ELNS1_11target_archE1100ELNS1_3gpuE3ELNS1_3repE0EEENS1_47radix_sort_onesweep_sort_config_static_selectorELNS0_4arch9wavefront6targetE0EEEvSI_,@function
_ZN7rocprim17ROCPRIM_400000_NS6detail17trampoline_kernelINS0_14default_configENS1_35radix_sort_onesweep_config_selectorIiiEEZZNS1_29radix_sort_onesweep_iterationIS3_Lb1EN6thrust23THRUST_200600_302600_NS6detail15normal_iteratorINS8_10device_ptrIiEEEESD_SD_SD_jNS0_19identity_decomposerENS1_16block_id_wrapperIjLb0EEEEE10hipError_tT1_PNSt15iterator_traitsISI_E10value_typeET2_T3_PNSJ_ISO_E10value_typeET4_T5_PST_SU_PNS1_23onesweep_lookback_stateEbbT6_jjT7_P12ihipStream_tbENKUlT_T0_SI_SN_E_clISD_SD_SD_SD_EEDaS11_S12_SI_SN_EUlS11_E_NS1_11comp_targetILNS1_3genE9ELNS1_11target_archE1100ELNS1_3gpuE3ELNS1_3repE0EEENS1_47radix_sort_onesweep_sort_config_static_selectorELNS0_4arch9wavefront6targetE0EEEvSI_: ; @_ZN7rocprim17ROCPRIM_400000_NS6detail17trampoline_kernelINS0_14default_configENS1_35radix_sort_onesweep_config_selectorIiiEEZZNS1_29radix_sort_onesweep_iterationIS3_Lb1EN6thrust23THRUST_200600_302600_NS6detail15normal_iteratorINS8_10device_ptrIiEEEESD_SD_SD_jNS0_19identity_decomposerENS1_16block_id_wrapperIjLb0EEEEE10hipError_tT1_PNSt15iterator_traitsISI_E10value_typeET2_T3_PNSJ_ISO_E10value_typeET4_T5_PST_SU_PNS1_23onesweep_lookback_stateEbbT6_jjT7_P12ihipStream_tbENKUlT_T0_SI_SN_E_clISD_SD_SD_SD_EEDaS11_S12_SI_SN_EUlS11_E_NS1_11comp_targetILNS1_3genE9ELNS1_11target_archE1100ELNS1_3gpuE3ELNS1_3repE0EEENS1_47radix_sort_onesweep_sort_config_static_selectorELNS0_4arch9wavefront6targetE0EEEvSI_
; %bb.0:
	.section	.rodata,"a",@progbits
	.p2align	6, 0x0
	.amdhsa_kernel _ZN7rocprim17ROCPRIM_400000_NS6detail17trampoline_kernelINS0_14default_configENS1_35radix_sort_onesweep_config_selectorIiiEEZZNS1_29radix_sort_onesweep_iterationIS3_Lb1EN6thrust23THRUST_200600_302600_NS6detail15normal_iteratorINS8_10device_ptrIiEEEESD_SD_SD_jNS0_19identity_decomposerENS1_16block_id_wrapperIjLb0EEEEE10hipError_tT1_PNSt15iterator_traitsISI_E10value_typeET2_T3_PNSJ_ISO_E10value_typeET4_T5_PST_SU_PNS1_23onesweep_lookback_stateEbbT6_jjT7_P12ihipStream_tbENKUlT_T0_SI_SN_E_clISD_SD_SD_SD_EEDaS11_S12_SI_SN_EUlS11_E_NS1_11comp_targetILNS1_3genE9ELNS1_11target_archE1100ELNS1_3gpuE3ELNS1_3repE0EEENS1_47radix_sort_onesweep_sort_config_static_selectorELNS0_4arch9wavefront6targetE0EEEvSI_
		.amdhsa_group_segment_fixed_size 0
		.amdhsa_private_segment_fixed_size 0
		.amdhsa_kernarg_size 88
		.amdhsa_user_sgpr_count 6
		.amdhsa_user_sgpr_private_segment_buffer 1
		.amdhsa_user_sgpr_dispatch_ptr 0
		.amdhsa_user_sgpr_queue_ptr 0
		.amdhsa_user_sgpr_kernarg_segment_ptr 1
		.amdhsa_user_sgpr_dispatch_id 0
		.amdhsa_user_sgpr_flat_scratch_init 0
		.amdhsa_user_sgpr_private_segment_size 0
		.amdhsa_wavefront_size32 1
		.amdhsa_uses_dynamic_stack 0
		.amdhsa_system_sgpr_private_segment_wavefront_offset 0
		.amdhsa_system_sgpr_workgroup_id_x 1
		.amdhsa_system_sgpr_workgroup_id_y 0
		.amdhsa_system_sgpr_workgroup_id_z 0
		.amdhsa_system_sgpr_workgroup_info 0
		.amdhsa_system_vgpr_workitem_id 0
		.amdhsa_next_free_vgpr 1
		.amdhsa_next_free_sgpr 1
		.amdhsa_reserve_vcc 0
		.amdhsa_reserve_flat_scratch 0
		.amdhsa_float_round_mode_32 0
		.amdhsa_float_round_mode_16_64 0
		.amdhsa_float_denorm_mode_32 3
		.amdhsa_float_denorm_mode_16_64 3
		.amdhsa_dx10_clamp 1
		.amdhsa_ieee_mode 1
		.amdhsa_fp16_overflow 0
		.amdhsa_workgroup_processor_mode 1
		.amdhsa_memory_ordered 1
		.amdhsa_forward_progress 1
		.amdhsa_shared_vgpr_count 0
		.amdhsa_exception_fp_ieee_invalid_op 0
		.amdhsa_exception_fp_denorm_src 0
		.amdhsa_exception_fp_ieee_div_zero 0
		.amdhsa_exception_fp_ieee_overflow 0
		.amdhsa_exception_fp_ieee_underflow 0
		.amdhsa_exception_fp_ieee_inexact 0
		.amdhsa_exception_int_div_zero 0
	.end_amdhsa_kernel
	.section	.text._ZN7rocprim17ROCPRIM_400000_NS6detail17trampoline_kernelINS0_14default_configENS1_35radix_sort_onesweep_config_selectorIiiEEZZNS1_29radix_sort_onesweep_iterationIS3_Lb1EN6thrust23THRUST_200600_302600_NS6detail15normal_iteratorINS8_10device_ptrIiEEEESD_SD_SD_jNS0_19identity_decomposerENS1_16block_id_wrapperIjLb0EEEEE10hipError_tT1_PNSt15iterator_traitsISI_E10value_typeET2_T3_PNSJ_ISO_E10value_typeET4_T5_PST_SU_PNS1_23onesweep_lookback_stateEbbT6_jjT7_P12ihipStream_tbENKUlT_T0_SI_SN_E_clISD_SD_SD_SD_EEDaS11_S12_SI_SN_EUlS11_E_NS1_11comp_targetILNS1_3genE9ELNS1_11target_archE1100ELNS1_3gpuE3ELNS1_3repE0EEENS1_47radix_sort_onesweep_sort_config_static_selectorELNS0_4arch9wavefront6targetE0EEEvSI_,"axG",@progbits,_ZN7rocprim17ROCPRIM_400000_NS6detail17trampoline_kernelINS0_14default_configENS1_35radix_sort_onesweep_config_selectorIiiEEZZNS1_29radix_sort_onesweep_iterationIS3_Lb1EN6thrust23THRUST_200600_302600_NS6detail15normal_iteratorINS8_10device_ptrIiEEEESD_SD_SD_jNS0_19identity_decomposerENS1_16block_id_wrapperIjLb0EEEEE10hipError_tT1_PNSt15iterator_traitsISI_E10value_typeET2_T3_PNSJ_ISO_E10value_typeET4_T5_PST_SU_PNS1_23onesweep_lookback_stateEbbT6_jjT7_P12ihipStream_tbENKUlT_T0_SI_SN_E_clISD_SD_SD_SD_EEDaS11_S12_SI_SN_EUlS11_E_NS1_11comp_targetILNS1_3genE9ELNS1_11target_archE1100ELNS1_3gpuE3ELNS1_3repE0EEENS1_47radix_sort_onesweep_sort_config_static_selectorELNS0_4arch9wavefront6targetE0EEEvSI_,comdat
.Lfunc_end1033:
	.size	_ZN7rocprim17ROCPRIM_400000_NS6detail17trampoline_kernelINS0_14default_configENS1_35radix_sort_onesweep_config_selectorIiiEEZZNS1_29radix_sort_onesweep_iterationIS3_Lb1EN6thrust23THRUST_200600_302600_NS6detail15normal_iteratorINS8_10device_ptrIiEEEESD_SD_SD_jNS0_19identity_decomposerENS1_16block_id_wrapperIjLb0EEEEE10hipError_tT1_PNSt15iterator_traitsISI_E10value_typeET2_T3_PNSJ_ISO_E10value_typeET4_T5_PST_SU_PNS1_23onesweep_lookback_stateEbbT6_jjT7_P12ihipStream_tbENKUlT_T0_SI_SN_E_clISD_SD_SD_SD_EEDaS11_S12_SI_SN_EUlS11_E_NS1_11comp_targetILNS1_3genE9ELNS1_11target_archE1100ELNS1_3gpuE3ELNS1_3repE0EEENS1_47radix_sort_onesweep_sort_config_static_selectorELNS0_4arch9wavefront6targetE0EEEvSI_, .Lfunc_end1033-_ZN7rocprim17ROCPRIM_400000_NS6detail17trampoline_kernelINS0_14default_configENS1_35radix_sort_onesweep_config_selectorIiiEEZZNS1_29radix_sort_onesweep_iterationIS3_Lb1EN6thrust23THRUST_200600_302600_NS6detail15normal_iteratorINS8_10device_ptrIiEEEESD_SD_SD_jNS0_19identity_decomposerENS1_16block_id_wrapperIjLb0EEEEE10hipError_tT1_PNSt15iterator_traitsISI_E10value_typeET2_T3_PNSJ_ISO_E10value_typeET4_T5_PST_SU_PNS1_23onesweep_lookback_stateEbbT6_jjT7_P12ihipStream_tbENKUlT_T0_SI_SN_E_clISD_SD_SD_SD_EEDaS11_S12_SI_SN_EUlS11_E_NS1_11comp_targetILNS1_3genE9ELNS1_11target_archE1100ELNS1_3gpuE3ELNS1_3repE0EEENS1_47radix_sort_onesweep_sort_config_static_selectorELNS0_4arch9wavefront6targetE0EEEvSI_
                                        ; -- End function
	.set _ZN7rocprim17ROCPRIM_400000_NS6detail17trampoline_kernelINS0_14default_configENS1_35radix_sort_onesweep_config_selectorIiiEEZZNS1_29radix_sort_onesweep_iterationIS3_Lb1EN6thrust23THRUST_200600_302600_NS6detail15normal_iteratorINS8_10device_ptrIiEEEESD_SD_SD_jNS0_19identity_decomposerENS1_16block_id_wrapperIjLb0EEEEE10hipError_tT1_PNSt15iterator_traitsISI_E10value_typeET2_T3_PNSJ_ISO_E10value_typeET4_T5_PST_SU_PNS1_23onesweep_lookback_stateEbbT6_jjT7_P12ihipStream_tbENKUlT_T0_SI_SN_E_clISD_SD_SD_SD_EEDaS11_S12_SI_SN_EUlS11_E_NS1_11comp_targetILNS1_3genE9ELNS1_11target_archE1100ELNS1_3gpuE3ELNS1_3repE0EEENS1_47radix_sort_onesweep_sort_config_static_selectorELNS0_4arch9wavefront6targetE0EEEvSI_.num_vgpr, 0
	.set _ZN7rocprim17ROCPRIM_400000_NS6detail17trampoline_kernelINS0_14default_configENS1_35radix_sort_onesweep_config_selectorIiiEEZZNS1_29radix_sort_onesweep_iterationIS3_Lb1EN6thrust23THRUST_200600_302600_NS6detail15normal_iteratorINS8_10device_ptrIiEEEESD_SD_SD_jNS0_19identity_decomposerENS1_16block_id_wrapperIjLb0EEEEE10hipError_tT1_PNSt15iterator_traitsISI_E10value_typeET2_T3_PNSJ_ISO_E10value_typeET4_T5_PST_SU_PNS1_23onesweep_lookback_stateEbbT6_jjT7_P12ihipStream_tbENKUlT_T0_SI_SN_E_clISD_SD_SD_SD_EEDaS11_S12_SI_SN_EUlS11_E_NS1_11comp_targetILNS1_3genE9ELNS1_11target_archE1100ELNS1_3gpuE3ELNS1_3repE0EEENS1_47radix_sort_onesweep_sort_config_static_selectorELNS0_4arch9wavefront6targetE0EEEvSI_.num_agpr, 0
	.set _ZN7rocprim17ROCPRIM_400000_NS6detail17trampoline_kernelINS0_14default_configENS1_35radix_sort_onesweep_config_selectorIiiEEZZNS1_29radix_sort_onesweep_iterationIS3_Lb1EN6thrust23THRUST_200600_302600_NS6detail15normal_iteratorINS8_10device_ptrIiEEEESD_SD_SD_jNS0_19identity_decomposerENS1_16block_id_wrapperIjLb0EEEEE10hipError_tT1_PNSt15iterator_traitsISI_E10value_typeET2_T3_PNSJ_ISO_E10value_typeET4_T5_PST_SU_PNS1_23onesweep_lookback_stateEbbT6_jjT7_P12ihipStream_tbENKUlT_T0_SI_SN_E_clISD_SD_SD_SD_EEDaS11_S12_SI_SN_EUlS11_E_NS1_11comp_targetILNS1_3genE9ELNS1_11target_archE1100ELNS1_3gpuE3ELNS1_3repE0EEENS1_47radix_sort_onesweep_sort_config_static_selectorELNS0_4arch9wavefront6targetE0EEEvSI_.numbered_sgpr, 0
	.set _ZN7rocprim17ROCPRIM_400000_NS6detail17trampoline_kernelINS0_14default_configENS1_35radix_sort_onesweep_config_selectorIiiEEZZNS1_29radix_sort_onesweep_iterationIS3_Lb1EN6thrust23THRUST_200600_302600_NS6detail15normal_iteratorINS8_10device_ptrIiEEEESD_SD_SD_jNS0_19identity_decomposerENS1_16block_id_wrapperIjLb0EEEEE10hipError_tT1_PNSt15iterator_traitsISI_E10value_typeET2_T3_PNSJ_ISO_E10value_typeET4_T5_PST_SU_PNS1_23onesweep_lookback_stateEbbT6_jjT7_P12ihipStream_tbENKUlT_T0_SI_SN_E_clISD_SD_SD_SD_EEDaS11_S12_SI_SN_EUlS11_E_NS1_11comp_targetILNS1_3genE9ELNS1_11target_archE1100ELNS1_3gpuE3ELNS1_3repE0EEENS1_47radix_sort_onesweep_sort_config_static_selectorELNS0_4arch9wavefront6targetE0EEEvSI_.num_named_barrier, 0
	.set _ZN7rocprim17ROCPRIM_400000_NS6detail17trampoline_kernelINS0_14default_configENS1_35radix_sort_onesweep_config_selectorIiiEEZZNS1_29radix_sort_onesweep_iterationIS3_Lb1EN6thrust23THRUST_200600_302600_NS6detail15normal_iteratorINS8_10device_ptrIiEEEESD_SD_SD_jNS0_19identity_decomposerENS1_16block_id_wrapperIjLb0EEEEE10hipError_tT1_PNSt15iterator_traitsISI_E10value_typeET2_T3_PNSJ_ISO_E10value_typeET4_T5_PST_SU_PNS1_23onesweep_lookback_stateEbbT6_jjT7_P12ihipStream_tbENKUlT_T0_SI_SN_E_clISD_SD_SD_SD_EEDaS11_S12_SI_SN_EUlS11_E_NS1_11comp_targetILNS1_3genE9ELNS1_11target_archE1100ELNS1_3gpuE3ELNS1_3repE0EEENS1_47radix_sort_onesweep_sort_config_static_selectorELNS0_4arch9wavefront6targetE0EEEvSI_.private_seg_size, 0
	.set _ZN7rocprim17ROCPRIM_400000_NS6detail17trampoline_kernelINS0_14default_configENS1_35radix_sort_onesweep_config_selectorIiiEEZZNS1_29radix_sort_onesweep_iterationIS3_Lb1EN6thrust23THRUST_200600_302600_NS6detail15normal_iteratorINS8_10device_ptrIiEEEESD_SD_SD_jNS0_19identity_decomposerENS1_16block_id_wrapperIjLb0EEEEE10hipError_tT1_PNSt15iterator_traitsISI_E10value_typeET2_T3_PNSJ_ISO_E10value_typeET4_T5_PST_SU_PNS1_23onesweep_lookback_stateEbbT6_jjT7_P12ihipStream_tbENKUlT_T0_SI_SN_E_clISD_SD_SD_SD_EEDaS11_S12_SI_SN_EUlS11_E_NS1_11comp_targetILNS1_3genE9ELNS1_11target_archE1100ELNS1_3gpuE3ELNS1_3repE0EEENS1_47radix_sort_onesweep_sort_config_static_selectorELNS0_4arch9wavefront6targetE0EEEvSI_.uses_vcc, 0
	.set _ZN7rocprim17ROCPRIM_400000_NS6detail17trampoline_kernelINS0_14default_configENS1_35radix_sort_onesweep_config_selectorIiiEEZZNS1_29radix_sort_onesweep_iterationIS3_Lb1EN6thrust23THRUST_200600_302600_NS6detail15normal_iteratorINS8_10device_ptrIiEEEESD_SD_SD_jNS0_19identity_decomposerENS1_16block_id_wrapperIjLb0EEEEE10hipError_tT1_PNSt15iterator_traitsISI_E10value_typeET2_T3_PNSJ_ISO_E10value_typeET4_T5_PST_SU_PNS1_23onesweep_lookback_stateEbbT6_jjT7_P12ihipStream_tbENKUlT_T0_SI_SN_E_clISD_SD_SD_SD_EEDaS11_S12_SI_SN_EUlS11_E_NS1_11comp_targetILNS1_3genE9ELNS1_11target_archE1100ELNS1_3gpuE3ELNS1_3repE0EEENS1_47radix_sort_onesweep_sort_config_static_selectorELNS0_4arch9wavefront6targetE0EEEvSI_.uses_flat_scratch, 0
	.set _ZN7rocprim17ROCPRIM_400000_NS6detail17trampoline_kernelINS0_14default_configENS1_35radix_sort_onesweep_config_selectorIiiEEZZNS1_29radix_sort_onesweep_iterationIS3_Lb1EN6thrust23THRUST_200600_302600_NS6detail15normal_iteratorINS8_10device_ptrIiEEEESD_SD_SD_jNS0_19identity_decomposerENS1_16block_id_wrapperIjLb0EEEEE10hipError_tT1_PNSt15iterator_traitsISI_E10value_typeET2_T3_PNSJ_ISO_E10value_typeET4_T5_PST_SU_PNS1_23onesweep_lookback_stateEbbT6_jjT7_P12ihipStream_tbENKUlT_T0_SI_SN_E_clISD_SD_SD_SD_EEDaS11_S12_SI_SN_EUlS11_E_NS1_11comp_targetILNS1_3genE9ELNS1_11target_archE1100ELNS1_3gpuE3ELNS1_3repE0EEENS1_47radix_sort_onesweep_sort_config_static_selectorELNS0_4arch9wavefront6targetE0EEEvSI_.has_dyn_sized_stack, 0
	.set _ZN7rocprim17ROCPRIM_400000_NS6detail17trampoline_kernelINS0_14default_configENS1_35radix_sort_onesweep_config_selectorIiiEEZZNS1_29radix_sort_onesweep_iterationIS3_Lb1EN6thrust23THRUST_200600_302600_NS6detail15normal_iteratorINS8_10device_ptrIiEEEESD_SD_SD_jNS0_19identity_decomposerENS1_16block_id_wrapperIjLb0EEEEE10hipError_tT1_PNSt15iterator_traitsISI_E10value_typeET2_T3_PNSJ_ISO_E10value_typeET4_T5_PST_SU_PNS1_23onesweep_lookback_stateEbbT6_jjT7_P12ihipStream_tbENKUlT_T0_SI_SN_E_clISD_SD_SD_SD_EEDaS11_S12_SI_SN_EUlS11_E_NS1_11comp_targetILNS1_3genE9ELNS1_11target_archE1100ELNS1_3gpuE3ELNS1_3repE0EEENS1_47radix_sort_onesweep_sort_config_static_selectorELNS0_4arch9wavefront6targetE0EEEvSI_.has_recursion, 0
	.set _ZN7rocprim17ROCPRIM_400000_NS6detail17trampoline_kernelINS0_14default_configENS1_35radix_sort_onesweep_config_selectorIiiEEZZNS1_29radix_sort_onesweep_iterationIS3_Lb1EN6thrust23THRUST_200600_302600_NS6detail15normal_iteratorINS8_10device_ptrIiEEEESD_SD_SD_jNS0_19identity_decomposerENS1_16block_id_wrapperIjLb0EEEEE10hipError_tT1_PNSt15iterator_traitsISI_E10value_typeET2_T3_PNSJ_ISO_E10value_typeET4_T5_PST_SU_PNS1_23onesweep_lookback_stateEbbT6_jjT7_P12ihipStream_tbENKUlT_T0_SI_SN_E_clISD_SD_SD_SD_EEDaS11_S12_SI_SN_EUlS11_E_NS1_11comp_targetILNS1_3genE9ELNS1_11target_archE1100ELNS1_3gpuE3ELNS1_3repE0EEENS1_47radix_sort_onesweep_sort_config_static_selectorELNS0_4arch9wavefront6targetE0EEEvSI_.has_indirect_call, 0
	.section	.AMDGPU.csdata,"",@progbits
; Kernel info:
; codeLenInByte = 0
; TotalNumSgprs: 0
; NumVgprs: 0
; ScratchSize: 0
; MemoryBound: 0
; FloatMode: 240
; IeeeMode: 1
; LDSByteSize: 0 bytes/workgroup (compile time only)
; SGPRBlocks: 0
; VGPRBlocks: 0
; NumSGPRsForWavesPerEU: 1
; NumVGPRsForWavesPerEU: 1
; Occupancy: 16
; WaveLimiterHint : 0
; COMPUTE_PGM_RSRC2:SCRATCH_EN: 0
; COMPUTE_PGM_RSRC2:USER_SGPR: 6
; COMPUTE_PGM_RSRC2:TRAP_HANDLER: 0
; COMPUTE_PGM_RSRC2:TGID_X_EN: 1
; COMPUTE_PGM_RSRC2:TGID_Y_EN: 0
; COMPUTE_PGM_RSRC2:TGID_Z_EN: 0
; COMPUTE_PGM_RSRC2:TIDIG_COMP_CNT: 0
	.section	.text._ZN7rocprim17ROCPRIM_400000_NS6detail17trampoline_kernelINS0_14default_configENS1_35radix_sort_onesweep_config_selectorIiiEEZZNS1_29radix_sort_onesweep_iterationIS3_Lb1EN6thrust23THRUST_200600_302600_NS6detail15normal_iteratorINS8_10device_ptrIiEEEESD_SD_SD_jNS0_19identity_decomposerENS1_16block_id_wrapperIjLb0EEEEE10hipError_tT1_PNSt15iterator_traitsISI_E10value_typeET2_T3_PNSJ_ISO_E10value_typeET4_T5_PST_SU_PNS1_23onesweep_lookback_stateEbbT6_jjT7_P12ihipStream_tbENKUlT_T0_SI_SN_E_clISD_SD_SD_SD_EEDaS11_S12_SI_SN_EUlS11_E_NS1_11comp_targetILNS1_3genE8ELNS1_11target_archE1030ELNS1_3gpuE2ELNS1_3repE0EEENS1_47radix_sort_onesweep_sort_config_static_selectorELNS0_4arch9wavefront6targetE0EEEvSI_,"axG",@progbits,_ZN7rocprim17ROCPRIM_400000_NS6detail17trampoline_kernelINS0_14default_configENS1_35radix_sort_onesweep_config_selectorIiiEEZZNS1_29radix_sort_onesweep_iterationIS3_Lb1EN6thrust23THRUST_200600_302600_NS6detail15normal_iteratorINS8_10device_ptrIiEEEESD_SD_SD_jNS0_19identity_decomposerENS1_16block_id_wrapperIjLb0EEEEE10hipError_tT1_PNSt15iterator_traitsISI_E10value_typeET2_T3_PNSJ_ISO_E10value_typeET4_T5_PST_SU_PNS1_23onesweep_lookback_stateEbbT6_jjT7_P12ihipStream_tbENKUlT_T0_SI_SN_E_clISD_SD_SD_SD_EEDaS11_S12_SI_SN_EUlS11_E_NS1_11comp_targetILNS1_3genE8ELNS1_11target_archE1030ELNS1_3gpuE2ELNS1_3repE0EEENS1_47radix_sort_onesweep_sort_config_static_selectorELNS0_4arch9wavefront6targetE0EEEvSI_,comdat
	.protected	_ZN7rocprim17ROCPRIM_400000_NS6detail17trampoline_kernelINS0_14default_configENS1_35radix_sort_onesweep_config_selectorIiiEEZZNS1_29radix_sort_onesweep_iterationIS3_Lb1EN6thrust23THRUST_200600_302600_NS6detail15normal_iteratorINS8_10device_ptrIiEEEESD_SD_SD_jNS0_19identity_decomposerENS1_16block_id_wrapperIjLb0EEEEE10hipError_tT1_PNSt15iterator_traitsISI_E10value_typeET2_T3_PNSJ_ISO_E10value_typeET4_T5_PST_SU_PNS1_23onesweep_lookback_stateEbbT6_jjT7_P12ihipStream_tbENKUlT_T0_SI_SN_E_clISD_SD_SD_SD_EEDaS11_S12_SI_SN_EUlS11_E_NS1_11comp_targetILNS1_3genE8ELNS1_11target_archE1030ELNS1_3gpuE2ELNS1_3repE0EEENS1_47radix_sort_onesweep_sort_config_static_selectorELNS0_4arch9wavefront6targetE0EEEvSI_ ; -- Begin function _ZN7rocprim17ROCPRIM_400000_NS6detail17trampoline_kernelINS0_14default_configENS1_35radix_sort_onesweep_config_selectorIiiEEZZNS1_29radix_sort_onesweep_iterationIS3_Lb1EN6thrust23THRUST_200600_302600_NS6detail15normal_iteratorINS8_10device_ptrIiEEEESD_SD_SD_jNS0_19identity_decomposerENS1_16block_id_wrapperIjLb0EEEEE10hipError_tT1_PNSt15iterator_traitsISI_E10value_typeET2_T3_PNSJ_ISO_E10value_typeET4_T5_PST_SU_PNS1_23onesweep_lookback_stateEbbT6_jjT7_P12ihipStream_tbENKUlT_T0_SI_SN_E_clISD_SD_SD_SD_EEDaS11_S12_SI_SN_EUlS11_E_NS1_11comp_targetILNS1_3genE8ELNS1_11target_archE1030ELNS1_3gpuE2ELNS1_3repE0EEENS1_47radix_sort_onesweep_sort_config_static_selectorELNS0_4arch9wavefront6targetE0EEEvSI_
	.globl	_ZN7rocprim17ROCPRIM_400000_NS6detail17trampoline_kernelINS0_14default_configENS1_35radix_sort_onesweep_config_selectorIiiEEZZNS1_29radix_sort_onesweep_iterationIS3_Lb1EN6thrust23THRUST_200600_302600_NS6detail15normal_iteratorINS8_10device_ptrIiEEEESD_SD_SD_jNS0_19identity_decomposerENS1_16block_id_wrapperIjLb0EEEEE10hipError_tT1_PNSt15iterator_traitsISI_E10value_typeET2_T3_PNSJ_ISO_E10value_typeET4_T5_PST_SU_PNS1_23onesweep_lookback_stateEbbT6_jjT7_P12ihipStream_tbENKUlT_T0_SI_SN_E_clISD_SD_SD_SD_EEDaS11_S12_SI_SN_EUlS11_E_NS1_11comp_targetILNS1_3genE8ELNS1_11target_archE1030ELNS1_3gpuE2ELNS1_3repE0EEENS1_47radix_sort_onesweep_sort_config_static_selectorELNS0_4arch9wavefront6targetE0EEEvSI_
	.p2align	8
	.type	_ZN7rocprim17ROCPRIM_400000_NS6detail17trampoline_kernelINS0_14default_configENS1_35radix_sort_onesweep_config_selectorIiiEEZZNS1_29radix_sort_onesweep_iterationIS3_Lb1EN6thrust23THRUST_200600_302600_NS6detail15normal_iteratorINS8_10device_ptrIiEEEESD_SD_SD_jNS0_19identity_decomposerENS1_16block_id_wrapperIjLb0EEEEE10hipError_tT1_PNSt15iterator_traitsISI_E10value_typeET2_T3_PNSJ_ISO_E10value_typeET4_T5_PST_SU_PNS1_23onesweep_lookback_stateEbbT6_jjT7_P12ihipStream_tbENKUlT_T0_SI_SN_E_clISD_SD_SD_SD_EEDaS11_S12_SI_SN_EUlS11_E_NS1_11comp_targetILNS1_3genE8ELNS1_11target_archE1030ELNS1_3gpuE2ELNS1_3repE0EEENS1_47radix_sort_onesweep_sort_config_static_selectorELNS0_4arch9wavefront6targetE0EEEvSI_,@function
_ZN7rocprim17ROCPRIM_400000_NS6detail17trampoline_kernelINS0_14default_configENS1_35radix_sort_onesweep_config_selectorIiiEEZZNS1_29radix_sort_onesweep_iterationIS3_Lb1EN6thrust23THRUST_200600_302600_NS6detail15normal_iteratorINS8_10device_ptrIiEEEESD_SD_SD_jNS0_19identity_decomposerENS1_16block_id_wrapperIjLb0EEEEE10hipError_tT1_PNSt15iterator_traitsISI_E10value_typeET2_T3_PNSJ_ISO_E10value_typeET4_T5_PST_SU_PNS1_23onesweep_lookback_stateEbbT6_jjT7_P12ihipStream_tbENKUlT_T0_SI_SN_E_clISD_SD_SD_SD_EEDaS11_S12_SI_SN_EUlS11_E_NS1_11comp_targetILNS1_3genE8ELNS1_11target_archE1030ELNS1_3gpuE2ELNS1_3repE0EEENS1_47radix_sort_onesweep_sort_config_static_selectorELNS0_4arch9wavefront6targetE0EEEvSI_: ; @_ZN7rocprim17ROCPRIM_400000_NS6detail17trampoline_kernelINS0_14default_configENS1_35radix_sort_onesweep_config_selectorIiiEEZZNS1_29radix_sort_onesweep_iterationIS3_Lb1EN6thrust23THRUST_200600_302600_NS6detail15normal_iteratorINS8_10device_ptrIiEEEESD_SD_SD_jNS0_19identity_decomposerENS1_16block_id_wrapperIjLb0EEEEE10hipError_tT1_PNSt15iterator_traitsISI_E10value_typeET2_T3_PNSJ_ISO_E10value_typeET4_T5_PST_SU_PNS1_23onesweep_lookback_stateEbbT6_jjT7_P12ihipStream_tbENKUlT_T0_SI_SN_E_clISD_SD_SD_SD_EEDaS11_S12_SI_SN_EUlS11_E_NS1_11comp_targetILNS1_3genE8ELNS1_11target_archE1030ELNS1_3gpuE2ELNS1_3repE0EEENS1_47radix_sort_onesweep_sort_config_static_selectorELNS0_4arch9wavefront6targetE0EEEvSI_
; %bb.0:
	s_clause 0x3
	s_load_dwordx4 s[44:47], s[4:5], 0x44
	s_load_dwordx8 s[36:43], s[4:5], 0x0
	s_load_dwordx4 s[28:31], s[4:5], 0x28
	s_load_dwordx2 s[26:27], s[4:5], 0x38
	v_mbcnt_lo_u32_b32 v11, -1, 0
	v_and_b32_e32 v12, 0x3e0, v0
	s_add_u32 s0, s0, s7
	s_addc_u32 s1, s1, 0
	s_mov_b32 s7, -1
	s_mul_i32 s34, s6, 0x3000
	s_waitcnt lgkmcnt(0)
	s_cmp_ge_u32 s6, s46
	s_cbranch_scc0 .LBB1034_132
; %bb.1:
	s_load_dword s25, s[4:5], 0x20
	s_mov_b32 s35, 0
	s_mul_i32 s7, s46, 0xffffd000
	v_mul_u32_u24_e32 v3, 12, v12
	v_lshlrev_b32_e32 v13, 2, v11
	s_lshl_b64 s[46:47], s[34:35], 2
	v_mov_b32_e32 v15, -1
	v_mov_b32_e32 v16, -1
	v_lshlrev_b32_e32 v14, 2, v3
	v_or_b32_e32 v5, v11, v3
	s_waitcnt lgkmcnt(0)
	s_add_i32 s25, s25, s7
	s_add_u32 s7, s36, s46
	s_addc_u32 s8, s37, s47
	v_add_co_u32 v3, s7, s7, v13
	v_add_co_ci_u32_e64 v4, null, s8, 0, s7
	v_cmp_gt_u32_e64 s7, s25, v5
	v_add_co_u32 v3, vcc_lo, v3, v14
	v_add_co_ci_u32_e64 v4, null, 0, v4, vcc_lo
	s_and_saveexec_b32 s8, s7
	s_cbranch_execz .LBB1034_3
; %bb.2:
	global_load_dword v6, v[3:4], off
	s_waitcnt vmcnt(0)
	v_xor_b32_e32 v16, 0x7fffffff, v6
.LBB1034_3:
	s_or_b32 exec_lo, exec_lo, s8
	v_or_b32_e32 v6, 32, v5
	v_cmp_gt_u32_e64 s8, s25, v6
	s_and_saveexec_b32 s9, s8
	s_cbranch_execz .LBB1034_5
; %bb.4:
	global_load_dword v6, v[3:4], off offset:128
	s_waitcnt vmcnt(0)
	v_xor_b32_e32 v15, 0x7fffffff, v6
.LBB1034_5:
	s_or_b32 exec_lo, exec_lo, s9
	v_or_b32_e32 v6, 64, v5
	v_mov_b32_e32 v17, -1
	v_mov_b32_e32 v18, -1
	v_cmp_gt_u32_e64 s9, s25, v6
	s_and_saveexec_b32 s10, s9
	s_cbranch_execz .LBB1034_7
; %bb.6:
	global_load_dword v6, v[3:4], off offset:256
	s_waitcnt vmcnt(0)
	v_xor_b32_e32 v18, 0x7fffffff, v6
.LBB1034_7:
	s_or_b32 exec_lo, exec_lo, s10
	v_or_b32_e32 v6, 0x60, v5
	v_cmp_gt_u32_e64 s10, s25, v6
	s_and_saveexec_b32 s11, s10
	s_cbranch_execz .LBB1034_9
; %bb.8:
	global_load_dword v6, v[3:4], off offset:384
	s_waitcnt vmcnt(0)
	v_xor_b32_e32 v17, 0x7fffffff, v6
.LBB1034_9:
	s_or_b32 exec_lo, exec_lo, s11
	v_add_nc_u32_e32 v6, 0x80, v5
	v_mov_b32_e32 v19, -1
	v_mov_b32_e32 v20, -1
	v_cmp_gt_u32_e64 s11, s25, v6
	s_and_saveexec_b32 s12, s11
	s_cbranch_execz .LBB1034_11
; %bb.10:
	global_load_dword v6, v[3:4], off offset:512
	s_waitcnt vmcnt(0)
	v_xor_b32_e32 v20, 0x7fffffff, v6
.LBB1034_11:
	s_or_b32 exec_lo, exec_lo, s12
	v_add_nc_u32_e32 v6, 0xa0, v5
	v_cmp_gt_u32_e64 s12, s25, v6
	s_and_saveexec_b32 s13, s12
	s_cbranch_execz .LBB1034_13
; %bb.12:
	global_load_dword v6, v[3:4], off offset:640
	s_waitcnt vmcnt(0)
	v_xor_b32_e32 v19, 0x7fffffff, v6
.LBB1034_13:
	s_or_b32 exec_lo, exec_lo, s13
	v_add_nc_u32_e32 v6, 0xc0, v5
	v_mov_b32_e32 v21, -1
	v_mov_b32_e32 v22, -1
	v_cmp_gt_u32_e64 s13, s25, v6
	s_and_saveexec_b32 s14, s13
	s_cbranch_execz .LBB1034_15
; %bb.14:
	global_load_dword v6, v[3:4], off offset:768
	s_waitcnt vmcnt(0)
	v_xor_b32_e32 v22, 0x7fffffff, v6
.LBB1034_15:
	s_or_b32 exec_lo, exec_lo, s14
	v_add_nc_u32_e32 v6, 0xe0, v5
	;; [unrolled: 22-line block ×4, first 2 shown]
	v_cmp_gt_u32_e64 s18, s25, v5
	s_and_saveexec_b32 s19, s18
	s_cbranch_execz .LBB1034_25
; %bb.24:
	global_load_dword v3, v[3:4], off offset:1408
	s_waitcnt vmcnt(0)
	v_xor_b32_e32 v25, 0x7fffffff, v3
.LBB1034_25:
	s_or_b32 exec_lo, exec_lo, s19
	s_clause 0x1
	s_load_dword s19, s[4:5], 0x64
	s_load_dword s33, s[4:5], 0x58
	s_add_u32 s20, s4, 0x58
	s_addc_u32 s21, s5, 0
	v_mov_b32_e32 v5, 0
	v_lshrrev_b32_e32 v4, s44, v16
	s_waitcnt lgkmcnt(0)
	s_lshr_b32 s22, s19, 16
	s_cmp_lt_u32 s6, s33
	s_cselect_b32 s19, 12, 18
	s_add_u32 s20, s20, s19
	s_addc_u32 s21, s21, 0
	s_lshl_b32 s19, -1, s45
	global_load_ushort v3, v5, s[20:21]
	s_not_b32 s35, s19
	v_and_b32_e32 v6, s35, v4
	v_and_b32_e32 v4, 1, v6
	v_lshlrev_b32_e32 v7, 30, v6
	v_lshlrev_b32_e32 v8, 29, v6
	;; [unrolled: 1-line block ×4, first 2 shown]
	v_add_co_u32 v4, s19, v4, -1
	v_cndmask_b32_e64 v10, 0, 1, s19
	v_not_b32_e32 v30, v7
	v_cmp_gt_i32_e64 s19, 0, v7
	v_not_b32_e32 v7, v8
	v_lshlrev_b32_e32 v28, 26, v6
	v_cmp_ne_u32_e32 vcc_lo, 0, v10
	v_ashrrev_i32_e32 v30, 31, v30
	v_lshlrev_b32_e32 v29, 25, v6
	v_ashrrev_i32_e32 v7, 31, v7
	v_lshlrev_b32_e32 v10, 24, v6
	v_xor_b32_e32 v4, vcc_lo, v4
	v_cmp_gt_i32_e32 vcc_lo, 0, v8
	v_not_b32_e32 v8, v9
	v_xor_b32_e32 v30, s19, v30
	v_cmp_gt_i32_e64 s19, 0, v9
	v_and_b32_e32 v4, exec_lo, v4
	v_not_b32_e32 v9, v27
	v_ashrrev_i32_e32 v8, 31, v8
	v_xor_b32_e32 v7, vcc_lo, v7
	v_cmp_gt_i32_e32 vcc_lo, 0, v27
	v_and_b32_e32 v4, v4, v30
	v_not_b32_e32 v27, v28
	v_ashrrev_i32_e32 v9, 31, v9
	v_xor_b32_e32 v8, s19, v8
	v_cmp_gt_i32_e64 s19, 0, v28
	v_and_b32_e32 v4, v4, v7
	v_not_b32_e32 v7, v29
	v_ashrrev_i32_e32 v27, 31, v27
	v_xor_b32_e32 v9, vcc_lo, v9
	v_cmp_gt_i32_e32 vcc_lo, 0, v29
	v_and_b32_e32 v4, v4, v8
	v_not_b32_e32 v8, v10
	v_ashrrev_i32_e32 v7, 31, v7
	v_xor_b32_e32 v27, s19, v27
	v_cmp_gt_i32_e64 s19, 0, v10
	v_and_b32_e32 v4, v4, v9
	v_ashrrev_i32_e32 v8, 31, v8
	v_xor_b32_e32 v7, vcc_lo, v7
	v_mad_u32_u24 v9, v2, s22, v1
	v_mul_lo_u32 v6, 0x84, v6
	v_and_b32_e32 v4, v4, v27
	v_xor_b32_e32 v8, s19, v8
	v_mul_u32_u24_e32 v30, 36, v0
	ds_write2_b32 v30, v5, v5 offset0:32 offset1:33
	ds_write2_b32 v30, v5, v5 offset0:34 offset1:35
	;; [unrolled: 1-line block ×3, first 2 shown]
	v_and_b32_e32 v7, v4, v7
	ds_write2_b32 v30, v5, v5 offset0:38 offset1:39
	ds_write_b32 v30, v5 offset:160
	s_waitcnt vmcnt(0) lgkmcnt(0)
	s_barrier
	buffer_gl0_inv
	; wave barrier
	v_mad_u64_u32 v[3:4], null, v9, v3, v[0:1]
	v_and_b32_e32 v4, v7, v8
	v_mbcnt_lo_u32_b32 v27, v4, 0
	v_lshrrev_b32_e32 v3, 5, v3
	v_cmp_ne_u32_e64 s19, 0, v4
	v_cmp_eq_u32_e32 vcc_lo, 0, v27
	v_lshl_add_u32 v31, v3, 2, v6
	s_and_b32 s20, s19, vcc_lo
	s_and_saveexec_b32 s19, s20
; %bb.26:
	v_bcnt_u32_b32 v4, v4, 0
	ds_write_b32 v31, v4 offset:128
; %bb.27:
	s_or_b32 exec_lo, exec_lo, s19
	v_lshrrev_b32_e32 v4, s44, v15
	; wave barrier
	v_and_b32_e32 v4, s35, v4
	v_and_b32_e32 v6, 1, v4
	v_lshlrev_b32_e32 v7, 30, v4
	v_lshlrev_b32_e32 v8, 29, v4
	;; [unrolled: 1-line block ×4, first 2 shown]
	v_add_co_u32 v6, s19, v6, -1
	v_cndmask_b32_e64 v10, 0, 1, s19
	v_not_b32_e32 v33, v7
	v_cmp_gt_i32_e64 s19, 0, v7
	v_not_b32_e32 v7, v8
	v_lshlrev_b32_e32 v29, 26, v4
	v_cmp_ne_u32_e32 vcc_lo, 0, v10
	v_ashrrev_i32_e32 v10, 31, v33
	v_lshlrev_b32_e32 v32, 25, v4
	v_ashrrev_i32_e32 v7, 31, v7
	v_mul_lo_u32 v5, 0x84, v4
	v_xor_b32_e32 v6, vcc_lo, v6
	v_cmp_gt_i32_e32 vcc_lo, 0, v8
	v_not_b32_e32 v8, v9
	v_xor_b32_e32 v10, s19, v10
	v_cmp_gt_i32_e64 s19, 0, v9
	v_and_b32_e32 v6, exec_lo, v6
	v_not_b32_e32 v9, v28
	v_ashrrev_i32_e32 v8, 31, v8
	v_xor_b32_e32 v7, vcc_lo, v7
	v_cmp_gt_i32_e32 vcc_lo, 0, v28
	v_and_b32_e32 v6, v6, v10
	v_not_b32_e32 v10, v29
	v_ashrrev_i32_e32 v9, 31, v9
	v_xor_b32_e32 v8, s19, v8
	v_lshlrev_b32_e32 v4, 24, v4
	v_and_b32_e32 v6, v6, v7
	v_cmp_gt_i32_e64 s19, 0, v29
	v_not_b32_e32 v7, v32
	v_ashrrev_i32_e32 v10, 31, v10
	v_xor_b32_e32 v9, vcc_lo, v9
	v_and_b32_e32 v6, v6, v8
	v_cmp_gt_i32_e32 vcc_lo, 0, v32
	v_not_b32_e32 v8, v4
	v_ashrrev_i32_e32 v7, 31, v7
	v_xor_b32_e32 v10, s19, v10
	v_and_b32_e32 v6, v6, v9
	v_cmp_gt_i32_e64 s19, 0, v4
	v_ashrrev_i32_e32 v4, 31, v8
	v_xor_b32_e32 v7, vcc_lo, v7
	v_lshl_add_u32 v34, v3, 2, v5
	v_and_b32_e32 v6, v6, v10
	v_xor_b32_e32 v4, s19, v4
	ds_read_b32 v28, v34 offset:128
	v_and_b32_e32 v5, v6, v7
	; wave barrier
	v_and_b32_e32 v4, v5, v4
	v_mbcnt_lo_u32_b32 v29, v4, 0
	v_cmp_ne_u32_e64 s19, 0, v4
	v_cmp_eq_u32_e32 vcc_lo, 0, v29
	s_and_b32 s20, s19, vcc_lo
	s_and_saveexec_b32 s19, s20
	s_cbranch_execz .LBB1034_29
; %bb.28:
	s_waitcnt lgkmcnt(0)
	v_bcnt_u32_b32 v4, v4, v28
	ds_write_b32 v34, v4 offset:128
.LBB1034_29:
	s_or_b32 exec_lo, exec_lo, s19
	v_lshrrev_b32_e32 v4, s44, v18
	; wave barrier
	v_and_b32_e32 v4, s35, v4
	v_and_b32_e32 v6, 1, v4
	v_lshlrev_b32_e32 v7, 30, v4
	v_lshlrev_b32_e32 v8, 29, v4
	;; [unrolled: 1-line block ×4, first 2 shown]
	v_add_co_u32 v6, s19, v6, -1
	v_cndmask_b32_e64 v10, 0, 1, s19
	v_not_b32_e32 v36, v7
	v_cmp_gt_i32_e64 s19, 0, v7
	v_not_b32_e32 v7, v8
	v_lshlrev_b32_e32 v33, 26, v4
	v_cmp_ne_u32_e32 vcc_lo, 0, v10
	v_ashrrev_i32_e32 v10, 31, v36
	v_lshlrev_b32_e32 v35, 25, v4
	v_ashrrev_i32_e32 v7, 31, v7
	v_mul_lo_u32 v5, 0x84, v4
	v_xor_b32_e32 v6, vcc_lo, v6
	v_cmp_gt_i32_e32 vcc_lo, 0, v8
	v_not_b32_e32 v8, v9
	v_xor_b32_e32 v10, s19, v10
	v_cmp_gt_i32_e64 s19, 0, v9
	v_and_b32_e32 v6, exec_lo, v6
	v_not_b32_e32 v9, v32
	v_ashrrev_i32_e32 v8, 31, v8
	v_xor_b32_e32 v7, vcc_lo, v7
	v_cmp_gt_i32_e32 vcc_lo, 0, v32
	v_and_b32_e32 v6, v6, v10
	v_not_b32_e32 v10, v33
	v_ashrrev_i32_e32 v9, 31, v9
	v_xor_b32_e32 v8, s19, v8
	v_lshlrev_b32_e32 v4, 24, v4
	v_and_b32_e32 v6, v6, v7
	v_cmp_gt_i32_e64 s19, 0, v33
	v_not_b32_e32 v7, v35
	v_ashrrev_i32_e32 v10, 31, v10
	v_xor_b32_e32 v9, vcc_lo, v9
	v_and_b32_e32 v6, v6, v8
	v_cmp_gt_i32_e32 vcc_lo, 0, v35
	v_not_b32_e32 v8, v4
	v_ashrrev_i32_e32 v7, 31, v7
	v_xor_b32_e32 v10, s19, v10
	v_and_b32_e32 v6, v6, v9
	v_cmp_gt_i32_e64 s19, 0, v4
	v_ashrrev_i32_e32 v4, 31, v8
	v_xor_b32_e32 v7, vcc_lo, v7
	v_lshl_add_u32 v37, v3, 2, v5
	v_and_b32_e32 v6, v6, v10
	v_xor_b32_e32 v4, s19, v4
	ds_read_b32 v32, v37 offset:128
	v_and_b32_e32 v5, v6, v7
	; wave barrier
	v_and_b32_e32 v4, v5, v4
	v_mbcnt_lo_u32_b32 v33, v4, 0
	v_cmp_ne_u32_e64 s19, 0, v4
	v_cmp_eq_u32_e32 vcc_lo, 0, v33
	s_and_b32 s20, s19, vcc_lo
	s_and_saveexec_b32 s19, s20
	s_cbranch_execz .LBB1034_31
; %bb.30:
	s_waitcnt lgkmcnt(0)
	v_bcnt_u32_b32 v4, v4, v32
	ds_write_b32 v37, v4 offset:128
.LBB1034_31:
	s_or_b32 exec_lo, exec_lo, s19
	v_lshrrev_b32_e32 v4, s44, v17
	; wave barrier
	v_and_b32_e32 v4, s35, v4
	v_and_b32_e32 v6, 1, v4
	v_lshlrev_b32_e32 v7, 30, v4
	v_lshlrev_b32_e32 v8, 29, v4
	;; [unrolled: 1-line block ×4, first 2 shown]
	v_add_co_u32 v6, s19, v6, -1
	v_cndmask_b32_e64 v10, 0, 1, s19
	v_not_b32_e32 v39, v7
	v_cmp_gt_i32_e64 s19, 0, v7
	v_not_b32_e32 v7, v8
	v_lshlrev_b32_e32 v36, 26, v4
	v_cmp_ne_u32_e32 vcc_lo, 0, v10
	v_ashrrev_i32_e32 v10, 31, v39
	v_lshlrev_b32_e32 v38, 25, v4
	v_ashrrev_i32_e32 v7, 31, v7
	v_mul_lo_u32 v5, 0x84, v4
	v_xor_b32_e32 v6, vcc_lo, v6
	v_cmp_gt_i32_e32 vcc_lo, 0, v8
	v_not_b32_e32 v8, v9
	v_xor_b32_e32 v10, s19, v10
	v_cmp_gt_i32_e64 s19, 0, v9
	v_and_b32_e32 v6, exec_lo, v6
	v_not_b32_e32 v9, v35
	v_ashrrev_i32_e32 v8, 31, v8
	v_xor_b32_e32 v7, vcc_lo, v7
	v_cmp_gt_i32_e32 vcc_lo, 0, v35
	v_and_b32_e32 v6, v6, v10
	v_not_b32_e32 v10, v36
	v_ashrrev_i32_e32 v9, 31, v9
	v_xor_b32_e32 v8, s19, v8
	v_lshlrev_b32_e32 v4, 24, v4
	v_and_b32_e32 v6, v6, v7
	v_cmp_gt_i32_e64 s19, 0, v36
	v_not_b32_e32 v7, v38
	v_ashrrev_i32_e32 v10, 31, v10
	v_xor_b32_e32 v9, vcc_lo, v9
	v_and_b32_e32 v6, v6, v8
	v_cmp_gt_i32_e32 vcc_lo, 0, v38
	v_not_b32_e32 v8, v4
	v_ashrrev_i32_e32 v7, 31, v7
	v_xor_b32_e32 v10, s19, v10
	v_and_b32_e32 v6, v6, v9
	v_cmp_gt_i32_e64 s19, 0, v4
	v_ashrrev_i32_e32 v4, 31, v8
	v_xor_b32_e32 v7, vcc_lo, v7
	v_lshl_add_u32 v40, v3, 2, v5
	v_and_b32_e32 v6, v6, v10
	v_xor_b32_e32 v4, s19, v4
	ds_read_b32 v35, v40 offset:128
	v_and_b32_e32 v5, v6, v7
	; wave barrier
	v_and_b32_e32 v4, v5, v4
	v_mbcnt_lo_u32_b32 v36, v4, 0
	v_cmp_ne_u32_e64 s19, 0, v4
	v_cmp_eq_u32_e32 vcc_lo, 0, v36
	s_and_b32 s20, s19, vcc_lo
	s_and_saveexec_b32 s19, s20
	s_cbranch_execz .LBB1034_33
; %bb.32:
	s_waitcnt lgkmcnt(0)
	v_bcnt_u32_b32 v4, v4, v35
	ds_write_b32 v40, v4 offset:128
.LBB1034_33:
	s_or_b32 exec_lo, exec_lo, s19
	v_lshrrev_b32_e32 v4, s44, v20
	; wave barrier
	v_and_b32_e32 v4, s35, v4
	v_and_b32_e32 v6, 1, v4
	v_lshlrev_b32_e32 v7, 30, v4
	v_lshlrev_b32_e32 v8, 29, v4
	;; [unrolled: 1-line block ×4, first 2 shown]
	v_add_co_u32 v6, s19, v6, -1
	v_cndmask_b32_e64 v10, 0, 1, s19
	v_not_b32_e32 v42, v7
	v_cmp_gt_i32_e64 s19, 0, v7
	v_not_b32_e32 v7, v8
	v_lshlrev_b32_e32 v39, 26, v4
	v_cmp_ne_u32_e32 vcc_lo, 0, v10
	v_ashrrev_i32_e32 v10, 31, v42
	v_lshlrev_b32_e32 v41, 25, v4
	v_ashrrev_i32_e32 v7, 31, v7
	v_mul_lo_u32 v5, 0x84, v4
	v_xor_b32_e32 v6, vcc_lo, v6
	v_cmp_gt_i32_e32 vcc_lo, 0, v8
	v_not_b32_e32 v8, v9
	v_xor_b32_e32 v10, s19, v10
	v_cmp_gt_i32_e64 s19, 0, v9
	v_and_b32_e32 v6, exec_lo, v6
	v_not_b32_e32 v9, v38
	v_ashrrev_i32_e32 v8, 31, v8
	v_xor_b32_e32 v7, vcc_lo, v7
	v_cmp_gt_i32_e32 vcc_lo, 0, v38
	v_and_b32_e32 v6, v6, v10
	v_not_b32_e32 v10, v39
	v_ashrrev_i32_e32 v9, 31, v9
	v_xor_b32_e32 v8, s19, v8
	v_lshlrev_b32_e32 v4, 24, v4
	v_and_b32_e32 v6, v6, v7
	v_cmp_gt_i32_e64 s19, 0, v39
	v_not_b32_e32 v7, v41
	v_ashrrev_i32_e32 v10, 31, v10
	v_xor_b32_e32 v9, vcc_lo, v9
	v_and_b32_e32 v6, v6, v8
	v_cmp_gt_i32_e32 vcc_lo, 0, v41
	v_not_b32_e32 v8, v4
	v_ashrrev_i32_e32 v7, 31, v7
	v_xor_b32_e32 v10, s19, v10
	v_and_b32_e32 v6, v6, v9
	v_cmp_gt_i32_e64 s19, 0, v4
	v_ashrrev_i32_e32 v4, 31, v8
	v_xor_b32_e32 v7, vcc_lo, v7
	v_lshl_add_u32 v43, v3, 2, v5
	v_and_b32_e32 v6, v6, v10
	v_xor_b32_e32 v4, s19, v4
	ds_read_b32 v38, v43 offset:128
	v_and_b32_e32 v5, v6, v7
	; wave barrier
	v_and_b32_e32 v4, v5, v4
	v_mbcnt_lo_u32_b32 v39, v4, 0
	v_cmp_ne_u32_e64 s19, 0, v4
	v_cmp_eq_u32_e32 vcc_lo, 0, v39
	s_and_b32 s20, s19, vcc_lo
	s_and_saveexec_b32 s19, s20
	s_cbranch_execz .LBB1034_35
; %bb.34:
	s_waitcnt lgkmcnt(0)
	v_bcnt_u32_b32 v4, v4, v38
	ds_write_b32 v43, v4 offset:128
.LBB1034_35:
	s_or_b32 exec_lo, exec_lo, s19
	v_lshrrev_b32_e32 v4, s44, v19
	; wave barrier
	v_and_b32_e32 v4, s35, v4
	v_and_b32_e32 v6, 1, v4
	v_lshlrev_b32_e32 v7, 30, v4
	v_lshlrev_b32_e32 v8, 29, v4
	;; [unrolled: 1-line block ×4, first 2 shown]
	v_add_co_u32 v6, s19, v6, -1
	v_cndmask_b32_e64 v10, 0, 1, s19
	v_not_b32_e32 v45, v7
	v_cmp_gt_i32_e64 s19, 0, v7
	v_not_b32_e32 v7, v8
	v_lshlrev_b32_e32 v42, 26, v4
	v_cmp_ne_u32_e32 vcc_lo, 0, v10
	v_ashrrev_i32_e32 v10, 31, v45
	v_lshlrev_b32_e32 v44, 25, v4
	v_ashrrev_i32_e32 v7, 31, v7
	v_mul_lo_u32 v5, 0x84, v4
	v_xor_b32_e32 v6, vcc_lo, v6
	v_cmp_gt_i32_e32 vcc_lo, 0, v8
	v_not_b32_e32 v8, v9
	v_xor_b32_e32 v10, s19, v10
	v_cmp_gt_i32_e64 s19, 0, v9
	v_and_b32_e32 v6, exec_lo, v6
	v_not_b32_e32 v9, v41
	v_ashrrev_i32_e32 v8, 31, v8
	v_xor_b32_e32 v7, vcc_lo, v7
	v_cmp_gt_i32_e32 vcc_lo, 0, v41
	v_and_b32_e32 v6, v6, v10
	v_not_b32_e32 v10, v42
	v_ashrrev_i32_e32 v9, 31, v9
	v_xor_b32_e32 v8, s19, v8
	v_lshlrev_b32_e32 v4, 24, v4
	v_and_b32_e32 v6, v6, v7
	v_cmp_gt_i32_e64 s19, 0, v42
	v_not_b32_e32 v7, v44
	v_ashrrev_i32_e32 v10, 31, v10
	v_xor_b32_e32 v9, vcc_lo, v9
	v_and_b32_e32 v6, v6, v8
	v_cmp_gt_i32_e32 vcc_lo, 0, v44
	v_not_b32_e32 v8, v4
	v_ashrrev_i32_e32 v7, 31, v7
	v_xor_b32_e32 v10, s19, v10
	v_and_b32_e32 v6, v6, v9
	v_cmp_gt_i32_e64 s19, 0, v4
	v_ashrrev_i32_e32 v4, 31, v8
	v_xor_b32_e32 v7, vcc_lo, v7
	v_lshl_add_u32 v46, v3, 2, v5
	v_and_b32_e32 v6, v6, v10
	v_xor_b32_e32 v4, s19, v4
	ds_read_b32 v41, v46 offset:128
	v_and_b32_e32 v5, v6, v7
	; wave barrier
	v_and_b32_e32 v4, v5, v4
	v_mbcnt_lo_u32_b32 v42, v4, 0
	v_cmp_ne_u32_e64 s19, 0, v4
	v_cmp_eq_u32_e32 vcc_lo, 0, v42
	s_and_b32 s20, s19, vcc_lo
	s_and_saveexec_b32 s19, s20
	s_cbranch_execz .LBB1034_37
; %bb.36:
	s_waitcnt lgkmcnt(0)
	v_bcnt_u32_b32 v4, v4, v41
	ds_write_b32 v46, v4 offset:128
.LBB1034_37:
	s_or_b32 exec_lo, exec_lo, s19
	v_lshrrev_b32_e32 v4, s44, v22
	; wave barrier
	v_and_b32_e32 v4, s35, v4
	v_and_b32_e32 v6, 1, v4
	v_lshlrev_b32_e32 v7, 30, v4
	v_lshlrev_b32_e32 v8, 29, v4
	;; [unrolled: 1-line block ×4, first 2 shown]
	v_add_co_u32 v6, s19, v6, -1
	v_cndmask_b32_e64 v10, 0, 1, s19
	v_not_b32_e32 v48, v7
	v_cmp_gt_i32_e64 s19, 0, v7
	v_not_b32_e32 v7, v8
	v_lshlrev_b32_e32 v45, 26, v4
	v_cmp_ne_u32_e32 vcc_lo, 0, v10
	v_ashrrev_i32_e32 v10, 31, v48
	v_lshlrev_b32_e32 v47, 25, v4
	v_ashrrev_i32_e32 v7, 31, v7
	v_mul_lo_u32 v5, 0x84, v4
	v_xor_b32_e32 v6, vcc_lo, v6
	v_cmp_gt_i32_e32 vcc_lo, 0, v8
	v_not_b32_e32 v8, v9
	v_xor_b32_e32 v10, s19, v10
	v_cmp_gt_i32_e64 s19, 0, v9
	v_and_b32_e32 v6, exec_lo, v6
	v_not_b32_e32 v9, v44
	v_ashrrev_i32_e32 v8, 31, v8
	v_xor_b32_e32 v7, vcc_lo, v7
	v_cmp_gt_i32_e32 vcc_lo, 0, v44
	v_and_b32_e32 v6, v6, v10
	v_not_b32_e32 v10, v45
	v_ashrrev_i32_e32 v9, 31, v9
	v_xor_b32_e32 v8, s19, v8
	v_lshlrev_b32_e32 v4, 24, v4
	v_and_b32_e32 v6, v6, v7
	v_cmp_gt_i32_e64 s19, 0, v45
	v_not_b32_e32 v7, v47
	v_ashrrev_i32_e32 v10, 31, v10
	v_xor_b32_e32 v9, vcc_lo, v9
	v_and_b32_e32 v6, v6, v8
	v_cmp_gt_i32_e32 vcc_lo, 0, v47
	v_not_b32_e32 v8, v4
	v_ashrrev_i32_e32 v7, 31, v7
	v_xor_b32_e32 v10, s19, v10
	v_and_b32_e32 v6, v6, v9
	v_cmp_gt_i32_e64 s19, 0, v4
	v_ashrrev_i32_e32 v4, 31, v8
	v_xor_b32_e32 v7, vcc_lo, v7
	v_lshl_add_u32 v49, v3, 2, v5
	v_and_b32_e32 v6, v6, v10
	v_xor_b32_e32 v4, s19, v4
	ds_read_b32 v44, v49 offset:128
	v_and_b32_e32 v5, v6, v7
	; wave barrier
	v_and_b32_e32 v4, v5, v4
	v_mbcnt_lo_u32_b32 v45, v4, 0
	v_cmp_ne_u32_e64 s19, 0, v4
	v_cmp_eq_u32_e32 vcc_lo, 0, v45
	s_and_b32 s20, s19, vcc_lo
	s_and_saveexec_b32 s19, s20
	s_cbranch_execz .LBB1034_39
; %bb.38:
	s_waitcnt lgkmcnt(0)
	v_bcnt_u32_b32 v4, v4, v44
	ds_write_b32 v49, v4 offset:128
.LBB1034_39:
	s_or_b32 exec_lo, exec_lo, s19
	v_lshrrev_b32_e32 v4, s44, v21
	; wave barrier
	v_and_b32_e32 v4, s35, v4
	v_and_b32_e32 v6, 1, v4
	v_lshlrev_b32_e32 v7, 30, v4
	v_lshlrev_b32_e32 v8, 29, v4
	;; [unrolled: 1-line block ×4, first 2 shown]
	v_add_co_u32 v6, s19, v6, -1
	v_cndmask_b32_e64 v10, 0, 1, s19
	v_not_b32_e32 v51, v7
	v_cmp_gt_i32_e64 s19, 0, v7
	v_not_b32_e32 v7, v8
	v_lshlrev_b32_e32 v48, 26, v4
	v_cmp_ne_u32_e32 vcc_lo, 0, v10
	v_ashrrev_i32_e32 v10, 31, v51
	v_lshlrev_b32_e32 v50, 25, v4
	v_ashrrev_i32_e32 v7, 31, v7
	v_mul_lo_u32 v5, 0x84, v4
	v_xor_b32_e32 v6, vcc_lo, v6
	v_cmp_gt_i32_e32 vcc_lo, 0, v8
	v_not_b32_e32 v8, v9
	v_xor_b32_e32 v10, s19, v10
	v_cmp_gt_i32_e64 s19, 0, v9
	v_and_b32_e32 v6, exec_lo, v6
	v_not_b32_e32 v9, v47
	v_ashrrev_i32_e32 v8, 31, v8
	v_xor_b32_e32 v7, vcc_lo, v7
	v_cmp_gt_i32_e32 vcc_lo, 0, v47
	v_and_b32_e32 v6, v6, v10
	v_not_b32_e32 v10, v48
	v_ashrrev_i32_e32 v9, 31, v9
	v_xor_b32_e32 v8, s19, v8
	v_lshlrev_b32_e32 v4, 24, v4
	v_and_b32_e32 v6, v6, v7
	v_cmp_gt_i32_e64 s19, 0, v48
	v_not_b32_e32 v7, v50
	v_ashrrev_i32_e32 v10, 31, v10
	v_xor_b32_e32 v9, vcc_lo, v9
	v_and_b32_e32 v6, v6, v8
	v_cmp_gt_i32_e32 vcc_lo, 0, v50
	v_not_b32_e32 v8, v4
	v_ashrrev_i32_e32 v7, 31, v7
	v_xor_b32_e32 v10, s19, v10
	v_and_b32_e32 v6, v6, v9
	v_cmp_gt_i32_e64 s19, 0, v4
	v_ashrrev_i32_e32 v4, 31, v8
	v_xor_b32_e32 v7, vcc_lo, v7
	v_lshl_add_u32 v52, v3, 2, v5
	v_and_b32_e32 v6, v6, v10
	v_xor_b32_e32 v4, s19, v4
	ds_read_b32 v47, v52 offset:128
	v_and_b32_e32 v5, v6, v7
	; wave barrier
	v_and_b32_e32 v4, v5, v4
	v_mbcnt_lo_u32_b32 v48, v4, 0
	v_cmp_ne_u32_e64 s19, 0, v4
	v_cmp_eq_u32_e32 vcc_lo, 0, v48
	s_and_b32 s20, s19, vcc_lo
	s_and_saveexec_b32 s19, s20
	s_cbranch_execz .LBB1034_41
; %bb.40:
	s_waitcnt lgkmcnt(0)
	v_bcnt_u32_b32 v4, v4, v47
	ds_write_b32 v52, v4 offset:128
.LBB1034_41:
	s_or_b32 exec_lo, exec_lo, s19
	v_lshrrev_b32_e32 v4, s44, v24
	; wave barrier
	v_and_b32_e32 v4, s35, v4
	v_and_b32_e32 v6, 1, v4
	v_lshlrev_b32_e32 v7, 30, v4
	v_lshlrev_b32_e32 v8, 29, v4
	;; [unrolled: 1-line block ×4, first 2 shown]
	v_add_co_u32 v6, s19, v6, -1
	v_cndmask_b32_e64 v10, 0, 1, s19
	v_not_b32_e32 v54, v7
	v_cmp_gt_i32_e64 s19, 0, v7
	v_not_b32_e32 v7, v8
	v_lshlrev_b32_e32 v51, 26, v4
	v_cmp_ne_u32_e32 vcc_lo, 0, v10
	v_ashrrev_i32_e32 v10, 31, v54
	v_lshlrev_b32_e32 v53, 25, v4
	v_ashrrev_i32_e32 v7, 31, v7
	v_mul_lo_u32 v5, 0x84, v4
	v_xor_b32_e32 v6, vcc_lo, v6
	v_cmp_gt_i32_e32 vcc_lo, 0, v8
	v_not_b32_e32 v8, v9
	v_xor_b32_e32 v10, s19, v10
	v_cmp_gt_i32_e64 s19, 0, v9
	v_and_b32_e32 v6, exec_lo, v6
	v_not_b32_e32 v9, v50
	v_ashrrev_i32_e32 v8, 31, v8
	v_xor_b32_e32 v7, vcc_lo, v7
	v_cmp_gt_i32_e32 vcc_lo, 0, v50
	v_and_b32_e32 v6, v6, v10
	v_not_b32_e32 v10, v51
	v_ashrrev_i32_e32 v9, 31, v9
	v_xor_b32_e32 v8, s19, v8
	v_lshlrev_b32_e32 v4, 24, v4
	v_and_b32_e32 v6, v6, v7
	v_cmp_gt_i32_e64 s19, 0, v51
	v_not_b32_e32 v7, v53
	v_ashrrev_i32_e32 v10, 31, v10
	v_xor_b32_e32 v9, vcc_lo, v9
	v_and_b32_e32 v6, v6, v8
	v_cmp_gt_i32_e32 vcc_lo, 0, v53
	v_not_b32_e32 v8, v4
	v_ashrrev_i32_e32 v7, 31, v7
	v_xor_b32_e32 v10, s19, v10
	v_and_b32_e32 v6, v6, v9
	v_cmp_gt_i32_e64 s19, 0, v4
	v_ashrrev_i32_e32 v4, 31, v8
	v_xor_b32_e32 v7, vcc_lo, v7
	v_lshl_add_u32 v55, v3, 2, v5
	v_and_b32_e32 v6, v6, v10
	v_xor_b32_e32 v4, s19, v4
	ds_read_b32 v50, v55 offset:128
	v_and_b32_e32 v5, v6, v7
	; wave barrier
	v_and_b32_e32 v4, v5, v4
	v_mbcnt_lo_u32_b32 v51, v4, 0
	v_cmp_ne_u32_e64 s19, 0, v4
	v_cmp_eq_u32_e32 vcc_lo, 0, v51
	s_and_b32 s20, s19, vcc_lo
	s_and_saveexec_b32 s19, s20
	s_cbranch_execz .LBB1034_43
; %bb.42:
	s_waitcnt lgkmcnt(0)
	v_bcnt_u32_b32 v4, v4, v50
	ds_write_b32 v55, v4 offset:128
.LBB1034_43:
	s_or_b32 exec_lo, exec_lo, s19
	v_lshrrev_b32_e32 v4, s44, v23
	; wave barrier
	v_and_b32_e32 v4, s35, v4
	v_and_b32_e32 v6, 1, v4
	v_lshlrev_b32_e32 v7, 30, v4
	v_lshlrev_b32_e32 v8, 29, v4
	;; [unrolled: 1-line block ×4, first 2 shown]
	v_add_co_u32 v6, s19, v6, -1
	v_cndmask_b32_e64 v10, 0, 1, s19
	v_not_b32_e32 v57, v7
	v_cmp_gt_i32_e64 s19, 0, v7
	v_not_b32_e32 v7, v8
	v_lshlrev_b32_e32 v54, 26, v4
	v_cmp_ne_u32_e32 vcc_lo, 0, v10
	v_ashrrev_i32_e32 v10, 31, v57
	v_lshlrev_b32_e32 v56, 25, v4
	v_ashrrev_i32_e32 v7, 31, v7
	v_mul_lo_u32 v5, 0x84, v4
	v_xor_b32_e32 v6, vcc_lo, v6
	v_cmp_gt_i32_e32 vcc_lo, 0, v8
	v_not_b32_e32 v8, v9
	v_xor_b32_e32 v10, s19, v10
	v_cmp_gt_i32_e64 s19, 0, v9
	v_and_b32_e32 v6, exec_lo, v6
	v_not_b32_e32 v9, v53
	v_ashrrev_i32_e32 v8, 31, v8
	v_xor_b32_e32 v7, vcc_lo, v7
	v_cmp_gt_i32_e32 vcc_lo, 0, v53
	v_and_b32_e32 v6, v6, v10
	v_not_b32_e32 v10, v54
	v_ashrrev_i32_e32 v9, 31, v9
	v_xor_b32_e32 v8, s19, v8
	v_lshlrev_b32_e32 v4, 24, v4
	v_and_b32_e32 v6, v6, v7
	v_cmp_gt_i32_e64 s19, 0, v54
	v_not_b32_e32 v7, v56
	v_ashrrev_i32_e32 v10, 31, v10
	v_xor_b32_e32 v9, vcc_lo, v9
	v_and_b32_e32 v6, v6, v8
	v_cmp_gt_i32_e32 vcc_lo, 0, v56
	v_not_b32_e32 v8, v4
	v_ashrrev_i32_e32 v7, 31, v7
	v_xor_b32_e32 v10, s19, v10
	v_and_b32_e32 v6, v6, v9
	v_cmp_gt_i32_e64 s19, 0, v4
	v_ashrrev_i32_e32 v4, 31, v8
	v_xor_b32_e32 v7, vcc_lo, v7
	v_lshl_add_u32 v58, v3, 2, v5
	v_and_b32_e32 v6, v6, v10
	v_xor_b32_e32 v4, s19, v4
	ds_read_b32 v53, v58 offset:128
	v_and_b32_e32 v5, v6, v7
	; wave barrier
	v_and_b32_e32 v4, v5, v4
	v_mbcnt_lo_u32_b32 v54, v4, 0
	v_cmp_ne_u32_e64 s19, 0, v4
	v_cmp_eq_u32_e32 vcc_lo, 0, v54
	s_and_b32 s20, s19, vcc_lo
	s_and_saveexec_b32 s19, s20
	s_cbranch_execz .LBB1034_45
; %bb.44:
	s_waitcnt lgkmcnt(0)
	v_bcnt_u32_b32 v4, v4, v53
	ds_write_b32 v58, v4 offset:128
.LBB1034_45:
	s_or_b32 exec_lo, exec_lo, s19
	v_lshrrev_b32_e32 v4, s44, v26
	; wave barrier
	v_and_b32_e32 v4, s35, v4
	v_and_b32_e32 v6, 1, v4
	v_lshlrev_b32_e32 v7, 30, v4
	v_lshlrev_b32_e32 v8, 29, v4
	;; [unrolled: 1-line block ×4, first 2 shown]
	v_add_co_u32 v6, s19, v6, -1
	v_cndmask_b32_e64 v10, 0, 1, s19
	v_not_b32_e32 v60, v7
	v_cmp_gt_i32_e64 s19, 0, v7
	v_not_b32_e32 v7, v8
	v_lshlrev_b32_e32 v57, 26, v4
	v_cmp_ne_u32_e32 vcc_lo, 0, v10
	v_ashrrev_i32_e32 v10, 31, v60
	v_lshlrev_b32_e32 v59, 25, v4
	v_ashrrev_i32_e32 v7, 31, v7
	v_mul_lo_u32 v5, 0x84, v4
	v_xor_b32_e32 v6, vcc_lo, v6
	v_cmp_gt_i32_e32 vcc_lo, 0, v8
	v_not_b32_e32 v8, v9
	v_xor_b32_e32 v10, s19, v10
	v_cmp_gt_i32_e64 s19, 0, v9
	v_and_b32_e32 v6, exec_lo, v6
	v_not_b32_e32 v9, v56
	v_ashrrev_i32_e32 v8, 31, v8
	v_xor_b32_e32 v7, vcc_lo, v7
	v_cmp_gt_i32_e32 vcc_lo, 0, v56
	v_and_b32_e32 v6, v6, v10
	v_not_b32_e32 v10, v57
	v_ashrrev_i32_e32 v9, 31, v9
	v_xor_b32_e32 v8, s19, v8
	v_lshlrev_b32_e32 v4, 24, v4
	v_and_b32_e32 v6, v6, v7
	v_cmp_gt_i32_e64 s19, 0, v57
	v_not_b32_e32 v7, v59
	v_ashrrev_i32_e32 v10, 31, v10
	v_xor_b32_e32 v9, vcc_lo, v9
	v_and_b32_e32 v6, v6, v8
	v_cmp_gt_i32_e32 vcc_lo, 0, v59
	v_not_b32_e32 v8, v4
	v_ashrrev_i32_e32 v7, 31, v7
	v_xor_b32_e32 v10, s19, v10
	v_and_b32_e32 v6, v6, v9
	v_cmp_gt_i32_e64 s19, 0, v4
	v_ashrrev_i32_e32 v4, 31, v8
	v_xor_b32_e32 v7, vcc_lo, v7
	v_lshl_add_u32 v61, v3, 2, v5
	v_and_b32_e32 v6, v6, v10
	v_xor_b32_e32 v4, s19, v4
	ds_read_b32 v56, v61 offset:128
	v_and_b32_e32 v5, v6, v7
	; wave barrier
	v_and_b32_e32 v4, v5, v4
	v_mbcnt_lo_u32_b32 v57, v4, 0
	v_cmp_ne_u32_e64 s19, 0, v4
	v_cmp_eq_u32_e32 vcc_lo, 0, v57
	s_and_b32 s20, s19, vcc_lo
	s_and_saveexec_b32 s19, s20
	s_cbranch_execz .LBB1034_47
; %bb.46:
	s_waitcnt lgkmcnt(0)
	v_bcnt_u32_b32 v4, v4, v56
	ds_write_b32 v61, v4 offset:128
.LBB1034_47:
	s_or_b32 exec_lo, exec_lo, s19
	v_lshrrev_b32_e32 v4, s44, v25
	; wave barrier
	v_and_b32_e32 v4, s35, v4
	v_and_b32_e32 v6, 1, v4
	v_lshlrev_b32_e32 v7, 30, v4
	v_lshlrev_b32_e32 v8, 29, v4
	;; [unrolled: 1-line block ×4, first 2 shown]
	v_add_co_u32 v6, s19, v6, -1
	v_cndmask_b32_e64 v10, 0, 1, s19
	v_not_b32_e32 v63, v7
	v_cmp_gt_i32_e64 s19, 0, v7
	v_not_b32_e32 v7, v8
	v_lshlrev_b32_e32 v60, 26, v4
	v_cmp_ne_u32_e32 vcc_lo, 0, v10
	v_ashrrev_i32_e32 v10, 31, v63
	v_lshlrev_b32_e32 v62, 25, v4
	v_ashrrev_i32_e32 v7, 31, v7
	v_mul_lo_u32 v5, 0x84, v4
	v_xor_b32_e32 v6, vcc_lo, v6
	v_cmp_gt_i32_e32 vcc_lo, 0, v8
	v_not_b32_e32 v8, v9
	v_xor_b32_e32 v10, s19, v10
	v_cmp_gt_i32_e64 s19, 0, v9
	v_and_b32_e32 v6, exec_lo, v6
	v_not_b32_e32 v9, v59
	v_ashrrev_i32_e32 v8, 31, v8
	v_xor_b32_e32 v7, vcc_lo, v7
	v_cmp_gt_i32_e32 vcc_lo, 0, v59
	v_and_b32_e32 v6, v6, v10
	v_not_b32_e32 v10, v60
	v_ashrrev_i32_e32 v9, 31, v9
	v_xor_b32_e32 v8, s19, v8
	v_lshlrev_b32_e32 v4, 24, v4
	v_and_b32_e32 v6, v6, v7
	v_cmp_gt_i32_e64 s19, 0, v60
	v_not_b32_e32 v7, v62
	v_ashrrev_i32_e32 v10, 31, v10
	v_xor_b32_e32 v9, vcc_lo, v9
	v_and_b32_e32 v6, v6, v8
	v_cmp_gt_i32_e32 vcc_lo, 0, v62
	v_not_b32_e32 v8, v4
	v_ashrrev_i32_e32 v7, 31, v7
	v_xor_b32_e32 v10, s19, v10
	v_and_b32_e32 v6, v6, v9
	v_cmp_gt_i32_e64 s19, 0, v4
	v_ashrrev_i32_e32 v4, 31, v8
	v_xor_b32_e32 v7, vcc_lo, v7
	v_lshl_add_u32 v62, v3, 2, v5
	v_and_b32_e32 v6, v6, v10
	v_xor_b32_e32 v3, s19, v4
	ds_read_b32 v59, v62 offset:128
	v_and_b32_e32 v4, v6, v7
	; wave barrier
	v_and_b32_e32 v3, v4, v3
	v_mbcnt_lo_u32_b32 v60, v3, 0
	v_cmp_ne_u32_e64 s19, 0, v3
	v_cmp_eq_u32_e32 vcc_lo, 0, v60
	s_and_b32 s20, s19, vcc_lo
	s_and_saveexec_b32 s19, s20
	s_cbranch_execz .LBB1034_49
; %bb.48:
	s_waitcnt lgkmcnt(0)
	v_bcnt_u32_b32 v3, v3, v59
	ds_write_b32 v62, v3 offset:128
.LBB1034_49:
	s_or_b32 exec_lo, exec_lo, s19
	; wave barrier
	s_waitcnt lgkmcnt(0)
	s_barrier
	buffer_gl0_inv
	ds_read2_b32 v[9:10], v30 offset0:32 offset1:33
	ds_read2_b32 v[7:8], v30 offset0:34 offset1:35
	;; [unrolled: 1-line block ×4, first 2 shown]
	ds_read_b32 v63, v30 offset:160
	v_and_b32_e32 v66, 16, v11
	v_and_b32_e32 v67, 31, v0
	s_mov_b32 s24, exec_lo
	v_cmp_eq_u32_e64 s22, 0, v66
	s_waitcnt lgkmcnt(3)
	v_add3_u32 v64, v10, v9, v7
	s_waitcnt lgkmcnt(2)
	v_add3_u32 v64, v64, v8, v5
	;; [unrolled: 2-line block ×4, first 2 shown]
	v_and_b32_e32 v64, 15, v11
	v_mov_b32_dpp v65, v63 row_shr:1 row_mask:0xf bank_mask:0xf
	v_cmp_eq_u32_e32 vcc_lo, 0, v64
	v_cmp_lt_u32_e64 s19, 1, v64
	v_cmp_lt_u32_e64 s20, 3, v64
	;; [unrolled: 1-line block ×3, first 2 shown]
	v_cndmask_b32_e64 v65, v65, 0, vcc_lo
	v_add_nc_u32_e32 v63, v65, v63
	v_mov_b32_dpp v65, v63 row_shr:2 row_mask:0xf bank_mask:0xf
	v_cndmask_b32_e64 v65, 0, v65, s19
	v_add_nc_u32_e32 v63, v63, v65
	v_mov_b32_dpp v65, v63 row_shr:4 row_mask:0xf bank_mask:0xf
	v_cndmask_b32_e64 v65, 0, v65, s20
	v_add_nc_u32_e32 v63, v63, v65
	v_mov_b32_dpp v65, v63 row_shr:8 row_mask:0xf bank_mask:0xf
	v_cndmask_b32_e64 v64, 0, v65, s21
	v_bfe_i32 v65, v11, 4, 1
	v_add_nc_u32_e32 v63, v63, v64
	ds_swizzle_b32 v64, v63 offset:swizzle(BROADCAST,32,15)
	s_waitcnt lgkmcnt(0)
	v_and_b32_e32 v65, v65, v64
	v_lshrrev_b32_e32 v64, 5, v0
	v_add_nc_u32_e32 v63, v63, v65
	v_cmpx_eq_u32_e32 31, v67
; %bb.50:
	v_lshlrev_b32_e32 v65, 2, v64
	ds_write_b32 v65, v63
; %bb.51:
	s_or_b32 exec_lo, exec_lo, s24
	v_cmp_lt_u32_e64 s23, 31, v0
	s_mov_b32 s48, exec_lo
	s_waitcnt lgkmcnt(0)
	s_barrier
	buffer_gl0_inv
	v_cmpx_gt_u32_e32 32, v0
	s_cbranch_execz .LBB1034_53
; %bb.52:
	v_lshlrev_b32_e32 v65, 2, v0
	ds_read_b32 v66, v65
	s_waitcnt lgkmcnt(0)
	v_mov_b32_dpp v67, v66 row_shr:1 row_mask:0xf bank_mask:0xf
	v_cndmask_b32_e64 v67, v67, 0, vcc_lo
	v_add_nc_u32_e32 v66, v67, v66
	v_mov_b32_dpp v67, v66 row_shr:2 row_mask:0xf bank_mask:0xf
	v_cndmask_b32_e64 v67, 0, v67, s19
	v_add_nc_u32_e32 v66, v66, v67
	v_mov_b32_dpp v67, v66 row_shr:4 row_mask:0xf bank_mask:0xf
	v_cndmask_b32_e64 v67, 0, v67, s20
	;; [unrolled: 3-line block ×3, first 2 shown]
	v_add_nc_u32_e32 v66, v66, v67
	ds_swizzle_b32 v67, v66 offset:swizzle(BROADCAST,32,15)
	s_waitcnt lgkmcnt(0)
	v_cndmask_b32_e64 v67, v67, 0, s22
	v_add_nc_u32_e32 v66, v66, v67
	ds_write_b32 v65, v66
.LBB1034_53:
	s_or_b32 exec_lo, exec_lo, s48
	v_mov_b32_e32 v65, 0
	s_waitcnt lgkmcnt(0)
	s_barrier
	buffer_gl0_inv
	s_and_saveexec_b32 s19, s23
; %bb.54:
	v_lshl_add_u32 v64, v64, 2, -4
	ds_read_b32 v65, v64
; %bb.55:
	s_or_b32 exec_lo, exec_lo, s19
	v_sub_co_u32 v64, vcc_lo, v11, 1
	s_waitcnt lgkmcnt(0)
	v_add_nc_u32_e32 v63, v65, v63
	v_cmp_gt_i32_e64 s19, 0, v64
	v_cndmask_b32_e64 v64, v64, v11, s19
	v_cmp_lt_u32_e64 s19, 0xff, v0
	v_lshlrev_b32_e32 v64, 2, v64
	ds_bpermute_b32 v63, v64, v63
	s_waitcnt lgkmcnt(0)
	v_cndmask_b32_e32 v63, v63, v65, vcc_lo
	v_cmp_ne_u32_e32 vcc_lo, 0, v0
	v_cndmask_b32_e32 v63, 0, v63, vcc_lo
	v_cmp_gt_u32_e32 vcc_lo, 0x100, v0
	v_add_nc_u32_e32 v9, v63, v9
	v_add_nc_u32_e32 v10, v9, v10
	v_add_nc_u32_e32 v7, v10, v7
	v_add_nc_u32_e32 v8, v7, v8
	v_add_nc_u32_e32 v5, v8, v5
	v_add_nc_u32_e32 v6, v5, v6
	v_add_nc_u32_e32 v3, v6, v3
	v_add_nc_u32_e32 v4, v3, v4
	ds_write2_b32 v30, v63, v9 offset0:32 offset1:33
	ds_write2_b32 v30, v10, v7 offset0:34 offset1:35
	;; [unrolled: 1-line block ×4, first 2 shown]
	ds_write_b32 v30, v4 offset:160
	s_waitcnt lgkmcnt(0)
	s_barrier
	buffer_gl0_inv
	ds_read_b32 v31, v31 offset:128
	ds_read_b32 v34, v34 offset:128
	;; [unrolled: 1-line block ×12, first 2 shown]
                                        ; implicit-def: $vgpr9
                                        ; implicit-def: $vgpr10
	s_and_saveexec_b32 s21, vcc_lo
	s_cbranch_execz .LBB1034_59
; %bb.56:
	v_mul_u32_u24_e32 v3, 0x84, v0
	v_add_nc_u32_e32 v4, 1, v0
	s_mov_b32 s22, exec_lo
	ds_read_b32 v9, v3 offset:128
	v_mov_b32_e32 v3, 0x3000
	v_cmpx_ne_u32_e32 0x100, v4
; %bb.57:
	v_mul_u32_u24_e32 v3, 0x84, v4
	ds_read_b32 v3, v3 offset:128
; %bb.58:
	s_or_b32 exec_lo, exec_lo, s22
	s_waitcnt lgkmcnt(0)
	v_sub_nc_u32_e32 v10, v3, v9
.LBB1034_59:
	s_or_b32 exec_lo, exec_lo, s21
	v_mov_b32_e32 v4, 0
	v_lshlrev_b32_e32 v30, 2, v0
	s_waitcnt lgkmcnt(0)
	s_barrier
	buffer_gl0_inv
	s_and_saveexec_b32 s20, vcc_lo
	s_cbranch_execz .LBB1034_69
; %bb.60:
	v_lshl_add_u32 v3, s6, 8, v0
	v_mov_b32_e32 v63, 0
	s_mov_b32 s21, 0
	s_mov_b32 s22, s6
                                        ; implicit-def: $sgpr23
	v_lshlrev_b64 v[5:6], 2, v[3:4]
	v_or_b32_e32 v3, 2.0, v10
	v_add_co_u32 v5, vcc_lo, s26, v5
	v_add_co_ci_u32_e64 v6, null, s27, v6, vcc_lo
	global_store_dword v[5:6], v3, off
	s_branch .LBB1034_63
	.p2align	6
.LBB1034_61:                            ;   in Loop: Header=BB1034_63 Depth=1
	s_or_b32 exec_lo, exec_lo, s24
.LBB1034_62:                            ;   in Loop: Header=BB1034_63 Depth=1
	s_or_b32 exec_lo, exec_lo, s23
	v_and_b32_e32 v7, 0x3fffffff, v3
	v_cmp_gt_i32_e64 s23, -2.0, v3
	v_add_nc_u32_e32 v63, v7, v63
	s_and_b32 s24, exec_lo, s23
	s_or_b32 s21, s24, s21
	s_andn2_b32 exec_lo, exec_lo, s21
	s_cbranch_execz .LBB1034_68
.LBB1034_63:                            ; =>This Loop Header: Depth=1
                                        ;     Child Loop BB1034_66 Depth 2
	s_or_b32 s23, s23, exec_lo
	s_cmp_eq_u32 s22, 0
	s_cbranch_scc1 .LBB1034_67
; %bb.64:                               ;   in Loop: Header=BB1034_63 Depth=1
	s_add_i32 s22, s22, -1
	s_mov_b32 s23, exec_lo
	v_lshl_or_b32 v3, s22, 8, v0
	v_lshlrev_b64 v[7:8], 2, v[3:4]
	v_add_co_u32 v7, vcc_lo, s26, v7
	v_add_co_ci_u32_e64 v8, null, s27, v8, vcc_lo
	global_load_dword v3, v[7:8], off glc dlc
	s_waitcnt vmcnt(0)
	v_cmpx_gt_u32_e32 2.0, v3
	s_cbranch_execz .LBB1034_62
; %bb.65:                               ;   in Loop: Header=BB1034_63 Depth=1
	s_mov_b32 s24, 0
.LBB1034_66:                            ;   Parent Loop BB1034_63 Depth=1
                                        ; =>  This Inner Loop Header: Depth=2
	global_load_dword v3, v[7:8], off glc dlc
	s_waitcnt vmcnt(0)
	v_cmp_lt_u32_e32 vcc_lo, 0x3fffffff, v3
	s_or_b32 s24, vcc_lo, s24
	s_andn2_b32 exec_lo, exec_lo, s24
	s_cbranch_execnz .LBB1034_66
	s_branch .LBB1034_61
.LBB1034_67:                            ;   in Loop: Header=BB1034_63 Depth=1
                                        ; implicit-def: $sgpr22
	s_and_b32 s24, exec_lo, s23
	s_or_b32 s21, s24, s21
	s_andn2_b32 exec_lo, exec_lo, s21
	s_cbranch_execnz .LBB1034_63
.LBB1034_68:
	s_or_b32 exec_lo, exec_lo, s21
	v_add_nc_u32_e32 v3, v63, v10
	v_sub_nc_u32_e32 v4, v63, v9
	v_or_b32_e32 v3, 0x80000000, v3
	global_store_dword v[5:6], v3, off
	global_load_dword v3, v30, s[28:29]
	s_waitcnt vmcnt(0)
	v_add_nc_u32_e32 v3, v4, v3
	ds_write_b32 v30, v3
.LBB1034_69:
	s_or_b32 exec_lo, exec_lo, s20
	v_add_nc_u32_e32 v5, v31, v27
	v_add3_u32 v6, v29, v28, v34
	v_add3_u32 v7, v33, v32, v37
	;; [unrolled: 1-line block ×11, first 2 shown]
	v_mov_b32_e32 v4, 0
	v_mov_b32_e32 v36, v5
	;; [unrolled: 1-line block ×14, first 2 shown]
	s_mov_b32 s20, 32
	s_mov_b32 s22, 0
	s_mov_b32 s21, -1
	s_branch .LBB1034_71
.LBB1034_70:                            ;   in Loop: Header=BB1034_71 Depth=1
	s_or_b32 exec_lo, exec_lo, s23
	v_add_nc_u32_e32 v48, 0x2000, v48
	v_add_nc_u32_e32 v47, 0xffffe000, v47
	;; [unrolled: 1-line block ×13, first 2 shown]
	s_xor_b32 s22, s21, -1
	s_mov_b32 s21, 0
	s_and_b32 vcc_lo, exec_lo, s22
	s_mov_b32 s22, s20
	s_waitcnt_vscnt null, 0x0
	s_barrier
	buffer_gl0_inv
	s_cbranch_vccnz .LBB1034_87
.LBB1034_71:                            ; =>This Inner Loop Header: Depth=1
	v_min_u32_e32 v3, 0x2000, v36
	v_min_u32_e32 v49, 0x2000, v37
	;; [unrolled: 1-line block ×5, first 2 shown]
	v_lshlrev_b32_e32 v3, 2, v3
	v_lshlrev_b32_e32 v49, 2, v49
	v_min_u32_e32 v53, 0x2000, v41
	v_lshlrev_b32_e32 v50, 2, v50
	s_mov_b32 s23, exec_lo
	ds_write_b32 v3, v16 offset:1024
	ds_write_b32 v49, v15 offset:1024
	v_min_u32_e32 v3, 0x2000, v42
	v_lshlrev_b32_e32 v49, 2, v51
	v_lshlrev_b32_e32 v51, 2, v52
	;; [unrolled: 1-line block ×3, first 2 shown]
	ds_write_b32 v50, v18 offset:1024
	v_lshlrev_b32_e32 v3, 2, v3
	ds_write_b32 v49, v17 offset:1024
	ds_write_b32 v51, v20 offset:1024
	;; [unrolled: 1-line block ×3, first 2 shown]
	v_min_u32_e32 v49, 0x2000, v43
	v_min_u32_e32 v50, 0x2000, v45
	v_min_u32_e32 v51, 0x2000, v46
	ds_write_b32 v3, v22 offset:1024
	v_min_u32_e32 v3, 0x2000, v44
	v_lshlrev_b32_e32 v49, 2, v49
	v_min_u32_e32 v52, 0x2000, v47
	v_lshlrev_b32_e32 v50, 2, v50
	v_lshlrev_b32_e32 v51, 2, v51
	;; [unrolled: 1-line block ×3, first 2 shown]
	ds_write_b32 v49, v21 offset:1024
	v_lshlrev_b32_e32 v49, 2, v52
	ds_write_b32 v3, v24 offset:1024
	ds_write_b32 v50, v23 offset:1024
	;; [unrolled: 1-line block ×4, first 2 shown]
	s_waitcnt lgkmcnt(0)
	s_waitcnt_vscnt null, 0x0
	s_barrier
	buffer_gl0_inv
	v_cmpx_gt_u32_e64 s25, v48
	s_cbranch_execz .LBB1034_73
; %bb.72:                               ;   in Loop: Header=BB1034_71 Depth=1
	ds_read_b32 v51, v30 offset:1024
	s_waitcnt lgkmcnt(0)
	v_lshrrev_b32_e32 v3, s44, v51
	v_and_b32_e32 v52, s35, v3
	v_lshlrev_b32_e32 v3, 2, v52
	ds_read_b32 v3, v3
	s_waitcnt lgkmcnt(0)
	v_add_nc_u32_e32 v3, v48, v3
	v_lshlrev_b64 v[49:50], 2, v[3:4]
	v_xor_b32_e32 v3, 0x7fffffff, v51
	v_mov_b32_e32 v51, s22
	v_add_co_u32 v49, vcc_lo, s38, v49
	v_add_co_ci_u32_e64 v50, null, s39, v50, vcc_lo
	buffer_store_dword v52, v51, s[0:3], 0 offen
	global_store_dword v[49:50], v3, off
.LBB1034_73:                            ;   in Loop: Header=BB1034_71 Depth=1
	s_or_b32 exec_lo, exec_lo, s23
	v_add_nc_u32_e32 v3, 0x400, v48
	s_mov_b32 s23, exec_lo
	v_cmpx_gt_u32_e64 s25, v3
	s_cbranch_execz .LBB1034_75
; %bb.74:                               ;   in Loop: Header=BB1034_71 Depth=1
	ds_read_b32 v51, v30 offset:5120
	s_waitcnt lgkmcnt(0)
	v_lshrrev_b32_e32 v3, s44, v51
	v_and_b32_e32 v52, s35, v3
	v_lshlrev_b32_e32 v3, 2, v52
	ds_read_b32 v3, v3
	s_waitcnt lgkmcnt(0)
	v_add3_u32 v3, v48, v3, 0x400
	v_lshlrev_b64 v[49:50], 2, v[3:4]
	v_xor_b32_e32 v3, 0x7fffffff, v51
	v_mov_b32_e32 v51, s22
	v_add_co_u32 v49, vcc_lo, s38, v49
	v_add_co_ci_u32_e64 v50, null, s39, v50, vcc_lo
	buffer_store_dword v52, v51, s[0:3], 0 offen offset:4
	global_store_dword v[49:50], v3, off
.LBB1034_75:                            ;   in Loop: Header=BB1034_71 Depth=1
	s_or_b32 exec_lo, exec_lo, s23
	v_add_nc_u32_e32 v3, 0x800, v48
	s_mov_b32 s23, exec_lo
	v_cmpx_gt_u32_e64 s25, v3
	s_cbranch_execz .LBB1034_77
; %bb.76:                               ;   in Loop: Header=BB1034_71 Depth=1
	ds_read_b32 v51, v30 offset:9216
	s_waitcnt lgkmcnt(0)
	v_lshrrev_b32_e32 v3, s44, v51
	v_and_b32_e32 v52, s35, v3
	v_lshlrev_b32_e32 v3, 2, v52
	ds_read_b32 v3, v3
	s_waitcnt lgkmcnt(0)
	v_add3_u32 v3, v48, v3, 0x800
	v_lshlrev_b64 v[49:50], 2, v[3:4]
	v_xor_b32_e32 v3, 0x7fffffff, v51
	v_mov_b32_e32 v51, s22
	v_add_co_u32 v49, vcc_lo, s38, v49
	v_add_co_ci_u32_e64 v50, null, s39, v50, vcc_lo
	buffer_store_dword v52, v51, s[0:3], 0 offen offset:8
	global_store_dword v[49:50], v3, off
.LBB1034_77:                            ;   in Loop: Header=BB1034_71 Depth=1
	;; [unrolled: 22-line block ×6, first 2 shown]
	s_or_b32 exec_lo, exec_lo, s23
	v_add_nc_u32_e32 v3, 0x1c00, v48
	s_mov_b32 s23, exec_lo
	v_cmpx_gt_u32_e64 s25, v3
	s_cbranch_execz .LBB1034_70
; %bb.86:                               ;   in Loop: Header=BB1034_71 Depth=1
	ds_read_b32 v51, v30 offset:29696
	s_waitcnt lgkmcnt(0)
	v_lshrrev_b32_e32 v3, s44, v51
	v_and_b32_e32 v52, s35, v3
	v_lshlrev_b32_e32 v3, 2, v52
	ds_read_b32 v3, v3
	s_waitcnt lgkmcnt(0)
	v_add3_u32 v3, v48, v3, 0x1c00
	v_lshlrev_b64 v[49:50], 2, v[3:4]
	v_xor_b32_e32 v3, 0x7fffffff, v51
	v_mov_b32_e32 v51, s22
	v_add_co_u32 v49, vcc_lo, s38, v49
	v_add_co_ci_u32_e64 v50, null, s39, v50, vcc_lo
	buffer_store_dword v52, v51, s[0:3], 0 offen offset:28
	global_store_dword v[49:50], v3, off
	s_branch .LBB1034_70
.LBB1034_87:
	s_add_u32 s21, s40, s46
	s_addc_u32 s22, s41, s47
	v_add_co_u32 v3, s21, s21, v13
	v_add_co_ci_u32_e64 v4, null, s22, 0, s21
                                        ; implicit-def: $vgpr13
	v_add_co_u32 v3, vcc_lo, v3, v14
	v_add_co_ci_u32_e64 v4, null, 0, v4, vcc_lo
	s_and_saveexec_b32 s21, s7
	s_cbranch_execz .LBB1034_99
; %bb.88:
	global_load_dword v13, v[3:4], off
	s_or_b32 exec_lo, exec_lo, s21
                                        ; implicit-def: $vgpr14
	s_and_saveexec_b32 s7, s8
	s_cbranch_execnz .LBB1034_100
.LBB1034_89:
	s_or_b32 exec_lo, exec_lo, s7
                                        ; implicit-def: $vgpr15
	s_and_saveexec_b32 s7, s9
	s_cbranch_execz .LBB1034_101
.LBB1034_90:
	global_load_dword v15, v[3:4], off offset:256
	s_or_b32 exec_lo, exec_lo, s7
                                        ; implicit-def: $vgpr16
	s_and_saveexec_b32 s7, s10
	s_cbranch_execnz .LBB1034_102
.LBB1034_91:
	s_or_b32 exec_lo, exec_lo, s7
                                        ; implicit-def: $vgpr17
	s_and_saveexec_b32 s7, s11
	s_cbranch_execz .LBB1034_103
.LBB1034_92:
	global_load_dword v17, v[3:4], off offset:512
	s_or_b32 exec_lo, exec_lo, s7
                                        ; implicit-def: $vgpr18
	s_and_saveexec_b32 s7, s12
	s_cbranch_execnz .LBB1034_104
.LBB1034_93:
	s_or_b32 exec_lo, exec_lo, s7
                                        ; implicit-def: $vgpr19
	s_and_saveexec_b32 s7, s13
	s_cbranch_execz .LBB1034_105
.LBB1034_94:
	global_load_dword v19, v[3:4], off offset:768
	s_or_b32 exec_lo, exec_lo, s7
                                        ; implicit-def: $vgpr20
	s_and_saveexec_b32 s7, s14
	s_cbranch_execnz .LBB1034_106
.LBB1034_95:
	s_or_b32 exec_lo, exec_lo, s7
                                        ; implicit-def: $vgpr21
	s_and_saveexec_b32 s7, s15
	s_cbranch_execz .LBB1034_107
.LBB1034_96:
	global_load_dword v21, v[3:4], off offset:1024
	s_or_b32 exec_lo, exec_lo, s7
                                        ; implicit-def: $vgpr22
	s_and_saveexec_b32 s7, s16
	s_cbranch_execnz .LBB1034_108
.LBB1034_97:
	s_or_b32 exec_lo, exec_lo, s7
                                        ; implicit-def: $vgpr23
	s_and_saveexec_b32 s7, s17
	s_cbranch_execz .LBB1034_109
.LBB1034_98:
	global_load_dword v23, v[3:4], off offset:1280
	s_or_b32 exec_lo, exec_lo, s7
                                        ; implicit-def: $vgpr24
	s_and_saveexec_b32 s7, s18
	s_cbranch_execnz .LBB1034_110
	s_branch .LBB1034_111
.LBB1034_99:
	s_or_b32 exec_lo, exec_lo, s21
                                        ; implicit-def: $vgpr14
	s_and_saveexec_b32 s7, s8
	s_cbranch_execz .LBB1034_89
.LBB1034_100:
	global_load_dword v14, v[3:4], off offset:128
	s_or_b32 exec_lo, exec_lo, s7
                                        ; implicit-def: $vgpr15
	s_and_saveexec_b32 s7, s9
	s_cbranch_execnz .LBB1034_90
.LBB1034_101:
	s_or_b32 exec_lo, exec_lo, s7
                                        ; implicit-def: $vgpr16
	s_and_saveexec_b32 s7, s10
	s_cbranch_execz .LBB1034_91
.LBB1034_102:
	global_load_dword v16, v[3:4], off offset:384
	s_or_b32 exec_lo, exec_lo, s7
                                        ; implicit-def: $vgpr17
	s_and_saveexec_b32 s7, s11
	s_cbranch_execnz .LBB1034_92
.LBB1034_103:
	s_or_b32 exec_lo, exec_lo, s7
                                        ; implicit-def: $vgpr18
	s_and_saveexec_b32 s7, s12
	s_cbranch_execz .LBB1034_93
.LBB1034_104:
	global_load_dword v18, v[3:4], off offset:640
	s_or_b32 exec_lo, exec_lo, s7
                                        ; implicit-def: $vgpr19
	s_and_saveexec_b32 s7, s13
	s_cbranch_execnz .LBB1034_94
.LBB1034_105:
	s_or_b32 exec_lo, exec_lo, s7
                                        ; implicit-def: $vgpr20
	s_and_saveexec_b32 s7, s14
	s_cbranch_execz .LBB1034_95
.LBB1034_106:
	global_load_dword v20, v[3:4], off offset:896
	s_or_b32 exec_lo, exec_lo, s7
                                        ; implicit-def: $vgpr21
	s_and_saveexec_b32 s7, s15
	s_cbranch_execnz .LBB1034_96
.LBB1034_107:
	s_or_b32 exec_lo, exec_lo, s7
                                        ; implicit-def: $vgpr22
	s_and_saveexec_b32 s7, s16
	s_cbranch_execz .LBB1034_97
.LBB1034_108:
	global_load_dword v22, v[3:4], off offset:1152
	s_or_b32 exec_lo, exec_lo, s7
                                        ; implicit-def: $vgpr23
	s_and_saveexec_b32 s7, s17
	s_cbranch_execnz .LBB1034_98
.LBB1034_109:
	s_or_b32 exec_lo, exec_lo, s7
                                        ; implicit-def: $vgpr24
	s_and_saveexec_b32 s7, s18
	s_cbranch_execz .LBB1034_111
.LBB1034_110:
	global_load_dword v24, v[3:4], off offset:1408
.LBB1034_111:
	s_or_b32 exec_lo, exec_lo, s7
	v_mov_b32_e32 v4, 0
	v_mov_b32_e32 v25, v0
	s_mov_b32 s8, 0
	s_mov_b32 s7, -1
	s_branch .LBB1034_113
.LBB1034_112:                           ;   in Loop: Header=BB1034_113 Depth=1
	s_or_b32 exec_lo, exec_lo, s9
	v_add_nc_u32_e32 v25, 0x2000, v25
	v_add_nc_u32_e32 v35, 0xffffe000, v35
	;; [unrolled: 1-line block ×13, first 2 shown]
	s_xor_b32 s8, s7, -1
	s_mov_b32 s7, 0
	s_and_b32 vcc_lo, exec_lo, s8
	s_mov_b32 s8, s20
	s_waitcnt_vscnt null, 0x0
	s_barrier
	buffer_gl0_inv
	s_cbranch_vccnz .LBB1034_129
.LBB1034_113:                           ; =>This Inner Loop Header: Depth=1
	v_min_u32_e32 v3, 0x2000, v5
	v_min_u32_e32 v26, 0x2000, v6
	;; [unrolled: 1-line block ×5, first 2 shown]
	v_lshlrev_b32_e32 v3, 2, v3
	v_lshlrev_b32_e32 v26, 2, v26
	v_min_u32_e32 v39, 0x2000, v28
	v_lshlrev_b32_e32 v36, 2, v36
	s_mov_b32 s9, exec_lo
	s_waitcnt vmcnt(0)
	ds_write_b32 v3, v13 offset:1024
	ds_write_b32 v26, v14 offset:1024
	v_min_u32_e32 v3, 0x2000, v29
	v_lshlrev_b32_e32 v26, 2, v37
	v_lshlrev_b32_e32 v37, 2, v38
	;; [unrolled: 1-line block ×3, first 2 shown]
	ds_write_b32 v36, v15 offset:1024
	v_lshlrev_b32_e32 v3, 2, v3
	ds_write_b32 v26, v16 offset:1024
	ds_write_b32 v37, v17 offset:1024
	;; [unrolled: 1-line block ×3, first 2 shown]
	v_min_u32_e32 v26, 0x2000, v31
	v_min_u32_e32 v36, 0x2000, v33
	;; [unrolled: 1-line block ×3, first 2 shown]
	ds_write_b32 v3, v19 offset:1024
	v_min_u32_e32 v3, 0x2000, v32
	v_lshlrev_b32_e32 v26, 2, v26
	v_min_u32_e32 v38, 0x2000, v35
	v_lshlrev_b32_e32 v36, 2, v36
	v_lshlrev_b32_e32 v37, 2, v37
	;; [unrolled: 1-line block ×3, first 2 shown]
	ds_write_b32 v26, v20 offset:1024
	v_lshlrev_b32_e32 v26, 2, v38
	ds_write_b32 v3, v21 offset:1024
	ds_write_b32 v36, v22 offset:1024
	;; [unrolled: 1-line block ×4, first 2 shown]
	s_waitcnt lgkmcnt(0)
	s_barrier
	buffer_gl0_inv
	v_cmpx_gt_u32_e64 s25, v25
	s_cbranch_execz .LBB1034_115
; %bb.114:                              ;   in Loop: Header=BB1034_113 Depth=1
	v_mov_b32_e32 v3, s8
	buffer_load_dword v3, v3, s[0:3], 0 offen
	s_waitcnt vmcnt(0)
	v_lshlrev_b32_e32 v3, 2, v3
	ds_read_b32 v3, v3
	ds_read_b32 v26, v30 offset:1024
	s_waitcnt lgkmcnt(1)
	v_add_nc_u32_e32 v3, v25, v3
	v_lshlrev_b64 v[36:37], 2, v[3:4]
	v_add_co_u32 v36, vcc_lo, s42, v36
	v_add_co_ci_u32_e64 v37, null, s43, v37, vcc_lo
	s_waitcnt lgkmcnt(0)
	global_store_dword v[36:37], v26, off
.LBB1034_115:                           ;   in Loop: Header=BB1034_113 Depth=1
	s_or_b32 exec_lo, exec_lo, s9
	v_add_nc_u32_e32 v3, 0x400, v25
	s_mov_b32 s9, exec_lo
	v_cmpx_gt_u32_e64 s25, v3
	s_cbranch_execz .LBB1034_117
; %bb.116:                              ;   in Loop: Header=BB1034_113 Depth=1
	v_mov_b32_e32 v3, s8
	buffer_load_dword v3, v3, s[0:3], 0 offen offset:4
	s_waitcnt vmcnt(0)
	v_lshlrev_b32_e32 v3, 2, v3
	ds_read_b32 v3, v3
	ds_read_b32 v26, v30 offset:5120
	s_waitcnt lgkmcnt(1)
	v_add3_u32 v3, v25, v3, 0x400
	v_lshlrev_b64 v[36:37], 2, v[3:4]
	v_add_co_u32 v36, vcc_lo, s42, v36
	v_add_co_ci_u32_e64 v37, null, s43, v37, vcc_lo
	s_waitcnt lgkmcnt(0)
	global_store_dword v[36:37], v26, off
.LBB1034_117:                           ;   in Loop: Header=BB1034_113 Depth=1
	s_or_b32 exec_lo, exec_lo, s9
	v_add_nc_u32_e32 v3, 0x800, v25
	s_mov_b32 s9, exec_lo
	v_cmpx_gt_u32_e64 s25, v3
	s_cbranch_execz .LBB1034_119
; %bb.118:                              ;   in Loop: Header=BB1034_113 Depth=1
	v_mov_b32_e32 v3, s8
	buffer_load_dword v3, v3, s[0:3], 0 offen offset:8
	s_waitcnt vmcnt(0)
	v_lshlrev_b32_e32 v3, 2, v3
	ds_read_b32 v3, v3
	ds_read_b32 v26, v30 offset:9216
	s_waitcnt lgkmcnt(1)
	v_add3_u32 v3, v25, v3, 0x800
	v_lshlrev_b64 v[36:37], 2, v[3:4]
	v_add_co_u32 v36, vcc_lo, s42, v36
	v_add_co_ci_u32_e64 v37, null, s43, v37, vcc_lo
	s_waitcnt lgkmcnt(0)
	global_store_dword v[36:37], v26, off
.LBB1034_119:                           ;   in Loop: Header=BB1034_113 Depth=1
	;; [unrolled: 20-line block ×6, first 2 shown]
	s_or_b32 exec_lo, exec_lo, s9
	v_add_nc_u32_e32 v3, 0x1c00, v25
	s_mov_b32 s9, exec_lo
	v_cmpx_gt_u32_e64 s25, v3
	s_cbranch_execz .LBB1034_112
; %bb.128:                              ;   in Loop: Header=BB1034_113 Depth=1
	v_mov_b32_e32 v3, s8
	buffer_load_dword v3, v3, s[0:3], 0 offen offset:28
	s_waitcnt vmcnt(0)
	v_lshlrev_b32_e32 v3, 2, v3
	ds_read_b32 v3, v3
	ds_read_b32 v26, v30 offset:29696
	s_waitcnt lgkmcnt(1)
	v_add3_u32 v3, v25, v3, 0x1c00
	v_lshlrev_b64 v[36:37], 2, v[3:4]
	v_add_co_u32 v36, vcc_lo, s42, v36
	v_add_co_ci_u32_e64 v37, null, s43, v37, vcc_lo
	s_waitcnt lgkmcnt(0)
	global_store_dword v[36:37], v26, off
	s_branch .LBB1034_112
.LBB1034_129:
	s_add_i32 s33, s33, -1
	s_cmp_eq_u32 s6, s33
	s_cselect_b32 s7, -1, 0
	s_xor_b32 s8, s19, -1
	s_and_b32 s8, s8, s7
	s_and_saveexec_b32 s7, s8
	s_cbranch_execz .LBB1034_131
; %bb.130:
	ds_read_b32 v3, v30
	s_waitcnt lgkmcnt(0)
	v_add3_u32 v3, v9, v10, v3
	global_store_dword v30, v3, s[30:31]
.LBB1034_131:
	s_or_b32 exec_lo, exec_lo, s7
	s_mov_b32 s7, 0
.LBB1034_132:
	s_and_b32 vcc_lo, exec_lo, s7
	s_cbranch_vccz .LBB1034_199
; %bb.133:
	s_mov_b32 s35, 0
	v_mul_u32_u24_e32 v3, 12, v12
	v_lshlrev_b32_e32 v9, 2, v11
	s_lshl_b64 s[12:13], s[34:35], 2
	v_mov_b32_e32 v22, 0
	s_add_u32 s7, s36, s12
	s_addc_u32 s8, s37, s13
	v_lshlrev_b32_e32 v10, 2, v3
	v_add_co_u32 v3, s7, s7, v9
	v_add_co_ci_u32_e64 v4, null, s8, 0, s7
	v_add_co_u32 v18, vcc_lo, v3, v10
	v_add_co_ci_u32_e64 v19, null, 0, v4, vcc_lo
	global_load_dword v12, v[18:19], off
	s_clause 0x1
	s_load_dword s7, s[4:5], 0x64
	s_load_dword s11, s[4:5], 0x58
	s_add_u32 s4, s4, 0x58
	s_addc_u32 s5, s5, 0
	s_waitcnt lgkmcnt(0)
	s_lshr_b32 s7, s7, 16
	s_cmp_lt_u32 s6, s11
	v_mad_u32_u24 v1, v2, s7, v1
	s_cselect_b32 s8, 12, 18
	s_add_u32 s4, s4, s8
	s_addc_u32 s5, s5, 0
	global_load_ushort v16, v22, s[4:5]
	s_clause 0xa
	global_load_dword v13, v[18:19], off offset:128
	global_load_dword v14, v[18:19], off offset:256
	;; [unrolled: 1-line block ×11, first 2 shown]
	s_lshl_b32 s4, -1, s45
	s_not_b32 s14, s4
	s_waitcnt vmcnt(12)
	v_xor_b32_e32 v12, 0x7fffffff, v12
	v_lshrrev_b32_e32 v18, s44, v12
	v_and_b32_e32 v18, s14, v18
	v_and_b32_e32 v19, 1, v18
	v_lshlrev_b32_e32 v21, 30, v18
	v_lshlrev_b32_e32 v23, 29, v18
	;; [unrolled: 1-line block ×4, first 2 shown]
	v_add_co_u32 v19, s4, v19, -1
	v_cndmask_b32_e64 v25, 0, 1, s4
	v_not_b32_e32 v29, v21
	v_cmp_gt_i32_e64 s4, 0, v21
	v_not_b32_e32 v21, v23
	v_lshlrev_b32_e32 v27, 26, v18
	v_cmp_ne_u32_e32 vcc_lo, 0, v25
	v_ashrrev_i32_e32 v29, 31, v29
	v_lshlrev_b32_e32 v28, 25, v18
	v_ashrrev_i32_e32 v21, 31, v21
	v_lshlrev_b32_e32 v25, 24, v18
	v_xor_b32_e32 v19, vcc_lo, v19
	v_cmp_gt_i32_e32 vcc_lo, 0, v23
	v_not_b32_e32 v23, v24
	v_xor_b32_e32 v29, s4, v29
	v_cmp_gt_i32_e64 s4, 0, v24
	v_and_b32_e32 v19, exec_lo, v19
	v_not_b32_e32 v24, v26
	v_ashrrev_i32_e32 v23, 31, v23
	v_xor_b32_e32 v21, vcc_lo, v21
	v_cmp_gt_i32_e32 vcc_lo, 0, v26
	v_and_b32_e32 v19, v19, v29
	v_not_b32_e32 v26, v27
	v_ashrrev_i32_e32 v24, 31, v24
	v_xor_b32_e32 v23, s4, v23
	v_cmp_gt_i32_e64 s4, 0, v27
	v_and_b32_e32 v19, v19, v21
	v_not_b32_e32 v21, v28
	v_ashrrev_i32_e32 v26, 31, v26
	v_xor_b32_e32 v24, vcc_lo, v24
	v_cmp_gt_i32_e32 vcc_lo, 0, v28
	v_and_b32_e32 v19, v19, v23
	v_not_b32_e32 v23, v25
	v_ashrrev_i32_e32 v21, 31, v21
	v_xor_b32_e32 v26, s4, v26
	v_cmp_gt_i32_e64 s4, 0, v25
	v_and_b32_e32 v19, v19, v24
	v_ashrrev_i32_e32 v23, 31, v23
	v_xor_b32_e32 v21, vcc_lo, v21
	s_waitcnt vmcnt(11)
	v_mad_u64_u32 v[1:2], null, v1, v16, v[0:1]
	v_and_b32_e32 v19, v19, v26
	v_xor_b32_e32 v23, s4, v23
	v_mul_lo_u32 v18, 0x84, v18
	v_and_b32_e32 v19, v19, v21
	v_mul_u32_u24_e32 v21, 36, v0
	v_lshrrev_b32_e32 v1, 5, v1
	ds_write2_b32 v21, v22, v22 offset0:32 offset1:33
	ds_write2_b32 v21, v22, v22 offset0:34 offset1:35
	;; [unrolled: 1-line block ×3, first 2 shown]
	v_and_b32_e32 v2, v19, v23
	ds_write2_b32 v21, v22, v22 offset0:38 offset1:39
	ds_write_b32 v21, v22 offset:160
	v_lshl_add_u32 v22, v1, 2, v18
	s_waitcnt vmcnt(0) lgkmcnt(0)
	s_waitcnt_vscnt null, 0x0
	s_barrier
	v_mbcnt_lo_u32_b32 v16, v2, 0
	v_cmp_ne_u32_e64 s4, 0, v2
	buffer_gl0_inv
	; wave barrier
	v_cmp_eq_u32_e32 vcc_lo, 0, v16
	s_and_b32 s5, s4, vcc_lo
	s_and_saveexec_b32 s4, s5
; %bb.134:
	v_bcnt_u32_b32 v2, v2, 0
	ds_write_b32 v22, v2 offset:128
; %bb.135:
	s_or_b32 exec_lo, exec_lo, s4
	v_xor_b32_e32 v13, 0x7fffffff, v13
	; wave barrier
	v_lshrrev_b32_e32 v2, s44, v13
	v_and_b32_e32 v2, s14, v2
	v_and_b32_e32 v19, 1, v2
	v_lshlrev_b32_e32 v23, 30, v2
	v_lshlrev_b32_e32 v24, 29, v2
	;; [unrolled: 1-line block ×4, first 2 shown]
	v_add_co_u32 v19, s4, v19, -1
	v_cndmask_b32_e64 v26, 0, 1, s4
	v_not_b32_e32 v30, v23
	v_cmp_gt_i32_e64 s4, 0, v23
	v_not_b32_e32 v23, v24
	v_lshlrev_b32_e32 v28, 26, v2
	v_cmp_ne_u32_e32 vcc_lo, 0, v26
	v_ashrrev_i32_e32 v26, 31, v30
	v_lshlrev_b32_e32 v29, 25, v2
	v_ashrrev_i32_e32 v23, 31, v23
	v_mul_lo_u32 v18, 0x84, v2
	v_xor_b32_e32 v19, vcc_lo, v19
	v_cmp_gt_i32_e32 vcc_lo, 0, v24
	v_not_b32_e32 v24, v25
	v_xor_b32_e32 v26, s4, v26
	v_cmp_gt_i32_e64 s4, 0, v25
	v_and_b32_e32 v19, exec_lo, v19
	v_not_b32_e32 v25, v27
	v_ashrrev_i32_e32 v24, 31, v24
	v_xor_b32_e32 v23, vcc_lo, v23
	v_cmp_gt_i32_e32 vcc_lo, 0, v27
	v_and_b32_e32 v19, v19, v26
	v_not_b32_e32 v26, v28
	v_ashrrev_i32_e32 v25, 31, v25
	v_xor_b32_e32 v24, s4, v24
	v_lshlrev_b32_e32 v2, 24, v2
	v_and_b32_e32 v19, v19, v23
	v_cmp_gt_i32_e64 s4, 0, v28
	v_not_b32_e32 v23, v29
	v_ashrrev_i32_e32 v26, 31, v26
	v_xor_b32_e32 v25, vcc_lo, v25
	v_and_b32_e32 v19, v19, v24
	v_cmp_gt_i32_e32 vcc_lo, 0, v29
	v_not_b32_e32 v24, v2
	v_ashrrev_i32_e32 v23, 31, v23
	v_xor_b32_e32 v26, s4, v26
	v_and_b32_e32 v19, v19, v25
	v_cmp_gt_i32_e64 s4, 0, v2
	v_ashrrev_i32_e32 v2, 31, v24
	v_xor_b32_e32 v23, vcc_lo, v23
	v_and_b32_e32 v19, v19, v26
	v_lshl_add_u32 v26, v1, 2, v18
	v_xor_b32_e32 v2, s4, v2
	v_and_b32_e32 v19, v19, v23
	ds_read_b32 v18, v26 offset:128
	; wave barrier
	v_and_b32_e32 v2, v19, v2
	v_mbcnt_lo_u32_b32 v19, v2, 0
	v_cmp_ne_u32_e64 s4, 0, v2
	v_cmp_eq_u32_e32 vcc_lo, 0, v19
	s_and_b32 s5, s4, vcc_lo
	s_and_saveexec_b32 s4, s5
	s_cbranch_execz .LBB1034_137
; %bb.136:
	s_waitcnt lgkmcnt(0)
	v_bcnt_u32_b32 v2, v2, v18
	ds_write_b32 v26, v2 offset:128
.LBB1034_137:
	s_or_b32 exec_lo, exec_lo, s4
	v_xor_b32_e32 v14, 0x7fffffff, v14
	; wave barrier
	v_lshrrev_b32_e32 v2, s44, v14
	v_and_b32_e32 v2, s14, v2
	v_and_b32_e32 v24, 1, v2
	v_lshlrev_b32_e32 v25, 30, v2
	v_lshlrev_b32_e32 v27, 29, v2
	;; [unrolled: 1-line block ×4, first 2 shown]
	v_add_co_u32 v24, s4, v24, -1
	v_cndmask_b32_e64 v29, 0, 1, s4
	v_not_b32_e32 v33, v25
	v_cmp_gt_i32_e64 s4, 0, v25
	v_not_b32_e32 v25, v27
	v_lshlrev_b32_e32 v31, 26, v2
	v_cmp_ne_u32_e32 vcc_lo, 0, v29
	v_ashrrev_i32_e32 v29, 31, v33
	v_lshlrev_b32_e32 v32, 25, v2
	v_ashrrev_i32_e32 v25, 31, v25
	v_mul_lo_u32 v23, 0x84, v2
	v_xor_b32_e32 v24, vcc_lo, v24
	v_cmp_gt_i32_e32 vcc_lo, 0, v27
	v_not_b32_e32 v27, v28
	v_xor_b32_e32 v29, s4, v29
	v_cmp_gt_i32_e64 s4, 0, v28
	v_and_b32_e32 v24, exec_lo, v24
	v_not_b32_e32 v28, v30
	v_ashrrev_i32_e32 v27, 31, v27
	v_xor_b32_e32 v25, vcc_lo, v25
	v_cmp_gt_i32_e32 vcc_lo, 0, v30
	v_and_b32_e32 v24, v24, v29
	v_not_b32_e32 v29, v31
	v_ashrrev_i32_e32 v28, 31, v28
	v_xor_b32_e32 v27, s4, v27
	v_lshlrev_b32_e32 v2, 24, v2
	v_and_b32_e32 v24, v24, v25
	v_cmp_gt_i32_e64 s4, 0, v31
	v_not_b32_e32 v25, v32
	v_ashrrev_i32_e32 v29, 31, v29
	v_xor_b32_e32 v28, vcc_lo, v28
	v_and_b32_e32 v24, v24, v27
	v_cmp_gt_i32_e32 vcc_lo, 0, v32
	v_not_b32_e32 v27, v2
	v_ashrrev_i32_e32 v25, 31, v25
	v_xor_b32_e32 v29, s4, v29
	v_and_b32_e32 v24, v24, v28
	v_cmp_gt_i32_e64 s4, 0, v2
	v_ashrrev_i32_e32 v2, 31, v27
	v_xor_b32_e32 v25, vcc_lo, v25
	v_lshl_add_u32 v30, v1, 2, v23
	v_and_b32_e32 v24, v24, v29
	v_xor_b32_e32 v2, s4, v2
	ds_read_b32 v23, v30 offset:128
	v_and_b32_e32 v24, v24, v25
	; wave barrier
	v_and_b32_e32 v2, v24, v2
	v_mbcnt_lo_u32_b32 v24, v2, 0
	v_cmp_ne_u32_e64 s4, 0, v2
	v_cmp_eq_u32_e32 vcc_lo, 0, v24
	s_and_b32 s5, s4, vcc_lo
	s_and_saveexec_b32 s4, s5
	s_cbranch_execz .LBB1034_139
; %bb.138:
	s_waitcnt lgkmcnt(0)
	v_bcnt_u32_b32 v2, v2, v23
	ds_write_b32 v30, v2 offset:128
.LBB1034_139:
	s_or_b32 exec_lo, exec_lo, s4
	v_xor_b32_e32 v15, 0x7fffffff, v15
	; wave barrier
	v_lshrrev_b32_e32 v2, s44, v15
	v_and_b32_e32 v2, s14, v2
	v_and_b32_e32 v27, 1, v2
	v_lshlrev_b32_e32 v28, 30, v2
	v_lshlrev_b32_e32 v29, 29, v2
	;; [unrolled: 1-line block ×4, first 2 shown]
	v_add_co_u32 v27, s4, v27, -1
	v_cndmask_b32_e64 v32, 0, 1, s4
	v_not_b32_e32 v36, v28
	v_cmp_gt_i32_e64 s4, 0, v28
	v_not_b32_e32 v28, v29
	v_lshlrev_b32_e32 v34, 26, v2
	v_cmp_ne_u32_e32 vcc_lo, 0, v32
	v_ashrrev_i32_e32 v32, 31, v36
	v_lshlrev_b32_e32 v35, 25, v2
	v_ashrrev_i32_e32 v28, 31, v28
	v_mul_lo_u32 v25, 0x84, v2
	v_xor_b32_e32 v27, vcc_lo, v27
	v_cmp_gt_i32_e32 vcc_lo, 0, v29
	v_not_b32_e32 v29, v31
	v_xor_b32_e32 v32, s4, v32
	v_cmp_gt_i32_e64 s4, 0, v31
	v_and_b32_e32 v27, exec_lo, v27
	v_not_b32_e32 v31, v33
	v_ashrrev_i32_e32 v29, 31, v29
	v_xor_b32_e32 v28, vcc_lo, v28
	v_cmp_gt_i32_e32 vcc_lo, 0, v33
	v_and_b32_e32 v27, v27, v32
	v_not_b32_e32 v32, v34
	v_ashrrev_i32_e32 v31, 31, v31
	v_xor_b32_e32 v29, s4, v29
	v_lshlrev_b32_e32 v2, 24, v2
	v_and_b32_e32 v27, v27, v28
	v_cmp_gt_i32_e64 s4, 0, v34
	v_not_b32_e32 v28, v35
	v_ashrrev_i32_e32 v32, 31, v32
	v_xor_b32_e32 v31, vcc_lo, v31
	v_and_b32_e32 v27, v27, v29
	v_cmp_gt_i32_e32 vcc_lo, 0, v35
	v_not_b32_e32 v29, v2
	v_ashrrev_i32_e32 v28, 31, v28
	v_xor_b32_e32 v32, s4, v32
	v_and_b32_e32 v27, v27, v31
	v_cmp_gt_i32_e64 s4, 0, v2
	v_ashrrev_i32_e32 v2, 31, v29
	v_xor_b32_e32 v28, vcc_lo, v28
	v_lshl_add_u32 v34, v1, 2, v25
	v_and_b32_e32 v27, v27, v32
	v_xor_b32_e32 v2, s4, v2
	v_and_b32_e32 v25, v27, v28
	ds_read_b32 v27, v34 offset:128
	; wave barrier
	v_and_b32_e32 v2, v25, v2
	v_mbcnt_lo_u32_b32 v28, v2, 0
	v_cmp_ne_u32_e64 s4, 0, v2
	v_cmp_eq_u32_e32 vcc_lo, 0, v28
	s_and_b32 s5, s4, vcc_lo
	s_and_saveexec_b32 s4, s5
	s_cbranch_execz .LBB1034_141
; %bb.140:
	s_waitcnt lgkmcnt(0)
	v_bcnt_u32_b32 v2, v2, v27
	ds_write_b32 v34, v2 offset:128
.LBB1034_141:
	s_or_b32 exec_lo, exec_lo, s4
	v_xor_b32_e32 v17, 0x7fffffff, v17
	; wave barrier
	v_lshrrev_b32_e32 v2, s44, v17
	v_and_b32_e32 v2, s14, v2
	v_and_b32_e32 v29, 1, v2
	v_lshlrev_b32_e32 v31, 30, v2
	v_lshlrev_b32_e32 v32, 29, v2
	;; [unrolled: 1-line block ×4, first 2 shown]
	v_add_co_u32 v29, s4, v29, -1
	v_cndmask_b32_e64 v35, 0, 1, s4
	v_not_b32_e32 v39, v31
	v_cmp_gt_i32_e64 s4, 0, v31
	v_not_b32_e32 v31, v32
	v_lshlrev_b32_e32 v37, 26, v2
	v_cmp_ne_u32_e32 vcc_lo, 0, v35
	v_ashrrev_i32_e32 v35, 31, v39
	v_lshlrev_b32_e32 v38, 25, v2
	v_ashrrev_i32_e32 v31, 31, v31
	v_mul_lo_u32 v25, 0x84, v2
	v_xor_b32_e32 v29, vcc_lo, v29
	v_cmp_gt_i32_e32 vcc_lo, 0, v32
	v_not_b32_e32 v32, v33
	v_xor_b32_e32 v35, s4, v35
	v_cmp_gt_i32_e64 s4, 0, v33
	v_and_b32_e32 v29, exec_lo, v29
	v_not_b32_e32 v33, v36
	v_ashrrev_i32_e32 v32, 31, v32
	v_xor_b32_e32 v31, vcc_lo, v31
	v_cmp_gt_i32_e32 vcc_lo, 0, v36
	v_and_b32_e32 v29, v29, v35
	v_not_b32_e32 v35, v37
	v_ashrrev_i32_e32 v33, 31, v33
	v_xor_b32_e32 v32, s4, v32
	v_lshlrev_b32_e32 v2, 24, v2
	v_and_b32_e32 v29, v29, v31
	v_cmp_gt_i32_e64 s4, 0, v37
	v_not_b32_e32 v31, v38
	v_ashrrev_i32_e32 v35, 31, v35
	v_xor_b32_e32 v33, vcc_lo, v33
	v_and_b32_e32 v29, v29, v32
	v_cmp_gt_i32_e32 vcc_lo, 0, v38
	v_not_b32_e32 v32, v2
	v_ashrrev_i32_e32 v31, 31, v31
	v_xor_b32_e32 v35, s4, v35
	v_and_b32_e32 v29, v29, v33
	v_cmp_gt_i32_e64 s4, 0, v2
	v_ashrrev_i32_e32 v2, 31, v32
	v_xor_b32_e32 v31, vcc_lo, v31
	v_lshl_add_u32 v38, v1, 2, v25
	v_and_b32_e32 v29, v29, v35
	v_xor_b32_e32 v2, s4, v2
	v_and_b32_e32 v25, v29, v31
	ds_read_b32 v31, v38 offset:128
	; wave barrier
	v_and_b32_e32 v2, v25, v2
	v_mbcnt_lo_u32_b32 v32, v2, 0
	v_cmp_ne_u32_e64 s4, 0, v2
	v_cmp_eq_u32_e32 vcc_lo, 0, v32
	s_and_b32 s5, s4, vcc_lo
	s_and_saveexec_b32 s4, s5
	s_cbranch_execz .LBB1034_143
; %bb.142:
	s_waitcnt lgkmcnt(0)
	v_bcnt_u32_b32 v2, v2, v31
	ds_write_b32 v38, v2 offset:128
.LBB1034_143:
	s_or_b32 exec_lo, exec_lo, s4
	v_xor_b32_e32 v20, 0x7fffffff, v20
	; wave barrier
	v_lshrrev_b32_e32 v2, s44, v20
	v_and_b32_e32 v2, s14, v2
	v_and_b32_e32 v29, 1, v2
	v_lshlrev_b32_e32 v33, 30, v2
	v_lshlrev_b32_e32 v35, 29, v2
	;; [unrolled: 1-line block ×4, first 2 shown]
	v_add_co_u32 v29, s4, v29, -1
	v_cndmask_b32_e64 v37, 0, 1, s4
	v_not_b32_e32 v42, v33
	v_cmp_gt_i32_e64 s4, 0, v33
	v_not_b32_e32 v33, v35
	v_lshlrev_b32_e32 v40, 26, v2
	v_cmp_ne_u32_e32 vcc_lo, 0, v37
	v_ashrrev_i32_e32 v37, 31, v42
	v_lshlrev_b32_e32 v41, 25, v2
	v_ashrrev_i32_e32 v33, 31, v33
	v_mul_lo_u32 v25, 0x84, v2
	v_xor_b32_e32 v29, vcc_lo, v29
	v_cmp_gt_i32_e32 vcc_lo, 0, v35
	v_not_b32_e32 v35, v36
	v_xor_b32_e32 v37, s4, v37
	v_cmp_gt_i32_e64 s4, 0, v36
	v_and_b32_e32 v29, exec_lo, v29
	v_not_b32_e32 v36, v39
	v_ashrrev_i32_e32 v35, 31, v35
	v_xor_b32_e32 v33, vcc_lo, v33
	v_cmp_gt_i32_e32 vcc_lo, 0, v39
	v_and_b32_e32 v29, v29, v37
	v_not_b32_e32 v37, v40
	v_ashrrev_i32_e32 v36, 31, v36
	v_xor_b32_e32 v35, s4, v35
	v_lshlrev_b32_e32 v2, 24, v2
	v_and_b32_e32 v29, v29, v33
	v_cmp_gt_i32_e64 s4, 0, v40
	v_not_b32_e32 v33, v41
	v_ashrrev_i32_e32 v37, 31, v37
	v_xor_b32_e32 v36, vcc_lo, v36
	v_and_b32_e32 v29, v29, v35
	v_cmp_gt_i32_e32 vcc_lo, 0, v41
	v_not_b32_e32 v35, v2
	v_ashrrev_i32_e32 v33, 31, v33
	v_xor_b32_e32 v37, s4, v37
	v_and_b32_e32 v29, v29, v36
	v_cmp_gt_i32_e64 s4, 0, v2
	v_ashrrev_i32_e32 v2, 31, v35
	v_xor_b32_e32 v33, vcc_lo, v33
	v_lshl_add_u32 v43, v1, 2, v25
	v_and_b32_e32 v29, v29, v37
	v_xor_b32_e32 v2, s4, v2
	ds_read_b32 v35, v43 offset:128
	v_and_b32_e32 v25, v29, v33
	; wave barrier
	v_and_b32_e32 v2, v25, v2
	v_mbcnt_lo_u32_b32 v36, v2, 0
	v_cmp_ne_u32_e64 s4, 0, v2
	v_cmp_eq_u32_e32 vcc_lo, 0, v36
	s_and_b32 s5, s4, vcc_lo
	s_and_saveexec_b32 s4, s5
	s_cbranch_execz .LBB1034_145
; %bb.144:
	s_waitcnt lgkmcnt(0)
	v_bcnt_u32_b32 v2, v2, v35
	ds_write_b32 v43, v2 offset:128
.LBB1034_145:
	s_or_b32 exec_lo, exec_lo, s4
	v_xor_b32_e32 v25, 0x7fffffff, v8
	; wave barrier
	v_lshrrev_b32_e32 v2, s44, v25
	v_and_b32_e32 v2, s14, v2
	v_and_b32_e32 v29, 1, v2
	v_lshlrev_b32_e32 v33, 30, v2
	v_lshlrev_b32_e32 v37, 29, v2
	;; [unrolled: 1-line block ×4, first 2 shown]
	v_add_co_u32 v29, s4, v29, -1
	v_cndmask_b32_e64 v40, 0, 1, s4
	v_not_b32_e32 v45, v33
	v_cmp_gt_i32_e64 s4, 0, v33
	v_not_b32_e32 v33, v37
	v_lshlrev_b32_e32 v42, 26, v2
	v_cmp_ne_u32_e32 vcc_lo, 0, v40
	v_ashrrev_i32_e32 v40, 31, v45
	v_lshlrev_b32_e32 v44, 25, v2
	v_ashrrev_i32_e32 v33, 31, v33
	v_mul_lo_u32 v8, 0x84, v2
	v_xor_b32_e32 v29, vcc_lo, v29
	v_cmp_gt_i32_e32 vcc_lo, 0, v37
	v_not_b32_e32 v37, v39
	v_xor_b32_e32 v40, s4, v40
	v_cmp_gt_i32_e64 s4, 0, v39
	v_and_b32_e32 v29, exec_lo, v29
	v_not_b32_e32 v39, v41
	v_ashrrev_i32_e32 v37, 31, v37
	v_xor_b32_e32 v33, vcc_lo, v33
	v_cmp_gt_i32_e32 vcc_lo, 0, v41
	v_and_b32_e32 v29, v29, v40
	v_not_b32_e32 v40, v42
	v_ashrrev_i32_e32 v39, 31, v39
	v_xor_b32_e32 v37, s4, v37
	v_lshlrev_b32_e32 v2, 24, v2
	v_and_b32_e32 v29, v29, v33
	v_cmp_gt_i32_e64 s4, 0, v42
	v_not_b32_e32 v33, v44
	v_ashrrev_i32_e32 v40, 31, v40
	v_xor_b32_e32 v39, vcc_lo, v39
	v_and_b32_e32 v29, v29, v37
	v_cmp_gt_i32_e32 vcc_lo, 0, v44
	v_not_b32_e32 v37, v2
	v_ashrrev_i32_e32 v33, 31, v33
	v_xor_b32_e32 v40, s4, v40
	v_and_b32_e32 v29, v29, v39
	v_cmp_gt_i32_e64 s4, 0, v2
	v_ashrrev_i32_e32 v2, 31, v37
	v_xor_b32_e32 v33, vcc_lo, v33
	v_lshl_add_u32 v47, v1, 2, v8
	v_and_b32_e32 v29, v29, v40
	v_xor_b32_e32 v2, s4, v2
	ds_read_b32 v39, v47 offset:128
	v_and_b32_e32 v8, v29, v33
	; wave barrier
	v_and_b32_e32 v2, v8, v2
	v_mbcnt_lo_u32_b32 v41, v2, 0
	v_cmp_ne_u32_e64 s4, 0, v2
	v_cmp_eq_u32_e32 vcc_lo, 0, v41
	s_and_b32 s5, s4, vcc_lo
	s_and_saveexec_b32 s4, s5
	s_cbranch_execz .LBB1034_147
; %bb.146:
	s_waitcnt lgkmcnt(0)
	v_bcnt_u32_b32 v2, v2, v39
	ds_write_b32 v47, v2 offset:128
.LBB1034_147:
	s_or_b32 exec_lo, exec_lo, s4
	v_xor_b32_e32 v29, 0x7fffffff, v7
	; wave barrier
	v_lshrrev_b32_e32 v2, s44, v29
	v_and_b32_e32 v2, s14, v2
	v_and_b32_e32 v8, 1, v2
	v_lshlrev_b32_e32 v33, 30, v2
	v_lshlrev_b32_e32 v37, 29, v2
	;; [unrolled: 1-line block ×4, first 2 shown]
	v_add_co_u32 v8, s4, v8, -1
	v_cndmask_b32_e64 v42, 0, 1, s4
	v_not_b32_e32 v48, v33
	v_cmp_gt_i32_e64 s4, 0, v33
	v_not_b32_e32 v33, v37
	v_lshlrev_b32_e32 v45, 26, v2
	v_cmp_ne_u32_e32 vcc_lo, 0, v42
	v_ashrrev_i32_e32 v42, 31, v48
	v_lshlrev_b32_e32 v46, 25, v2
	v_ashrrev_i32_e32 v33, 31, v33
	v_mul_lo_u32 v7, 0x84, v2
	v_xor_b32_e32 v8, vcc_lo, v8
	v_cmp_gt_i32_e32 vcc_lo, 0, v37
	v_not_b32_e32 v37, v40
	v_xor_b32_e32 v42, s4, v42
	v_cmp_gt_i32_e64 s4, 0, v40
	v_and_b32_e32 v8, exec_lo, v8
	v_not_b32_e32 v40, v44
	v_ashrrev_i32_e32 v37, 31, v37
	v_xor_b32_e32 v33, vcc_lo, v33
	v_cmp_gt_i32_e32 vcc_lo, 0, v44
	v_and_b32_e32 v8, v8, v42
	v_not_b32_e32 v42, v45
	v_ashrrev_i32_e32 v40, 31, v40
	v_xor_b32_e32 v37, s4, v37
	v_lshlrev_b32_e32 v2, 24, v2
	v_and_b32_e32 v8, v8, v33
	v_cmp_gt_i32_e64 s4, 0, v45
	v_not_b32_e32 v33, v46
	v_ashrrev_i32_e32 v42, 31, v42
	v_xor_b32_e32 v40, vcc_lo, v40
	v_and_b32_e32 v8, v8, v37
	v_cmp_gt_i32_e32 vcc_lo, 0, v46
	v_not_b32_e32 v37, v2
	v_ashrrev_i32_e32 v33, 31, v33
	v_xor_b32_e32 v42, s4, v42
	v_and_b32_e32 v8, v8, v40
	v_cmp_gt_i32_e64 s4, 0, v2
	v_ashrrev_i32_e32 v2, 31, v37
	v_xor_b32_e32 v33, vcc_lo, v33
	v_lshl_add_u32 v50, v1, 2, v7
	v_and_b32_e32 v8, v8, v42
	v_xor_b32_e32 v2, s4, v2
	ds_read_b32 v44, v50 offset:128
	v_and_b32_e32 v7, v8, v33
	; wave barrier
	v_and_b32_e32 v2, v7, v2
	v_mbcnt_lo_u32_b32 v45, v2, 0
	v_cmp_ne_u32_e64 s4, 0, v2
	v_cmp_eq_u32_e32 vcc_lo, 0, v45
	s_and_b32 s5, s4, vcc_lo
	s_and_saveexec_b32 s4, s5
	s_cbranch_execz .LBB1034_149
; %bb.148:
	s_waitcnt lgkmcnt(0)
	v_bcnt_u32_b32 v2, v2, v44
	ds_write_b32 v50, v2 offset:128
.LBB1034_149:
	s_or_b32 exec_lo, exec_lo, s4
	v_xor_b32_e32 v33, 0x7fffffff, v6
	; wave barrier
	v_lshrrev_b32_e32 v2, s44, v33
	v_and_b32_e32 v2, s14, v2
	v_and_b32_e32 v7, 1, v2
	v_lshlrev_b32_e32 v8, 30, v2
	v_lshlrev_b32_e32 v37, 29, v2
	v_lshlrev_b32_e32 v40, 28, v2
	v_lshlrev_b32_e32 v46, 27, v2
	v_add_co_u32 v7, s4, v7, -1
	v_cndmask_b32_e64 v42, 0, 1, s4
	v_not_b32_e32 v51, v8
	v_cmp_gt_i32_e64 s4, 0, v8
	v_not_b32_e32 v8, v37
	v_lshlrev_b32_e32 v48, 26, v2
	v_cmp_ne_u32_e32 vcc_lo, 0, v42
	v_ashrrev_i32_e32 v42, 31, v51
	v_lshlrev_b32_e32 v49, 25, v2
	v_ashrrev_i32_e32 v8, 31, v8
	v_mul_lo_u32 v6, 0x84, v2
	v_xor_b32_e32 v7, vcc_lo, v7
	v_cmp_gt_i32_e32 vcc_lo, 0, v37
	v_not_b32_e32 v37, v40
	v_xor_b32_e32 v42, s4, v42
	v_cmp_gt_i32_e64 s4, 0, v40
	v_and_b32_e32 v7, exec_lo, v7
	v_not_b32_e32 v40, v46
	v_ashrrev_i32_e32 v37, 31, v37
	v_xor_b32_e32 v8, vcc_lo, v8
	v_cmp_gt_i32_e32 vcc_lo, 0, v46
	v_and_b32_e32 v7, v7, v42
	v_not_b32_e32 v42, v48
	v_ashrrev_i32_e32 v40, 31, v40
	v_xor_b32_e32 v37, s4, v37
	v_lshlrev_b32_e32 v2, 24, v2
	v_and_b32_e32 v7, v7, v8
	v_cmp_gt_i32_e64 s4, 0, v48
	v_not_b32_e32 v8, v49
	v_ashrrev_i32_e32 v42, 31, v42
	v_xor_b32_e32 v40, vcc_lo, v40
	v_and_b32_e32 v7, v7, v37
	v_cmp_gt_i32_e32 vcc_lo, 0, v49
	v_not_b32_e32 v37, v2
	v_ashrrev_i32_e32 v8, 31, v8
	v_xor_b32_e32 v42, s4, v42
	v_and_b32_e32 v7, v7, v40
	v_cmp_gt_i32_e64 s4, 0, v2
	v_ashrrev_i32_e32 v2, 31, v37
	v_xor_b32_e32 v8, vcc_lo, v8
	v_lshl_add_u32 v53, v1, 2, v6
	v_and_b32_e32 v7, v7, v42
	v_xor_b32_e32 v2, s4, v2
	ds_read_b32 v48, v53 offset:128
	v_and_b32_e32 v6, v7, v8
	; wave barrier
	v_and_b32_e32 v2, v6, v2
	v_mbcnt_lo_u32_b32 v49, v2, 0
	v_cmp_ne_u32_e64 s4, 0, v2
	v_cmp_eq_u32_e32 vcc_lo, 0, v49
	s_and_b32 s5, s4, vcc_lo
	s_and_saveexec_b32 s4, s5
	s_cbranch_execz .LBB1034_151
; %bb.150:
	s_waitcnt lgkmcnt(0)
	v_bcnt_u32_b32 v2, v2, v48
	ds_write_b32 v53, v2 offset:128
.LBB1034_151:
	s_or_b32 exec_lo, exec_lo, s4
	v_xor_b32_e32 v37, 0x7fffffff, v5
	; wave barrier
	v_lshrrev_b32_e32 v2, s44, v37
	v_and_b32_e32 v2, s14, v2
	v_and_b32_e32 v6, 1, v2
	v_lshlrev_b32_e32 v7, 30, v2
	v_lshlrev_b32_e32 v8, 29, v2
	;; [unrolled: 1-line block ×4, first 2 shown]
	v_add_co_u32 v6, s4, v6, -1
	v_cndmask_b32_e64 v42, 0, 1, s4
	v_not_b32_e32 v54, v7
	v_cmp_gt_i32_e64 s4, 0, v7
	v_not_b32_e32 v7, v8
	v_lshlrev_b32_e32 v51, 26, v2
	v_cmp_ne_u32_e32 vcc_lo, 0, v42
	v_ashrrev_i32_e32 v42, 31, v54
	v_lshlrev_b32_e32 v52, 25, v2
	v_ashrrev_i32_e32 v7, 31, v7
	v_mul_lo_u32 v5, 0x84, v2
	v_xor_b32_e32 v6, vcc_lo, v6
	v_cmp_gt_i32_e32 vcc_lo, 0, v8
	v_not_b32_e32 v8, v40
	v_xor_b32_e32 v42, s4, v42
	v_cmp_gt_i32_e64 s4, 0, v40
	v_and_b32_e32 v6, exec_lo, v6
	v_not_b32_e32 v40, v46
	v_ashrrev_i32_e32 v8, 31, v8
	v_xor_b32_e32 v7, vcc_lo, v7
	v_cmp_gt_i32_e32 vcc_lo, 0, v46
	v_and_b32_e32 v6, v6, v42
	v_not_b32_e32 v42, v51
	v_ashrrev_i32_e32 v40, 31, v40
	v_xor_b32_e32 v8, s4, v8
	v_lshlrev_b32_e32 v2, 24, v2
	v_and_b32_e32 v6, v6, v7
	v_cmp_gt_i32_e64 s4, 0, v51
	v_not_b32_e32 v7, v52
	v_ashrrev_i32_e32 v42, 31, v42
	v_xor_b32_e32 v40, vcc_lo, v40
	v_and_b32_e32 v6, v6, v8
	v_cmp_gt_i32_e32 vcc_lo, 0, v52
	v_not_b32_e32 v8, v2
	v_ashrrev_i32_e32 v7, 31, v7
	v_xor_b32_e32 v42, s4, v42
	v_and_b32_e32 v6, v6, v40
	v_cmp_gt_i32_e64 s4, 0, v2
	v_ashrrev_i32_e32 v2, 31, v8
	v_xor_b32_e32 v7, vcc_lo, v7
	v_lshl_add_u32 v56, v1, 2, v5
	v_and_b32_e32 v6, v6, v42
	v_xor_b32_e32 v2, s4, v2
	ds_read_b32 v51, v56 offset:128
	v_and_b32_e32 v5, v6, v7
	; wave barrier
	v_and_b32_e32 v2, v5, v2
	v_mbcnt_lo_u32_b32 v52, v2, 0
	v_cmp_ne_u32_e64 s4, 0, v2
	v_cmp_eq_u32_e32 vcc_lo, 0, v52
	s_and_b32 s5, s4, vcc_lo
	s_and_saveexec_b32 s4, s5
	s_cbranch_execz .LBB1034_153
; %bb.152:
	s_waitcnt lgkmcnt(0)
	v_bcnt_u32_b32 v2, v2, v51
	ds_write_b32 v56, v2 offset:128
.LBB1034_153:
	s_or_b32 exec_lo, exec_lo, s4
	v_xor_b32_e32 v42, 0x7fffffff, v4
	; wave barrier
	v_lshrrev_b32_e32 v2, s44, v42
	v_and_b32_e32 v2, s14, v2
	v_and_b32_e32 v5, 1, v2
	v_lshlrev_b32_e32 v6, 30, v2
	v_lshlrev_b32_e32 v7, 29, v2
	;; [unrolled: 1-line block ×4, first 2 shown]
	v_add_co_u32 v5, s4, v5, -1
	v_cndmask_b32_e64 v40, 0, 1, s4
	v_not_b32_e32 v57, v6
	v_cmp_gt_i32_e64 s4, 0, v6
	v_not_b32_e32 v6, v7
	v_lshlrev_b32_e32 v54, 26, v2
	v_cmp_ne_u32_e32 vcc_lo, 0, v40
	v_ashrrev_i32_e32 v40, 31, v57
	v_lshlrev_b32_e32 v55, 25, v2
	v_ashrrev_i32_e32 v6, 31, v6
	v_mul_lo_u32 v4, 0x84, v2
	v_xor_b32_e32 v5, vcc_lo, v5
	v_cmp_gt_i32_e32 vcc_lo, 0, v7
	v_not_b32_e32 v7, v8
	v_xor_b32_e32 v40, s4, v40
	v_cmp_gt_i32_e64 s4, 0, v8
	v_and_b32_e32 v5, exec_lo, v5
	v_not_b32_e32 v8, v46
	v_ashrrev_i32_e32 v7, 31, v7
	v_xor_b32_e32 v6, vcc_lo, v6
	v_cmp_gt_i32_e32 vcc_lo, 0, v46
	v_and_b32_e32 v5, v5, v40
	v_not_b32_e32 v40, v54
	v_ashrrev_i32_e32 v8, 31, v8
	v_xor_b32_e32 v7, s4, v7
	v_lshlrev_b32_e32 v2, 24, v2
	v_and_b32_e32 v5, v5, v6
	v_cmp_gt_i32_e64 s4, 0, v54
	v_not_b32_e32 v6, v55
	v_ashrrev_i32_e32 v40, 31, v40
	v_xor_b32_e32 v8, vcc_lo, v8
	v_and_b32_e32 v5, v5, v7
	v_cmp_gt_i32_e32 vcc_lo, 0, v55
	v_not_b32_e32 v7, v2
	v_ashrrev_i32_e32 v6, 31, v6
	v_xor_b32_e32 v40, s4, v40
	v_and_b32_e32 v5, v5, v8
	v_cmp_gt_i32_e64 s4, 0, v2
	v_ashrrev_i32_e32 v2, 31, v7
	v_xor_b32_e32 v6, vcc_lo, v6
	v_lshl_add_u32 v59, v1, 2, v4
	v_and_b32_e32 v5, v5, v40
	v_xor_b32_e32 v2, s4, v2
	ds_read_b32 v54, v59 offset:128
	v_and_b32_e32 v4, v5, v6
	; wave barrier
	v_and_b32_e32 v2, v4, v2
	v_mbcnt_lo_u32_b32 v55, v2, 0
	v_cmp_ne_u32_e64 s4, 0, v2
	v_cmp_eq_u32_e32 vcc_lo, 0, v55
	s_and_b32 s5, s4, vcc_lo
	s_and_saveexec_b32 s4, s5
	s_cbranch_execz .LBB1034_155
; %bb.154:
	s_waitcnt lgkmcnt(0)
	v_bcnt_u32_b32 v2, v2, v54
	ds_write_b32 v59, v2 offset:128
.LBB1034_155:
	s_or_b32 exec_lo, exec_lo, s4
	v_xor_b32_e32 v46, 0x7fffffff, v3
	; wave barrier
	v_lshrrev_b32_e32 v2, s44, v46
	v_and_b32_e32 v2, s14, v2
	v_and_b32_e32 v4, 1, v2
	v_lshlrev_b32_e32 v5, 30, v2
	v_lshlrev_b32_e32 v6, 29, v2
	;; [unrolled: 1-line block ×4, first 2 shown]
	v_add_co_u32 v4, s4, v4, -1
	v_cndmask_b32_e64 v8, 0, 1, s4
	v_not_b32_e32 v60, v5
	v_cmp_gt_i32_e64 s4, 0, v5
	v_not_b32_e32 v5, v6
	v_lshlrev_b32_e32 v57, 26, v2
	v_cmp_ne_u32_e32 vcc_lo, 0, v8
	v_ashrrev_i32_e32 v8, 31, v60
	v_lshlrev_b32_e32 v58, 25, v2
	v_ashrrev_i32_e32 v5, 31, v5
	v_mul_lo_u32 v3, 0x84, v2
	v_xor_b32_e32 v4, vcc_lo, v4
	v_cmp_gt_i32_e32 vcc_lo, 0, v6
	v_not_b32_e32 v6, v7
	v_xor_b32_e32 v8, s4, v8
	v_cmp_gt_i32_e64 s4, 0, v7
	v_and_b32_e32 v4, exec_lo, v4
	v_not_b32_e32 v7, v40
	v_ashrrev_i32_e32 v6, 31, v6
	v_xor_b32_e32 v5, vcc_lo, v5
	v_cmp_gt_i32_e32 vcc_lo, 0, v40
	v_and_b32_e32 v4, v4, v8
	v_not_b32_e32 v8, v57
	v_ashrrev_i32_e32 v7, 31, v7
	v_xor_b32_e32 v6, s4, v6
	v_lshlrev_b32_e32 v2, 24, v2
	v_and_b32_e32 v4, v4, v5
	v_cmp_gt_i32_e64 s4, 0, v57
	v_not_b32_e32 v5, v58
	v_ashrrev_i32_e32 v8, 31, v8
	v_xor_b32_e32 v7, vcc_lo, v7
	v_and_b32_e32 v4, v4, v6
	v_cmp_gt_i32_e32 vcc_lo, 0, v58
	v_not_b32_e32 v6, v2
	v_ashrrev_i32_e32 v5, 31, v5
	v_xor_b32_e32 v8, s4, v8
	v_and_b32_e32 v4, v4, v7
	v_cmp_gt_i32_e64 s4, 0, v2
	v_ashrrev_i32_e32 v2, 31, v6
	v_xor_b32_e32 v5, vcc_lo, v5
	v_lshl_add_u32 v60, v1, 2, v3
	v_and_b32_e32 v4, v4, v8
	v_xor_b32_e32 v1, s4, v2
	ds_read_b32 v57, v60 offset:128
	v_and_b32_e32 v2, v4, v5
	; wave barrier
	v_and_b32_e32 v1, v2, v1
	v_mbcnt_lo_u32_b32 v58, v1, 0
	v_cmp_ne_u32_e64 s4, 0, v1
	v_cmp_eq_u32_e32 vcc_lo, 0, v58
	s_and_b32 s5, s4, vcc_lo
	s_and_saveexec_b32 s4, s5
	s_cbranch_execz .LBB1034_157
; %bb.156:
	s_waitcnt lgkmcnt(0)
	v_bcnt_u32_b32 v1, v1, v57
	ds_write_b32 v60, v1 offset:128
.LBB1034_157:
	s_or_b32 exec_lo, exec_lo, s4
	; wave barrier
	s_waitcnt lgkmcnt(0)
	s_barrier
	buffer_gl0_inv
	ds_read2_b32 v[7:8], v21 offset0:32 offset1:33
	ds_read2_b32 v[5:6], v21 offset0:34 offset1:35
	ds_read2_b32 v[3:4], v21 offset0:36 offset1:37
	ds_read2_b32 v[1:2], v21 offset0:38 offset1:39
	ds_read_b32 v40, v21 offset:160
	v_and_b32_e32 v63, 16, v11
	v_and_b32_e32 v64, 31, v0
	s_mov_b32 s10, exec_lo
	v_cmp_eq_u32_e64 s8, 0, v63
	s_waitcnt lgkmcnt(3)
	v_add3_u32 v61, v8, v7, v5
	s_waitcnt lgkmcnt(2)
	v_add3_u32 v61, v61, v6, v3
	;; [unrolled: 2-line block ×4, first 2 shown]
	v_and_b32_e32 v61, 15, v11
	v_mov_b32_dpp v62, v40 row_shr:1 row_mask:0xf bank_mask:0xf
	v_cmp_eq_u32_e32 vcc_lo, 0, v61
	v_cmp_lt_u32_e64 s4, 1, v61
	v_cmp_lt_u32_e64 s5, 3, v61
	;; [unrolled: 1-line block ×3, first 2 shown]
	v_cndmask_b32_e64 v62, v62, 0, vcc_lo
	v_add_nc_u32_e32 v40, v62, v40
	v_mov_b32_dpp v62, v40 row_shr:2 row_mask:0xf bank_mask:0xf
	v_cndmask_b32_e64 v62, 0, v62, s4
	v_add_nc_u32_e32 v40, v40, v62
	v_mov_b32_dpp v62, v40 row_shr:4 row_mask:0xf bank_mask:0xf
	v_cndmask_b32_e64 v62, 0, v62, s5
	;; [unrolled: 3-line block ×3, first 2 shown]
	v_bfe_i32 v62, v11, 4, 1
	v_add_nc_u32_e32 v40, v40, v61
	ds_swizzle_b32 v61, v40 offset:swizzle(BROADCAST,32,15)
	s_waitcnt lgkmcnt(0)
	v_and_b32_e32 v61, v62, v61
	v_lshrrev_b32_e32 v62, 5, v0
	v_add_nc_u32_e32 v61, v40, v61
	v_cmpx_eq_u32_e32 31, v64
; %bb.158:
	v_lshlrev_b32_e32 v40, 2, v62
	ds_write_b32 v40, v61
; %bb.159:
	s_or_b32 exec_lo, exec_lo, s10
	v_cmp_lt_u32_e64 s9, 31, v0
	v_lshlrev_b32_e32 v40, 2, v0
	s_mov_b32 s15, exec_lo
	s_waitcnt lgkmcnt(0)
	s_barrier
	buffer_gl0_inv
	v_cmpx_gt_u32_e32 32, v0
	s_cbranch_execz .LBB1034_161
; %bb.160:
	ds_read_b32 v63, v40
	s_waitcnt lgkmcnt(0)
	v_mov_b32_dpp v64, v63 row_shr:1 row_mask:0xf bank_mask:0xf
	v_cndmask_b32_e64 v64, v64, 0, vcc_lo
	v_add_nc_u32_e32 v63, v64, v63
	v_mov_b32_dpp v64, v63 row_shr:2 row_mask:0xf bank_mask:0xf
	v_cndmask_b32_e64 v64, 0, v64, s4
	v_add_nc_u32_e32 v63, v63, v64
	v_mov_b32_dpp v64, v63 row_shr:4 row_mask:0xf bank_mask:0xf
	v_cndmask_b32_e64 v64, 0, v64, s5
	;; [unrolled: 3-line block ×3, first 2 shown]
	v_add_nc_u32_e32 v63, v63, v64
	ds_swizzle_b32 v64, v63 offset:swizzle(BROADCAST,32,15)
	s_waitcnt lgkmcnt(0)
	v_cndmask_b32_e64 v64, v64, 0, s8
	v_add_nc_u32_e32 v63, v63, v64
	ds_write_b32 v40, v63
.LBB1034_161:
	s_or_b32 exec_lo, exec_lo, s15
	v_mov_b32_e32 v63, 0
	s_waitcnt lgkmcnt(0)
	s_barrier
	buffer_gl0_inv
	s_and_saveexec_b32 s4, s9
; %bb.162:
	v_lshl_add_u32 v62, v62, 2, -4
	ds_read_b32 v63, v62
; %bb.163:
	s_or_b32 exec_lo, exec_lo, s4
	v_sub_co_u32 v62, vcc_lo, v11, 1
	s_waitcnt lgkmcnt(0)
	v_add_nc_u32_e32 v61, v63, v61
	v_cmp_gt_i32_e64 s4, 0, v62
	v_cndmask_b32_e64 v11, v62, v11, s4
	v_cmp_lt_u32_e64 s4, 0xff, v0
	v_lshlrev_b32_e32 v11, 2, v11
	ds_bpermute_b32 v11, v11, v61
	s_waitcnt lgkmcnt(0)
	v_cndmask_b32_e32 v11, v11, v63, vcc_lo
	v_cmp_ne_u32_e32 vcc_lo, 0, v0
	v_cndmask_b32_e32 v11, 0, v11, vcc_lo
	v_cmp_gt_u32_e32 vcc_lo, 0x100, v0
	v_add_nc_u32_e32 v7, v11, v7
	v_add_nc_u32_e32 v8, v7, v8
	;; [unrolled: 1-line block ×8, first 2 shown]
	ds_write2_b32 v21, v11, v7 offset0:32 offset1:33
	ds_write2_b32 v21, v8, v5 offset0:34 offset1:35
	;; [unrolled: 1-line block ×4, first 2 shown]
	ds_write_b32 v21, v2 offset:160
	s_waitcnt lgkmcnt(0)
	s_barrier
	buffer_gl0_inv
	ds_read_b32 v11, v22 offset:128
	ds_read_b32 v21, v26 offset:128
	;; [unrolled: 1-line block ×12, first 2 shown]
                                        ; implicit-def: $vgpr7
                                        ; implicit-def: $vgpr8
	s_and_saveexec_b32 s7, vcc_lo
	s_cbranch_execz .LBB1034_167
; %bb.164:
	v_mul_u32_u24_e32 v1, 0x84, v0
	v_add_nc_u32_e32 v2, 1, v0
	s_mov_b32 s8, exec_lo
	ds_read_b32 v7, v1 offset:128
	v_mov_b32_e32 v1, 0x3000
	v_cmpx_ne_u32_e32 0x100, v2
; %bb.165:
	v_mul_u32_u24_e32 v1, 0x84, v2
	ds_read_b32 v1, v1 offset:128
; %bb.166:
	s_or_b32 exec_lo, exec_lo, s8
	s_waitcnt lgkmcnt(0)
	v_sub_nc_u32_e32 v8, v1, v7
.LBB1034_167:
	s_or_b32 exec_lo, exec_lo, s7
	v_mov_b32_e32 v2, 0
	s_waitcnt lgkmcnt(0)
	s_barrier
	buffer_gl0_inv
	s_and_saveexec_b32 s5, vcc_lo
	s_cbranch_execz .LBB1034_177
; %bb.168:
	v_lshl_add_u32 v1, s6, 8, v0
	v_mov_b32_e32 v59, 0
	s_mov_b32 s7, 0
	s_mov_b32 s8, s6
                                        ; implicit-def: $sgpr9
	v_lshlrev_b64 v[3:4], 2, v[1:2]
	v_or_b32_e32 v1, 2.0, v8
	v_add_co_u32 v3, vcc_lo, s26, v3
	v_add_co_ci_u32_e64 v4, null, s27, v4, vcc_lo
	global_store_dword v[3:4], v1, off
	s_branch .LBB1034_171
	.p2align	6
.LBB1034_169:                           ;   in Loop: Header=BB1034_171 Depth=1
	s_or_b32 exec_lo, exec_lo, s10
.LBB1034_170:                           ;   in Loop: Header=BB1034_171 Depth=1
	s_or_b32 exec_lo, exec_lo, s9
	v_and_b32_e32 v5, 0x3fffffff, v1
	v_cmp_gt_i32_e64 s9, -2.0, v1
	v_add_nc_u32_e32 v59, v5, v59
	s_and_b32 s10, exec_lo, s9
	s_or_b32 s7, s10, s7
	s_andn2_b32 exec_lo, exec_lo, s7
	s_cbranch_execz .LBB1034_176
.LBB1034_171:                           ; =>This Loop Header: Depth=1
                                        ;     Child Loop BB1034_174 Depth 2
	s_or_b32 s9, s9, exec_lo
	s_cmp_eq_u32 s8, 0
	s_cbranch_scc1 .LBB1034_175
; %bb.172:                              ;   in Loop: Header=BB1034_171 Depth=1
	s_add_i32 s8, s8, -1
	s_mov_b32 s9, exec_lo
	v_lshl_or_b32 v1, s8, 8, v0
	v_lshlrev_b64 v[5:6], 2, v[1:2]
	v_add_co_u32 v5, vcc_lo, s26, v5
	v_add_co_ci_u32_e64 v6, null, s27, v6, vcc_lo
	global_load_dword v1, v[5:6], off glc dlc
	s_waitcnt vmcnt(0)
	v_cmpx_gt_u32_e32 2.0, v1
	s_cbranch_execz .LBB1034_170
; %bb.173:                              ;   in Loop: Header=BB1034_171 Depth=1
	s_mov_b32 s10, 0
.LBB1034_174:                           ;   Parent Loop BB1034_171 Depth=1
                                        ; =>  This Inner Loop Header: Depth=2
	global_load_dword v1, v[5:6], off glc dlc
	s_waitcnt vmcnt(0)
	v_cmp_lt_u32_e32 vcc_lo, 0x3fffffff, v1
	s_or_b32 s10, vcc_lo, s10
	s_andn2_b32 exec_lo, exec_lo, s10
	s_cbranch_execnz .LBB1034_174
	s_branch .LBB1034_169
.LBB1034_175:                           ;   in Loop: Header=BB1034_171 Depth=1
                                        ; implicit-def: $sgpr8
	s_and_b32 s10, exec_lo, s9
	s_or_b32 s7, s10, s7
	s_andn2_b32 exec_lo, exec_lo, s7
	s_cbranch_execnz .LBB1034_171
.LBB1034_176:
	s_or_b32 exec_lo, exec_lo, s7
	v_add_nc_u32_e32 v1, v59, v8
	v_sub_nc_u32_e32 v2, v59, v7
	v_or_b32_e32 v1, 0x80000000, v1
	global_store_dword v[3:4], v1, off
	global_load_dword v1, v40, s[28:29]
	s_waitcnt vmcnt(0)
	v_add_nc_u32_e32 v1, v2, v1
	ds_write_b32 v40, v1
.LBB1034_177:
	s_or_b32 exec_lo, exec_lo, s5
	v_add_nc_u32_e32 v3, v11, v16
	v_add3_u32 v4, v19, v18, v21
	v_add3_u32 v5, v24, v23, v22
	;; [unrolled: 1-line block ×11, first 2 shown]
	v_mov_b32_e32 v2, 0
	v_mov_b32_e32 v26, v3
	;; [unrolled: 1-line block ×13, first 2 shown]
	s_mov_b32 s5, 32
	s_mov_b32 s9, 0
	;; [unrolled: 1-line block ×3, first 2 shown]
	s_mov_b32 s8, -1
	s_branch .LBB1034_179
.LBB1034_178:                           ;   in Loop: Header=BB1034_179 Depth=1
	v_add_nc_u32_e32 v41, 0xffffe000, v41
	v_add_nc_u32_e32 v39, 0xffffe000, v39
	;; [unrolled: 1-line block ×12, first 2 shown]
	s_xor_b32 s9, s8, -1
	s_addk_i32 s7, 0x2000
	s_mov_b32 s8, 0
	s_and_b32 vcc_lo, exec_lo, s9
	s_mov_b32 s9, s5
	s_waitcnt_vscnt null, 0x0
	s_barrier
	buffer_gl0_inv
	s_cbranch_vccnz .LBB1034_187
.LBB1034_179:                           ; =>This Inner Loop Header: Depth=1
	v_min_u32_e32 v1, 0x2000, v26
	v_min_u32_e32 v43, 0x2000, v27
	;; [unrolled: 1-line block ×5, first 2 shown]
	v_lshlrev_b32_e32 v1, 2, v1
	v_lshlrev_b32_e32 v43, 2, v43
	v_min_u32_e32 v48, 0x2000, v32
	v_min_u32_e32 v49, 0x2000, v34
	v_mov_b32_e32 v57, s9
	ds_write_b32 v1, v12 offset:1024
	ds_write_b32 v43, v13 offset:1024
	v_lshlrev_b32_e32 v1, 2, v44
	v_lshlrev_b32_e32 v43, 2, v45
	;; [unrolled: 1-line block ×5, first 2 shown]
	ds_write_b32 v1, v14 offset:1024
	ds_write_b32 v43, v15 offset:1024
	;; [unrolled: 1-line block ×5, first 2 shown]
	v_min_u32_e32 v1, 0x2000, v35
	v_min_u32_e32 v43, 0x2000, v36
	;; [unrolled: 1-line block ×5, first 2 shown]
	v_lshlrev_b32_e32 v1, 2, v1
	v_lshlrev_b32_e32 v43, 2, v43
	;; [unrolled: 1-line block ×5, first 2 shown]
	ds_write_b32 v1, v29 offset:1024
	ds_write_b32 v43, v33 offset:1024
	;; [unrolled: 1-line block ×5, first 2 shown]
	s_waitcnt lgkmcnt(0)
	s_waitcnt_vscnt null, 0x0
	s_barrier
	buffer_gl0_inv
	ds_read2st64_b32 v[44:45], v40 offset0:4 offset1:20
	ds_read2st64_b32 v[47:48], v40 offset0:36 offset1:52
	s_add_i32 s10, s7, 0x1000
	s_cmpk_lt_u32 s10, 0x3000
	s_waitcnt lgkmcnt(1)
	v_lshrrev_b32_e32 v1, s44, v44
	v_xor_b32_e32 v58, 0x7fffffff, v44
	v_xor_b32_e32 v59, 0x7fffffff, v45
	s_waitcnt lgkmcnt(0)
	v_xor_b32_e32 v60, 0x7fffffff, v47
	v_xor_b32_e32 v61, 0x7fffffff, v48
	v_and_b32_e32 v49, s14, v1
	v_lshrrev_b32_e32 v1, s44, v45
	v_lshlrev_b32_e32 v43, 2, v49
	v_and_b32_e32 v50, s14, v1
	v_lshrrev_b32_e32 v1, s44, v47
	ds_read_b32 v51, v43
	v_and_b32_e32 v53, s14, v1
	v_lshrrev_b32_e32 v1, s44, v48
	v_and_b32_e32 v54, s14, v1
	v_lshlrev_b32_e32 v1, 2, v54
	ds_read_b32 v56, v1
	v_lshlrev_b32_e32 v43, 2, v50
	ds_read_b32 v52, v43
	;; [unrolled: 2-line block ×3, first 2 shown]
	v_add_nc_u32_e32 v43, s7, v0
	buffer_store_dword v49, v57, s[0:3], 0 offen
	buffer_store_dword v50, v57, s[0:3], 0 offen offset:4
	buffer_store_dword v53, v57, s[0:3], 0 offen offset:8
	s_waitcnt lgkmcnt(3)
	v_add_nc_u32_e32 v1, v43, v51
	v_lshlrev_b64 v[44:45], 2, v[1:2]
	s_waitcnt lgkmcnt(1)
	v_add3_u32 v1, v43, v52, 0x400
	v_add_co_u32 v44, vcc_lo, s38, v44
	v_lshlrev_b64 v[47:48], 2, v[1:2]
	s_waitcnt lgkmcnt(0)
	v_add3_u32 v1, v43, v55, 0x800
	v_add_co_ci_u32_e64 v45, null, s39, v45, vcc_lo
	v_lshlrev_b64 v[49:50], 2, v[1:2]
	v_add3_u32 v1, v43, v56, 0xc00
	v_add_co_u32 v47, vcc_lo, s38, v47
	v_add_co_ci_u32_e64 v48, null, s39, v48, vcc_lo
	v_lshlrev_b64 v[51:52], 2, v[1:2]
	v_add_co_u32 v49, vcc_lo, s38, v49
	v_add_co_ci_u32_e64 v50, null, s39, v50, vcc_lo
	v_add_co_u32 v51, vcc_lo, s38, v51
	v_add_co_ci_u32_e64 v52, null, s39, v52, vcc_lo
	global_store_dword v[44:45], v58, off
	global_store_dword v[47:48], v59, off
	global_store_dword v[49:50], v60, off
	global_store_dword v[51:52], v61, off
	buffer_store_dword v54, v57, s[0:3], 0 offen offset:12
	s_cbranch_scc0 .LBB1034_183
; %bb.180:                              ;   in Loop: Header=BB1034_179 Depth=1
	ds_read_b32 v47, v40 offset:17408
	s_waitcnt lgkmcnt(0)
	v_lshrrev_b32_e32 v1, s44, v47
	v_and_b32_e32 v48, s14, v1
	v_lshlrev_b32_e32 v1, 2, v48
	ds_read_b32 v1, v1
	s_waitcnt lgkmcnt(0)
	v_add3_u32 v1, v43, v1, 0x1000
	v_lshlrev_b64 v[44:45], 2, v[1:2]
	v_xor_b32_e32 v1, 0x7fffffff, v47
	v_mov_b32_e32 v47, s9
	v_add_co_u32 v44, vcc_lo, s38, v44
	v_add_co_ci_u32_e64 v45, null, s39, v45, vcc_lo
	buffer_store_dword v48, v47, s[0:3], 0 offen offset:16
	global_store_dword v[44:45], v1, off
	s_add_i32 s10, s7, 0x1400
	s_cmpk_gt_u32 s10, 0x2fff
	s_cbranch_scc0 .LBB1034_184
.LBB1034_181:                           ;   in Loop: Header=BB1034_179 Depth=1
	s_add_i32 s10, s7, 0x1800
	s_cmpk_gt_u32 s10, 0x2fff
	s_cbranch_scc1 .LBB1034_185
.LBB1034_182:                           ;   in Loop: Header=BB1034_179 Depth=1
	ds_read_b32 v47, v40 offset:25600
	s_waitcnt lgkmcnt(0)
	v_lshrrev_b32_e32 v1, s44, v47
	v_and_b32_e32 v48, s14, v1
	v_lshlrev_b32_e32 v1, 2, v48
	ds_read_b32 v1, v1
	s_waitcnt lgkmcnt(0)
	v_add3_u32 v1, v43, v1, 0x1800
	v_lshlrev_b64 v[44:45], 2, v[1:2]
	v_xor_b32_e32 v1, 0x7fffffff, v47
	v_mov_b32_e32 v47, s9
	v_add_co_u32 v44, vcc_lo, s38, v44
	v_add_co_ci_u32_e64 v45, null, s39, v45, vcc_lo
	buffer_store_dword v48, v47, s[0:3], 0 offen offset:24
	global_store_dword v[44:45], v1, off
	s_add_i32 s10, s7, 0x1c00
	s_cmpk_gt_u32 s10, 0x2fff
	s_cbranch_scc1 .LBB1034_178
	s_branch .LBB1034_186
.LBB1034_183:                           ;   in Loop: Header=BB1034_179 Depth=1
	s_add_i32 s10, s7, 0x1400
	s_cmpk_gt_u32 s10, 0x2fff
	s_cbranch_scc1 .LBB1034_181
.LBB1034_184:                           ;   in Loop: Header=BB1034_179 Depth=1
	ds_read_b32 v47, v40 offset:21504
	s_waitcnt lgkmcnt(0)
	v_lshrrev_b32_e32 v1, s44, v47
	v_and_b32_e32 v48, s14, v1
	v_lshlrev_b32_e32 v1, 2, v48
	ds_read_b32 v1, v1
	s_waitcnt lgkmcnt(0)
	v_add3_u32 v1, v43, v1, 0x1400
	v_lshlrev_b64 v[44:45], 2, v[1:2]
	v_xor_b32_e32 v1, 0x7fffffff, v47
	v_mov_b32_e32 v47, s9
	v_add_co_u32 v44, vcc_lo, s38, v44
	v_add_co_ci_u32_e64 v45, null, s39, v45, vcc_lo
	buffer_store_dword v48, v47, s[0:3], 0 offen offset:20
	global_store_dword v[44:45], v1, off
	s_add_i32 s10, s7, 0x1800
	s_cmpk_gt_u32 s10, 0x2fff
	s_cbranch_scc0 .LBB1034_182
.LBB1034_185:                           ;   in Loop: Header=BB1034_179 Depth=1
	s_add_i32 s10, s7, 0x1c00
	s_cmpk_gt_u32 s10, 0x2fff
	s_cbranch_scc1 .LBB1034_178
.LBB1034_186:                           ;   in Loop: Header=BB1034_179 Depth=1
	ds_read_b32 v45, v40 offset:29696
	s_waitcnt lgkmcnt(0)
	v_lshrrev_b32_e32 v1, s44, v45
	v_and_b32_e32 v47, s14, v1
	v_lshlrev_b32_e32 v1, 2, v47
	ds_read_b32 v1, v1
	s_waitcnt lgkmcnt(0)
	v_add3_u32 v1, v43, v1, 0x1c00
	v_lshlrev_b64 v[43:44], 2, v[1:2]
	v_xor_b32_e32 v1, 0x7fffffff, v45
	v_mov_b32_e32 v45, s9
	v_add_co_u32 v43, vcc_lo, s38, v43
	v_add_co_ci_u32_e64 v44, null, s39, v44, vcc_lo
	buffer_store_dword v47, v45, s[0:3], 0 offen offset:28
	global_store_dword v[43:44], v1, off
	s_branch .LBB1034_178
.LBB1034_187:
	s_add_u32 s7, s40, s12
	s_addc_u32 s8, s41, s13
	v_add_co_u32 v1, s7, s7, v9
	v_add_co_ci_u32_e64 v2, null, s8, 0, s7
	s_mov_b32 s9, 0
	v_add_co_u32 v1, vcc_lo, v1, v10
	v_add_co_ci_u32_e64 v2, null, 0, v2, vcc_lo
	s_mov_b32 s8, -1
	s_mov_b32 s7, 0
	s_clause 0xb
	global_load_dword v9, v[1:2], off
	global_load_dword v10, v[1:2], off offset:128
	global_load_dword v12, v[1:2], off offset:256
	;; [unrolled: 1-line block ×11, first 2 shown]
	v_mov_b32_e32 v2, 0
	s_branch .LBB1034_189
.LBB1034_188:                           ;   in Loop: Header=BB1034_189 Depth=1
	v_add_nc_u32_e32 v24, 0xffffe000, v24
	v_add_nc_u32_e32 v23, 0xffffe000, v23
	;; [unrolled: 1-line block ×12, first 2 shown]
	s_xor_b32 s9, s8, -1
	s_addk_i32 s7, 0x2000
	s_mov_b32 s8, 0
	s_and_b32 vcc_lo, exec_lo, s9
	s_mov_b32 s9, s5
	s_waitcnt_vscnt null, 0x0
	s_barrier
	buffer_gl0_inv
	s_cbranch_vccnz .LBB1034_197
.LBB1034_189:                           ; =>This Inner Loop Header: Depth=1
	v_min_u32_e32 v1, 0x2000, v3
	v_min_u32_e32 v29, 0x2000, v4
	v_min_u32_e32 v30, 0x2000, v5
	v_min_u32_e32 v31, 0x2000, v6
	v_min_u32_e32 v32, 0x2000, v11
	v_lshlrev_b32_e32 v1, 2, v1
	v_lshlrev_b32_e32 v29, 2, v29
	v_min_u32_e32 v33, 0x2000, v16
	v_lshlrev_b32_e32 v30, 2, v30
	s_add_i32 s10, s7, 0x1000
	s_waitcnt vmcnt(11)
	ds_write_b32 v1, v9 offset:1024
	s_waitcnt vmcnt(10)
	ds_write_b32 v29, v10 offset:1024
	v_min_u32_e32 v1, 0x2000, v18
	v_lshlrev_b32_e32 v29, 2, v31
	v_lshlrev_b32_e32 v31, 2, v32
	;; [unrolled: 1-line block ×3, first 2 shown]
	s_waitcnt vmcnt(9)
	ds_write_b32 v30, v12 offset:1024
	v_lshlrev_b32_e32 v1, 2, v1
	s_waitcnt vmcnt(8)
	ds_write_b32 v29, v13 offset:1024
	s_waitcnt vmcnt(7)
	ds_write_b32 v31, v14 offset:1024
	s_waitcnt vmcnt(6)
	ds_write_b32 v32, v15 offset:1024
	v_min_u32_e32 v29, 0x2000, v19
	v_min_u32_e32 v30, 0x2000, v22
	;; [unrolled: 1-line block ×3, first 2 shown]
	s_waitcnt vmcnt(5)
	ds_write_b32 v1, v17 offset:1024
	v_min_u32_e32 v1, 0x2000, v21
	v_lshlrev_b32_e32 v29, 2, v29
	v_min_u32_e32 v32, 0x2000, v24
	v_lshlrev_b32_e32 v30, 2, v30
	v_lshlrev_b32_e32 v31, 2, v31
	;; [unrolled: 1-line block ×3, first 2 shown]
	s_waitcnt vmcnt(4)
	ds_write_b32 v29, v20 offset:1024
	v_lshlrev_b32_e32 v29, 2, v32
	s_waitcnt vmcnt(3)
	ds_write_b32 v1, v25 offset:1024
	s_waitcnt vmcnt(2)
	ds_write_b32 v30, v26 offset:1024
	;; [unrolled: 2-line block ×3, first 2 shown]
	v_mov_b32_e32 v1, s9
	s_waitcnt vmcnt(0)
	ds_write_b32 v29, v28 offset:1024
	s_waitcnt lgkmcnt(0)
	s_barrier
	buffer_gl0_inv
	s_clause 0x3
	buffer_load_dword v29, v1, s[0:3], 0 offen
	buffer_load_dword v30, v1, s[0:3], 0 offen offset:4
	buffer_load_dword v31, v1, s[0:3], 0 offen offset:8
	;; [unrolled: 1-line block ×3, first 2 shown]
	s_cmpk_lt_u32 s10, 0x3000
	s_waitcnt vmcnt(3)
	v_lshlrev_b32_e32 v29, 2, v29
	s_waitcnt vmcnt(0)
	v_lshlrev_b32_e32 v1, 2, v1
	ds_read_b32 v32, v29
	ds_read_b32 v41, v1
	v_lshlrev_b32_e32 v29, 2, v30
	ds_read_b32 v34, v29
	v_lshlrev_b32_e32 v29, 2, v31
	ds_read2st64_b32 v[30:31], v40 offset0:4 offset1:20
	ds_read_b32 v36, v29
	v_add_nc_u32_e32 v29, s7, v0
	s_waitcnt lgkmcnt(4)
	v_add_nc_u32_e32 v1, v29, v32
	v_lshlrev_b64 v[32:33], 2, v[1:2]
	s_waitcnt lgkmcnt(2)
	v_add3_u32 v1, v29, v34, 0x400
	v_add_co_u32 v32, vcc_lo, s42, v32
	v_lshlrev_b64 v[34:35], 2, v[1:2]
	s_waitcnt lgkmcnt(0)
	v_add3_u32 v1, v29, v36, 0x800
	ds_read2st64_b32 v[36:37], v40 offset0:36 offset1:52
	v_add_co_ci_u32_e64 v33, null, s43, v33, vcc_lo
	v_lshlrev_b64 v[38:39], 2, v[1:2]
	v_add3_u32 v1, v29, v41, 0xc00
	global_store_dword v[32:33], v30, off
	v_add_co_u32 v32, vcc_lo, s42, v34
	v_add_co_ci_u32_e64 v33, null, s43, v35, vcc_lo
	v_lshlrev_b64 v[34:35], 2, v[1:2]
	v_add_co_u32 v38, vcc_lo, s42, v38
	v_add_co_ci_u32_e64 v39, null, s43, v39, vcc_lo
	global_store_dword v[32:33], v31, off
	v_add_co_u32 v34, vcc_lo, s42, v34
	v_add_co_ci_u32_e64 v35, null, s43, v35, vcc_lo
	s_waitcnt lgkmcnt(0)
	global_store_dword v[38:39], v36, off
	global_store_dword v[34:35], v37, off
	s_cbranch_scc0 .LBB1034_193
; %bb.190:                              ;   in Loop: Header=BB1034_189 Depth=1
	v_mov_b32_e32 v1, s9
	buffer_load_dword v1, v1, s[0:3], 0 offen offset:16
	s_waitcnt vmcnt(0)
	v_lshlrev_b32_e32 v1, 2, v1
	ds_read_b32 v1, v1
	ds_read_b32 v32, v40 offset:17408
	s_waitcnt lgkmcnt(1)
	v_add3_u32 v1, v29, v1, 0x1000
	v_lshlrev_b64 v[30:31], 2, v[1:2]
	v_add_co_u32 v30, vcc_lo, s42, v30
	v_add_co_ci_u32_e64 v31, null, s43, v31, vcc_lo
	s_waitcnt lgkmcnt(0)
	global_store_dword v[30:31], v32, off
	s_add_i32 s10, s7, 0x1400
	s_cmpk_gt_u32 s10, 0x2fff
	s_cbranch_scc0 .LBB1034_194
.LBB1034_191:                           ;   in Loop: Header=BB1034_189 Depth=1
	s_add_i32 s10, s7, 0x1800
	s_cmpk_gt_u32 s10, 0x2fff
	s_cbranch_scc1 .LBB1034_195
.LBB1034_192:                           ;   in Loop: Header=BB1034_189 Depth=1
	v_mov_b32_e32 v1, s9
	buffer_load_dword v1, v1, s[0:3], 0 offen offset:24
	s_waitcnt vmcnt(0)
	v_lshlrev_b32_e32 v1, 2, v1
	ds_read_b32 v1, v1
	ds_read_b32 v32, v40 offset:25600
	s_waitcnt lgkmcnt(1)
	v_add3_u32 v1, v29, v1, 0x1800
	v_lshlrev_b64 v[30:31], 2, v[1:2]
	v_add_co_u32 v30, vcc_lo, s42, v30
	v_add_co_ci_u32_e64 v31, null, s43, v31, vcc_lo
	s_waitcnt lgkmcnt(0)
	global_store_dword v[30:31], v32, off
	s_add_i32 s10, s7, 0x1c00
	s_cmpk_gt_u32 s10, 0x2fff
	s_cbranch_scc1 .LBB1034_188
	s_branch .LBB1034_196
.LBB1034_193:                           ;   in Loop: Header=BB1034_189 Depth=1
	s_add_i32 s10, s7, 0x1400
	s_cmpk_gt_u32 s10, 0x2fff
	s_cbranch_scc1 .LBB1034_191
.LBB1034_194:                           ;   in Loop: Header=BB1034_189 Depth=1
	v_mov_b32_e32 v1, s9
	buffer_load_dword v1, v1, s[0:3], 0 offen offset:20
	s_waitcnt vmcnt(0)
	v_lshlrev_b32_e32 v1, 2, v1
	ds_read_b32 v1, v1
	ds_read_b32 v32, v40 offset:21504
	s_waitcnt lgkmcnt(1)
	v_add3_u32 v1, v29, v1, 0x1400
	v_lshlrev_b64 v[30:31], 2, v[1:2]
	v_add_co_u32 v30, vcc_lo, s42, v30
	v_add_co_ci_u32_e64 v31, null, s43, v31, vcc_lo
	s_waitcnt lgkmcnt(0)
	global_store_dword v[30:31], v32, off
	s_add_i32 s10, s7, 0x1800
	s_cmpk_gt_u32 s10, 0x2fff
	s_cbranch_scc0 .LBB1034_192
.LBB1034_195:                           ;   in Loop: Header=BB1034_189 Depth=1
	s_add_i32 s10, s7, 0x1c00
	s_cmpk_gt_u32 s10, 0x2fff
	s_cbranch_scc1 .LBB1034_188
.LBB1034_196:                           ;   in Loop: Header=BB1034_189 Depth=1
	v_mov_b32_e32 v1, s9
	buffer_load_dword v1, v1, s[0:3], 0 offen offset:28
	s_waitcnt vmcnt(0)
	v_lshlrev_b32_e32 v1, 2, v1
	ds_read_b32 v1, v1
	ds_read_b32 v31, v40 offset:29696
	s_waitcnt lgkmcnt(1)
	v_add3_u32 v1, v29, v1, 0x1c00
	v_lshlrev_b64 v[29:30], 2, v[1:2]
	v_add_co_u32 v29, vcc_lo, s42, v29
	v_add_co_ci_u32_e64 v30, null, s43, v30, vcc_lo
	s_waitcnt lgkmcnt(0)
	global_store_dword v[29:30], v31, off
	s_branch .LBB1034_188
.LBB1034_197:
	s_add_i32 s11, s11, -1
	s_cmp_eq_u32 s6, s11
	s_cselect_b32 s5, -1, 0
	s_xor_b32 s4, s4, -1
	s_and_b32 s4, s4, s5
	s_and_saveexec_b32 s5, s4
	s_cbranch_execz .LBB1034_199
; %bb.198:
	ds_read_b32 v0, v40
	s_waitcnt lgkmcnt(0)
	v_add3_u32 v0, v7, v8, v0
	global_store_dword v40, v0, s[30:31]
.LBB1034_199:
	s_endpgm
	.section	.rodata,"a",@progbits
	.p2align	6, 0x0
	.amdhsa_kernel _ZN7rocprim17ROCPRIM_400000_NS6detail17trampoline_kernelINS0_14default_configENS1_35radix_sort_onesweep_config_selectorIiiEEZZNS1_29radix_sort_onesweep_iterationIS3_Lb1EN6thrust23THRUST_200600_302600_NS6detail15normal_iteratorINS8_10device_ptrIiEEEESD_SD_SD_jNS0_19identity_decomposerENS1_16block_id_wrapperIjLb0EEEEE10hipError_tT1_PNSt15iterator_traitsISI_E10value_typeET2_T3_PNSJ_ISO_E10value_typeET4_T5_PST_SU_PNS1_23onesweep_lookback_stateEbbT6_jjT7_P12ihipStream_tbENKUlT_T0_SI_SN_E_clISD_SD_SD_SD_EEDaS11_S12_SI_SN_EUlS11_E_NS1_11comp_targetILNS1_3genE8ELNS1_11target_archE1030ELNS1_3gpuE2ELNS1_3repE0EEENS1_47radix_sort_onesweep_sort_config_static_selectorELNS0_4arch9wavefront6targetE0EEEvSI_
		.amdhsa_group_segment_fixed_size 37000
		.amdhsa_private_segment_fixed_size 64
		.amdhsa_kernarg_size 344
		.amdhsa_user_sgpr_count 6
		.amdhsa_user_sgpr_private_segment_buffer 1
		.amdhsa_user_sgpr_dispatch_ptr 0
		.amdhsa_user_sgpr_queue_ptr 0
		.amdhsa_user_sgpr_kernarg_segment_ptr 1
		.amdhsa_user_sgpr_dispatch_id 0
		.amdhsa_user_sgpr_flat_scratch_init 0
		.amdhsa_user_sgpr_private_segment_size 0
		.amdhsa_wavefront_size32 1
		.amdhsa_uses_dynamic_stack 0
		.amdhsa_system_sgpr_private_segment_wavefront_offset 1
		.amdhsa_system_sgpr_workgroup_id_x 1
		.amdhsa_system_sgpr_workgroup_id_y 0
		.amdhsa_system_sgpr_workgroup_id_z 0
		.amdhsa_system_sgpr_workgroup_info 0
		.amdhsa_system_vgpr_workitem_id 2
		.amdhsa_next_free_vgpr 68
		.amdhsa_next_free_sgpr 49
		.amdhsa_reserve_vcc 1
		.amdhsa_reserve_flat_scratch 0
		.amdhsa_float_round_mode_32 0
		.amdhsa_float_round_mode_16_64 0
		.amdhsa_float_denorm_mode_32 3
		.amdhsa_float_denorm_mode_16_64 3
		.amdhsa_dx10_clamp 1
		.amdhsa_ieee_mode 1
		.amdhsa_fp16_overflow 0
		.amdhsa_workgroup_processor_mode 1
		.amdhsa_memory_ordered 1
		.amdhsa_forward_progress 1
		.amdhsa_shared_vgpr_count 0
		.amdhsa_exception_fp_ieee_invalid_op 0
		.amdhsa_exception_fp_denorm_src 0
		.amdhsa_exception_fp_ieee_div_zero 0
		.amdhsa_exception_fp_ieee_overflow 0
		.amdhsa_exception_fp_ieee_underflow 0
		.amdhsa_exception_fp_ieee_inexact 0
		.amdhsa_exception_int_div_zero 0
	.end_amdhsa_kernel
	.section	.text._ZN7rocprim17ROCPRIM_400000_NS6detail17trampoline_kernelINS0_14default_configENS1_35radix_sort_onesweep_config_selectorIiiEEZZNS1_29radix_sort_onesweep_iterationIS3_Lb1EN6thrust23THRUST_200600_302600_NS6detail15normal_iteratorINS8_10device_ptrIiEEEESD_SD_SD_jNS0_19identity_decomposerENS1_16block_id_wrapperIjLb0EEEEE10hipError_tT1_PNSt15iterator_traitsISI_E10value_typeET2_T3_PNSJ_ISO_E10value_typeET4_T5_PST_SU_PNS1_23onesweep_lookback_stateEbbT6_jjT7_P12ihipStream_tbENKUlT_T0_SI_SN_E_clISD_SD_SD_SD_EEDaS11_S12_SI_SN_EUlS11_E_NS1_11comp_targetILNS1_3genE8ELNS1_11target_archE1030ELNS1_3gpuE2ELNS1_3repE0EEENS1_47radix_sort_onesweep_sort_config_static_selectorELNS0_4arch9wavefront6targetE0EEEvSI_,"axG",@progbits,_ZN7rocprim17ROCPRIM_400000_NS6detail17trampoline_kernelINS0_14default_configENS1_35radix_sort_onesweep_config_selectorIiiEEZZNS1_29radix_sort_onesweep_iterationIS3_Lb1EN6thrust23THRUST_200600_302600_NS6detail15normal_iteratorINS8_10device_ptrIiEEEESD_SD_SD_jNS0_19identity_decomposerENS1_16block_id_wrapperIjLb0EEEEE10hipError_tT1_PNSt15iterator_traitsISI_E10value_typeET2_T3_PNSJ_ISO_E10value_typeET4_T5_PST_SU_PNS1_23onesweep_lookback_stateEbbT6_jjT7_P12ihipStream_tbENKUlT_T0_SI_SN_E_clISD_SD_SD_SD_EEDaS11_S12_SI_SN_EUlS11_E_NS1_11comp_targetILNS1_3genE8ELNS1_11target_archE1030ELNS1_3gpuE2ELNS1_3repE0EEENS1_47radix_sort_onesweep_sort_config_static_selectorELNS0_4arch9wavefront6targetE0EEEvSI_,comdat
.Lfunc_end1034:
	.size	_ZN7rocprim17ROCPRIM_400000_NS6detail17trampoline_kernelINS0_14default_configENS1_35radix_sort_onesweep_config_selectorIiiEEZZNS1_29radix_sort_onesweep_iterationIS3_Lb1EN6thrust23THRUST_200600_302600_NS6detail15normal_iteratorINS8_10device_ptrIiEEEESD_SD_SD_jNS0_19identity_decomposerENS1_16block_id_wrapperIjLb0EEEEE10hipError_tT1_PNSt15iterator_traitsISI_E10value_typeET2_T3_PNSJ_ISO_E10value_typeET4_T5_PST_SU_PNS1_23onesweep_lookback_stateEbbT6_jjT7_P12ihipStream_tbENKUlT_T0_SI_SN_E_clISD_SD_SD_SD_EEDaS11_S12_SI_SN_EUlS11_E_NS1_11comp_targetILNS1_3genE8ELNS1_11target_archE1030ELNS1_3gpuE2ELNS1_3repE0EEENS1_47radix_sort_onesweep_sort_config_static_selectorELNS0_4arch9wavefront6targetE0EEEvSI_, .Lfunc_end1034-_ZN7rocprim17ROCPRIM_400000_NS6detail17trampoline_kernelINS0_14default_configENS1_35radix_sort_onesweep_config_selectorIiiEEZZNS1_29radix_sort_onesweep_iterationIS3_Lb1EN6thrust23THRUST_200600_302600_NS6detail15normal_iteratorINS8_10device_ptrIiEEEESD_SD_SD_jNS0_19identity_decomposerENS1_16block_id_wrapperIjLb0EEEEE10hipError_tT1_PNSt15iterator_traitsISI_E10value_typeET2_T3_PNSJ_ISO_E10value_typeET4_T5_PST_SU_PNS1_23onesweep_lookback_stateEbbT6_jjT7_P12ihipStream_tbENKUlT_T0_SI_SN_E_clISD_SD_SD_SD_EEDaS11_S12_SI_SN_EUlS11_E_NS1_11comp_targetILNS1_3genE8ELNS1_11target_archE1030ELNS1_3gpuE2ELNS1_3repE0EEENS1_47radix_sort_onesweep_sort_config_static_selectorELNS0_4arch9wavefront6targetE0EEEvSI_
                                        ; -- End function
	.set _ZN7rocprim17ROCPRIM_400000_NS6detail17trampoline_kernelINS0_14default_configENS1_35radix_sort_onesweep_config_selectorIiiEEZZNS1_29radix_sort_onesweep_iterationIS3_Lb1EN6thrust23THRUST_200600_302600_NS6detail15normal_iteratorINS8_10device_ptrIiEEEESD_SD_SD_jNS0_19identity_decomposerENS1_16block_id_wrapperIjLb0EEEEE10hipError_tT1_PNSt15iterator_traitsISI_E10value_typeET2_T3_PNSJ_ISO_E10value_typeET4_T5_PST_SU_PNS1_23onesweep_lookback_stateEbbT6_jjT7_P12ihipStream_tbENKUlT_T0_SI_SN_E_clISD_SD_SD_SD_EEDaS11_S12_SI_SN_EUlS11_E_NS1_11comp_targetILNS1_3genE8ELNS1_11target_archE1030ELNS1_3gpuE2ELNS1_3repE0EEENS1_47radix_sort_onesweep_sort_config_static_selectorELNS0_4arch9wavefront6targetE0EEEvSI_.num_vgpr, 68
	.set _ZN7rocprim17ROCPRIM_400000_NS6detail17trampoline_kernelINS0_14default_configENS1_35radix_sort_onesweep_config_selectorIiiEEZZNS1_29radix_sort_onesweep_iterationIS3_Lb1EN6thrust23THRUST_200600_302600_NS6detail15normal_iteratorINS8_10device_ptrIiEEEESD_SD_SD_jNS0_19identity_decomposerENS1_16block_id_wrapperIjLb0EEEEE10hipError_tT1_PNSt15iterator_traitsISI_E10value_typeET2_T3_PNSJ_ISO_E10value_typeET4_T5_PST_SU_PNS1_23onesweep_lookback_stateEbbT6_jjT7_P12ihipStream_tbENKUlT_T0_SI_SN_E_clISD_SD_SD_SD_EEDaS11_S12_SI_SN_EUlS11_E_NS1_11comp_targetILNS1_3genE8ELNS1_11target_archE1030ELNS1_3gpuE2ELNS1_3repE0EEENS1_47radix_sort_onesweep_sort_config_static_selectorELNS0_4arch9wavefront6targetE0EEEvSI_.num_agpr, 0
	.set _ZN7rocprim17ROCPRIM_400000_NS6detail17trampoline_kernelINS0_14default_configENS1_35radix_sort_onesweep_config_selectorIiiEEZZNS1_29radix_sort_onesweep_iterationIS3_Lb1EN6thrust23THRUST_200600_302600_NS6detail15normal_iteratorINS8_10device_ptrIiEEEESD_SD_SD_jNS0_19identity_decomposerENS1_16block_id_wrapperIjLb0EEEEE10hipError_tT1_PNSt15iterator_traitsISI_E10value_typeET2_T3_PNSJ_ISO_E10value_typeET4_T5_PST_SU_PNS1_23onesweep_lookback_stateEbbT6_jjT7_P12ihipStream_tbENKUlT_T0_SI_SN_E_clISD_SD_SD_SD_EEDaS11_S12_SI_SN_EUlS11_E_NS1_11comp_targetILNS1_3genE8ELNS1_11target_archE1030ELNS1_3gpuE2ELNS1_3repE0EEENS1_47radix_sort_onesweep_sort_config_static_selectorELNS0_4arch9wavefront6targetE0EEEvSI_.numbered_sgpr, 49
	.set _ZN7rocprim17ROCPRIM_400000_NS6detail17trampoline_kernelINS0_14default_configENS1_35radix_sort_onesweep_config_selectorIiiEEZZNS1_29radix_sort_onesweep_iterationIS3_Lb1EN6thrust23THRUST_200600_302600_NS6detail15normal_iteratorINS8_10device_ptrIiEEEESD_SD_SD_jNS0_19identity_decomposerENS1_16block_id_wrapperIjLb0EEEEE10hipError_tT1_PNSt15iterator_traitsISI_E10value_typeET2_T3_PNSJ_ISO_E10value_typeET4_T5_PST_SU_PNS1_23onesweep_lookback_stateEbbT6_jjT7_P12ihipStream_tbENKUlT_T0_SI_SN_E_clISD_SD_SD_SD_EEDaS11_S12_SI_SN_EUlS11_E_NS1_11comp_targetILNS1_3genE8ELNS1_11target_archE1030ELNS1_3gpuE2ELNS1_3repE0EEENS1_47radix_sort_onesweep_sort_config_static_selectorELNS0_4arch9wavefront6targetE0EEEvSI_.num_named_barrier, 0
	.set _ZN7rocprim17ROCPRIM_400000_NS6detail17trampoline_kernelINS0_14default_configENS1_35radix_sort_onesweep_config_selectorIiiEEZZNS1_29radix_sort_onesweep_iterationIS3_Lb1EN6thrust23THRUST_200600_302600_NS6detail15normal_iteratorINS8_10device_ptrIiEEEESD_SD_SD_jNS0_19identity_decomposerENS1_16block_id_wrapperIjLb0EEEEE10hipError_tT1_PNSt15iterator_traitsISI_E10value_typeET2_T3_PNSJ_ISO_E10value_typeET4_T5_PST_SU_PNS1_23onesweep_lookback_stateEbbT6_jjT7_P12ihipStream_tbENKUlT_T0_SI_SN_E_clISD_SD_SD_SD_EEDaS11_S12_SI_SN_EUlS11_E_NS1_11comp_targetILNS1_3genE8ELNS1_11target_archE1030ELNS1_3gpuE2ELNS1_3repE0EEENS1_47radix_sort_onesweep_sort_config_static_selectorELNS0_4arch9wavefront6targetE0EEEvSI_.private_seg_size, 64
	.set _ZN7rocprim17ROCPRIM_400000_NS6detail17trampoline_kernelINS0_14default_configENS1_35radix_sort_onesweep_config_selectorIiiEEZZNS1_29radix_sort_onesweep_iterationIS3_Lb1EN6thrust23THRUST_200600_302600_NS6detail15normal_iteratorINS8_10device_ptrIiEEEESD_SD_SD_jNS0_19identity_decomposerENS1_16block_id_wrapperIjLb0EEEEE10hipError_tT1_PNSt15iterator_traitsISI_E10value_typeET2_T3_PNSJ_ISO_E10value_typeET4_T5_PST_SU_PNS1_23onesweep_lookback_stateEbbT6_jjT7_P12ihipStream_tbENKUlT_T0_SI_SN_E_clISD_SD_SD_SD_EEDaS11_S12_SI_SN_EUlS11_E_NS1_11comp_targetILNS1_3genE8ELNS1_11target_archE1030ELNS1_3gpuE2ELNS1_3repE0EEENS1_47radix_sort_onesweep_sort_config_static_selectorELNS0_4arch9wavefront6targetE0EEEvSI_.uses_vcc, 1
	.set _ZN7rocprim17ROCPRIM_400000_NS6detail17trampoline_kernelINS0_14default_configENS1_35radix_sort_onesweep_config_selectorIiiEEZZNS1_29radix_sort_onesweep_iterationIS3_Lb1EN6thrust23THRUST_200600_302600_NS6detail15normal_iteratorINS8_10device_ptrIiEEEESD_SD_SD_jNS0_19identity_decomposerENS1_16block_id_wrapperIjLb0EEEEE10hipError_tT1_PNSt15iterator_traitsISI_E10value_typeET2_T3_PNSJ_ISO_E10value_typeET4_T5_PST_SU_PNS1_23onesweep_lookback_stateEbbT6_jjT7_P12ihipStream_tbENKUlT_T0_SI_SN_E_clISD_SD_SD_SD_EEDaS11_S12_SI_SN_EUlS11_E_NS1_11comp_targetILNS1_3genE8ELNS1_11target_archE1030ELNS1_3gpuE2ELNS1_3repE0EEENS1_47radix_sort_onesweep_sort_config_static_selectorELNS0_4arch9wavefront6targetE0EEEvSI_.uses_flat_scratch, 0
	.set _ZN7rocprim17ROCPRIM_400000_NS6detail17trampoline_kernelINS0_14default_configENS1_35radix_sort_onesweep_config_selectorIiiEEZZNS1_29radix_sort_onesweep_iterationIS3_Lb1EN6thrust23THRUST_200600_302600_NS6detail15normal_iteratorINS8_10device_ptrIiEEEESD_SD_SD_jNS0_19identity_decomposerENS1_16block_id_wrapperIjLb0EEEEE10hipError_tT1_PNSt15iterator_traitsISI_E10value_typeET2_T3_PNSJ_ISO_E10value_typeET4_T5_PST_SU_PNS1_23onesweep_lookback_stateEbbT6_jjT7_P12ihipStream_tbENKUlT_T0_SI_SN_E_clISD_SD_SD_SD_EEDaS11_S12_SI_SN_EUlS11_E_NS1_11comp_targetILNS1_3genE8ELNS1_11target_archE1030ELNS1_3gpuE2ELNS1_3repE0EEENS1_47radix_sort_onesweep_sort_config_static_selectorELNS0_4arch9wavefront6targetE0EEEvSI_.has_dyn_sized_stack, 0
	.set _ZN7rocprim17ROCPRIM_400000_NS6detail17trampoline_kernelINS0_14default_configENS1_35radix_sort_onesweep_config_selectorIiiEEZZNS1_29radix_sort_onesweep_iterationIS3_Lb1EN6thrust23THRUST_200600_302600_NS6detail15normal_iteratorINS8_10device_ptrIiEEEESD_SD_SD_jNS0_19identity_decomposerENS1_16block_id_wrapperIjLb0EEEEE10hipError_tT1_PNSt15iterator_traitsISI_E10value_typeET2_T3_PNSJ_ISO_E10value_typeET4_T5_PST_SU_PNS1_23onesweep_lookback_stateEbbT6_jjT7_P12ihipStream_tbENKUlT_T0_SI_SN_E_clISD_SD_SD_SD_EEDaS11_S12_SI_SN_EUlS11_E_NS1_11comp_targetILNS1_3genE8ELNS1_11target_archE1030ELNS1_3gpuE2ELNS1_3repE0EEENS1_47radix_sort_onesweep_sort_config_static_selectorELNS0_4arch9wavefront6targetE0EEEvSI_.has_recursion, 0
	.set _ZN7rocprim17ROCPRIM_400000_NS6detail17trampoline_kernelINS0_14default_configENS1_35radix_sort_onesweep_config_selectorIiiEEZZNS1_29radix_sort_onesweep_iterationIS3_Lb1EN6thrust23THRUST_200600_302600_NS6detail15normal_iteratorINS8_10device_ptrIiEEEESD_SD_SD_jNS0_19identity_decomposerENS1_16block_id_wrapperIjLb0EEEEE10hipError_tT1_PNSt15iterator_traitsISI_E10value_typeET2_T3_PNSJ_ISO_E10value_typeET4_T5_PST_SU_PNS1_23onesweep_lookback_stateEbbT6_jjT7_P12ihipStream_tbENKUlT_T0_SI_SN_E_clISD_SD_SD_SD_EEDaS11_S12_SI_SN_EUlS11_E_NS1_11comp_targetILNS1_3genE8ELNS1_11target_archE1030ELNS1_3gpuE2ELNS1_3repE0EEENS1_47radix_sort_onesweep_sort_config_static_selectorELNS0_4arch9wavefront6targetE0EEEvSI_.has_indirect_call, 0
	.section	.AMDGPU.csdata,"",@progbits
; Kernel info:
; codeLenInByte = 17368
; TotalNumSgprs: 51
; NumVgprs: 68
; ScratchSize: 64
; MemoryBound: 0
; FloatMode: 240
; IeeeMode: 1
; LDSByteSize: 37000 bytes/workgroup (compile time only)
; SGPRBlocks: 0
; VGPRBlocks: 8
; NumSGPRsForWavesPerEU: 51
; NumVGPRsForWavesPerEU: 68
; Occupancy: 12
; WaveLimiterHint : 1
; COMPUTE_PGM_RSRC2:SCRATCH_EN: 1
; COMPUTE_PGM_RSRC2:USER_SGPR: 6
; COMPUTE_PGM_RSRC2:TRAP_HANDLER: 0
; COMPUTE_PGM_RSRC2:TGID_X_EN: 1
; COMPUTE_PGM_RSRC2:TGID_Y_EN: 0
; COMPUTE_PGM_RSRC2:TGID_Z_EN: 0
; COMPUTE_PGM_RSRC2:TIDIG_COMP_CNT: 2
	.section	.text._ZN7rocprim17ROCPRIM_400000_NS6detail17trampoline_kernelINS0_14default_configENS1_35radix_sort_onesweep_config_selectorIiiEEZZNS1_29radix_sort_onesweep_iterationIS3_Lb1EN6thrust23THRUST_200600_302600_NS6detail15normal_iteratorINS8_10device_ptrIiEEEESD_SD_SD_jNS0_19identity_decomposerENS1_16block_id_wrapperIjLb0EEEEE10hipError_tT1_PNSt15iterator_traitsISI_E10value_typeET2_T3_PNSJ_ISO_E10value_typeET4_T5_PST_SU_PNS1_23onesweep_lookback_stateEbbT6_jjT7_P12ihipStream_tbENKUlT_T0_SI_SN_E_clISD_PiSD_S15_EEDaS11_S12_SI_SN_EUlS11_E_NS1_11comp_targetILNS1_3genE0ELNS1_11target_archE4294967295ELNS1_3gpuE0ELNS1_3repE0EEENS1_47radix_sort_onesweep_sort_config_static_selectorELNS0_4arch9wavefront6targetE0EEEvSI_,"axG",@progbits,_ZN7rocprim17ROCPRIM_400000_NS6detail17trampoline_kernelINS0_14default_configENS1_35radix_sort_onesweep_config_selectorIiiEEZZNS1_29radix_sort_onesweep_iterationIS3_Lb1EN6thrust23THRUST_200600_302600_NS6detail15normal_iteratorINS8_10device_ptrIiEEEESD_SD_SD_jNS0_19identity_decomposerENS1_16block_id_wrapperIjLb0EEEEE10hipError_tT1_PNSt15iterator_traitsISI_E10value_typeET2_T3_PNSJ_ISO_E10value_typeET4_T5_PST_SU_PNS1_23onesweep_lookback_stateEbbT6_jjT7_P12ihipStream_tbENKUlT_T0_SI_SN_E_clISD_PiSD_S15_EEDaS11_S12_SI_SN_EUlS11_E_NS1_11comp_targetILNS1_3genE0ELNS1_11target_archE4294967295ELNS1_3gpuE0ELNS1_3repE0EEENS1_47radix_sort_onesweep_sort_config_static_selectorELNS0_4arch9wavefront6targetE0EEEvSI_,comdat
	.protected	_ZN7rocprim17ROCPRIM_400000_NS6detail17trampoline_kernelINS0_14default_configENS1_35radix_sort_onesweep_config_selectorIiiEEZZNS1_29radix_sort_onesweep_iterationIS3_Lb1EN6thrust23THRUST_200600_302600_NS6detail15normal_iteratorINS8_10device_ptrIiEEEESD_SD_SD_jNS0_19identity_decomposerENS1_16block_id_wrapperIjLb0EEEEE10hipError_tT1_PNSt15iterator_traitsISI_E10value_typeET2_T3_PNSJ_ISO_E10value_typeET4_T5_PST_SU_PNS1_23onesweep_lookback_stateEbbT6_jjT7_P12ihipStream_tbENKUlT_T0_SI_SN_E_clISD_PiSD_S15_EEDaS11_S12_SI_SN_EUlS11_E_NS1_11comp_targetILNS1_3genE0ELNS1_11target_archE4294967295ELNS1_3gpuE0ELNS1_3repE0EEENS1_47radix_sort_onesweep_sort_config_static_selectorELNS0_4arch9wavefront6targetE0EEEvSI_ ; -- Begin function _ZN7rocprim17ROCPRIM_400000_NS6detail17trampoline_kernelINS0_14default_configENS1_35radix_sort_onesweep_config_selectorIiiEEZZNS1_29radix_sort_onesweep_iterationIS3_Lb1EN6thrust23THRUST_200600_302600_NS6detail15normal_iteratorINS8_10device_ptrIiEEEESD_SD_SD_jNS0_19identity_decomposerENS1_16block_id_wrapperIjLb0EEEEE10hipError_tT1_PNSt15iterator_traitsISI_E10value_typeET2_T3_PNSJ_ISO_E10value_typeET4_T5_PST_SU_PNS1_23onesweep_lookback_stateEbbT6_jjT7_P12ihipStream_tbENKUlT_T0_SI_SN_E_clISD_PiSD_S15_EEDaS11_S12_SI_SN_EUlS11_E_NS1_11comp_targetILNS1_3genE0ELNS1_11target_archE4294967295ELNS1_3gpuE0ELNS1_3repE0EEENS1_47radix_sort_onesweep_sort_config_static_selectorELNS0_4arch9wavefront6targetE0EEEvSI_
	.globl	_ZN7rocprim17ROCPRIM_400000_NS6detail17trampoline_kernelINS0_14default_configENS1_35radix_sort_onesweep_config_selectorIiiEEZZNS1_29radix_sort_onesweep_iterationIS3_Lb1EN6thrust23THRUST_200600_302600_NS6detail15normal_iteratorINS8_10device_ptrIiEEEESD_SD_SD_jNS0_19identity_decomposerENS1_16block_id_wrapperIjLb0EEEEE10hipError_tT1_PNSt15iterator_traitsISI_E10value_typeET2_T3_PNSJ_ISO_E10value_typeET4_T5_PST_SU_PNS1_23onesweep_lookback_stateEbbT6_jjT7_P12ihipStream_tbENKUlT_T0_SI_SN_E_clISD_PiSD_S15_EEDaS11_S12_SI_SN_EUlS11_E_NS1_11comp_targetILNS1_3genE0ELNS1_11target_archE4294967295ELNS1_3gpuE0ELNS1_3repE0EEENS1_47radix_sort_onesweep_sort_config_static_selectorELNS0_4arch9wavefront6targetE0EEEvSI_
	.p2align	8
	.type	_ZN7rocprim17ROCPRIM_400000_NS6detail17trampoline_kernelINS0_14default_configENS1_35radix_sort_onesweep_config_selectorIiiEEZZNS1_29radix_sort_onesweep_iterationIS3_Lb1EN6thrust23THRUST_200600_302600_NS6detail15normal_iteratorINS8_10device_ptrIiEEEESD_SD_SD_jNS0_19identity_decomposerENS1_16block_id_wrapperIjLb0EEEEE10hipError_tT1_PNSt15iterator_traitsISI_E10value_typeET2_T3_PNSJ_ISO_E10value_typeET4_T5_PST_SU_PNS1_23onesweep_lookback_stateEbbT6_jjT7_P12ihipStream_tbENKUlT_T0_SI_SN_E_clISD_PiSD_S15_EEDaS11_S12_SI_SN_EUlS11_E_NS1_11comp_targetILNS1_3genE0ELNS1_11target_archE4294967295ELNS1_3gpuE0ELNS1_3repE0EEENS1_47radix_sort_onesweep_sort_config_static_selectorELNS0_4arch9wavefront6targetE0EEEvSI_,@function
_ZN7rocprim17ROCPRIM_400000_NS6detail17trampoline_kernelINS0_14default_configENS1_35radix_sort_onesweep_config_selectorIiiEEZZNS1_29radix_sort_onesweep_iterationIS3_Lb1EN6thrust23THRUST_200600_302600_NS6detail15normal_iteratorINS8_10device_ptrIiEEEESD_SD_SD_jNS0_19identity_decomposerENS1_16block_id_wrapperIjLb0EEEEE10hipError_tT1_PNSt15iterator_traitsISI_E10value_typeET2_T3_PNSJ_ISO_E10value_typeET4_T5_PST_SU_PNS1_23onesweep_lookback_stateEbbT6_jjT7_P12ihipStream_tbENKUlT_T0_SI_SN_E_clISD_PiSD_S15_EEDaS11_S12_SI_SN_EUlS11_E_NS1_11comp_targetILNS1_3genE0ELNS1_11target_archE4294967295ELNS1_3gpuE0ELNS1_3repE0EEENS1_47radix_sort_onesweep_sort_config_static_selectorELNS0_4arch9wavefront6targetE0EEEvSI_: ; @_ZN7rocprim17ROCPRIM_400000_NS6detail17trampoline_kernelINS0_14default_configENS1_35radix_sort_onesweep_config_selectorIiiEEZZNS1_29radix_sort_onesweep_iterationIS3_Lb1EN6thrust23THRUST_200600_302600_NS6detail15normal_iteratorINS8_10device_ptrIiEEEESD_SD_SD_jNS0_19identity_decomposerENS1_16block_id_wrapperIjLb0EEEEE10hipError_tT1_PNSt15iterator_traitsISI_E10value_typeET2_T3_PNSJ_ISO_E10value_typeET4_T5_PST_SU_PNS1_23onesweep_lookback_stateEbbT6_jjT7_P12ihipStream_tbENKUlT_T0_SI_SN_E_clISD_PiSD_S15_EEDaS11_S12_SI_SN_EUlS11_E_NS1_11comp_targetILNS1_3genE0ELNS1_11target_archE4294967295ELNS1_3gpuE0ELNS1_3repE0EEENS1_47radix_sort_onesweep_sort_config_static_selectorELNS0_4arch9wavefront6targetE0EEEvSI_
; %bb.0:
	.section	.rodata,"a",@progbits
	.p2align	6, 0x0
	.amdhsa_kernel _ZN7rocprim17ROCPRIM_400000_NS6detail17trampoline_kernelINS0_14default_configENS1_35radix_sort_onesweep_config_selectorIiiEEZZNS1_29radix_sort_onesweep_iterationIS3_Lb1EN6thrust23THRUST_200600_302600_NS6detail15normal_iteratorINS8_10device_ptrIiEEEESD_SD_SD_jNS0_19identity_decomposerENS1_16block_id_wrapperIjLb0EEEEE10hipError_tT1_PNSt15iterator_traitsISI_E10value_typeET2_T3_PNSJ_ISO_E10value_typeET4_T5_PST_SU_PNS1_23onesweep_lookback_stateEbbT6_jjT7_P12ihipStream_tbENKUlT_T0_SI_SN_E_clISD_PiSD_S15_EEDaS11_S12_SI_SN_EUlS11_E_NS1_11comp_targetILNS1_3genE0ELNS1_11target_archE4294967295ELNS1_3gpuE0ELNS1_3repE0EEENS1_47radix_sort_onesweep_sort_config_static_selectorELNS0_4arch9wavefront6targetE0EEEvSI_
		.amdhsa_group_segment_fixed_size 0
		.amdhsa_private_segment_fixed_size 0
		.amdhsa_kernarg_size 88
		.amdhsa_user_sgpr_count 6
		.amdhsa_user_sgpr_private_segment_buffer 1
		.amdhsa_user_sgpr_dispatch_ptr 0
		.amdhsa_user_sgpr_queue_ptr 0
		.amdhsa_user_sgpr_kernarg_segment_ptr 1
		.amdhsa_user_sgpr_dispatch_id 0
		.amdhsa_user_sgpr_flat_scratch_init 0
		.amdhsa_user_sgpr_private_segment_size 0
		.amdhsa_wavefront_size32 1
		.amdhsa_uses_dynamic_stack 0
		.amdhsa_system_sgpr_private_segment_wavefront_offset 0
		.amdhsa_system_sgpr_workgroup_id_x 1
		.amdhsa_system_sgpr_workgroup_id_y 0
		.amdhsa_system_sgpr_workgroup_id_z 0
		.amdhsa_system_sgpr_workgroup_info 0
		.amdhsa_system_vgpr_workitem_id 0
		.amdhsa_next_free_vgpr 1
		.amdhsa_next_free_sgpr 1
		.amdhsa_reserve_vcc 0
		.amdhsa_reserve_flat_scratch 0
		.amdhsa_float_round_mode_32 0
		.amdhsa_float_round_mode_16_64 0
		.amdhsa_float_denorm_mode_32 3
		.amdhsa_float_denorm_mode_16_64 3
		.amdhsa_dx10_clamp 1
		.amdhsa_ieee_mode 1
		.amdhsa_fp16_overflow 0
		.amdhsa_workgroup_processor_mode 1
		.amdhsa_memory_ordered 1
		.amdhsa_forward_progress 1
		.amdhsa_shared_vgpr_count 0
		.amdhsa_exception_fp_ieee_invalid_op 0
		.amdhsa_exception_fp_denorm_src 0
		.amdhsa_exception_fp_ieee_div_zero 0
		.amdhsa_exception_fp_ieee_overflow 0
		.amdhsa_exception_fp_ieee_underflow 0
		.amdhsa_exception_fp_ieee_inexact 0
		.amdhsa_exception_int_div_zero 0
	.end_amdhsa_kernel
	.section	.text._ZN7rocprim17ROCPRIM_400000_NS6detail17trampoline_kernelINS0_14default_configENS1_35radix_sort_onesweep_config_selectorIiiEEZZNS1_29radix_sort_onesweep_iterationIS3_Lb1EN6thrust23THRUST_200600_302600_NS6detail15normal_iteratorINS8_10device_ptrIiEEEESD_SD_SD_jNS0_19identity_decomposerENS1_16block_id_wrapperIjLb0EEEEE10hipError_tT1_PNSt15iterator_traitsISI_E10value_typeET2_T3_PNSJ_ISO_E10value_typeET4_T5_PST_SU_PNS1_23onesweep_lookback_stateEbbT6_jjT7_P12ihipStream_tbENKUlT_T0_SI_SN_E_clISD_PiSD_S15_EEDaS11_S12_SI_SN_EUlS11_E_NS1_11comp_targetILNS1_3genE0ELNS1_11target_archE4294967295ELNS1_3gpuE0ELNS1_3repE0EEENS1_47radix_sort_onesweep_sort_config_static_selectorELNS0_4arch9wavefront6targetE0EEEvSI_,"axG",@progbits,_ZN7rocprim17ROCPRIM_400000_NS6detail17trampoline_kernelINS0_14default_configENS1_35radix_sort_onesweep_config_selectorIiiEEZZNS1_29radix_sort_onesweep_iterationIS3_Lb1EN6thrust23THRUST_200600_302600_NS6detail15normal_iteratorINS8_10device_ptrIiEEEESD_SD_SD_jNS0_19identity_decomposerENS1_16block_id_wrapperIjLb0EEEEE10hipError_tT1_PNSt15iterator_traitsISI_E10value_typeET2_T3_PNSJ_ISO_E10value_typeET4_T5_PST_SU_PNS1_23onesweep_lookback_stateEbbT6_jjT7_P12ihipStream_tbENKUlT_T0_SI_SN_E_clISD_PiSD_S15_EEDaS11_S12_SI_SN_EUlS11_E_NS1_11comp_targetILNS1_3genE0ELNS1_11target_archE4294967295ELNS1_3gpuE0ELNS1_3repE0EEENS1_47radix_sort_onesweep_sort_config_static_selectorELNS0_4arch9wavefront6targetE0EEEvSI_,comdat
.Lfunc_end1035:
	.size	_ZN7rocprim17ROCPRIM_400000_NS6detail17trampoline_kernelINS0_14default_configENS1_35radix_sort_onesweep_config_selectorIiiEEZZNS1_29radix_sort_onesweep_iterationIS3_Lb1EN6thrust23THRUST_200600_302600_NS6detail15normal_iteratorINS8_10device_ptrIiEEEESD_SD_SD_jNS0_19identity_decomposerENS1_16block_id_wrapperIjLb0EEEEE10hipError_tT1_PNSt15iterator_traitsISI_E10value_typeET2_T3_PNSJ_ISO_E10value_typeET4_T5_PST_SU_PNS1_23onesweep_lookback_stateEbbT6_jjT7_P12ihipStream_tbENKUlT_T0_SI_SN_E_clISD_PiSD_S15_EEDaS11_S12_SI_SN_EUlS11_E_NS1_11comp_targetILNS1_3genE0ELNS1_11target_archE4294967295ELNS1_3gpuE0ELNS1_3repE0EEENS1_47radix_sort_onesweep_sort_config_static_selectorELNS0_4arch9wavefront6targetE0EEEvSI_, .Lfunc_end1035-_ZN7rocprim17ROCPRIM_400000_NS6detail17trampoline_kernelINS0_14default_configENS1_35radix_sort_onesweep_config_selectorIiiEEZZNS1_29radix_sort_onesweep_iterationIS3_Lb1EN6thrust23THRUST_200600_302600_NS6detail15normal_iteratorINS8_10device_ptrIiEEEESD_SD_SD_jNS0_19identity_decomposerENS1_16block_id_wrapperIjLb0EEEEE10hipError_tT1_PNSt15iterator_traitsISI_E10value_typeET2_T3_PNSJ_ISO_E10value_typeET4_T5_PST_SU_PNS1_23onesweep_lookback_stateEbbT6_jjT7_P12ihipStream_tbENKUlT_T0_SI_SN_E_clISD_PiSD_S15_EEDaS11_S12_SI_SN_EUlS11_E_NS1_11comp_targetILNS1_3genE0ELNS1_11target_archE4294967295ELNS1_3gpuE0ELNS1_3repE0EEENS1_47radix_sort_onesweep_sort_config_static_selectorELNS0_4arch9wavefront6targetE0EEEvSI_
                                        ; -- End function
	.set _ZN7rocprim17ROCPRIM_400000_NS6detail17trampoline_kernelINS0_14default_configENS1_35radix_sort_onesweep_config_selectorIiiEEZZNS1_29radix_sort_onesweep_iterationIS3_Lb1EN6thrust23THRUST_200600_302600_NS6detail15normal_iteratorINS8_10device_ptrIiEEEESD_SD_SD_jNS0_19identity_decomposerENS1_16block_id_wrapperIjLb0EEEEE10hipError_tT1_PNSt15iterator_traitsISI_E10value_typeET2_T3_PNSJ_ISO_E10value_typeET4_T5_PST_SU_PNS1_23onesweep_lookback_stateEbbT6_jjT7_P12ihipStream_tbENKUlT_T0_SI_SN_E_clISD_PiSD_S15_EEDaS11_S12_SI_SN_EUlS11_E_NS1_11comp_targetILNS1_3genE0ELNS1_11target_archE4294967295ELNS1_3gpuE0ELNS1_3repE0EEENS1_47radix_sort_onesweep_sort_config_static_selectorELNS0_4arch9wavefront6targetE0EEEvSI_.num_vgpr, 0
	.set _ZN7rocprim17ROCPRIM_400000_NS6detail17trampoline_kernelINS0_14default_configENS1_35radix_sort_onesweep_config_selectorIiiEEZZNS1_29radix_sort_onesweep_iterationIS3_Lb1EN6thrust23THRUST_200600_302600_NS6detail15normal_iteratorINS8_10device_ptrIiEEEESD_SD_SD_jNS0_19identity_decomposerENS1_16block_id_wrapperIjLb0EEEEE10hipError_tT1_PNSt15iterator_traitsISI_E10value_typeET2_T3_PNSJ_ISO_E10value_typeET4_T5_PST_SU_PNS1_23onesweep_lookback_stateEbbT6_jjT7_P12ihipStream_tbENKUlT_T0_SI_SN_E_clISD_PiSD_S15_EEDaS11_S12_SI_SN_EUlS11_E_NS1_11comp_targetILNS1_3genE0ELNS1_11target_archE4294967295ELNS1_3gpuE0ELNS1_3repE0EEENS1_47radix_sort_onesweep_sort_config_static_selectorELNS0_4arch9wavefront6targetE0EEEvSI_.num_agpr, 0
	.set _ZN7rocprim17ROCPRIM_400000_NS6detail17trampoline_kernelINS0_14default_configENS1_35radix_sort_onesweep_config_selectorIiiEEZZNS1_29radix_sort_onesweep_iterationIS3_Lb1EN6thrust23THRUST_200600_302600_NS6detail15normal_iteratorINS8_10device_ptrIiEEEESD_SD_SD_jNS0_19identity_decomposerENS1_16block_id_wrapperIjLb0EEEEE10hipError_tT1_PNSt15iterator_traitsISI_E10value_typeET2_T3_PNSJ_ISO_E10value_typeET4_T5_PST_SU_PNS1_23onesweep_lookback_stateEbbT6_jjT7_P12ihipStream_tbENKUlT_T0_SI_SN_E_clISD_PiSD_S15_EEDaS11_S12_SI_SN_EUlS11_E_NS1_11comp_targetILNS1_3genE0ELNS1_11target_archE4294967295ELNS1_3gpuE0ELNS1_3repE0EEENS1_47radix_sort_onesweep_sort_config_static_selectorELNS0_4arch9wavefront6targetE0EEEvSI_.numbered_sgpr, 0
	.set _ZN7rocprim17ROCPRIM_400000_NS6detail17trampoline_kernelINS0_14default_configENS1_35radix_sort_onesweep_config_selectorIiiEEZZNS1_29radix_sort_onesweep_iterationIS3_Lb1EN6thrust23THRUST_200600_302600_NS6detail15normal_iteratorINS8_10device_ptrIiEEEESD_SD_SD_jNS0_19identity_decomposerENS1_16block_id_wrapperIjLb0EEEEE10hipError_tT1_PNSt15iterator_traitsISI_E10value_typeET2_T3_PNSJ_ISO_E10value_typeET4_T5_PST_SU_PNS1_23onesweep_lookback_stateEbbT6_jjT7_P12ihipStream_tbENKUlT_T0_SI_SN_E_clISD_PiSD_S15_EEDaS11_S12_SI_SN_EUlS11_E_NS1_11comp_targetILNS1_3genE0ELNS1_11target_archE4294967295ELNS1_3gpuE0ELNS1_3repE0EEENS1_47radix_sort_onesweep_sort_config_static_selectorELNS0_4arch9wavefront6targetE0EEEvSI_.num_named_barrier, 0
	.set _ZN7rocprim17ROCPRIM_400000_NS6detail17trampoline_kernelINS0_14default_configENS1_35radix_sort_onesweep_config_selectorIiiEEZZNS1_29radix_sort_onesweep_iterationIS3_Lb1EN6thrust23THRUST_200600_302600_NS6detail15normal_iteratorINS8_10device_ptrIiEEEESD_SD_SD_jNS0_19identity_decomposerENS1_16block_id_wrapperIjLb0EEEEE10hipError_tT1_PNSt15iterator_traitsISI_E10value_typeET2_T3_PNSJ_ISO_E10value_typeET4_T5_PST_SU_PNS1_23onesweep_lookback_stateEbbT6_jjT7_P12ihipStream_tbENKUlT_T0_SI_SN_E_clISD_PiSD_S15_EEDaS11_S12_SI_SN_EUlS11_E_NS1_11comp_targetILNS1_3genE0ELNS1_11target_archE4294967295ELNS1_3gpuE0ELNS1_3repE0EEENS1_47radix_sort_onesweep_sort_config_static_selectorELNS0_4arch9wavefront6targetE0EEEvSI_.private_seg_size, 0
	.set _ZN7rocprim17ROCPRIM_400000_NS6detail17trampoline_kernelINS0_14default_configENS1_35radix_sort_onesweep_config_selectorIiiEEZZNS1_29radix_sort_onesweep_iterationIS3_Lb1EN6thrust23THRUST_200600_302600_NS6detail15normal_iteratorINS8_10device_ptrIiEEEESD_SD_SD_jNS0_19identity_decomposerENS1_16block_id_wrapperIjLb0EEEEE10hipError_tT1_PNSt15iterator_traitsISI_E10value_typeET2_T3_PNSJ_ISO_E10value_typeET4_T5_PST_SU_PNS1_23onesweep_lookback_stateEbbT6_jjT7_P12ihipStream_tbENKUlT_T0_SI_SN_E_clISD_PiSD_S15_EEDaS11_S12_SI_SN_EUlS11_E_NS1_11comp_targetILNS1_3genE0ELNS1_11target_archE4294967295ELNS1_3gpuE0ELNS1_3repE0EEENS1_47radix_sort_onesweep_sort_config_static_selectorELNS0_4arch9wavefront6targetE0EEEvSI_.uses_vcc, 0
	.set _ZN7rocprim17ROCPRIM_400000_NS6detail17trampoline_kernelINS0_14default_configENS1_35radix_sort_onesweep_config_selectorIiiEEZZNS1_29radix_sort_onesweep_iterationIS3_Lb1EN6thrust23THRUST_200600_302600_NS6detail15normal_iteratorINS8_10device_ptrIiEEEESD_SD_SD_jNS0_19identity_decomposerENS1_16block_id_wrapperIjLb0EEEEE10hipError_tT1_PNSt15iterator_traitsISI_E10value_typeET2_T3_PNSJ_ISO_E10value_typeET4_T5_PST_SU_PNS1_23onesweep_lookback_stateEbbT6_jjT7_P12ihipStream_tbENKUlT_T0_SI_SN_E_clISD_PiSD_S15_EEDaS11_S12_SI_SN_EUlS11_E_NS1_11comp_targetILNS1_3genE0ELNS1_11target_archE4294967295ELNS1_3gpuE0ELNS1_3repE0EEENS1_47radix_sort_onesweep_sort_config_static_selectorELNS0_4arch9wavefront6targetE0EEEvSI_.uses_flat_scratch, 0
	.set _ZN7rocprim17ROCPRIM_400000_NS6detail17trampoline_kernelINS0_14default_configENS1_35radix_sort_onesweep_config_selectorIiiEEZZNS1_29radix_sort_onesweep_iterationIS3_Lb1EN6thrust23THRUST_200600_302600_NS6detail15normal_iteratorINS8_10device_ptrIiEEEESD_SD_SD_jNS0_19identity_decomposerENS1_16block_id_wrapperIjLb0EEEEE10hipError_tT1_PNSt15iterator_traitsISI_E10value_typeET2_T3_PNSJ_ISO_E10value_typeET4_T5_PST_SU_PNS1_23onesweep_lookback_stateEbbT6_jjT7_P12ihipStream_tbENKUlT_T0_SI_SN_E_clISD_PiSD_S15_EEDaS11_S12_SI_SN_EUlS11_E_NS1_11comp_targetILNS1_3genE0ELNS1_11target_archE4294967295ELNS1_3gpuE0ELNS1_3repE0EEENS1_47radix_sort_onesweep_sort_config_static_selectorELNS0_4arch9wavefront6targetE0EEEvSI_.has_dyn_sized_stack, 0
	.set _ZN7rocprim17ROCPRIM_400000_NS6detail17trampoline_kernelINS0_14default_configENS1_35radix_sort_onesweep_config_selectorIiiEEZZNS1_29radix_sort_onesweep_iterationIS3_Lb1EN6thrust23THRUST_200600_302600_NS6detail15normal_iteratorINS8_10device_ptrIiEEEESD_SD_SD_jNS0_19identity_decomposerENS1_16block_id_wrapperIjLb0EEEEE10hipError_tT1_PNSt15iterator_traitsISI_E10value_typeET2_T3_PNSJ_ISO_E10value_typeET4_T5_PST_SU_PNS1_23onesweep_lookback_stateEbbT6_jjT7_P12ihipStream_tbENKUlT_T0_SI_SN_E_clISD_PiSD_S15_EEDaS11_S12_SI_SN_EUlS11_E_NS1_11comp_targetILNS1_3genE0ELNS1_11target_archE4294967295ELNS1_3gpuE0ELNS1_3repE0EEENS1_47radix_sort_onesweep_sort_config_static_selectorELNS0_4arch9wavefront6targetE0EEEvSI_.has_recursion, 0
	.set _ZN7rocprim17ROCPRIM_400000_NS6detail17trampoline_kernelINS0_14default_configENS1_35radix_sort_onesweep_config_selectorIiiEEZZNS1_29radix_sort_onesweep_iterationIS3_Lb1EN6thrust23THRUST_200600_302600_NS6detail15normal_iteratorINS8_10device_ptrIiEEEESD_SD_SD_jNS0_19identity_decomposerENS1_16block_id_wrapperIjLb0EEEEE10hipError_tT1_PNSt15iterator_traitsISI_E10value_typeET2_T3_PNSJ_ISO_E10value_typeET4_T5_PST_SU_PNS1_23onesweep_lookback_stateEbbT6_jjT7_P12ihipStream_tbENKUlT_T0_SI_SN_E_clISD_PiSD_S15_EEDaS11_S12_SI_SN_EUlS11_E_NS1_11comp_targetILNS1_3genE0ELNS1_11target_archE4294967295ELNS1_3gpuE0ELNS1_3repE0EEENS1_47radix_sort_onesweep_sort_config_static_selectorELNS0_4arch9wavefront6targetE0EEEvSI_.has_indirect_call, 0
	.section	.AMDGPU.csdata,"",@progbits
; Kernel info:
; codeLenInByte = 0
; TotalNumSgprs: 0
; NumVgprs: 0
; ScratchSize: 0
; MemoryBound: 0
; FloatMode: 240
; IeeeMode: 1
; LDSByteSize: 0 bytes/workgroup (compile time only)
; SGPRBlocks: 0
; VGPRBlocks: 0
; NumSGPRsForWavesPerEU: 1
; NumVGPRsForWavesPerEU: 1
; Occupancy: 16
; WaveLimiterHint : 0
; COMPUTE_PGM_RSRC2:SCRATCH_EN: 0
; COMPUTE_PGM_RSRC2:USER_SGPR: 6
; COMPUTE_PGM_RSRC2:TRAP_HANDLER: 0
; COMPUTE_PGM_RSRC2:TGID_X_EN: 1
; COMPUTE_PGM_RSRC2:TGID_Y_EN: 0
; COMPUTE_PGM_RSRC2:TGID_Z_EN: 0
; COMPUTE_PGM_RSRC2:TIDIG_COMP_CNT: 0
	.section	.text._ZN7rocprim17ROCPRIM_400000_NS6detail17trampoline_kernelINS0_14default_configENS1_35radix_sort_onesweep_config_selectorIiiEEZZNS1_29radix_sort_onesweep_iterationIS3_Lb1EN6thrust23THRUST_200600_302600_NS6detail15normal_iteratorINS8_10device_ptrIiEEEESD_SD_SD_jNS0_19identity_decomposerENS1_16block_id_wrapperIjLb0EEEEE10hipError_tT1_PNSt15iterator_traitsISI_E10value_typeET2_T3_PNSJ_ISO_E10value_typeET4_T5_PST_SU_PNS1_23onesweep_lookback_stateEbbT6_jjT7_P12ihipStream_tbENKUlT_T0_SI_SN_E_clISD_PiSD_S15_EEDaS11_S12_SI_SN_EUlS11_E_NS1_11comp_targetILNS1_3genE6ELNS1_11target_archE950ELNS1_3gpuE13ELNS1_3repE0EEENS1_47radix_sort_onesweep_sort_config_static_selectorELNS0_4arch9wavefront6targetE0EEEvSI_,"axG",@progbits,_ZN7rocprim17ROCPRIM_400000_NS6detail17trampoline_kernelINS0_14default_configENS1_35radix_sort_onesweep_config_selectorIiiEEZZNS1_29radix_sort_onesweep_iterationIS3_Lb1EN6thrust23THRUST_200600_302600_NS6detail15normal_iteratorINS8_10device_ptrIiEEEESD_SD_SD_jNS0_19identity_decomposerENS1_16block_id_wrapperIjLb0EEEEE10hipError_tT1_PNSt15iterator_traitsISI_E10value_typeET2_T3_PNSJ_ISO_E10value_typeET4_T5_PST_SU_PNS1_23onesweep_lookback_stateEbbT6_jjT7_P12ihipStream_tbENKUlT_T0_SI_SN_E_clISD_PiSD_S15_EEDaS11_S12_SI_SN_EUlS11_E_NS1_11comp_targetILNS1_3genE6ELNS1_11target_archE950ELNS1_3gpuE13ELNS1_3repE0EEENS1_47radix_sort_onesweep_sort_config_static_selectorELNS0_4arch9wavefront6targetE0EEEvSI_,comdat
	.protected	_ZN7rocprim17ROCPRIM_400000_NS6detail17trampoline_kernelINS0_14default_configENS1_35radix_sort_onesweep_config_selectorIiiEEZZNS1_29radix_sort_onesweep_iterationIS3_Lb1EN6thrust23THRUST_200600_302600_NS6detail15normal_iteratorINS8_10device_ptrIiEEEESD_SD_SD_jNS0_19identity_decomposerENS1_16block_id_wrapperIjLb0EEEEE10hipError_tT1_PNSt15iterator_traitsISI_E10value_typeET2_T3_PNSJ_ISO_E10value_typeET4_T5_PST_SU_PNS1_23onesweep_lookback_stateEbbT6_jjT7_P12ihipStream_tbENKUlT_T0_SI_SN_E_clISD_PiSD_S15_EEDaS11_S12_SI_SN_EUlS11_E_NS1_11comp_targetILNS1_3genE6ELNS1_11target_archE950ELNS1_3gpuE13ELNS1_3repE0EEENS1_47radix_sort_onesweep_sort_config_static_selectorELNS0_4arch9wavefront6targetE0EEEvSI_ ; -- Begin function _ZN7rocprim17ROCPRIM_400000_NS6detail17trampoline_kernelINS0_14default_configENS1_35radix_sort_onesweep_config_selectorIiiEEZZNS1_29radix_sort_onesweep_iterationIS3_Lb1EN6thrust23THRUST_200600_302600_NS6detail15normal_iteratorINS8_10device_ptrIiEEEESD_SD_SD_jNS0_19identity_decomposerENS1_16block_id_wrapperIjLb0EEEEE10hipError_tT1_PNSt15iterator_traitsISI_E10value_typeET2_T3_PNSJ_ISO_E10value_typeET4_T5_PST_SU_PNS1_23onesweep_lookback_stateEbbT6_jjT7_P12ihipStream_tbENKUlT_T0_SI_SN_E_clISD_PiSD_S15_EEDaS11_S12_SI_SN_EUlS11_E_NS1_11comp_targetILNS1_3genE6ELNS1_11target_archE950ELNS1_3gpuE13ELNS1_3repE0EEENS1_47radix_sort_onesweep_sort_config_static_selectorELNS0_4arch9wavefront6targetE0EEEvSI_
	.globl	_ZN7rocprim17ROCPRIM_400000_NS6detail17trampoline_kernelINS0_14default_configENS1_35radix_sort_onesweep_config_selectorIiiEEZZNS1_29radix_sort_onesweep_iterationIS3_Lb1EN6thrust23THRUST_200600_302600_NS6detail15normal_iteratorINS8_10device_ptrIiEEEESD_SD_SD_jNS0_19identity_decomposerENS1_16block_id_wrapperIjLb0EEEEE10hipError_tT1_PNSt15iterator_traitsISI_E10value_typeET2_T3_PNSJ_ISO_E10value_typeET4_T5_PST_SU_PNS1_23onesweep_lookback_stateEbbT6_jjT7_P12ihipStream_tbENKUlT_T0_SI_SN_E_clISD_PiSD_S15_EEDaS11_S12_SI_SN_EUlS11_E_NS1_11comp_targetILNS1_3genE6ELNS1_11target_archE950ELNS1_3gpuE13ELNS1_3repE0EEENS1_47radix_sort_onesweep_sort_config_static_selectorELNS0_4arch9wavefront6targetE0EEEvSI_
	.p2align	8
	.type	_ZN7rocprim17ROCPRIM_400000_NS6detail17trampoline_kernelINS0_14default_configENS1_35radix_sort_onesweep_config_selectorIiiEEZZNS1_29radix_sort_onesweep_iterationIS3_Lb1EN6thrust23THRUST_200600_302600_NS6detail15normal_iteratorINS8_10device_ptrIiEEEESD_SD_SD_jNS0_19identity_decomposerENS1_16block_id_wrapperIjLb0EEEEE10hipError_tT1_PNSt15iterator_traitsISI_E10value_typeET2_T3_PNSJ_ISO_E10value_typeET4_T5_PST_SU_PNS1_23onesweep_lookback_stateEbbT6_jjT7_P12ihipStream_tbENKUlT_T0_SI_SN_E_clISD_PiSD_S15_EEDaS11_S12_SI_SN_EUlS11_E_NS1_11comp_targetILNS1_3genE6ELNS1_11target_archE950ELNS1_3gpuE13ELNS1_3repE0EEENS1_47radix_sort_onesweep_sort_config_static_selectorELNS0_4arch9wavefront6targetE0EEEvSI_,@function
_ZN7rocprim17ROCPRIM_400000_NS6detail17trampoline_kernelINS0_14default_configENS1_35radix_sort_onesweep_config_selectorIiiEEZZNS1_29radix_sort_onesweep_iterationIS3_Lb1EN6thrust23THRUST_200600_302600_NS6detail15normal_iteratorINS8_10device_ptrIiEEEESD_SD_SD_jNS0_19identity_decomposerENS1_16block_id_wrapperIjLb0EEEEE10hipError_tT1_PNSt15iterator_traitsISI_E10value_typeET2_T3_PNSJ_ISO_E10value_typeET4_T5_PST_SU_PNS1_23onesweep_lookback_stateEbbT6_jjT7_P12ihipStream_tbENKUlT_T0_SI_SN_E_clISD_PiSD_S15_EEDaS11_S12_SI_SN_EUlS11_E_NS1_11comp_targetILNS1_3genE6ELNS1_11target_archE950ELNS1_3gpuE13ELNS1_3repE0EEENS1_47radix_sort_onesweep_sort_config_static_selectorELNS0_4arch9wavefront6targetE0EEEvSI_: ; @_ZN7rocprim17ROCPRIM_400000_NS6detail17trampoline_kernelINS0_14default_configENS1_35radix_sort_onesweep_config_selectorIiiEEZZNS1_29radix_sort_onesweep_iterationIS3_Lb1EN6thrust23THRUST_200600_302600_NS6detail15normal_iteratorINS8_10device_ptrIiEEEESD_SD_SD_jNS0_19identity_decomposerENS1_16block_id_wrapperIjLb0EEEEE10hipError_tT1_PNSt15iterator_traitsISI_E10value_typeET2_T3_PNSJ_ISO_E10value_typeET4_T5_PST_SU_PNS1_23onesweep_lookback_stateEbbT6_jjT7_P12ihipStream_tbENKUlT_T0_SI_SN_E_clISD_PiSD_S15_EEDaS11_S12_SI_SN_EUlS11_E_NS1_11comp_targetILNS1_3genE6ELNS1_11target_archE950ELNS1_3gpuE13ELNS1_3repE0EEENS1_47radix_sort_onesweep_sort_config_static_selectorELNS0_4arch9wavefront6targetE0EEEvSI_
; %bb.0:
	.section	.rodata,"a",@progbits
	.p2align	6, 0x0
	.amdhsa_kernel _ZN7rocprim17ROCPRIM_400000_NS6detail17trampoline_kernelINS0_14default_configENS1_35radix_sort_onesweep_config_selectorIiiEEZZNS1_29radix_sort_onesweep_iterationIS3_Lb1EN6thrust23THRUST_200600_302600_NS6detail15normal_iteratorINS8_10device_ptrIiEEEESD_SD_SD_jNS0_19identity_decomposerENS1_16block_id_wrapperIjLb0EEEEE10hipError_tT1_PNSt15iterator_traitsISI_E10value_typeET2_T3_PNSJ_ISO_E10value_typeET4_T5_PST_SU_PNS1_23onesweep_lookback_stateEbbT6_jjT7_P12ihipStream_tbENKUlT_T0_SI_SN_E_clISD_PiSD_S15_EEDaS11_S12_SI_SN_EUlS11_E_NS1_11comp_targetILNS1_3genE6ELNS1_11target_archE950ELNS1_3gpuE13ELNS1_3repE0EEENS1_47radix_sort_onesweep_sort_config_static_selectorELNS0_4arch9wavefront6targetE0EEEvSI_
		.amdhsa_group_segment_fixed_size 0
		.amdhsa_private_segment_fixed_size 0
		.amdhsa_kernarg_size 88
		.amdhsa_user_sgpr_count 6
		.amdhsa_user_sgpr_private_segment_buffer 1
		.amdhsa_user_sgpr_dispatch_ptr 0
		.amdhsa_user_sgpr_queue_ptr 0
		.amdhsa_user_sgpr_kernarg_segment_ptr 1
		.amdhsa_user_sgpr_dispatch_id 0
		.amdhsa_user_sgpr_flat_scratch_init 0
		.amdhsa_user_sgpr_private_segment_size 0
		.amdhsa_wavefront_size32 1
		.amdhsa_uses_dynamic_stack 0
		.amdhsa_system_sgpr_private_segment_wavefront_offset 0
		.amdhsa_system_sgpr_workgroup_id_x 1
		.amdhsa_system_sgpr_workgroup_id_y 0
		.amdhsa_system_sgpr_workgroup_id_z 0
		.amdhsa_system_sgpr_workgroup_info 0
		.amdhsa_system_vgpr_workitem_id 0
		.amdhsa_next_free_vgpr 1
		.amdhsa_next_free_sgpr 1
		.amdhsa_reserve_vcc 0
		.amdhsa_reserve_flat_scratch 0
		.amdhsa_float_round_mode_32 0
		.amdhsa_float_round_mode_16_64 0
		.amdhsa_float_denorm_mode_32 3
		.amdhsa_float_denorm_mode_16_64 3
		.amdhsa_dx10_clamp 1
		.amdhsa_ieee_mode 1
		.amdhsa_fp16_overflow 0
		.amdhsa_workgroup_processor_mode 1
		.amdhsa_memory_ordered 1
		.amdhsa_forward_progress 1
		.amdhsa_shared_vgpr_count 0
		.amdhsa_exception_fp_ieee_invalid_op 0
		.amdhsa_exception_fp_denorm_src 0
		.amdhsa_exception_fp_ieee_div_zero 0
		.amdhsa_exception_fp_ieee_overflow 0
		.amdhsa_exception_fp_ieee_underflow 0
		.amdhsa_exception_fp_ieee_inexact 0
		.amdhsa_exception_int_div_zero 0
	.end_amdhsa_kernel
	.section	.text._ZN7rocprim17ROCPRIM_400000_NS6detail17trampoline_kernelINS0_14default_configENS1_35radix_sort_onesweep_config_selectorIiiEEZZNS1_29radix_sort_onesweep_iterationIS3_Lb1EN6thrust23THRUST_200600_302600_NS6detail15normal_iteratorINS8_10device_ptrIiEEEESD_SD_SD_jNS0_19identity_decomposerENS1_16block_id_wrapperIjLb0EEEEE10hipError_tT1_PNSt15iterator_traitsISI_E10value_typeET2_T3_PNSJ_ISO_E10value_typeET4_T5_PST_SU_PNS1_23onesweep_lookback_stateEbbT6_jjT7_P12ihipStream_tbENKUlT_T0_SI_SN_E_clISD_PiSD_S15_EEDaS11_S12_SI_SN_EUlS11_E_NS1_11comp_targetILNS1_3genE6ELNS1_11target_archE950ELNS1_3gpuE13ELNS1_3repE0EEENS1_47radix_sort_onesweep_sort_config_static_selectorELNS0_4arch9wavefront6targetE0EEEvSI_,"axG",@progbits,_ZN7rocprim17ROCPRIM_400000_NS6detail17trampoline_kernelINS0_14default_configENS1_35radix_sort_onesweep_config_selectorIiiEEZZNS1_29radix_sort_onesweep_iterationIS3_Lb1EN6thrust23THRUST_200600_302600_NS6detail15normal_iteratorINS8_10device_ptrIiEEEESD_SD_SD_jNS0_19identity_decomposerENS1_16block_id_wrapperIjLb0EEEEE10hipError_tT1_PNSt15iterator_traitsISI_E10value_typeET2_T3_PNSJ_ISO_E10value_typeET4_T5_PST_SU_PNS1_23onesweep_lookback_stateEbbT6_jjT7_P12ihipStream_tbENKUlT_T0_SI_SN_E_clISD_PiSD_S15_EEDaS11_S12_SI_SN_EUlS11_E_NS1_11comp_targetILNS1_3genE6ELNS1_11target_archE950ELNS1_3gpuE13ELNS1_3repE0EEENS1_47radix_sort_onesweep_sort_config_static_selectorELNS0_4arch9wavefront6targetE0EEEvSI_,comdat
.Lfunc_end1036:
	.size	_ZN7rocprim17ROCPRIM_400000_NS6detail17trampoline_kernelINS0_14default_configENS1_35radix_sort_onesweep_config_selectorIiiEEZZNS1_29radix_sort_onesweep_iterationIS3_Lb1EN6thrust23THRUST_200600_302600_NS6detail15normal_iteratorINS8_10device_ptrIiEEEESD_SD_SD_jNS0_19identity_decomposerENS1_16block_id_wrapperIjLb0EEEEE10hipError_tT1_PNSt15iterator_traitsISI_E10value_typeET2_T3_PNSJ_ISO_E10value_typeET4_T5_PST_SU_PNS1_23onesweep_lookback_stateEbbT6_jjT7_P12ihipStream_tbENKUlT_T0_SI_SN_E_clISD_PiSD_S15_EEDaS11_S12_SI_SN_EUlS11_E_NS1_11comp_targetILNS1_3genE6ELNS1_11target_archE950ELNS1_3gpuE13ELNS1_3repE0EEENS1_47radix_sort_onesweep_sort_config_static_selectorELNS0_4arch9wavefront6targetE0EEEvSI_, .Lfunc_end1036-_ZN7rocprim17ROCPRIM_400000_NS6detail17trampoline_kernelINS0_14default_configENS1_35radix_sort_onesweep_config_selectorIiiEEZZNS1_29radix_sort_onesweep_iterationIS3_Lb1EN6thrust23THRUST_200600_302600_NS6detail15normal_iteratorINS8_10device_ptrIiEEEESD_SD_SD_jNS0_19identity_decomposerENS1_16block_id_wrapperIjLb0EEEEE10hipError_tT1_PNSt15iterator_traitsISI_E10value_typeET2_T3_PNSJ_ISO_E10value_typeET4_T5_PST_SU_PNS1_23onesweep_lookback_stateEbbT6_jjT7_P12ihipStream_tbENKUlT_T0_SI_SN_E_clISD_PiSD_S15_EEDaS11_S12_SI_SN_EUlS11_E_NS1_11comp_targetILNS1_3genE6ELNS1_11target_archE950ELNS1_3gpuE13ELNS1_3repE0EEENS1_47radix_sort_onesweep_sort_config_static_selectorELNS0_4arch9wavefront6targetE0EEEvSI_
                                        ; -- End function
	.set _ZN7rocprim17ROCPRIM_400000_NS6detail17trampoline_kernelINS0_14default_configENS1_35radix_sort_onesweep_config_selectorIiiEEZZNS1_29radix_sort_onesweep_iterationIS3_Lb1EN6thrust23THRUST_200600_302600_NS6detail15normal_iteratorINS8_10device_ptrIiEEEESD_SD_SD_jNS0_19identity_decomposerENS1_16block_id_wrapperIjLb0EEEEE10hipError_tT1_PNSt15iterator_traitsISI_E10value_typeET2_T3_PNSJ_ISO_E10value_typeET4_T5_PST_SU_PNS1_23onesweep_lookback_stateEbbT6_jjT7_P12ihipStream_tbENKUlT_T0_SI_SN_E_clISD_PiSD_S15_EEDaS11_S12_SI_SN_EUlS11_E_NS1_11comp_targetILNS1_3genE6ELNS1_11target_archE950ELNS1_3gpuE13ELNS1_3repE0EEENS1_47radix_sort_onesweep_sort_config_static_selectorELNS0_4arch9wavefront6targetE0EEEvSI_.num_vgpr, 0
	.set _ZN7rocprim17ROCPRIM_400000_NS6detail17trampoline_kernelINS0_14default_configENS1_35radix_sort_onesweep_config_selectorIiiEEZZNS1_29radix_sort_onesweep_iterationIS3_Lb1EN6thrust23THRUST_200600_302600_NS6detail15normal_iteratorINS8_10device_ptrIiEEEESD_SD_SD_jNS0_19identity_decomposerENS1_16block_id_wrapperIjLb0EEEEE10hipError_tT1_PNSt15iterator_traitsISI_E10value_typeET2_T3_PNSJ_ISO_E10value_typeET4_T5_PST_SU_PNS1_23onesweep_lookback_stateEbbT6_jjT7_P12ihipStream_tbENKUlT_T0_SI_SN_E_clISD_PiSD_S15_EEDaS11_S12_SI_SN_EUlS11_E_NS1_11comp_targetILNS1_3genE6ELNS1_11target_archE950ELNS1_3gpuE13ELNS1_3repE0EEENS1_47radix_sort_onesweep_sort_config_static_selectorELNS0_4arch9wavefront6targetE0EEEvSI_.num_agpr, 0
	.set _ZN7rocprim17ROCPRIM_400000_NS6detail17trampoline_kernelINS0_14default_configENS1_35radix_sort_onesweep_config_selectorIiiEEZZNS1_29radix_sort_onesweep_iterationIS3_Lb1EN6thrust23THRUST_200600_302600_NS6detail15normal_iteratorINS8_10device_ptrIiEEEESD_SD_SD_jNS0_19identity_decomposerENS1_16block_id_wrapperIjLb0EEEEE10hipError_tT1_PNSt15iterator_traitsISI_E10value_typeET2_T3_PNSJ_ISO_E10value_typeET4_T5_PST_SU_PNS1_23onesweep_lookback_stateEbbT6_jjT7_P12ihipStream_tbENKUlT_T0_SI_SN_E_clISD_PiSD_S15_EEDaS11_S12_SI_SN_EUlS11_E_NS1_11comp_targetILNS1_3genE6ELNS1_11target_archE950ELNS1_3gpuE13ELNS1_3repE0EEENS1_47radix_sort_onesweep_sort_config_static_selectorELNS0_4arch9wavefront6targetE0EEEvSI_.numbered_sgpr, 0
	.set _ZN7rocprim17ROCPRIM_400000_NS6detail17trampoline_kernelINS0_14default_configENS1_35radix_sort_onesweep_config_selectorIiiEEZZNS1_29radix_sort_onesweep_iterationIS3_Lb1EN6thrust23THRUST_200600_302600_NS6detail15normal_iteratorINS8_10device_ptrIiEEEESD_SD_SD_jNS0_19identity_decomposerENS1_16block_id_wrapperIjLb0EEEEE10hipError_tT1_PNSt15iterator_traitsISI_E10value_typeET2_T3_PNSJ_ISO_E10value_typeET4_T5_PST_SU_PNS1_23onesweep_lookback_stateEbbT6_jjT7_P12ihipStream_tbENKUlT_T0_SI_SN_E_clISD_PiSD_S15_EEDaS11_S12_SI_SN_EUlS11_E_NS1_11comp_targetILNS1_3genE6ELNS1_11target_archE950ELNS1_3gpuE13ELNS1_3repE0EEENS1_47radix_sort_onesweep_sort_config_static_selectorELNS0_4arch9wavefront6targetE0EEEvSI_.num_named_barrier, 0
	.set _ZN7rocprim17ROCPRIM_400000_NS6detail17trampoline_kernelINS0_14default_configENS1_35radix_sort_onesweep_config_selectorIiiEEZZNS1_29radix_sort_onesweep_iterationIS3_Lb1EN6thrust23THRUST_200600_302600_NS6detail15normal_iteratorINS8_10device_ptrIiEEEESD_SD_SD_jNS0_19identity_decomposerENS1_16block_id_wrapperIjLb0EEEEE10hipError_tT1_PNSt15iterator_traitsISI_E10value_typeET2_T3_PNSJ_ISO_E10value_typeET4_T5_PST_SU_PNS1_23onesweep_lookback_stateEbbT6_jjT7_P12ihipStream_tbENKUlT_T0_SI_SN_E_clISD_PiSD_S15_EEDaS11_S12_SI_SN_EUlS11_E_NS1_11comp_targetILNS1_3genE6ELNS1_11target_archE950ELNS1_3gpuE13ELNS1_3repE0EEENS1_47radix_sort_onesweep_sort_config_static_selectorELNS0_4arch9wavefront6targetE0EEEvSI_.private_seg_size, 0
	.set _ZN7rocprim17ROCPRIM_400000_NS6detail17trampoline_kernelINS0_14default_configENS1_35radix_sort_onesweep_config_selectorIiiEEZZNS1_29radix_sort_onesweep_iterationIS3_Lb1EN6thrust23THRUST_200600_302600_NS6detail15normal_iteratorINS8_10device_ptrIiEEEESD_SD_SD_jNS0_19identity_decomposerENS1_16block_id_wrapperIjLb0EEEEE10hipError_tT1_PNSt15iterator_traitsISI_E10value_typeET2_T3_PNSJ_ISO_E10value_typeET4_T5_PST_SU_PNS1_23onesweep_lookback_stateEbbT6_jjT7_P12ihipStream_tbENKUlT_T0_SI_SN_E_clISD_PiSD_S15_EEDaS11_S12_SI_SN_EUlS11_E_NS1_11comp_targetILNS1_3genE6ELNS1_11target_archE950ELNS1_3gpuE13ELNS1_3repE0EEENS1_47radix_sort_onesweep_sort_config_static_selectorELNS0_4arch9wavefront6targetE0EEEvSI_.uses_vcc, 0
	.set _ZN7rocprim17ROCPRIM_400000_NS6detail17trampoline_kernelINS0_14default_configENS1_35radix_sort_onesweep_config_selectorIiiEEZZNS1_29radix_sort_onesweep_iterationIS3_Lb1EN6thrust23THRUST_200600_302600_NS6detail15normal_iteratorINS8_10device_ptrIiEEEESD_SD_SD_jNS0_19identity_decomposerENS1_16block_id_wrapperIjLb0EEEEE10hipError_tT1_PNSt15iterator_traitsISI_E10value_typeET2_T3_PNSJ_ISO_E10value_typeET4_T5_PST_SU_PNS1_23onesweep_lookback_stateEbbT6_jjT7_P12ihipStream_tbENKUlT_T0_SI_SN_E_clISD_PiSD_S15_EEDaS11_S12_SI_SN_EUlS11_E_NS1_11comp_targetILNS1_3genE6ELNS1_11target_archE950ELNS1_3gpuE13ELNS1_3repE0EEENS1_47radix_sort_onesweep_sort_config_static_selectorELNS0_4arch9wavefront6targetE0EEEvSI_.uses_flat_scratch, 0
	.set _ZN7rocprim17ROCPRIM_400000_NS6detail17trampoline_kernelINS0_14default_configENS1_35radix_sort_onesweep_config_selectorIiiEEZZNS1_29radix_sort_onesweep_iterationIS3_Lb1EN6thrust23THRUST_200600_302600_NS6detail15normal_iteratorINS8_10device_ptrIiEEEESD_SD_SD_jNS0_19identity_decomposerENS1_16block_id_wrapperIjLb0EEEEE10hipError_tT1_PNSt15iterator_traitsISI_E10value_typeET2_T3_PNSJ_ISO_E10value_typeET4_T5_PST_SU_PNS1_23onesweep_lookback_stateEbbT6_jjT7_P12ihipStream_tbENKUlT_T0_SI_SN_E_clISD_PiSD_S15_EEDaS11_S12_SI_SN_EUlS11_E_NS1_11comp_targetILNS1_3genE6ELNS1_11target_archE950ELNS1_3gpuE13ELNS1_3repE0EEENS1_47radix_sort_onesweep_sort_config_static_selectorELNS0_4arch9wavefront6targetE0EEEvSI_.has_dyn_sized_stack, 0
	.set _ZN7rocprim17ROCPRIM_400000_NS6detail17trampoline_kernelINS0_14default_configENS1_35radix_sort_onesweep_config_selectorIiiEEZZNS1_29radix_sort_onesweep_iterationIS3_Lb1EN6thrust23THRUST_200600_302600_NS6detail15normal_iteratorINS8_10device_ptrIiEEEESD_SD_SD_jNS0_19identity_decomposerENS1_16block_id_wrapperIjLb0EEEEE10hipError_tT1_PNSt15iterator_traitsISI_E10value_typeET2_T3_PNSJ_ISO_E10value_typeET4_T5_PST_SU_PNS1_23onesweep_lookback_stateEbbT6_jjT7_P12ihipStream_tbENKUlT_T0_SI_SN_E_clISD_PiSD_S15_EEDaS11_S12_SI_SN_EUlS11_E_NS1_11comp_targetILNS1_3genE6ELNS1_11target_archE950ELNS1_3gpuE13ELNS1_3repE0EEENS1_47radix_sort_onesweep_sort_config_static_selectorELNS0_4arch9wavefront6targetE0EEEvSI_.has_recursion, 0
	.set _ZN7rocprim17ROCPRIM_400000_NS6detail17trampoline_kernelINS0_14default_configENS1_35radix_sort_onesweep_config_selectorIiiEEZZNS1_29radix_sort_onesweep_iterationIS3_Lb1EN6thrust23THRUST_200600_302600_NS6detail15normal_iteratorINS8_10device_ptrIiEEEESD_SD_SD_jNS0_19identity_decomposerENS1_16block_id_wrapperIjLb0EEEEE10hipError_tT1_PNSt15iterator_traitsISI_E10value_typeET2_T3_PNSJ_ISO_E10value_typeET4_T5_PST_SU_PNS1_23onesweep_lookback_stateEbbT6_jjT7_P12ihipStream_tbENKUlT_T0_SI_SN_E_clISD_PiSD_S15_EEDaS11_S12_SI_SN_EUlS11_E_NS1_11comp_targetILNS1_3genE6ELNS1_11target_archE950ELNS1_3gpuE13ELNS1_3repE0EEENS1_47radix_sort_onesweep_sort_config_static_selectorELNS0_4arch9wavefront6targetE0EEEvSI_.has_indirect_call, 0
	.section	.AMDGPU.csdata,"",@progbits
; Kernel info:
; codeLenInByte = 0
; TotalNumSgprs: 0
; NumVgprs: 0
; ScratchSize: 0
; MemoryBound: 0
; FloatMode: 240
; IeeeMode: 1
; LDSByteSize: 0 bytes/workgroup (compile time only)
; SGPRBlocks: 0
; VGPRBlocks: 0
; NumSGPRsForWavesPerEU: 1
; NumVGPRsForWavesPerEU: 1
; Occupancy: 16
; WaveLimiterHint : 0
; COMPUTE_PGM_RSRC2:SCRATCH_EN: 0
; COMPUTE_PGM_RSRC2:USER_SGPR: 6
; COMPUTE_PGM_RSRC2:TRAP_HANDLER: 0
; COMPUTE_PGM_RSRC2:TGID_X_EN: 1
; COMPUTE_PGM_RSRC2:TGID_Y_EN: 0
; COMPUTE_PGM_RSRC2:TGID_Z_EN: 0
; COMPUTE_PGM_RSRC2:TIDIG_COMP_CNT: 0
	.section	.text._ZN7rocprim17ROCPRIM_400000_NS6detail17trampoline_kernelINS0_14default_configENS1_35radix_sort_onesweep_config_selectorIiiEEZZNS1_29radix_sort_onesweep_iterationIS3_Lb1EN6thrust23THRUST_200600_302600_NS6detail15normal_iteratorINS8_10device_ptrIiEEEESD_SD_SD_jNS0_19identity_decomposerENS1_16block_id_wrapperIjLb0EEEEE10hipError_tT1_PNSt15iterator_traitsISI_E10value_typeET2_T3_PNSJ_ISO_E10value_typeET4_T5_PST_SU_PNS1_23onesweep_lookback_stateEbbT6_jjT7_P12ihipStream_tbENKUlT_T0_SI_SN_E_clISD_PiSD_S15_EEDaS11_S12_SI_SN_EUlS11_E_NS1_11comp_targetILNS1_3genE5ELNS1_11target_archE942ELNS1_3gpuE9ELNS1_3repE0EEENS1_47radix_sort_onesweep_sort_config_static_selectorELNS0_4arch9wavefront6targetE0EEEvSI_,"axG",@progbits,_ZN7rocprim17ROCPRIM_400000_NS6detail17trampoline_kernelINS0_14default_configENS1_35radix_sort_onesweep_config_selectorIiiEEZZNS1_29radix_sort_onesweep_iterationIS3_Lb1EN6thrust23THRUST_200600_302600_NS6detail15normal_iteratorINS8_10device_ptrIiEEEESD_SD_SD_jNS0_19identity_decomposerENS1_16block_id_wrapperIjLb0EEEEE10hipError_tT1_PNSt15iterator_traitsISI_E10value_typeET2_T3_PNSJ_ISO_E10value_typeET4_T5_PST_SU_PNS1_23onesweep_lookback_stateEbbT6_jjT7_P12ihipStream_tbENKUlT_T0_SI_SN_E_clISD_PiSD_S15_EEDaS11_S12_SI_SN_EUlS11_E_NS1_11comp_targetILNS1_3genE5ELNS1_11target_archE942ELNS1_3gpuE9ELNS1_3repE0EEENS1_47radix_sort_onesweep_sort_config_static_selectorELNS0_4arch9wavefront6targetE0EEEvSI_,comdat
	.protected	_ZN7rocprim17ROCPRIM_400000_NS6detail17trampoline_kernelINS0_14default_configENS1_35radix_sort_onesweep_config_selectorIiiEEZZNS1_29radix_sort_onesweep_iterationIS3_Lb1EN6thrust23THRUST_200600_302600_NS6detail15normal_iteratorINS8_10device_ptrIiEEEESD_SD_SD_jNS0_19identity_decomposerENS1_16block_id_wrapperIjLb0EEEEE10hipError_tT1_PNSt15iterator_traitsISI_E10value_typeET2_T3_PNSJ_ISO_E10value_typeET4_T5_PST_SU_PNS1_23onesweep_lookback_stateEbbT6_jjT7_P12ihipStream_tbENKUlT_T0_SI_SN_E_clISD_PiSD_S15_EEDaS11_S12_SI_SN_EUlS11_E_NS1_11comp_targetILNS1_3genE5ELNS1_11target_archE942ELNS1_3gpuE9ELNS1_3repE0EEENS1_47radix_sort_onesweep_sort_config_static_selectorELNS0_4arch9wavefront6targetE0EEEvSI_ ; -- Begin function _ZN7rocprim17ROCPRIM_400000_NS6detail17trampoline_kernelINS0_14default_configENS1_35radix_sort_onesweep_config_selectorIiiEEZZNS1_29radix_sort_onesweep_iterationIS3_Lb1EN6thrust23THRUST_200600_302600_NS6detail15normal_iteratorINS8_10device_ptrIiEEEESD_SD_SD_jNS0_19identity_decomposerENS1_16block_id_wrapperIjLb0EEEEE10hipError_tT1_PNSt15iterator_traitsISI_E10value_typeET2_T3_PNSJ_ISO_E10value_typeET4_T5_PST_SU_PNS1_23onesweep_lookback_stateEbbT6_jjT7_P12ihipStream_tbENKUlT_T0_SI_SN_E_clISD_PiSD_S15_EEDaS11_S12_SI_SN_EUlS11_E_NS1_11comp_targetILNS1_3genE5ELNS1_11target_archE942ELNS1_3gpuE9ELNS1_3repE0EEENS1_47radix_sort_onesweep_sort_config_static_selectorELNS0_4arch9wavefront6targetE0EEEvSI_
	.globl	_ZN7rocprim17ROCPRIM_400000_NS6detail17trampoline_kernelINS0_14default_configENS1_35radix_sort_onesweep_config_selectorIiiEEZZNS1_29radix_sort_onesweep_iterationIS3_Lb1EN6thrust23THRUST_200600_302600_NS6detail15normal_iteratorINS8_10device_ptrIiEEEESD_SD_SD_jNS0_19identity_decomposerENS1_16block_id_wrapperIjLb0EEEEE10hipError_tT1_PNSt15iterator_traitsISI_E10value_typeET2_T3_PNSJ_ISO_E10value_typeET4_T5_PST_SU_PNS1_23onesweep_lookback_stateEbbT6_jjT7_P12ihipStream_tbENKUlT_T0_SI_SN_E_clISD_PiSD_S15_EEDaS11_S12_SI_SN_EUlS11_E_NS1_11comp_targetILNS1_3genE5ELNS1_11target_archE942ELNS1_3gpuE9ELNS1_3repE0EEENS1_47radix_sort_onesweep_sort_config_static_selectorELNS0_4arch9wavefront6targetE0EEEvSI_
	.p2align	8
	.type	_ZN7rocprim17ROCPRIM_400000_NS6detail17trampoline_kernelINS0_14default_configENS1_35radix_sort_onesweep_config_selectorIiiEEZZNS1_29radix_sort_onesweep_iterationIS3_Lb1EN6thrust23THRUST_200600_302600_NS6detail15normal_iteratorINS8_10device_ptrIiEEEESD_SD_SD_jNS0_19identity_decomposerENS1_16block_id_wrapperIjLb0EEEEE10hipError_tT1_PNSt15iterator_traitsISI_E10value_typeET2_T3_PNSJ_ISO_E10value_typeET4_T5_PST_SU_PNS1_23onesweep_lookback_stateEbbT6_jjT7_P12ihipStream_tbENKUlT_T0_SI_SN_E_clISD_PiSD_S15_EEDaS11_S12_SI_SN_EUlS11_E_NS1_11comp_targetILNS1_3genE5ELNS1_11target_archE942ELNS1_3gpuE9ELNS1_3repE0EEENS1_47radix_sort_onesweep_sort_config_static_selectorELNS0_4arch9wavefront6targetE0EEEvSI_,@function
_ZN7rocprim17ROCPRIM_400000_NS6detail17trampoline_kernelINS0_14default_configENS1_35radix_sort_onesweep_config_selectorIiiEEZZNS1_29radix_sort_onesweep_iterationIS3_Lb1EN6thrust23THRUST_200600_302600_NS6detail15normal_iteratorINS8_10device_ptrIiEEEESD_SD_SD_jNS0_19identity_decomposerENS1_16block_id_wrapperIjLb0EEEEE10hipError_tT1_PNSt15iterator_traitsISI_E10value_typeET2_T3_PNSJ_ISO_E10value_typeET4_T5_PST_SU_PNS1_23onesweep_lookback_stateEbbT6_jjT7_P12ihipStream_tbENKUlT_T0_SI_SN_E_clISD_PiSD_S15_EEDaS11_S12_SI_SN_EUlS11_E_NS1_11comp_targetILNS1_3genE5ELNS1_11target_archE942ELNS1_3gpuE9ELNS1_3repE0EEENS1_47radix_sort_onesweep_sort_config_static_selectorELNS0_4arch9wavefront6targetE0EEEvSI_: ; @_ZN7rocprim17ROCPRIM_400000_NS6detail17trampoline_kernelINS0_14default_configENS1_35radix_sort_onesweep_config_selectorIiiEEZZNS1_29radix_sort_onesweep_iterationIS3_Lb1EN6thrust23THRUST_200600_302600_NS6detail15normal_iteratorINS8_10device_ptrIiEEEESD_SD_SD_jNS0_19identity_decomposerENS1_16block_id_wrapperIjLb0EEEEE10hipError_tT1_PNSt15iterator_traitsISI_E10value_typeET2_T3_PNSJ_ISO_E10value_typeET4_T5_PST_SU_PNS1_23onesweep_lookback_stateEbbT6_jjT7_P12ihipStream_tbENKUlT_T0_SI_SN_E_clISD_PiSD_S15_EEDaS11_S12_SI_SN_EUlS11_E_NS1_11comp_targetILNS1_3genE5ELNS1_11target_archE942ELNS1_3gpuE9ELNS1_3repE0EEENS1_47radix_sort_onesweep_sort_config_static_selectorELNS0_4arch9wavefront6targetE0EEEvSI_
; %bb.0:
	.section	.rodata,"a",@progbits
	.p2align	6, 0x0
	.amdhsa_kernel _ZN7rocprim17ROCPRIM_400000_NS6detail17trampoline_kernelINS0_14default_configENS1_35radix_sort_onesweep_config_selectorIiiEEZZNS1_29radix_sort_onesweep_iterationIS3_Lb1EN6thrust23THRUST_200600_302600_NS6detail15normal_iteratorINS8_10device_ptrIiEEEESD_SD_SD_jNS0_19identity_decomposerENS1_16block_id_wrapperIjLb0EEEEE10hipError_tT1_PNSt15iterator_traitsISI_E10value_typeET2_T3_PNSJ_ISO_E10value_typeET4_T5_PST_SU_PNS1_23onesweep_lookback_stateEbbT6_jjT7_P12ihipStream_tbENKUlT_T0_SI_SN_E_clISD_PiSD_S15_EEDaS11_S12_SI_SN_EUlS11_E_NS1_11comp_targetILNS1_3genE5ELNS1_11target_archE942ELNS1_3gpuE9ELNS1_3repE0EEENS1_47radix_sort_onesweep_sort_config_static_selectorELNS0_4arch9wavefront6targetE0EEEvSI_
		.amdhsa_group_segment_fixed_size 0
		.amdhsa_private_segment_fixed_size 0
		.amdhsa_kernarg_size 88
		.amdhsa_user_sgpr_count 6
		.amdhsa_user_sgpr_private_segment_buffer 1
		.amdhsa_user_sgpr_dispatch_ptr 0
		.amdhsa_user_sgpr_queue_ptr 0
		.amdhsa_user_sgpr_kernarg_segment_ptr 1
		.amdhsa_user_sgpr_dispatch_id 0
		.amdhsa_user_sgpr_flat_scratch_init 0
		.amdhsa_user_sgpr_private_segment_size 0
		.amdhsa_wavefront_size32 1
		.amdhsa_uses_dynamic_stack 0
		.amdhsa_system_sgpr_private_segment_wavefront_offset 0
		.amdhsa_system_sgpr_workgroup_id_x 1
		.amdhsa_system_sgpr_workgroup_id_y 0
		.amdhsa_system_sgpr_workgroup_id_z 0
		.amdhsa_system_sgpr_workgroup_info 0
		.amdhsa_system_vgpr_workitem_id 0
		.amdhsa_next_free_vgpr 1
		.amdhsa_next_free_sgpr 1
		.amdhsa_reserve_vcc 0
		.amdhsa_reserve_flat_scratch 0
		.amdhsa_float_round_mode_32 0
		.amdhsa_float_round_mode_16_64 0
		.amdhsa_float_denorm_mode_32 3
		.amdhsa_float_denorm_mode_16_64 3
		.amdhsa_dx10_clamp 1
		.amdhsa_ieee_mode 1
		.amdhsa_fp16_overflow 0
		.amdhsa_workgroup_processor_mode 1
		.amdhsa_memory_ordered 1
		.amdhsa_forward_progress 1
		.amdhsa_shared_vgpr_count 0
		.amdhsa_exception_fp_ieee_invalid_op 0
		.amdhsa_exception_fp_denorm_src 0
		.amdhsa_exception_fp_ieee_div_zero 0
		.amdhsa_exception_fp_ieee_overflow 0
		.amdhsa_exception_fp_ieee_underflow 0
		.amdhsa_exception_fp_ieee_inexact 0
		.amdhsa_exception_int_div_zero 0
	.end_amdhsa_kernel
	.section	.text._ZN7rocprim17ROCPRIM_400000_NS6detail17trampoline_kernelINS0_14default_configENS1_35radix_sort_onesweep_config_selectorIiiEEZZNS1_29radix_sort_onesweep_iterationIS3_Lb1EN6thrust23THRUST_200600_302600_NS6detail15normal_iteratorINS8_10device_ptrIiEEEESD_SD_SD_jNS0_19identity_decomposerENS1_16block_id_wrapperIjLb0EEEEE10hipError_tT1_PNSt15iterator_traitsISI_E10value_typeET2_T3_PNSJ_ISO_E10value_typeET4_T5_PST_SU_PNS1_23onesweep_lookback_stateEbbT6_jjT7_P12ihipStream_tbENKUlT_T0_SI_SN_E_clISD_PiSD_S15_EEDaS11_S12_SI_SN_EUlS11_E_NS1_11comp_targetILNS1_3genE5ELNS1_11target_archE942ELNS1_3gpuE9ELNS1_3repE0EEENS1_47radix_sort_onesweep_sort_config_static_selectorELNS0_4arch9wavefront6targetE0EEEvSI_,"axG",@progbits,_ZN7rocprim17ROCPRIM_400000_NS6detail17trampoline_kernelINS0_14default_configENS1_35radix_sort_onesweep_config_selectorIiiEEZZNS1_29radix_sort_onesweep_iterationIS3_Lb1EN6thrust23THRUST_200600_302600_NS6detail15normal_iteratorINS8_10device_ptrIiEEEESD_SD_SD_jNS0_19identity_decomposerENS1_16block_id_wrapperIjLb0EEEEE10hipError_tT1_PNSt15iterator_traitsISI_E10value_typeET2_T3_PNSJ_ISO_E10value_typeET4_T5_PST_SU_PNS1_23onesweep_lookback_stateEbbT6_jjT7_P12ihipStream_tbENKUlT_T0_SI_SN_E_clISD_PiSD_S15_EEDaS11_S12_SI_SN_EUlS11_E_NS1_11comp_targetILNS1_3genE5ELNS1_11target_archE942ELNS1_3gpuE9ELNS1_3repE0EEENS1_47radix_sort_onesweep_sort_config_static_selectorELNS0_4arch9wavefront6targetE0EEEvSI_,comdat
.Lfunc_end1037:
	.size	_ZN7rocprim17ROCPRIM_400000_NS6detail17trampoline_kernelINS0_14default_configENS1_35radix_sort_onesweep_config_selectorIiiEEZZNS1_29radix_sort_onesweep_iterationIS3_Lb1EN6thrust23THRUST_200600_302600_NS6detail15normal_iteratorINS8_10device_ptrIiEEEESD_SD_SD_jNS0_19identity_decomposerENS1_16block_id_wrapperIjLb0EEEEE10hipError_tT1_PNSt15iterator_traitsISI_E10value_typeET2_T3_PNSJ_ISO_E10value_typeET4_T5_PST_SU_PNS1_23onesweep_lookback_stateEbbT6_jjT7_P12ihipStream_tbENKUlT_T0_SI_SN_E_clISD_PiSD_S15_EEDaS11_S12_SI_SN_EUlS11_E_NS1_11comp_targetILNS1_3genE5ELNS1_11target_archE942ELNS1_3gpuE9ELNS1_3repE0EEENS1_47radix_sort_onesweep_sort_config_static_selectorELNS0_4arch9wavefront6targetE0EEEvSI_, .Lfunc_end1037-_ZN7rocprim17ROCPRIM_400000_NS6detail17trampoline_kernelINS0_14default_configENS1_35radix_sort_onesweep_config_selectorIiiEEZZNS1_29radix_sort_onesweep_iterationIS3_Lb1EN6thrust23THRUST_200600_302600_NS6detail15normal_iteratorINS8_10device_ptrIiEEEESD_SD_SD_jNS0_19identity_decomposerENS1_16block_id_wrapperIjLb0EEEEE10hipError_tT1_PNSt15iterator_traitsISI_E10value_typeET2_T3_PNSJ_ISO_E10value_typeET4_T5_PST_SU_PNS1_23onesweep_lookback_stateEbbT6_jjT7_P12ihipStream_tbENKUlT_T0_SI_SN_E_clISD_PiSD_S15_EEDaS11_S12_SI_SN_EUlS11_E_NS1_11comp_targetILNS1_3genE5ELNS1_11target_archE942ELNS1_3gpuE9ELNS1_3repE0EEENS1_47radix_sort_onesweep_sort_config_static_selectorELNS0_4arch9wavefront6targetE0EEEvSI_
                                        ; -- End function
	.set _ZN7rocprim17ROCPRIM_400000_NS6detail17trampoline_kernelINS0_14default_configENS1_35radix_sort_onesweep_config_selectorIiiEEZZNS1_29radix_sort_onesweep_iterationIS3_Lb1EN6thrust23THRUST_200600_302600_NS6detail15normal_iteratorINS8_10device_ptrIiEEEESD_SD_SD_jNS0_19identity_decomposerENS1_16block_id_wrapperIjLb0EEEEE10hipError_tT1_PNSt15iterator_traitsISI_E10value_typeET2_T3_PNSJ_ISO_E10value_typeET4_T5_PST_SU_PNS1_23onesweep_lookback_stateEbbT6_jjT7_P12ihipStream_tbENKUlT_T0_SI_SN_E_clISD_PiSD_S15_EEDaS11_S12_SI_SN_EUlS11_E_NS1_11comp_targetILNS1_3genE5ELNS1_11target_archE942ELNS1_3gpuE9ELNS1_3repE0EEENS1_47radix_sort_onesweep_sort_config_static_selectorELNS0_4arch9wavefront6targetE0EEEvSI_.num_vgpr, 0
	.set _ZN7rocprim17ROCPRIM_400000_NS6detail17trampoline_kernelINS0_14default_configENS1_35radix_sort_onesweep_config_selectorIiiEEZZNS1_29radix_sort_onesweep_iterationIS3_Lb1EN6thrust23THRUST_200600_302600_NS6detail15normal_iteratorINS8_10device_ptrIiEEEESD_SD_SD_jNS0_19identity_decomposerENS1_16block_id_wrapperIjLb0EEEEE10hipError_tT1_PNSt15iterator_traitsISI_E10value_typeET2_T3_PNSJ_ISO_E10value_typeET4_T5_PST_SU_PNS1_23onesweep_lookback_stateEbbT6_jjT7_P12ihipStream_tbENKUlT_T0_SI_SN_E_clISD_PiSD_S15_EEDaS11_S12_SI_SN_EUlS11_E_NS1_11comp_targetILNS1_3genE5ELNS1_11target_archE942ELNS1_3gpuE9ELNS1_3repE0EEENS1_47radix_sort_onesweep_sort_config_static_selectorELNS0_4arch9wavefront6targetE0EEEvSI_.num_agpr, 0
	.set _ZN7rocprim17ROCPRIM_400000_NS6detail17trampoline_kernelINS0_14default_configENS1_35radix_sort_onesweep_config_selectorIiiEEZZNS1_29radix_sort_onesweep_iterationIS3_Lb1EN6thrust23THRUST_200600_302600_NS6detail15normal_iteratorINS8_10device_ptrIiEEEESD_SD_SD_jNS0_19identity_decomposerENS1_16block_id_wrapperIjLb0EEEEE10hipError_tT1_PNSt15iterator_traitsISI_E10value_typeET2_T3_PNSJ_ISO_E10value_typeET4_T5_PST_SU_PNS1_23onesweep_lookback_stateEbbT6_jjT7_P12ihipStream_tbENKUlT_T0_SI_SN_E_clISD_PiSD_S15_EEDaS11_S12_SI_SN_EUlS11_E_NS1_11comp_targetILNS1_3genE5ELNS1_11target_archE942ELNS1_3gpuE9ELNS1_3repE0EEENS1_47radix_sort_onesweep_sort_config_static_selectorELNS0_4arch9wavefront6targetE0EEEvSI_.numbered_sgpr, 0
	.set _ZN7rocprim17ROCPRIM_400000_NS6detail17trampoline_kernelINS0_14default_configENS1_35radix_sort_onesweep_config_selectorIiiEEZZNS1_29radix_sort_onesweep_iterationIS3_Lb1EN6thrust23THRUST_200600_302600_NS6detail15normal_iteratorINS8_10device_ptrIiEEEESD_SD_SD_jNS0_19identity_decomposerENS1_16block_id_wrapperIjLb0EEEEE10hipError_tT1_PNSt15iterator_traitsISI_E10value_typeET2_T3_PNSJ_ISO_E10value_typeET4_T5_PST_SU_PNS1_23onesweep_lookback_stateEbbT6_jjT7_P12ihipStream_tbENKUlT_T0_SI_SN_E_clISD_PiSD_S15_EEDaS11_S12_SI_SN_EUlS11_E_NS1_11comp_targetILNS1_3genE5ELNS1_11target_archE942ELNS1_3gpuE9ELNS1_3repE0EEENS1_47radix_sort_onesweep_sort_config_static_selectorELNS0_4arch9wavefront6targetE0EEEvSI_.num_named_barrier, 0
	.set _ZN7rocprim17ROCPRIM_400000_NS6detail17trampoline_kernelINS0_14default_configENS1_35radix_sort_onesweep_config_selectorIiiEEZZNS1_29radix_sort_onesweep_iterationIS3_Lb1EN6thrust23THRUST_200600_302600_NS6detail15normal_iteratorINS8_10device_ptrIiEEEESD_SD_SD_jNS0_19identity_decomposerENS1_16block_id_wrapperIjLb0EEEEE10hipError_tT1_PNSt15iterator_traitsISI_E10value_typeET2_T3_PNSJ_ISO_E10value_typeET4_T5_PST_SU_PNS1_23onesweep_lookback_stateEbbT6_jjT7_P12ihipStream_tbENKUlT_T0_SI_SN_E_clISD_PiSD_S15_EEDaS11_S12_SI_SN_EUlS11_E_NS1_11comp_targetILNS1_3genE5ELNS1_11target_archE942ELNS1_3gpuE9ELNS1_3repE0EEENS1_47radix_sort_onesweep_sort_config_static_selectorELNS0_4arch9wavefront6targetE0EEEvSI_.private_seg_size, 0
	.set _ZN7rocprim17ROCPRIM_400000_NS6detail17trampoline_kernelINS0_14default_configENS1_35radix_sort_onesweep_config_selectorIiiEEZZNS1_29radix_sort_onesweep_iterationIS3_Lb1EN6thrust23THRUST_200600_302600_NS6detail15normal_iteratorINS8_10device_ptrIiEEEESD_SD_SD_jNS0_19identity_decomposerENS1_16block_id_wrapperIjLb0EEEEE10hipError_tT1_PNSt15iterator_traitsISI_E10value_typeET2_T3_PNSJ_ISO_E10value_typeET4_T5_PST_SU_PNS1_23onesweep_lookback_stateEbbT6_jjT7_P12ihipStream_tbENKUlT_T0_SI_SN_E_clISD_PiSD_S15_EEDaS11_S12_SI_SN_EUlS11_E_NS1_11comp_targetILNS1_3genE5ELNS1_11target_archE942ELNS1_3gpuE9ELNS1_3repE0EEENS1_47radix_sort_onesweep_sort_config_static_selectorELNS0_4arch9wavefront6targetE0EEEvSI_.uses_vcc, 0
	.set _ZN7rocprim17ROCPRIM_400000_NS6detail17trampoline_kernelINS0_14default_configENS1_35radix_sort_onesweep_config_selectorIiiEEZZNS1_29radix_sort_onesweep_iterationIS3_Lb1EN6thrust23THRUST_200600_302600_NS6detail15normal_iteratorINS8_10device_ptrIiEEEESD_SD_SD_jNS0_19identity_decomposerENS1_16block_id_wrapperIjLb0EEEEE10hipError_tT1_PNSt15iterator_traitsISI_E10value_typeET2_T3_PNSJ_ISO_E10value_typeET4_T5_PST_SU_PNS1_23onesweep_lookback_stateEbbT6_jjT7_P12ihipStream_tbENKUlT_T0_SI_SN_E_clISD_PiSD_S15_EEDaS11_S12_SI_SN_EUlS11_E_NS1_11comp_targetILNS1_3genE5ELNS1_11target_archE942ELNS1_3gpuE9ELNS1_3repE0EEENS1_47radix_sort_onesweep_sort_config_static_selectorELNS0_4arch9wavefront6targetE0EEEvSI_.uses_flat_scratch, 0
	.set _ZN7rocprim17ROCPRIM_400000_NS6detail17trampoline_kernelINS0_14default_configENS1_35radix_sort_onesweep_config_selectorIiiEEZZNS1_29radix_sort_onesweep_iterationIS3_Lb1EN6thrust23THRUST_200600_302600_NS6detail15normal_iteratorINS8_10device_ptrIiEEEESD_SD_SD_jNS0_19identity_decomposerENS1_16block_id_wrapperIjLb0EEEEE10hipError_tT1_PNSt15iterator_traitsISI_E10value_typeET2_T3_PNSJ_ISO_E10value_typeET4_T5_PST_SU_PNS1_23onesweep_lookback_stateEbbT6_jjT7_P12ihipStream_tbENKUlT_T0_SI_SN_E_clISD_PiSD_S15_EEDaS11_S12_SI_SN_EUlS11_E_NS1_11comp_targetILNS1_3genE5ELNS1_11target_archE942ELNS1_3gpuE9ELNS1_3repE0EEENS1_47radix_sort_onesweep_sort_config_static_selectorELNS0_4arch9wavefront6targetE0EEEvSI_.has_dyn_sized_stack, 0
	.set _ZN7rocprim17ROCPRIM_400000_NS6detail17trampoline_kernelINS0_14default_configENS1_35radix_sort_onesweep_config_selectorIiiEEZZNS1_29radix_sort_onesweep_iterationIS3_Lb1EN6thrust23THRUST_200600_302600_NS6detail15normal_iteratorINS8_10device_ptrIiEEEESD_SD_SD_jNS0_19identity_decomposerENS1_16block_id_wrapperIjLb0EEEEE10hipError_tT1_PNSt15iterator_traitsISI_E10value_typeET2_T3_PNSJ_ISO_E10value_typeET4_T5_PST_SU_PNS1_23onesweep_lookback_stateEbbT6_jjT7_P12ihipStream_tbENKUlT_T0_SI_SN_E_clISD_PiSD_S15_EEDaS11_S12_SI_SN_EUlS11_E_NS1_11comp_targetILNS1_3genE5ELNS1_11target_archE942ELNS1_3gpuE9ELNS1_3repE0EEENS1_47radix_sort_onesweep_sort_config_static_selectorELNS0_4arch9wavefront6targetE0EEEvSI_.has_recursion, 0
	.set _ZN7rocprim17ROCPRIM_400000_NS6detail17trampoline_kernelINS0_14default_configENS1_35radix_sort_onesweep_config_selectorIiiEEZZNS1_29radix_sort_onesweep_iterationIS3_Lb1EN6thrust23THRUST_200600_302600_NS6detail15normal_iteratorINS8_10device_ptrIiEEEESD_SD_SD_jNS0_19identity_decomposerENS1_16block_id_wrapperIjLb0EEEEE10hipError_tT1_PNSt15iterator_traitsISI_E10value_typeET2_T3_PNSJ_ISO_E10value_typeET4_T5_PST_SU_PNS1_23onesweep_lookback_stateEbbT6_jjT7_P12ihipStream_tbENKUlT_T0_SI_SN_E_clISD_PiSD_S15_EEDaS11_S12_SI_SN_EUlS11_E_NS1_11comp_targetILNS1_3genE5ELNS1_11target_archE942ELNS1_3gpuE9ELNS1_3repE0EEENS1_47radix_sort_onesweep_sort_config_static_selectorELNS0_4arch9wavefront6targetE0EEEvSI_.has_indirect_call, 0
	.section	.AMDGPU.csdata,"",@progbits
; Kernel info:
; codeLenInByte = 0
; TotalNumSgprs: 0
; NumVgprs: 0
; ScratchSize: 0
; MemoryBound: 0
; FloatMode: 240
; IeeeMode: 1
; LDSByteSize: 0 bytes/workgroup (compile time only)
; SGPRBlocks: 0
; VGPRBlocks: 0
; NumSGPRsForWavesPerEU: 1
; NumVGPRsForWavesPerEU: 1
; Occupancy: 16
; WaveLimiterHint : 0
; COMPUTE_PGM_RSRC2:SCRATCH_EN: 0
; COMPUTE_PGM_RSRC2:USER_SGPR: 6
; COMPUTE_PGM_RSRC2:TRAP_HANDLER: 0
; COMPUTE_PGM_RSRC2:TGID_X_EN: 1
; COMPUTE_PGM_RSRC2:TGID_Y_EN: 0
; COMPUTE_PGM_RSRC2:TGID_Z_EN: 0
; COMPUTE_PGM_RSRC2:TIDIG_COMP_CNT: 0
	.section	.text._ZN7rocprim17ROCPRIM_400000_NS6detail17trampoline_kernelINS0_14default_configENS1_35radix_sort_onesweep_config_selectorIiiEEZZNS1_29radix_sort_onesweep_iterationIS3_Lb1EN6thrust23THRUST_200600_302600_NS6detail15normal_iteratorINS8_10device_ptrIiEEEESD_SD_SD_jNS0_19identity_decomposerENS1_16block_id_wrapperIjLb0EEEEE10hipError_tT1_PNSt15iterator_traitsISI_E10value_typeET2_T3_PNSJ_ISO_E10value_typeET4_T5_PST_SU_PNS1_23onesweep_lookback_stateEbbT6_jjT7_P12ihipStream_tbENKUlT_T0_SI_SN_E_clISD_PiSD_S15_EEDaS11_S12_SI_SN_EUlS11_E_NS1_11comp_targetILNS1_3genE2ELNS1_11target_archE906ELNS1_3gpuE6ELNS1_3repE0EEENS1_47radix_sort_onesweep_sort_config_static_selectorELNS0_4arch9wavefront6targetE0EEEvSI_,"axG",@progbits,_ZN7rocprim17ROCPRIM_400000_NS6detail17trampoline_kernelINS0_14default_configENS1_35radix_sort_onesweep_config_selectorIiiEEZZNS1_29radix_sort_onesweep_iterationIS3_Lb1EN6thrust23THRUST_200600_302600_NS6detail15normal_iteratorINS8_10device_ptrIiEEEESD_SD_SD_jNS0_19identity_decomposerENS1_16block_id_wrapperIjLb0EEEEE10hipError_tT1_PNSt15iterator_traitsISI_E10value_typeET2_T3_PNSJ_ISO_E10value_typeET4_T5_PST_SU_PNS1_23onesweep_lookback_stateEbbT6_jjT7_P12ihipStream_tbENKUlT_T0_SI_SN_E_clISD_PiSD_S15_EEDaS11_S12_SI_SN_EUlS11_E_NS1_11comp_targetILNS1_3genE2ELNS1_11target_archE906ELNS1_3gpuE6ELNS1_3repE0EEENS1_47radix_sort_onesweep_sort_config_static_selectorELNS0_4arch9wavefront6targetE0EEEvSI_,comdat
	.protected	_ZN7rocprim17ROCPRIM_400000_NS6detail17trampoline_kernelINS0_14default_configENS1_35radix_sort_onesweep_config_selectorIiiEEZZNS1_29radix_sort_onesweep_iterationIS3_Lb1EN6thrust23THRUST_200600_302600_NS6detail15normal_iteratorINS8_10device_ptrIiEEEESD_SD_SD_jNS0_19identity_decomposerENS1_16block_id_wrapperIjLb0EEEEE10hipError_tT1_PNSt15iterator_traitsISI_E10value_typeET2_T3_PNSJ_ISO_E10value_typeET4_T5_PST_SU_PNS1_23onesweep_lookback_stateEbbT6_jjT7_P12ihipStream_tbENKUlT_T0_SI_SN_E_clISD_PiSD_S15_EEDaS11_S12_SI_SN_EUlS11_E_NS1_11comp_targetILNS1_3genE2ELNS1_11target_archE906ELNS1_3gpuE6ELNS1_3repE0EEENS1_47radix_sort_onesweep_sort_config_static_selectorELNS0_4arch9wavefront6targetE0EEEvSI_ ; -- Begin function _ZN7rocprim17ROCPRIM_400000_NS6detail17trampoline_kernelINS0_14default_configENS1_35radix_sort_onesweep_config_selectorIiiEEZZNS1_29radix_sort_onesweep_iterationIS3_Lb1EN6thrust23THRUST_200600_302600_NS6detail15normal_iteratorINS8_10device_ptrIiEEEESD_SD_SD_jNS0_19identity_decomposerENS1_16block_id_wrapperIjLb0EEEEE10hipError_tT1_PNSt15iterator_traitsISI_E10value_typeET2_T3_PNSJ_ISO_E10value_typeET4_T5_PST_SU_PNS1_23onesweep_lookback_stateEbbT6_jjT7_P12ihipStream_tbENKUlT_T0_SI_SN_E_clISD_PiSD_S15_EEDaS11_S12_SI_SN_EUlS11_E_NS1_11comp_targetILNS1_3genE2ELNS1_11target_archE906ELNS1_3gpuE6ELNS1_3repE0EEENS1_47radix_sort_onesweep_sort_config_static_selectorELNS0_4arch9wavefront6targetE0EEEvSI_
	.globl	_ZN7rocprim17ROCPRIM_400000_NS6detail17trampoline_kernelINS0_14default_configENS1_35radix_sort_onesweep_config_selectorIiiEEZZNS1_29radix_sort_onesweep_iterationIS3_Lb1EN6thrust23THRUST_200600_302600_NS6detail15normal_iteratorINS8_10device_ptrIiEEEESD_SD_SD_jNS0_19identity_decomposerENS1_16block_id_wrapperIjLb0EEEEE10hipError_tT1_PNSt15iterator_traitsISI_E10value_typeET2_T3_PNSJ_ISO_E10value_typeET4_T5_PST_SU_PNS1_23onesweep_lookback_stateEbbT6_jjT7_P12ihipStream_tbENKUlT_T0_SI_SN_E_clISD_PiSD_S15_EEDaS11_S12_SI_SN_EUlS11_E_NS1_11comp_targetILNS1_3genE2ELNS1_11target_archE906ELNS1_3gpuE6ELNS1_3repE0EEENS1_47radix_sort_onesweep_sort_config_static_selectorELNS0_4arch9wavefront6targetE0EEEvSI_
	.p2align	8
	.type	_ZN7rocprim17ROCPRIM_400000_NS6detail17trampoline_kernelINS0_14default_configENS1_35radix_sort_onesweep_config_selectorIiiEEZZNS1_29radix_sort_onesweep_iterationIS3_Lb1EN6thrust23THRUST_200600_302600_NS6detail15normal_iteratorINS8_10device_ptrIiEEEESD_SD_SD_jNS0_19identity_decomposerENS1_16block_id_wrapperIjLb0EEEEE10hipError_tT1_PNSt15iterator_traitsISI_E10value_typeET2_T3_PNSJ_ISO_E10value_typeET4_T5_PST_SU_PNS1_23onesweep_lookback_stateEbbT6_jjT7_P12ihipStream_tbENKUlT_T0_SI_SN_E_clISD_PiSD_S15_EEDaS11_S12_SI_SN_EUlS11_E_NS1_11comp_targetILNS1_3genE2ELNS1_11target_archE906ELNS1_3gpuE6ELNS1_3repE0EEENS1_47radix_sort_onesweep_sort_config_static_selectorELNS0_4arch9wavefront6targetE0EEEvSI_,@function
_ZN7rocprim17ROCPRIM_400000_NS6detail17trampoline_kernelINS0_14default_configENS1_35radix_sort_onesweep_config_selectorIiiEEZZNS1_29radix_sort_onesweep_iterationIS3_Lb1EN6thrust23THRUST_200600_302600_NS6detail15normal_iteratorINS8_10device_ptrIiEEEESD_SD_SD_jNS0_19identity_decomposerENS1_16block_id_wrapperIjLb0EEEEE10hipError_tT1_PNSt15iterator_traitsISI_E10value_typeET2_T3_PNSJ_ISO_E10value_typeET4_T5_PST_SU_PNS1_23onesweep_lookback_stateEbbT6_jjT7_P12ihipStream_tbENKUlT_T0_SI_SN_E_clISD_PiSD_S15_EEDaS11_S12_SI_SN_EUlS11_E_NS1_11comp_targetILNS1_3genE2ELNS1_11target_archE906ELNS1_3gpuE6ELNS1_3repE0EEENS1_47radix_sort_onesweep_sort_config_static_selectorELNS0_4arch9wavefront6targetE0EEEvSI_: ; @_ZN7rocprim17ROCPRIM_400000_NS6detail17trampoline_kernelINS0_14default_configENS1_35radix_sort_onesweep_config_selectorIiiEEZZNS1_29radix_sort_onesweep_iterationIS3_Lb1EN6thrust23THRUST_200600_302600_NS6detail15normal_iteratorINS8_10device_ptrIiEEEESD_SD_SD_jNS0_19identity_decomposerENS1_16block_id_wrapperIjLb0EEEEE10hipError_tT1_PNSt15iterator_traitsISI_E10value_typeET2_T3_PNSJ_ISO_E10value_typeET4_T5_PST_SU_PNS1_23onesweep_lookback_stateEbbT6_jjT7_P12ihipStream_tbENKUlT_T0_SI_SN_E_clISD_PiSD_S15_EEDaS11_S12_SI_SN_EUlS11_E_NS1_11comp_targetILNS1_3genE2ELNS1_11target_archE906ELNS1_3gpuE6ELNS1_3repE0EEENS1_47radix_sort_onesweep_sort_config_static_selectorELNS0_4arch9wavefront6targetE0EEEvSI_
; %bb.0:
	.section	.rodata,"a",@progbits
	.p2align	6, 0x0
	.amdhsa_kernel _ZN7rocprim17ROCPRIM_400000_NS6detail17trampoline_kernelINS0_14default_configENS1_35radix_sort_onesweep_config_selectorIiiEEZZNS1_29radix_sort_onesweep_iterationIS3_Lb1EN6thrust23THRUST_200600_302600_NS6detail15normal_iteratorINS8_10device_ptrIiEEEESD_SD_SD_jNS0_19identity_decomposerENS1_16block_id_wrapperIjLb0EEEEE10hipError_tT1_PNSt15iterator_traitsISI_E10value_typeET2_T3_PNSJ_ISO_E10value_typeET4_T5_PST_SU_PNS1_23onesweep_lookback_stateEbbT6_jjT7_P12ihipStream_tbENKUlT_T0_SI_SN_E_clISD_PiSD_S15_EEDaS11_S12_SI_SN_EUlS11_E_NS1_11comp_targetILNS1_3genE2ELNS1_11target_archE906ELNS1_3gpuE6ELNS1_3repE0EEENS1_47radix_sort_onesweep_sort_config_static_selectorELNS0_4arch9wavefront6targetE0EEEvSI_
		.amdhsa_group_segment_fixed_size 0
		.amdhsa_private_segment_fixed_size 0
		.amdhsa_kernarg_size 88
		.amdhsa_user_sgpr_count 6
		.amdhsa_user_sgpr_private_segment_buffer 1
		.amdhsa_user_sgpr_dispatch_ptr 0
		.amdhsa_user_sgpr_queue_ptr 0
		.amdhsa_user_sgpr_kernarg_segment_ptr 1
		.amdhsa_user_sgpr_dispatch_id 0
		.amdhsa_user_sgpr_flat_scratch_init 0
		.amdhsa_user_sgpr_private_segment_size 0
		.amdhsa_wavefront_size32 1
		.amdhsa_uses_dynamic_stack 0
		.amdhsa_system_sgpr_private_segment_wavefront_offset 0
		.amdhsa_system_sgpr_workgroup_id_x 1
		.amdhsa_system_sgpr_workgroup_id_y 0
		.amdhsa_system_sgpr_workgroup_id_z 0
		.amdhsa_system_sgpr_workgroup_info 0
		.amdhsa_system_vgpr_workitem_id 0
		.amdhsa_next_free_vgpr 1
		.amdhsa_next_free_sgpr 1
		.amdhsa_reserve_vcc 0
		.amdhsa_reserve_flat_scratch 0
		.amdhsa_float_round_mode_32 0
		.amdhsa_float_round_mode_16_64 0
		.amdhsa_float_denorm_mode_32 3
		.amdhsa_float_denorm_mode_16_64 3
		.amdhsa_dx10_clamp 1
		.amdhsa_ieee_mode 1
		.amdhsa_fp16_overflow 0
		.amdhsa_workgroup_processor_mode 1
		.amdhsa_memory_ordered 1
		.amdhsa_forward_progress 1
		.amdhsa_shared_vgpr_count 0
		.amdhsa_exception_fp_ieee_invalid_op 0
		.amdhsa_exception_fp_denorm_src 0
		.amdhsa_exception_fp_ieee_div_zero 0
		.amdhsa_exception_fp_ieee_overflow 0
		.amdhsa_exception_fp_ieee_underflow 0
		.amdhsa_exception_fp_ieee_inexact 0
		.amdhsa_exception_int_div_zero 0
	.end_amdhsa_kernel
	.section	.text._ZN7rocprim17ROCPRIM_400000_NS6detail17trampoline_kernelINS0_14default_configENS1_35radix_sort_onesweep_config_selectorIiiEEZZNS1_29radix_sort_onesweep_iterationIS3_Lb1EN6thrust23THRUST_200600_302600_NS6detail15normal_iteratorINS8_10device_ptrIiEEEESD_SD_SD_jNS0_19identity_decomposerENS1_16block_id_wrapperIjLb0EEEEE10hipError_tT1_PNSt15iterator_traitsISI_E10value_typeET2_T3_PNSJ_ISO_E10value_typeET4_T5_PST_SU_PNS1_23onesweep_lookback_stateEbbT6_jjT7_P12ihipStream_tbENKUlT_T0_SI_SN_E_clISD_PiSD_S15_EEDaS11_S12_SI_SN_EUlS11_E_NS1_11comp_targetILNS1_3genE2ELNS1_11target_archE906ELNS1_3gpuE6ELNS1_3repE0EEENS1_47radix_sort_onesweep_sort_config_static_selectorELNS0_4arch9wavefront6targetE0EEEvSI_,"axG",@progbits,_ZN7rocprim17ROCPRIM_400000_NS6detail17trampoline_kernelINS0_14default_configENS1_35radix_sort_onesweep_config_selectorIiiEEZZNS1_29radix_sort_onesweep_iterationIS3_Lb1EN6thrust23THRUST_200600_302600_NS6detail15normal_iteratorINS8_10device_ptrIiEEEESD_SD_SD_jNS0_19identity_decomposerENS1_16block_id_wrapperIjLb0EEEEE10hipError_tT1_PNSt15iterator_traitsISI_E10value_typeET2_T3_PNSJ_ISO_E10value_typeET4_T5_PST_SU_PNS1_23onesweep_lookback_stateEbbT6_jjT7_P12ihipStream_tbENKUlT_T0_SI_SN_E_clISD_PiSD_S15_EEDaS11_S12_SI_SN_EUlS11_E_NS1_11comp_targetILNS1_3genE2ELNS1_11target_archE906ELNS1_3gpuE6ELNS1_3repE0EEENS1_47radix_sort_onesweep_sort_config_static_selectorELNS0_4arch9wavefront6targetE0EEEvSI_,comdat
.Lfunc_end1038:
	.size	_ZN7rocprim17ROCPRIM_400000_NS6detail17trampoline_kernelINS0_14default_configENS1_35radix_sort_onesweep_config_selectorIiiEEZZNS1_29radix_sort_onesweep_iterationIS3_Lb1EN6thrust23THRUST_200600_302600_NS6detail15normal_iteratorINS8_10device_ptrIiEEEESD_SD_SD_jNS0_19identity_decomposerENS1_16block_id_wrapperIjLb0EEEEE10hipError_tT1_PNSt15iterator_traitsISI_E10value_typeET2_T3_PNSJ_ISO_E10value_typeET4_T5_PST_SU_PNS1_23onesweep_lookback_stateEbbT6_jjT7_P12ihipStream_tbENKUlT_T0_SI_SN_E_clISD_PiSD_S15_EEDaS11_S12_SI_SN_EUlS11_E_NS1_11comp_targetILNS1_3genE2ELNS1_11target_archE906ELNS1_3gpuE6ELNS1_3repE0EEENS1_47radix_sort_onesweep_sort_config_static_selectorELNS0_4arch9wavefront6targetE0EEEvSI_, .Lfunc_end1038-_ZN7rocprim17ROCPRIM_400000_NS6detail17trampoline_kernelINS0_14default_configENS1_35radix_sort_onesweep_config_selectorIiiEEZZNS1_29radix_sort_onesweep_iterationIS3_Lb1EN6thrust23THRUST_200600_302600_NS6detail15normal_iteratorINS8_10device_ptrIiEEEESD_SD_SD_jNS0_19identity_decomposerENS1_16block_id_wrapperIjLb0EEEEE10hipError_tT1_PNSt15iterator_traitsISI_E10value_typeET2_T3_PNSJ_ISO_E10value_typeET4_T5_PST_SU_PNS1_23onesweep_lookback_stateEbbT6_jjT7_P12ihipStream_tbENKUlT_T0_SI_SN_E_clISD_PiSD_S15_EEDaS11_S12_SI_SN_EUlS11_E_NS1_11comp_targetILNS1_3genE2ELNS1_11target_archE906ELNS1_3gpuE6ELNS1_3repE0EEENS1_47radix_sort_onesweep_sort_config_static_selectorELNS0_4arch9wavefront6targetE0EEEvSI_
                                        ; -- End function
	.set _ZN7rocprim17ROCPRIM_400000_NS6detail17trampoline_kernelINS0_14default_configENS1_35radix_sort_onesweep_config_selectorIiiEEZZNS1_29radix_sort_onesweep_iterationIS3_Lb1EN6thrust23THRUST_200600_302600_NS6detail15normal_iteratorINS8_10device_ptrIiEEEESD_SD_SD_jNS0_19identity_decomposerENS1_16block_id_wrapperIjLb0EEEEE10hipError_tT1_PNSt15iterator_traitsISI_E10value_typeET2_T3_PNSJ_ISO_E10value_typeET4_T5_PST_SU_PNS1_23onesweep_lookback_stateEbbT6_jjT7_P12ihipStream_tbENKUlT_T0_SI_SN_E_clISD_PiSD_S15_EEDaS11_S12_SI_SN_EUlS11_E_NS1_11comp_targetILNS1_3genE2ELNS1_11target_archE906ELNS1_3gpuE6ELNS1_3repE0EEENS1_47radix_sort_onesweep_sort_config_static_selectorELNS0_4arch9wavefront6targetE0EEEvSI_.num_vgpr, 0
	.set _ZN7rocprim17ROCPRIM_400000_NS6detail17trampoline_kernelINS0_14default_configENS1_35radix_sort_onesweep_config_selectorIiiEEZZNS1_29radix_sort_onesweep_iterationIS3_Lb1EN6thrust23THRUST_200600_302600_NS6detail15normal_iteratorINS8_10device_ptrIiEEEESD_SD_SD_jNS0_19identity_decomposerENS1_16block_id_wrapperIjLb0EEEEE10hipError_tT1_PNSt15iterator_traitsISI_E10value_typeET2_T3_PNSJ_ISO_E10value_typeET4_T5_PST_SU_PNS1_23onesweep_lookback_stateEbbT6_jjT7_P12ihipStream_tbENKUlT_T0_SI_SN_E_clISD_PiSD_S15_EEDaS11_S12_SI_SN_EUlS11_E_NS1_11comp_targetILNS1_3genE2ELNS1_11target_archE906ELNS1_3gpuE6ELNS1_3repE0EEENS1_47radix_sort_onesweep_sort_config_static_selectorELNS0_4arch9wavefront6targetE0EEEvSI_.num_agpr, 0
	.set _ZN7rocprim17ROCPRIM_400000_NS6detail17trampoline_kernelINS0_14default_configENS1_35radix_sort_onesweep_config_selectorIiiEEZZNS1_29radix_sort_onesweep_iterationIS3_Lb1EN6thrust23THRUST_200600_302600_NS6detail15normal_iteratorINS8_10device_ptrIiEEEESD_SD_SD_jNS0_19identity_decomposerENS1_16block_id_wrapperIjLb0EEEEE10hipError_tT1_PNSt15iterator_traitsISI_E10value_typeET2_T3_PNSJ_ISO_E10value_typeET4_T5_PST_SU_PNS1_23onesweep_lookback_stateEbbT6_jjT7_P12ihipStream_tbENKUlT_T0_SI_SN_E_clISD_PiSD_S15_EEDaS11_S12_SI_SN_EUlS11_E_NS1_11comp_targetILNS1_3genE2ELNS1_11target_archE906ELNS1_3gpuE6ELNS1_3repE0EEENS1_47radix_sort_onesweep_sort_config_static_selectorELNS0_4arch9wavefront6targetE0EEEvSI_.numbered_sgpr, 0
	.set _ZN7rocprim17ROCPRIM_400000_NS6detail17trampoline_kernelINS0_14default_configENS1_35radix_sort_onesweep_config_selectorIiiEEZZNS1_29radix_sort_onesweep_iterationIS3_Lb1EN6thrust23THRUST_200600_302600_NS6detail15normal_iteratorINS8_10device_ptrIiEEEESD_SD_SD_jNS0_19identity_decomposerENS1_16block_id_wrapperIjLb0EEEEE10hipError_tT1_PNSt15iterator_traitsISI_E10value_typeET2_T3_PNSJ_ISO_E10value_typeET4_T5_PST_SU_PNS1_23onesweep_lookback_stateEbbT6_jjT7_P12ihipStream_tbENKUlT_T0_SI_SN_E_clISD_PiSD_S15_EEDaS11_S12_SI_SN_EUlS11_E_NS1_11comp_targetILNS1_3genE2ELNS1_11target_archE906ELNS1_3gpuE6ELNS1_3repE0EEENS1_47radix_sort_onesweep_sort_config_static_selectorELNS0_4arch9wavefront6targetE0EEEvSI_.num_named_barrier, 0
	.set _ZN7rocprim17ROCPRIM_400000_NS6detail17trampoline_kernelINS0_14default_configENS1_35radix_sort_onesweep_config_selectorIiiEEZZNS1_29radix_sort_onesweep_iterationIS3_Lb1EN6thrust23THRUST_200600_302600_NS6detail15normal_iteratorINS8_10device_ptrIiEEEESD_SD_SD_jNS0_19identity_decomposerENS1_16block_id_wrapperIjLb0EEEEE10hipError_tT1_PNSt15iterator_traitsISI_E10value_typeET2_T3_PNSJ_ISO_E10value_typeET4_T5_PST_SU_PNS1_23onesweep_lookback_stateEbbT6_jjT7_P12ihipStream_tbENKUlT_T0_SI_SN_E_clISD_PiSD_S15_EEDaS11_S12_SI_SN_EUlS11_E_NS1_11comp_targetILNS1_3genE2ELNS1_11target_archE906ELNS1_3gpuE6ELNS1_3repE0EEENS1_47radix_sort_onesweep_sort_config_static_selectorELNS0_4arch9wavefront6targetE0EEEvSI_.private_seg_size, 0
	.set _ZN7rocprim17ROCPRIM_400000_NS6detail17trampoline_kernelINS0_14default_configENS1_35radix_sort_onesweep_config_selectorIiiEEZZNS1_29radix_sort_onesweep_iterationIS3_Lb1EN6thrust23THRUST_200600_302600_NS6detail15normal_iteratorINS8_10device_ptrIiEEEESD_SD_SD_jNS0_19identity_decomposerENS1_16block_id_wrapperIjLb0EEEEE10hipError_tT1_PNSt15iterator_traitsISI_E10value_typeET2_T3_PNSJ_ISO_E10value_typeET4_T5_PST_SU_PNS1_23onesweep_lookback_stateEbbT6_jjT7_P12ihipStream_tbENKUlT_T0_SI_SN_E_clISD_PiSD_S15_EEDaS11_S12_SI_SN_EUlS11_E_NS1_11comp_targetILNS1_3genE2ELNS1_11target_archE906ELNS1_3gpuE6ELNS1_3repE0EEENS1_47radix_sort_onesweep_sort_config_static_selectorELNS0_4arch9wavefront6targetE0EEEvSI_.uses_vcc, 0
	.set _ZN7rocprim17ROCPRIM_400000_NS6detail17trampoline_kernelINS0_14default_configENS1_35radix_sort_onesweep_config_selectorIiiEEZZNS1_29radix_sort_onesweep_iterationIS3_Lb1EN6thrust23THRUST_200600_302600_NS6detail15normal_iteratorINS8_10device_ptrIiEEEESD_SD_SD_jNS0_19identity_decomposerENS1_16block_id_wrapperIjLb0EEEEE10hipError_tT1_PNSt15iterator_traitsISI_E10value_typeET2_T3_PNSJ_ISO_E10value_typeET4_T5_PST_SU_PNS1_23onesweep_lookback_stateEbbT6_jjT7_P12ihipStream_tbENKUlT_T0_SI_SN_E_clISD_PiSD_S15_EEDaS11_S12_SI_SN_EUlS11_E_NS1_11comp_targetILNS1_3genE2ELNS1_11target_archE906ELNS1_3gpuE6ELNS1_3repE0EEENS1_47radix_sort_onesweep_sort_config_static_selectorELNS0_4arch9wavefront6targetE0EEEvSI_.uses_flat_scratch, 0
	.set _ZN7rocprim17ROCPRIM_400000_NS6detail17trampoline_kernelINS0_14default_configENS1_35radix_sort_onesweep_config_selectorIiiEEZZNS1_29radix_sort_onesweep_iterationIS3_Lb1EN6thrust23THRUST_200600_302600_NS6detail15normal_iteratorINS8_10device_ptrIiEEEESD_SD_SD_jNS0_19identity_decomposerENS1_16block_id_wrapperIjLb0EEEEE10hipError_tT1_PNSt15iterator_traitsISI_E10value_typeET2_T3_PNSJ_ISO_E10value_typeET4_T5_PST_SU_PNS1_23onesweep_lookback_stateEbbT6_jjT7_P12ihipStream_tbENKUlT_T0_SI_SN_E_clISD_PiSD_S15_EEDaS11_S12_SI_SN_EUlS11_E_NS1_11comp_targetILNS1_3genE2ELNS1_11target_archE906ELNS1_3gpuE6ELNS1_3repE0EEENS1_47radix_sort_onesweep_sort_config_static_selectorELNS0_4arch9wavefront6targetE0EEEvSI_.has_dyn_sized_stack, 0
	.set _ZN7rocprim17ROCPRIM_400000_NS6detail17trampoline_kernelINS0_14default_configENS1_35radix_sort_onesweep_config_selectorIiiEEZZNS1_29radix_sort_onesweep_iterationIS3_Lb1EN6thrust23THRUST_200600_302600_NS6detail15normal_iteratorINS8_10device_ptrIiEEEESD_SD_SD_jNS0_19identity_decomposerENS1_16block_id_wrapperIjLb0EEEEE10hipError_tT1_PNSt15iterator_traitsISI_E10value_typeET2_T3_PNSJ_ISO_E10value_typeET4_T5_PST_SU_PNS1_23onesweep_lookback_stateEbbT6_jjT7_P12ihipStream_tbENKUlT_T0_SI_SN_E_clISD_PiSD_S15_EEDaS11_S12_SI_SN_EUlS11_E_NS1_11comp_targetILNS1_3genE2ELNS1_11target_archE906ELNS1_3gpuE6ELNS1_3repE0EEENS1_47radix_sort_onesweep_sort_config_static_selectorELNS0_4arch9wavefront6targetE0EEEvSI_.has_recursion, 0
	.set _ZN7rocprim17ROCPRIM_400000_NS6detail17trampoline_kernelINS0_14default_configENS1_35radix_sort_onesweep_config_selectorIiiEEZZNS1_29radix_sort_onesweep_iterationIS3_Lb1EN6thrust23THRUST_200600_302600_NS6detail15normal_iteratorINS8_10device_ptrIiEEEESD_SD_SD_jNS0_19identity_decomposerENS1_16block_id_wrapperIjLb0EEEEE10hipError_tT1_PNSt15iterator_traitsISI_E10value_typeET2_T3_PNSJ_ISO_E10value_typeET4_T5_PST_SU_PNS1_23onesweep_lookback_stateEbbT6_jjT7_P12ihipStream_tbENKUlT_T0_SI_SN_E_clISD_PiSD_S15_EEDaS11_S12_SI_SN_EUlS11_E_NS1_11comp_targetILNS1_3genE2ELNS1_11target_archE906ELNS1_3gpuE6ELNS1_3repE0EEENS1_47radix_sort_onesweep_sort_config_static_selectorELNS0_4arch9wavefront6targetE0EEEvSI_.has_indirect_call, 0
	.section	.AMDGPU.csdata,"",@progbits
; Kernel info:
; codeLenInByte = 0
; TotalNumSgprs: 0
; NumVgprs: 0
; ScratchSize: 0
; MemoryBound: 0
; FloatMode: 240
; IeeeMode: 1
; LDSByteSize: 0 bytes/workgroup (compile time only)
; SGPRBlocks: 0
; VGPRBlocks: 0
; NumSGPRsForWavesPerEU: 1
; NumVGPRsForWavesPerEU: 1
; Occupancy: 16
; WaveLimiterHint : 0
; COMPUTE_PGM_RSRC2:SCRATCH_EN: 0
; COMPUTE_PGM_RSRC2:USER_SGPR: 6
; COMPUTE_PGM_RSRC2:TRAP_HANDLER: 0
; COMPUTE_PGM_RSRC2:TGID_X_EN: 1
; COMPUTE_PGM_RSRC2:TGID_Y_EN: 0
; COMPUTE_PGM_RSRC2:TGID_Z_EN: 0
; COMPUTE_PGM_RSRC2:TIDIG_COMP_CNT: 0
	.section	.text._ZN7rocprim17ROCPRIM_400000_NS6detail17trampoline_kernelINS0_14default_configENS1_35radix_sort_onesweep_config_selectorIiiEEZZNS1_29radix_sort_onesweep_iterationIS3_Lb1EN6thrust23THRUST_200600_302600_NS6detail15normal_iteratorINS8_10device_ptrIiEEEESD_SD_SD_jNS0_19identity_decomposerENS1_16block_id_wrapperIjLb0EEEEE10hipError_tT1_PNSt15iterator_traitsISI_E10value_typeET2_T3_PNSJ_ISO_E10value_typeET4_T5_PST_SU_PNS1_23onesweep_lookback_stateEbbT6_jjT7_P12ihipStream_tbENKUlT_T0_SI_SN_E_clISD_PiSD_S15_EEDaS11_S12_SI_SN_EUlS11_E_NS1_11comp_targetILNS1_3genE4ELNS1_11target_archE910ELNS1_3gpuE8ELNS1_3repE0EEENS1_47radix_sort_onesweep_sort_config_static_selectorELNS0_4arch9wavefront6targetE0EEEvSI_,"axG",@progbits,_ZN7rocprim17ROCPRIM_400000_NS6detail17trampoline_kernelINS0_14default_configENS1_35radix_sort_onesweep_config_selectorIiiEEZZNS1_29radix_sort_onesweep_iterationIS3_Lb1EN6thrust23THRUST_200600_302600_NS6detail15normal_iteratorINS8_10device_ptrIiEEEESD_SD_SD_jNS0_19identity_decomposerENS1_16block_id_wrapperIjLb0EEEEE10hipError_tT1_PNSt15iterator_traitsISI_E10value_typeET2_T3_PNSJ_ISO_E10value_typeET4_T5_PST_SU_PNS1_23onesweep_lookback_stateEbbT6_jjT7_P12ihipStream_tbENKUlT_T0_SI_SN_E_clISD_PiSD_S15_EEDaS11_S12_SI_SN_EUlS11_E_NS1_11comp_targetILNS1_3genE4ELNS1_11target_archE910ELNS1_3gpuE8ELNS1_3repE0EEENS1_47radix_sort_onesweep_sort_config_static_selectorELNS0_4arch9wavefront6targetE0EEEvSI_,comdat
	.protected	_ZN7rocprim17ROCPRIM_400000_NS6detail17trampoline_kernelINS0_14default_configENS1_35radix_sort_onesweep_config_selectorIiiEEZZNS1_29radix_sort_onesweep_iterationIS3_Lb1EN6thrust23THRUST_200600_302600_NS6detail15normal_iteratorINS8_10device_ptrIiEEEESD_SD_SD_jNS0_19identity_decomposerENS1_16block_id_wrapperIjLb0EEEEE10hipError_tT1_PNSt15iterator_traitsISI_E10value_typeET2_T3_PNSJ_ISO_E10value_typeET4_T5_PST_SU_PNS1_23onesweep_lookback_stateEbbT6_jjT7_P12ihipStream_tbENKUlT_T0_SI_SN_E_clISD_PiSD_S15_EEDaS11_S12_SI_SN_EUlS11_E_NS1_11comp_targetILNS1_3genE4ELNS1_11target_archE910ELNS1_3gpuE8ELNS1_3repE0EEENS1_47radix_sort_onesweep_sort_config_static_selectorELNS0_4arch9wavefront6targetE0EEEvSI_ ; -- Begin function _ZN7rocprim17ROCPRIM_400000_NS6detail17trampoline_kernelINS0_14default_configENS1_35radix_sort_onesweep_config_selectorIiiEEZZNS1_29radix_sort_onesweep_iterationIS3_Lb1EN6thrust23THRUST_200600_302600_NS6detail15normal_iteratorINS8_10device_ptrIiEEEESD_SD_SD_jNS0_19identity_decomposerENS1_16block_id_wrapperIjLb0EEEEE10hipError_tT1_PNSt15iterator_traitsISI_E10value_typeET2_T3_PNSJ_ISO_E10value_typeET4_T5_PST_SU_PNS1_23onesweep_lookback_stateEbbT6_jjT7_P12ihipStream_tbENKUlT_T0_SI_SN_E_clISD_PiSD_S15_EEDaS11_S12_SI_SN_EUlS11_E_NS1_11comp_targetILNS1_3genE4ELNS1_11target_archE910ELNS1_3gpuE8ELNS1_3repE0EEENS1_47radix_sort_onesweep_sort_config_static_selectorELNS0_4arch9wavefront6targetE0EEEvSI_
	.globl	_ZN7rocprim17ROCPRIM_400000_NS6detail17trampoline_kernelINS0_14default_configENS1_35radix_sort_onesweep_config_selectorIiiEEZZNS1_29radix_sort_onesweep_iterationIS3_Lb1EN6thrust23THRUST_200600_302600_NS6detail15normal_iteratorINS8_10device_ptrIiEEEESD_SD_SD_jNS0_19identity_decomposerENS1_16block_id_wrapperIjLb0EEEEE10hipError_tT1_PNSt15iterator_traitsISI_E10value_typeET2_T3_PNSJ_ISO_E10value_typeET4_T5_PST_SU_PNS1_23onesweep_lookback_stateEbbT6_jjT7_P12ihipStream_tbENKUlT_T0_SI_SN_E_clISD_PiSD_S15_EEDaS11_S12_SI_SN_EUlS11_E_NS1_11comp_targetILNS1_3genE4ELNS1_11target_archE910ELNS1_3gpuE8ELNS1_3repE0EEENS1_47radix_sort_onesweep_sort_config_static_selectorELNS0_4arch9wavefront6targetE0EEEvSI_
	.p2align	8
	.type	_ZN7rocprim17ROCPRIM_400000_NS6detail17trampoline_kernelINS0_14default_configENS1_35radix_sort_onesweep_config_selectorIiiEEZZNS1_29radix_sort_onesweep_iterationIS3_Lb1EN6thrust23THRUST_200600_302600_NS6detail15normal_iteratorINS8_10device_ptrIiEEEESD_SD_SD_jNS0_19identity_decomposerENS1_16block_id_wrapperIjLb0EEEEE10hipError_tT1_PNSt15iterator_traitsISI_E10value_typeET2_T3_PNSJ_ISO_E10value_typeET4_T5_PST_SU_PNS1_23onesweep_lookback_stateEbbT6_jjT7_P12ihipStream_tbENKUlT_T0_SI_SN_E_clISD_PiSD_S15_EEDaS11_S12_SI_SN_EUlS11_E_NS1_11comp_targetILNS1_3genE4ELNS1_11target_archE910ELNS1_3gpuE8ELNS1_3repE0EEENS1_47radix_sort_onesweep_sort_config_static_selectorELNS0_4arch9wavefront6targetE0EEEvSI_,@function
_ZN7rocprim17ROCPRIM_400000_NS6detail17trampoline_kernelINS0_14default_configENS1_35radix_sort_onesweep_config_selectorIiiEEZZNS1_29radix_sort_onesweep_iterationIS3_Lb1EN6thrust23THRUST_200600_302600_NS6detail15normal_iteratorINS8_10device_ptrIiEEEESD_SD_SD_jNS0_19identity_decomposerENS1_16block_id_wrapperIjLb0EEEEE10hipError_tT1_PNSt15iterator_traitsISI_E10value_typeET2_T3_PNSJ_ISO_E10value_typeET4_T5_PST_SU_PNS1_23onesweep_lookback_stateEbbT6_jjT7_P12ihipStream_tbENKUlT_T0_SI_SN_E_clISD_PiSD_S15_EEDaS11_S12_SI_SN_EUlS11_E_NS1_11comp_targetILNS1_3genE4ELNS1_11target_archE910ELNS1_3gpuE8ELNS1_3repE0EEENS1_47radix_sort_onesweep_sort_config_static_selectorELNS0_4arch9wavefront6targetE0EEEvSI_: ; @_ZN7rocprim17ROCPRIM_400000_NS6detail17trampoline_kernelINS0_14default_configENS1_35radix_sort_onesweep_config_selectorIiiEEZZNS1_29radix_sort_onesweep_iterationIS3_Lb1EN6thrust23THRUST_200600_302600_NS6detail15normal_iteratorINS8_10device_ptrIiEEEESD_SD_SD_jNS0_19identity_decomposerENS1_16block_id_wrapperIjLb0EEEEE10hipError_tT1_PNSt15iterator_traitsISI_E10value_typeET2_T3_PNSJ_ISO_E10value_typeET4_T5_PST_SU_PNS1_23onesweep_lookback_stateEbbT6_jjT7_P12ihipStream_tbENKUlT_T0_SI_SN_E_clISD_PiSD_S15_EEDaS11_S12_SI_SN_EUlS11_E_NS1_11comp_targetILNS1_3genE4ELNS1_11target_archE910ELNS1_3gpuE8ELNS1_3repE0EEENS1_47radix_sort_onesweep_sort_config_static_selectorELNS0_4arch9wavefront6targetE0EEEvSI_
; %bb.0:
	.section	.rodata,"a",@progbits
	.p2align	6, 0x0
	.amdhsa_kernel _ZN7rocprim17ROCPRIM_400000_NS6detail17trampoline_kernelINS0_14default_configENS1_35radix_sort_onesweep_config_selectorIiiEEZZNS1_29radix_sort_onesweep_iterationIS3_Lb1EN6thrust23THRUST_200600_302600_NS6detail15normal_iteratorINS8_10device_ptrIiEEEESD_SD_SD_jNS0_19identity_decomposerENS1_16block_id_wrapperIjLb0EEEEE10hipError_tT1_PNSt15iterator_traitsISI_E10value_typeET2_T3_PNSJ_ISO_E10value_typeET4_T5_PST_SU_PNS1_23onesweep_lookback_stateEbbT6_jjT7_P12ihipStream_tbENKUlT_T0_SI_SN_E_clISD_PiSD_S15_EEDaS11_S12_SI_SN_EUlS11_E_NS1_11comp_targetILNS1_3genE4ELNS1_11target_archE910ELNS1_3gpuE8ELNS1_3repE0EEENS1_47radix_sort_onesweep_sort_config_static_selectorELNS0_4arch9wavefront6targetE0EEEvSI_
		.amdhsa_group_segment_fixed_size 0
		.amdhsa_private_segment_fixed_size 0
		.amdhsa_kernarg_size 88
		.amdhsa_user_sgpr_count 6
		.amdhsa_user_sgpr_private_segment_buffer 1
		.amdhsa_user_sgpr_dispatch_ptr 0
		.amdhsa_user_sgpr_queue_ptr 0
		.amdhsa_user_sgpr_kernarg_segment_ptr 1
		.amdhsa_user_sgpr_dispatch_id 0
		.amdhsa_user_sgpr_flat_scratch_init 0
		.amdhsa_user_sgpr_private_segment_size 0
		.amdhsa_wavefront_size32 1
		.amdhsa_uses_dynamic_stack 0
		.amdhsa_system_sgpr_private_segment_wavefront_offset 0
		.amdhsa_system_sgpr_workgroup_id_x 1
		.amdhsa_system_sgpr_workgroup_id_y 0
		.amdhsa_system_sgpr_workgroup_id_z 0
		.amdhsa_system_sgpr_workgroup_info 0
		.amdhsa_system_vgpr_workitem_id 0
		.amdhsa_next_free_vgpr 1
		.amdhsa_next_free_sgpr 1
		.amdhsa_reserve_vcc 0
		.amdhsa_reserve_flat_scratch 0
		.amdhsa_float_round_mode_32 0
		.amdhsa_float_round_mode_16_64 0
		.amdhsa_float_denorm_mode_32 3
		.amdhsa_float_denorm_mode_16_64 3
		.amdhsa_dx10_clamp 1
		.amdhsa_ieee_mode 1
		.amdhsa_fp16_overflow 0
		.amdhsa_workgroup_processor_mode 1
		.amdhsa_memory_ordered 1
		.amdhsa_forward_progress 1
		.amdhsa_shared_vgpr_count 0
		.amdhsa_exception_fp_ieee_invalid_op 0
		.amdhsa_exception_fp_denorm_src 0
		.amdhsa_exception_fp_ieee_div_zero 0
		.amdhsa_exception_fp_ieee_overflow 0
		.amdhsa_exception_fp_ieee_underflow 0
		.amdhsa_exception_fp_ieee_inexact 0
		.amdhsa_exception_int_div_zero 0
	.end_amdhsa_kernel
	.section	.text._ZN7rocprim17ROCPRIM_400000_NS6detail17trampoline_kernelINS0_14default_configENS1_35radix_sort_onesweep_config_selectorIiiEEZZNS1_29radix_sort_onesweep_iterationIS3_Lb1EN6thrust23THRUST_200600_302600_NS6detail15normal_iteratorINS8_10device_ptrIiEEEESD_SD_SD_jNS0_19identity_decomposerENS1_16block_id_wrapperIjLb0EEEEE10hipError_tT1_PNSt15iterator_traitsISI_E10value_typeET2_T3_PNSJ_ISO_E10value_typeET4_T5_PST_SU_PNS1_23onesweep_lookback_stateEbbT6_jjT7_P12ihipStream_tbENKUlT_T0_SI_SN_E_clISD_PiSD_S15_EEDaS11_S12_SI_SN_EUlS11_E_NS1_11comp_targetILNS1_3genE4ELNS1_11target_archE910ELNS1_3gpuE8ELNS1_3repE0EEENS1_47radix_sort_onesweep_sort_config_static_selectorELNS0_4arch9wavefront6targetE0EEEvSI_,"axG",@progbits,_ZN7rocprim17ROCPRIM_400000_NS6detail17trampoline_kernelINS0_14default_configENS1_35radix_sort_onesweep_config_selectorIiiEEZZNS1_29radix_sort_onesweep_iterationIS3_Lb1EN6thrust23THRUST_200600_302600_NS6detail15normal_iteratorINS8_10device_ptrIiEEEESD_SD_SD_jNS0_19identity_decomposerENS1_16block_id_wrapperIjLb0EEEEE10hipError_tT1_PNSt15iterator_traitsISI_E10value_typeET2_T3_PNSJ_ISO_E10value_typeET4_T5_PST_SU_PNS1_23onesweep_lookback_stateEbbT6_jjT7_P12ihipStream_tbENKUlT_T0_SI_SN_E_clISD_PiSD_S15_EEDaS11_S12_SI_SN_EUlS11_E_NS1_11comp_targetILNS1_3genE4ELNS1_11target_archE910ELNS1_3gpuE8ELNS1_3repE0EEENS1_47radix_sort_onesweep_sort_config_static_selectorELNS0_4arch9wavefront6targetE0EEEvSI_,comdat
.Lfunc_end1039:
	.size	_ZN7rocprim17ROCPRIM_400000_NS6detail17trampoline_kernelINS0_14default_configENS1_35radix_sort_onesweep_config_selectorIiiEEZZNS1_29radix_sort_onesweep_iterationIS3_Lb1EN6thrust23THRUST_200600_302600_NS6detail15normal_iteratorINS8_10device_ptrIiEEEESD_SD_SD_jNS0_19identity_decomposerENS1_16block_id_wrapperIjLb0EEEEE10hipError_tT1_PNSt15iterator_traitsISI_E10value_typeET2_T3_PNSJ_ISO_E10value_typeET4_T5_PST_SU_PNS1_23onesweep_lookback_stateEbbT6_jjT7_P12ihipStream_tbENKUlT_T0_SI_SN_E_clISD_PiSD_S15_EEDaS11_S12_SI_SN_EUlS11_E_NS1_11comp_targetILNS1_3genE4ELNS1_11target_archE910ELNS1_3gpuE8ELNS1_3repE0EEENS1_47radix_sort_onesweep_sort_config_static_selectorELNS0_4arch9wavefront6targetE0EEEvSI_, .Lfunc_end1039-_ZN7rocprim17ROCPRIM_400000_NS6detail17trampoline_kernelINS0_14default_configENS1_35radix_sort_onesweep_config_selectorIiiEEZZNS1_29radix_sort_onesweep_iterationIS3_Lb1EN6thrust23THRUST_200600_302600_NS6detail15normal_iteratorINS8_10device_ptrIiEEEESD_SD_SD_jNS0_19identity_decomposerENS1_16block_id_wrapperIjLb0EEEEE10hipError_tT1_PNSt15iterator_traitsISI_E10value_typeET2_T3_PNSJ_ISO_E10value_typeET4_T5_PST_SU_PNS1_23onesweep_lookback_stateEbbT6_jjT7_P12ihipStream_tbENKUlT_T0_SI_SN_E_clISD_PiSD_S15_EEDaS11_S12_SI_SN_EUlS11_E_NS1_11comp_targetILNS1_3genE4ELNS1_11target_archE910ELNS1_3gpuE8ELNS1_3repE0EEENS1_47radix_sort_onesweep_sort_config_static_selectorELNS0_4arch9wavefront6targetE0EEEvSI_
                                        ; -- End function
	.set _ZN7rocprim17ROCPRIM_400000_NS6detail17trampoline_kernelINS0_14default_configENS1_35radix_sort_onesweep_config_selectorIiiEEZZNS1_29radix_sort_onesweep_iterationIS3_Lb1EN6thrust23THRUST_200600_302600_NS6detail15normal_iteratorINS8_10device_ptrIiEEEESD_SD_SD_jNS0_19identity_decomposerENS1_16block_id_wrapperIjLb0EEEEE10hipError_tT1_PNSt15iterator_traitsISI_E10value_typeET2_T3_PNSJ_ISO_E10value_typeET4_T5_PST_SU_PNS1_23onesweep_lookback_stateEbbT6_jjT7_P12ihipStream_tbENKUlT_T0_SI_SN_E_clISD_PiSD_S15_EEDaS11_S12_SI_SN_EUlS11_E_NS1_11comp_targetILNS1_3genE4ELNS1_11target_archE910ELNS1_3gpuE8ELNS1_3repE0EEENS1_47radix_sort_onesweep_sort_config_static_selectorELNS0_4arch9wavefront6targetE0EEEvSI_.num_vgpr, 0
	.set _ZN7rocprim17ROCPRIM_400000_NS6detail17trampoline_kernelINS0_14default_configENS1_35radix_sort_onesweep_config_selectorIiiEEZZNS1_29radix_sort_onesweep_iterationIS3_Lb1EN6thrust23THRUST_200600_302600_NS6detail15normal_iteratorINS8_10device_ptrIiEEEESD_SD_SD_jNS0_19identity_decomposerENS1_16block_id_wrapperIjLb0EEEEE10hipError_tT1_PNSt15iterator_traitsISI_E10value_typeET2_T3_PNSJ_ISO_E10value_typeET4_T5_PST_SU_PNS1_23onesweep_lookback_stateEbbT6_jjT7_P12ihipStream_tbENKUlT_T0_SI_SN_E_clISD_PiSD_S15_EEDaS11_S12_SI_SN_EUlS11_E_NS1_11comp_targetILNS1_3genE4ELNS1_11target_archE910ELNS1_3gpuE8ELNS1_3repE0EEENS1_47radix_sort_onesweep_sort_config_static_selectorELNS0_4arch9wavefront6targetE0EEEvSI_.num_agpr, 0
	.set _ZN7rocprim17ROCPRIM_400000_NS6detail17trampoline_kernelINS0_14default_configENS1_35radix_sort_onesweep_config_selectorIiiEEZZNS1_29radix_sort_onesweep_iterationIS3_Lb1EN6thrust23THRUST_200600_302600_NS6detail15normal_iteratorINS8_10device_ptrIiEEEESD_SD_SD_jNS0_19identity_decomposerENS1_16block_id_wrapperIjLb0EEEEE10hipError_tT1_PNSt15iterator_traitsISI_E10value_typeET2_T3_PNSJ_ISO_E10value_typeET4_T5_PST_SU_PNS1_23onesweep_lookback_stateEbbT6_jjT7_P12ihipStream_tbENKUlT_T0_SI_SN_E_clISD_PiSD_S15_EEDaS11_S12_SI_SN_EUlS11_E_NS1_11comp_targetILNS1_3genE4ELNS1_11target_archE910ELNS1_3gpuE8ELNS1_3repE0EEENS1_47radix_sort_onesweep_sort_config_static_selectorELNS0_4arch9wavefront6targetE0EEEvSI_.numbered_sgpr, 0
	.set _ZN7rocprim17ROCPRIM_400000_NS6detail17trampoline_kernelINS0_14default_configENS1_35radix_sort_onesweep_config_selectorIiiEEZZNS1_29radix_sort_onesweep_iterationIS3_Lb1EN6thrust23THRUST_200600_302600_NS6detail15normal_iteratorINS8_10device_ptrIiEEEESD_SD_SD_jNS0_19identity_decomposerENS1_16block_id_wrapperIjLb0EEEEE10hipError_tT1_PNSt15iterator_traitsISI_E10value_typeET2_T3_PNSJ_ISO_E10value_typeET4_T5_PST_SU_PNS1_23onesweep_lookback_stateEbbT6_jjT7_P12ihipStream_tbENKUlT_T0_SI_SN_E_clISD_PiSD_S15_EEDaS11_S12_SI_SN_EUlS11_E_NS1_11comp_targetILNS1_3genE4ELNS1_11target_archE910ELNS1_3gpuE8ELNS1_3repE0EEENS1_47radix_sort_onesweep_sort_config_static_selectorELNS0_4arch9wavefront6targetE0EEEvSI_.num_named_barrier, 0
	.set _ZN7rocprim17ROCPRIM_400000_NS6detail17trampoline_kernelINS0_14default_configENS1_35radix_sort_onesweep_config_selectorIiiEEZZNS1_29radix_sort_onesweep_iterationIS3_Lb1EN6thrust23THRUST_200600_302600_NS6detail15normal_iteratorINS8_10device_ptrIiEEEESD_SD_SD_jNS0_19identity_decomposerENS1_16block_id_wrapperIjLb0EEEEE10hipError_tT1_PNSt15iterator_traitsISI_E10value_typeET2_T3_PNSJ_ISO_E10value_typeET4_T5_PST_SU_PNS1_23onesweep_lookback_stateEbbT6_jjT7_P12ihipStream_tbENKUlT_T0_SI_SN_E_clISD_PiSD_S15_EEDaS11_S12_SI_SN_EUlS11_E_NS1_11comp_targetILNS1_3genE4ELNS1_11target_archE910ELNS1_3gpuE8ELNS1_3repE0EEENS1_47radix_sort_onesweep_sort_config_static_selectorELNS0_4arch9wavefront6targetE0EEEvSI_.private_seg_size, 0
	.set _ZN7rocprim17ROCPRIM_400000_NS6detail17trampoline_kernelINS0_14default_configENS1_35radix_sort_onesweep_config_selectorIiiEEZZNS1_29radix_sort_onesweep_iterationIS3_Lb1EN6thrust23THRUST_200600_302600_NS6detail15normal_iteratorINS8_10device_ptrIiEEEESD_SD_SD_jNS0_19identity_decomposerENS1_16block_id_wrapperIjLb0EEEEE10hipError_tT1_PNSt15iterator_traitsISI_E10value_typeET2_T3_PNSJ_ISO_E10value_typeET4_T5_PST_SU_PNS1_23onesweep_lookback_stateEbbT6_jjT7_P12ihipStream_tbENKUlT_T0_SI_SN_E_clISD_PiSD_S15_EEDaS11_S12_SI_SN_EUlS11_E_NS1_11comp_targetILNS1_3genE4ELNS1_11target_archE910ELNS1_3gpuE8ELNS1_3repE0EEENS1_47radix_sort_onesweep_sort_config_static_selectorELNS0_4arch9wavefront6targetE0EEEvSI_.uses_vcc, 0
	.set _ZN7rocprim17ROCPRIM_400000_NS6detail17trampoline_kernelINS0_14default_configENS1_35radix_sort_onesweep_config_selectorIiiEEZZNS1_29radix_sort_onesweep_iterationIS3_Lb1EN6thrust23THRUST_200600_302600_NS6detail15normal_iteratorINS8_10device_ptrIiEEEESD_SD_SD_jNS0_19identity_decomposerENS1_16block_id_wrapperIjLb0EEEEE10hipError_tT1_PNSt15iterator_traitsISI_E10value_typeET2_T3_PNSJ_ISO_E10value_typeET4_T5_PST_SU_PNS1_23onesweep_lookback_stateEbbT6_jjT7_P12ihipStream_tbENKUlT_T0_SI_SN_E_clISD_PiSD_S15_EEDaS11_S12_SI_SN_EUlS11_E_NS1_11comp_targetILNS1_3genE4ELNS1_11target_archE910ELNS1_3gpuE8ELNS1_3repE0EEENS1_47radix_sort_onesweep_sort_config_static_selectorELNS0_4arch9wavefront6targetE0EEEvSI_.uses_flat_scratch, 0
	.set _ZN7rocprim17ROCPRIM_400000_NS6detail17trampoline_kernelINS0_14default_configENS1_35radix_sort_onesweep_config_selectorIiiEEZZNS1_29radix_sort_onesweep_iterationIS3_Lb1EN6thrust23THRUST_200600_302600_NS6detail15normal_iteratorINS8_10device_ptrIiEEEESD_SD_SD_jNS0_19identity_decomposerENS1_16block_id_wrapperIjLb0EEEEE10hipError_tT1_PNSt15iterator_traitsISI_E10value_typeET2_T3_PNSJ_ISO_E10value_typeET4_T5_PST_SU_PNS1_23onesweep_lookback_stateEbbT6_jjT7_P12ihipStream_tbENKUlT_T0_SI_SN_E_clISD_PiSD_S15_EEDaS11_S12_SI_SN_EUlS11_E_NS1_11comp_targetILNS1_3genE4ELNS1_11target_archE910ELNS1_3gpuE8ELNS1_3repE0EEENS1_47radix_sort_onesweep_sort_config_static_selectorELNS0_4arch9wavefront6targetE0EEEvSI_.has_dyn_sized_stack, 0
	.set _ZN7rocprim17ROCPRIM_400000_NS6detail17trampoline_kernelINS0_14default_configENS1_35radix_sort_onesweep_config_selectorIiiEEZZNS1_29radix_sort_onesweep_iterationIS3_Lb1EN6thrust23THRUST_200600_302600_NS6detail15normal_iteratorINS8_10device_ptrIiEEEESD_SD_SD_jNS0_19identity_decomposerENS1_16block_id_wrapperIjLb0EEEEE10hipError_tT1_PNSt15iterator_traitsISI_E10value_typeET2_T3_PNSJ_ISO_E10value_typeET4_T5_PST_SU_PNS1_23onesweep_lookback_stateEbbT6_jjT7_P12ihipStream_tbENKUlT_T0_SI_SN_E_clISD_PiSD_S15_EEDaS11_S12_SI_SN_EUlS11_E_NS1_11comp_targetILNS1_3genE4ELNS1_11target_archE910ELNS1_3gpuE8ELNS1_3repE0EEENS1_47radix_sort_onesweep_sort_config_static_selectorELNS0_4arch9wavefront6targetE0EEEvSI_.has_recursion, 0
	.set _ZN7rocprim17ROCPRIM_400000_NS6detail17trampoline_kernelINS0_14default_configENS1_35radix_sort_onesweep_config_selectorIiiEEZZNS1_29radix_sort_onesweep_iterationIS3_Lb1EN6thrust23THRUST_200600_302600_NS6detail15normal_iteratorINS8_10device_ptrIiEEEESD_SD_SD_jNS0_19identity_decomposerENS1_16block_id_wrapperIjLb0EEEEE10hipError_tT1_PNSt15iterator_traitsISI_E10value_typeET2_T3_PNSJ_ISO_E10value_typeET4_T5_PST_SU_PNS1_23onesweep_lookback_stateEbbT6_jjT7_P12ihipStream_tbENKUlT_T0_SI_SN_E_clISD_PiSD_S15_EEDaS11_S12_SI_SN_EUlS11_E_NS1_11comp_targetILNS1_3genE4ELNS1_11target_archE910ELNS1_3gpuE8ELNS1_3repE0EEENS1_47radix_sort_onesweep_sort_config_static_selectorELNS0_4arch9wavefront6targetE0EEEvSI_.has_indirect_call, 0
	.section	.AMDGPU.csdata,"",@progbits
; Kernel info:
; codeLenInByte = 0
; TotalNumSgprs: 0
; NumVgprs: 0
; ScratchSize: 0
; MemoryBound: 0
; FloatMode: 240
; IeeeMode: 1
; LDSByteSize: 0 bytes/workgroup (compile time only)
; SGPRBlocks: 0
; VGPRBlocks: 0
; NumSGPRsForWavesPerEU: 1
; NumVGPRsForWavesPerEU: 1
; Occupancy: 16
; WaveLimiterHint : 0
; COMPUTE_PGM_RSRC2:SCRATCH_EN: 0
; COMPUTE_PGM_RSRC2:USER_SGPR: 6
; COMPUTE_PGM_RSRC2:TRAP_HANDLER: 0
; COMPUTE_PGM_RSRC2:TGID_X_EN: 1
; COMPUTE_PGM_RSRC2:TGID_Y_EN: 0
; COMPUTE_PGM_RSRC2:TGID_Z_EN: 0
; COMPUTE_PGM_RSRC2:TIDIG_COMP_CNT: 0
	.section	.text._ZN7rocprim17ROCPRIM_400000_NS6detail17trampoline_kernelINS0_14default_configENS1_35radix_sort_onesweep_config_selectorIiiEEZZNS1_29radix_sort_onesweep_iterationIS3_Lb1EN6thrust23THRUST_200600_302600_NS6detail15normal_iteratorINS8_10device_ptrIiEEEESD_SD_SD_jNS0_19identity_decomposerENS1_16block_id_wrapperIjLb0EEEEE10hipError_tT1_PNSt15iterator_traitsISI_E10value_typeET2_T3_PNSJ_ISO_E10value_typeET4_T5_PST_SU_PNS1_23onesweep_lookback_stateEbbT6_jjT7_P12ihipStream_tbENKUlT_T0_SI_SN_E_clISD_PiSD_S15_EEDaS11_S12_SI_SN_EUlS11_E_NS1_11comp_targetILNS1_3genE3ELNS1_11target_archE908ELNS1_3gpuE7ELNS1_3repE0EEENS1_47radix_sort_onesweep_sort_config_static_selectorELNS0_4arch9wavefront6targetE0EEEvSI_,"axG",@progbits,_ZN7rocprim17ROCPRIM_400000_NS6detail17trampoline_kernelINS0_14default_configENS1_35radix_sort_onesweep_config_selectorIiiEEZZNS1_29radix_sort_onesweep_iterationIS3_Lb1EN6thrust23THRUST_200600_302600_NS6detail15normal_iteratorINS8_10device_ptrIiEEEESD_SD_SD_jNS0_19identity_decomposerENS1_16block_id_wrapperIjLb0EEEEE10hipError_tT1_PNSt15iterator_traitsISI_E10value_typeET2_T3_PNSJ_ISO_E10value_typeET4_T5_PST_SU_PNS1_23onesweep_lookback_stateEbbT6_jjT7_P12ihipStream_tbENKUlT_T0_SI_SN_E_clISD_PiSD_S15_EEDaS11_S12_SI_SN_EUlS11_E_NS1_11comp_targetILNS1_3genE3ELNS1_11target_archE908ELNS1_3gpuE7ELNS1_3repE0EEENS1_47radix_sort_onesweep_sort_config_static_selectorELNS0_4arch9wavefront6targetE0EEEvSI_,comdat
	.protected	_ZN7rocprim17ROCPRIM_400000_NS6detail17trampoline_kernelINS0_14default_configENS1_35radix_sort_onesweep_config_selectorIiiEEZZNS1_29radix_sort_onesweep_iterationIS3_Lb1EN6thrust23THRUST_200600_302600_NS6detail15normal_iteratorINS8_10device_ptrIiEEEESD_SD_SD_jNS0_19identity_decomposerENS1_16block_id_wrapperIjLb0EEEEE10hipError_tT1_PNSt15iterator_traitsISI_E10value_typeET2_T3_PNSJ_ISO_E10value_typeET4_T5_PST_SU_PNS1_23onesweep_lookback_stateEbbT6_jjT7_P12ihipStream_tbENKUlT_T0_SI_SN_E_clISD_PiSD_S15_EEDaS11_S12_SI_SN_EUlS11_E_NS1_11comp_targetILNS1_3genE3ELNS1_11target_archE908ELNS1_3gpuE7ELNS1_3repE0EEENS1_47radix_sort_onesweep_sort_config_static_selectorELNS0_4arch9wavefront6targetE0EEEvSI_ ; -- Begin function _ZN7rocprim17ROCPRIM_400000_NS6detail17trampoline_kernelINS0_14default_configENS1_35radix_sort_onesweep_config_selectorIiiEEZZNS1_29radix_sort_onesweep_iterationIS3_Lb1EN6thrust23THRUST_200600_302600_NS6detail15normal_iteratorINS8_10device_ptrIiEEEESD_SD_SD_jNS0_19identity_decomposerENS1_16block_id_wrapperIjLb0EEEEE10hipError_tT1_PNSt15iterator_traitsISI_E10value_typeET2_T3_PNSJ_ISO_E10value_typeET4_T5_PST_SU_PNS1_23onesweep_lookback_stateEbbT6_jjT7_P12ihipStream_tbENKUlT_T0_SI_SN_E_clISD_PiSD_S15_EEDaS11_S12_SI_SN_EUlS11_E_NS1_11comp_targetILNS1_3genE3ELNS1_11target_archE908ELNS1_3gpuE7ELNS1_3repE0EEENS1_47radix_sort_onesweep_sort_config_static_selectorELNS0_4arch9wavefront6targetE0EEEvSI_
	.globl	_ZN7rocprim17ROCPRIM_400000_NS6detail17trampoline_kernelINS0_14default_configENS1_35radix_sort_onesweep_config_selectorIiiEEZZNS1_29radix_sort_onesweep_iterationIS3_Lb1EN6thrust23THRUST_200600_302600_NS6detail15normal_iteratorINS8_10device_ptrIiEEEESD_SD_SD_jNS0_19identity_decomposerENS1_16block_id_wrapperIjLb0EEEEE10hipError_tT1_PNSt15iterator_traitsISI_E10value_typeET2_T3_PNSJ_ISO_E10value_typeET4_T5_PST_SU_PNS1_23onesweep_lookback_stateEbbT6_jjT7_P12ihipStream_tbENKUlT_T0_SI_SN_E_clISD_PiSD_S15_EEDaS11_S12_SI_SN_EUlS11_E_NS1_11comp_targetILNS1_3genE3ELNS1_11target_archE908ELNS1_3gpuE7ELNS1_3repE0EEENS1_47radix_sort_onesweep_sort_config_static_selectorELNS0_4arch9wavefront6targetE0EEEvSI_
	.p2align	8
	.type	_ZN7rocprim17ROCPRIM_400000_NS6detail17trampoline_kernelINS0_14default_configENS1_35radix_sort_onesweep_config_selectorIiiEEZZNS1_29radix_sort_onesweep_iterationIS3_Lb1EN6thrust23THRUST_200600_302600_NS6detail15normal_iteratorINS8_10device_ptrIiEEEESD_SD_SD_jNS0_19identity_decomposerENS1_16block_id_wrapperIjLb0EEEEE10hipError_tT1_PNSt15iterator_traitsISI_E10value_typeET2_T3_PNSJ_ISO_E10value_typeET4_T5_PST_SU_PNS1_23onesweep_lookback_stateEbbT6_jjT7_P12ihipStream_tbENKUlT_T0_SI_SN_E_clISD_PiSD_S15_EEDaS11_S12_SI_SN_EUlS11_E_NS1_11comp_targetILNS1_3genE3ELNS1_11target_archE908ELNS1_3gpuE7ELNS1_3repE0EEENS1_47radix_sort_onesweep_sort_config_static_selectorELNS0_4arch9wavefront6targetE0EEEvSI_,@function
_ZN7rocprim17ROCPRIM_400000_NS6detail17trampoline_kernelINS0_14default_configENS1_35radix_sort_onesweep_config_selectorIiiEEZZNS1_29radix_sort_onesweep_iterationIS3_Lb1EN6thrust23THRUST_200600_302600_NS6detail15normal_iteratorINS8_10device_ptrIiEEEESD_SD_SD_jNS0_19identity_decomposerENS1_16block_id_wrapperIjLb0EEEEE10hipError_tT1_PNSt15iterator_traitsISI_E10value_typeET2_T3_PNSJ_ISO_E10value_typeET4_T5_PST_SU_PNS1_23onesweep_lookback_stateEbbT6_jjT7_P12ihipStream_tbENKUlT_T0_SI_SN_E_clISD_PiSD_S15_EEDaS11_S12_SI_SN_EUlS11_E_NS1_11comp_targetILNS1_3genE3ELNS1_11target_archE908ELNS1_3gpuE7ELNS1_3repE0EEENS1_47radix_sort_onesweep_sort_config_static_selectorELNS0_4arch9wavefront6targetE0EEEvSI_: ; @_ZN7rocprim17ROCPRIM_400000_NS6detail17trampoline_kernelINS0_14default_configENS1_35radix_sort_onesweep_config_selectorIiiEEZZNS1_29radix_sort_onesweep_iterationIS3_Lb1EN6thrust23THRUST_200600_302600_NS6detail15normal_iteratorINS8_10device_ptrIiEEEESD_SD_SD_jNS0_19identity_decomposerENS1_16block_id_wrapperIjLb0EEEEE10hipError_tT1_PNSt15iterator_traitsISI_E10value_typeET2_T3_PNSJ_ISO_E10value_typeET4_T5_PST_SU_PNS1_23onesweep_lookback_stateEbbT6_jjT7_P12ihipStream_tbENKUlT_T0_SI_SN_E_clISD_PiSD_S15_EEDaS11_S12_SI_SN_EUlS11_E_NS1_11comp_targetILNS1_3genE3ELNS1_11target_archE908ELNS1_3gpuE7ELNS1_3repE0EEENS1_47radix_sort_onesweep_sort_config_static_selectorELNS0_4arch9wavefront6targetE0EEEvSI_
; %bb.0:
	.section	.rodata,"a",@progbits
	.p2align	6, 0x0
	.amdhsa_kernel _ZN7rocprim17ROCPRIM_400000_NS6detail17trampoline_kernelINS0_14default_configENS1_35radix_sort_onesweep_config_selectorIiiEEZZNS1_29radix_sort_onesweep_iterationIS3_Lb1EN6thrust23THRUST_200600_302600_NS6detail15normal_iteratorINS8_10device_ptrIiEEEESD_SD_SD_jNS0_19identity_decomposerENS1_16block_id_wrapperIjLb0EEEEE10hipError_tT1_PNSt15iterator_traitsISI_E10value_typeET2_T3_PNSJ_ISO_E10value_typeET4_T5_PST_SU_PNS1_23onesweep_lookback_stateEbbT6_jjT7_P12ihipStream_tbENKUlT_T0_SI_SN_E_clISD_PiSD_S15_EEDaS11_S12_SI_SN_EUlS11_E_NS1_11comp_targetILNS1_3genE3ELNS1_11target_archE908ELNS1_3gpuE7ELNS1_3repE0EEENS1_47radix_sort_onesweep_sort_config_static_selectorELNS0_4arch9wavefront6targetE0EEEvSI_
		.amdhsa_group_segment_fixed_size 0
		.amdhsa_private_segment_fixed_size 0
		.amdhsa_kernarg_size 88
		.amdhsa_user_sgpr_count 6
		.amdhsa_user_sgpr_private_segment_buffer 1
		.amdhsa_user_sgpr_dispatch_ptr 0
		.amdhsa_user_sgpr_queue_ptr 0
		.amdhsa_user_sgpr_kernarg_segment_ptr 1
		.amdhsa_user_sgpr_dispatch_id 0
		.amdhsa_user_sgpr_flat_scratch_init 0
		.amdhsa_user_sgpr_private_segment_size 0
		.amdhsa_wavefront_size32 1
		.amdhsa_uses_dynamic_stack 0
		.amdhsa_system_sgpr_private_segment_wavefront_offset 0
		.amdhsa_system_sgpr_workgroup_id_x 1
		.amdhsa_system_sgpr_workgroup_id_y 0
		.amdhsa_system_sgpr_workgroup_id_z 0
		.amdhsa_system_sgpr_workgroup_info 0
		.amdhsa_system_vgpr_workitem_id 0
		.amdhsa_next_free_vgpr 1
		.amdhsa_next_free_sgpr 1
		.amdhsa_reserve_vcc 0
		.amdhsa_reserve_flat_scratch 0
		.amdhsa_float_round_mode_32 0
		.amdhsa_float_round_mode_16_64 0
		.amdhsa_float_denorm_mode_32 3
		.amdhsa_float_denorm_mode_16_64 3
		.amdhsa_dx10_clamp 1
		.amdhsa_ieee_mode 1
		.amdhsa_fp16_overflow 0
		.amdhsa_workgroup_processor_mode 1
		.amdhsa_memory_ordered 1
		.amdhsa_forward_progress 1
		.amdhsa_shared_vgpr_count 0
		.amdhsa_exception_fp_ieee_invalid_op 0
		.amdhsa_exception_fp_denorm_src 0
		.amdhsa_exception_fp_ieee_div_zero 0
		.amdhsa_exception_fp_ieee_overflow 0
		.amdhsa_exception_fp_ieee_underflow 0
		.amdhsa_exception_fp_ieee_inexact 0
		.amdhsa_exception_int_div_zero 0
	.end_amdhsa_kernel
	.section	.text._ZN7rocprim17ROCPRIM_400000_NS6detail17trampoline_kernelINS0_14default_configENS1_35radix_sort_onesweep_config_selectorIiiEEZZNS1_29radix_sort_onesweep_iterationIS3_Lb1EN6thrust23THRUST_200600_302600_NS6detail15normal_iteratorINS8_10device_ptrIiEEEESD_SD_SD_jNS0_19identity_decomposerENS1_16block_id_wrapperIjLb0EEEEE10hipError_tT1_PNSt15iterator_traitsISI_E10value_typeET2_T3_PNSJ_ISO_E10value_typeET4_T5_PST_SU_PNS1_23onesweep_lookback_stateEbbT6_jjT7_P12ihipStream_tbENKUlT_T0_SI_SN_E_clISD_PiSD_S15_EEDaS11_S12_SI_SN_EUlS11_E_NS1_11comp_targetILNS1_3genE3ELNS1_11target_archE908ELNS1_3gpuE7ELNS1_3repE0EEENS1_47radix_sort_onesweep_sort_config_static_selectorELNS0_4arch9wavefront6targetE0EEEvSI_,"axG",@progbits,_ZN7rocprim17ROCPRIM_400000_NS6detail17trampoline_kernelINS0_14default_configENS1_35radix_sort_onesweep_config_selectorIiiEEZZNS1_29radix_sort_onesweep_iterationIS3_Lb1EN6thrust23THRUST_200600_302600_NS6detail15normal_iteratorINS8_10device_ptrIiEEEESD_SD_SD_jNS0_19identity_decomposerENS1_16block_id_wrapperIjLb0EEEEE10hipError_tT1_PNSt15iterator_traitsISI_E10value_typeET2_T3_PNSJ_ISO_E10value_typeET4_T5_PST_SU_PNS1_23onesweep_lookback_stateEbbT6_jjT7_P12ihipStream_tbENKUlT_T0_SI_SN_E_clISD_PiSD_S15_EEDaS11_S12_SI_SN_EUlS11_E_NS1_11comp_targetILNS1_3genE3ELNS1_11target_archE908ELNS1_3gpuE7ELNS1_3repE0EEENS1_47radix_sort_onesweep_sort_config_static_selectorELNS0_4arch9wavefront6targetE0EEEvSI_,comdat
.Lfunc_end1040:
	.size	_ZN7rocprim17ROCPRIM_400000_NS6detail17trampoline_kernelINS0_14default_configENS1_35radix_sort_onesweep_config_selectorIiiEEZZNS1_29radix_sort_onesweep_iterationIS3_Lb1EN6thrust23THRUST_200600_302600_NS6detail15normal_iteratorINS8_10device_ptrIiEEEESD_SD_SD_jNS0_19identity_decomposerENS1_16block_id_wrapperIjLb0EEEEE10hipError_tT1_PNSt15iterator_traitsISI_E10value_typeET2_T3_PNSJ_ISO_E10value_typeET4_T5_PST_SU_PNS1_23onesweep_lookback_stateEbbT6_jjT7_P12ihipStream_tbENKUlT_T0_SI_SN_E_clISD_PiSD_S15_EEDaS11_S12_SI_SN_EUlS11_E_NS1_11comp_targetILNS1_3genE3ELNS1_11target_archE908ELNS1_3gpuE7ELNS1_3repE0EEENS1_47radix_sort_onesweep_sort_config_static_selectorELNS0_4arch9wavefront6targetE0EEEvSI_, .Lfunc_end1040-_ZN7rocprim17ROCPRIM_400000_NS6detail17trampoline_kernelINS0_14default_configENS1_35radix_sort_onesweep_config_selectorIiiEEZZNS1_29radix_sort_onesweep_iterationIS3_Lb1EN6thrust23THRUST_200600_302600_NS6detail15normal_iteratorINS8_10device_ptrIiEEEESD_SD_SD_jNS0_19identity_decomposerENS1_16block_id_wrapperIjLb0EEEEE10hipError_tT1_PNSt15iterator_traitsISI_E10value_typeET2_T3_PNSJ_ISO_E10value_typeET4_T5_PST_SU_PNS1_23onesweep_lookback_stateEbbT6_jjT7_P12ihipStream_tbENKUlT_T0_SI_SN_E_clISD_PiSD_S15_EEDaS11_S12_SI_SN_EUlS11_E_NS1_11comp_targetILNS1_3genE3ELNS1_11target_archE908ELNS1_3gpuE7ELNS1_3repE0EEENS1_47radix_sort_onesweep_sort_config_static_selectorELNS0_4arch9wavefront6targetE0EEEvSI_
                                        ; -- End function
	.set _ZN7rocprim17ROCPRIM_400000_NS6detail17trampoline_kernelINS0_14default_configENS1_35radix_sort_onesweep_config_selectorIiiEEZZNS1_29radix_sort_onesweep_iterationIS3_Lb1EN6thrust23THRUST_200600_302600_NS6detail15normal_iteratorINS8_10device_ptrIiEEEESD_SD_SD_jNS0_19identity_decomposerENS1_16block_id_wrapperIjLb0EEEEE10hipError_tT1_PNSt15iterator_traitsISI_E10value_typeET2_T3_PNSJ_ISO_E10value_typeET4_T5_PST_SU_PNS1_23onesweep_lookback_stateEbbT6_jjT7_P12ihipStream_tbENKUlT_T0_SI_SN_E_clISD_PiSD_S15_EEDaS11_S12_SI_SN_EUlS11_E_NS1_11comp_targetILNS1_3genE3ELNS1_11target_archE908ELNS1_3gpuE7ELNS1_3repE0EEENS1_47radix_sort_onesweep_sort_config_static_selectorELNS0_4arch9wavefront6targetE0EEEvSI_.num_vgpr, 0
	.set _ZN7rocprim17ROCPRIM_400000_NS6detail17trampoline_kernelINS0_14default_configENS1_35radix_sort_onesweep_config_selectorIiiEEZZNS1_29radix_sort_onesweep_iterationIS3_Lb1EN6thrust23THRUST_200600_302600_NS6detail15normal_iteratorINS8_10device_ptrIiEEEESD_SD_SD_jNS0_19identity_decomposerENS1_16block_id_wrapperIjLb0EEEEE10hipError_tT1_PNSt15iterator_traitsISI_E10value_typeET2_T3_PNSJ_ISO_E10value_typeET4_T5_PST_SU_PNS1_23onesweep_lookback_stateEbbT6_jjT7_P12ihipStream_tbENKUlT_T0_SI_SN_E_clISD_PiSD_S15_EEDaS11_S12_SI_SN_EUlS11_E_NS1_11comp_targetILNS1_3genE3ELNS1_11target_archE908ELNS1_3gpuE7ELNS1_3repE0EEENS1_47radix_sort_onesweep_sort_config_static_selectorELNS0_4arch9wavefront6targetE0EEEvSI_.num_agpr, 0
	.set _ZN7rocprim17ROCPRIM_400000_NS6detail17trampoline_kernelINS0_14default_configENS1_35radix_sort_onesweep_config_selectorIiiEEZZNS1_29radix_sort_onesweep_iterationIS3_Lb1EN6thrust23THRUST_200600_302600_NS6detail15normal_iteratorINS8_10device_ptrIiEEEESD_SD_SD_jNS0_19identity_decomposerENS1_16block_id_wrapperIjLb0EEEEE10hipError_tT1_PNSt15iterator_traitsISI_E10value_typeET2_T3_PNSJ_ISO_E10value_typeET4_T5_PST_SU_PNS1_23onesweep_lookback_stateEbbT6_jjT7_P12ihipStream_tbENKUlT_T0_SI_SN_E_clISD_PiSD_S15_EEDaS11_S12_SI_SN_EUlS11_E_NS1_11comp_targetILNS1_3genE3ELNS1_11target_archE908ELNS1_3gpuE7ELNS1_3repE0EEENS1_47radix_sort_onesweep_sort_config_static_selectorELNS0_4arch9wavefront6targetE0EEEvSI_.numbered_sgpr, 0
	.set _ZN7rocprim17ROCPRIM_400000_NS6detail17trampoline_kernelINS0_14default_configENS1_35radix_sort_onesweep_config_selectorIiiEEZZNS1_29radix_sort_onesweep_iterationIS3_Lb1EN6thrust23THRUST_200600_302600_NS6detail15normal_iteratorINS8_10device_ptrIiEEEESD_SD_SD_jNS0_19identity_decomposerENS1_16block_id_wrapperIjLb0EEEEE10hipError_tT1_PNSt15iterator_traitsISI_E10value_typeET2_T3_PNSJ_ISO_E10value_typeET4_T5_PST_SU_PNS1_23onesweep_lookback_stateEbbT6_jjT7_P12ihipStream_tbENKUlT_T0_SI_SN_E_clISD_PiSD_S15_EEDaS11_S12_SI_SN_EUlS11_E_NS1_11comp_targetILNS1_3genE3ELNS1_11target_archE908ELNS1_3gpuE7ELNS1_3repE0EEENS1_47radix_sort_onesweep_sort_config_static_selectorELNS0_4arch9wavefront6targetE0EEEvSI_.num_named_barrier, 0
	.set _ZN7rocprim17ROCPRIM_400000_NS6detail17trampoline_kernelINS0_14default_configENS1_35radix_sort_onesweep_config_selectorIiiEEZZNS1_29radix_sort_onesweep_iterationIS3_Lb1EN6thrust23THRUST_200600_302600_NS6detail15normal_iteratorINS8_10device_ptrIiEEEESD_SD_SD_jNS0_19identity_decomposerENS1_16block_id_wrapperIjLb0EEEEE10hipError_tT1_PNSt15iterator_traitsISI_E10value_typeET2_T3_PNSJ_ISO_E10value_typeET4_T5_PST_SU_PNS1_23onesweep_lookback_stateEbbT6_jjT7_P12ihipStream_tbENKUlT_T0_SI_SN_E_clISD_PiSD_S15_EEDaS11_S12_SI_SN_EUlS11_E_NS1_11comp_targetILNS1_3genE3ELNS1_11target_archE908ELNS1_3gpuE7ELNS1_3repE0EEENS1_47radix_sort_onesweep_sort_config_static_selectorELNS0_4arch9wavefront6targetE0EEEvSI_.private_seg_size, 0
	.set _ZN7rocprim17ROCPRIM_400000_NS6detail17trampoline_kernelINS0_14default_configENS1_35radix_sort_onesweep_config_selectorIiiEEZZNS1_29radix_sort_onesweep_iterationIS3_Lb1EN6thrust23THRUST_200600_302600_NS6detail15normal_iteratorINS8_10device_ptrIiEEEESD_SD_SD_jNS0_19identity_decomposerENS1_16block_id_wrapperIjLb0EEEEE10hipError_tT1_PNSt15iterator_traitsISI_E10value_typeET2_T3_PNSJ_ISO_E10value_typeET4_T5_PST_SU_PNS1_23onesweep_lookback_stateEbbT6_jjT7_P12ihipStream_tbENKUlT_T0_SI_SN_E_clISD_PiSD_S15_EEDaS11_S12_SI_SN_EUlS11_E_NS1_11comp_targetILNS1_3genE3ELNS1_11target_archE908ELNS1_3gpuE7ELNS1_3repE0EEENS1_47radix_sort_onesweep_sort_config_static_selectorELNS0_4arch9wavefront6targetE0EEEvSI_.uses_vcc, 0
	.set _ZN7rocprim17ROCPRIM_400000_NS6detail17trampoline_kernelINS0_14default_configENS1_35radix_sort_onesweep_config_selectorIiiEEZZNS1_29radix_sort_onesweep_iterationIS3_Lb1EN6thrust23THRUST_200600_302600_NS6detail15normal_iteratorINS8_10device_ptrIiEEEESD_SD_SD_jNS0_19identity_decomposerENS1_16block_id_wrapperIjLb0EEEEE10hipError_tT1_PNSt15iterator_traitsISI_E10value_typeET2_T3_PNSJ_ISO_E10value_typeET4_T5_PST_SU_PNS1_23onesweep_lookback_stateEbbT6_jjT7_P12ihipStream_tbENKUlT_T0_SI_SN_E_clISD_PiSD_S15_EEDaS11_S12_SI_SN_EUlS11_E_NS1_11comp_targetILNS1_3genE3ELNS1_11target_archE908ELNS1_3gpuE7ELNS1_3repE0EEENS1_47radix_sort_onesweep_sort_config_static_selectorELNS0_4arch9wavefront6targetE0EEEvSI_.uses_flat_scratch, 0
	.set _ZN7rocprim17ROCPRIM_400000_NS6detail17trampoline_kernelINS0_14default_configENS1_35radix_sort_onesweep_config_selectorIiiEEZZNS1_29radix_sort_onesweep_iterationIS3_Lb1EN6thrust23THRUST_200600_302600_NS6detail15normal_iteratorINS8_10device_ptrIiEEEESD_SD_SD_jNS0_19identity_decomposerENS1_16block_id_wrapperIjLb0EEEEE10hipError_tT1_PNSt15iterator_traitsISI_E10value_typeET2_T3_PNSJ_ISO_E10value_typeET4_T5_PST_SU_PNS1_23onesweep_lookback_stateEbbT6_jjT7_P12ihipStream_tbENKUlT_T0_SI_SN_E_clISD_PiSD_S15_EEDaS11_S12_SI_SN_EUlS11_E_NS1_11comp_targetILNS1_3genE3ELNS1_11target_archE908ELNS1_3gpuE7ELNS1_3repE0EEENS1_47radix_sort_onesweep_sort_config_static_selectorELNS0_4arch9wavefront6targetE0EEEvSI_.has_dyn_sized_stack, 0
	.set _ZN7rocprim17ROCPRIM_400000_NS6detail17trampoline_kernelINS0_14default_configENS1_35radix_sort_onesweep_config_selectorIiiEEZZNS1_29radix_sort_onesweep_iterationIS3_Lb1EN6thrust23THRUST_200600_302600_NS6detail15normal_iteratorINS8_10device_ptrIiEEEESD_SD_SD_jNS0_19identity_decomposerENS1_16block_id_wrapperIjLb0EEEEE10hipError_tT1_PNSt15iterator_traitsISI_E10value_typeET2_T3_PNSJ_ISO_E10value_typeET4_T5_PST_SU_PNS1_23onesweep_lookback_stateEbbT6_jjT7_P12ihipStream_tbENKUlT_T0_SI_SN_E_clISD_PiSD_S15_EEDaS11_S12_SI_SN_EUlS11_E_NS1_11comp_targetILNS1_3genE3ELNS1_11target_archE908ELNS1_3gpuE7ELNS1_3repE0EEENS1_47radix_sort_onesweep_sort_config_static_selectorELNS0_4arch9wavefront6targetE0EEEvSI_.has_recursion, 0
	.set _ZN7rocprim17ROCPRIM_400000_NS6detail17trampoline_kernelINS0_14default_configENS1_35radix_sort_onesweep_config_selectorIiiEEZZNS1_29radix_sort_onesweep_iterationIS3_Lb1EN6thrust23THRUST_200600_302600_NS6detail15normal_iteratorINS8_10device_ptrIiEEEESD_SD_SD_jNS0_19identity_decomposerENS1_16block_id_wrapperIjLb0EEEEE10hipError_tT1_PNSt15iterator_traitsISI_E10value_typeET2_T3_PNSJ_ISO_E10value_typeET4_T5_PST_SU_PNS1_23onesweep_lookback_stateEbbT6_jjT7_P12ihipStream_tbENKUlT_T0_SI_SN_E_clISD_PiSD_S15_EEDaS11_S12_SI_SN_EUlS11_E_NS1_11comp_targetILNS1_3genE3ELNS1_11target_archE908ELNS1_3gpuE7ELNS1_3repE0EEENS1_47radix_sort_onesweep_sort_config_static_selectorELNS0_4arch9wavefront6targetE0EEEvSI_.has_indirect_call, 0
	.section	.AMDGPU.csdata,"",@progbits
; Kernel info:
; codeLenInByte = 0
; TotalNumSgprs: 0
; NumVgprs: 0
; ScratchSize: 0
; MemoryBound: 0
; FloatMode: 240
; IeeeMode: 1
; LDSByteSize: 0 bytes/workgroup (compile time only)
; SGPRBlocks: 0
; VGPRBlocks: 0
; NumSGPRsForWavesPerEU: 1
; NumVGPRsForWavesPerEU: 1
; Occupancy: 16
; WaveLimiterHint : 0
; COMPUTE_PGM_RSRC2:SCRATCH_EN: 0
; COMPUTE_PGM_RSRC2:USER_SGPR: 6
; COMPUTE_PGM_RSRC2:TRAP_HANDLER: 0
; COMPUTE_PGM_RSRC2:TGID_X_EN: 1
; COMPUTE_PGM_RSRC2:TGID_Y_EN: 0
; COMPUTE_PGM_RSRC2:TGID_Z_EN: 0
; COMPUTE_PGM_RSRC2:TIDIG_COMP_CNT: 0
	.section	.text._ZN7rocprim17ROCPRIM_400000_NS6detail17trampoline_kernelINS0_14default_configENS1_35radix_sort_onesweep_config_selectorIiiEEZZNS1_29radix_sort_onesweep_iterationIS3_Lb1EN6thrust23THRUST_200600_302600_NS6detail15normal_iteratorINS8_10device_ptrIiEEEESD_SD_SD_jNS0_19identity_decomposerENS1_16block_id_wrapperIjLb0EEEEE10hipError_tT1_PNSt15iterator_traitsISI_E10value_typeET2_T3_PNSJ_ISO_E10value_typeET4_T5_PST_SU_PNS1_23onesweep_lookback_stateEbbT6_jjT7_P12ihipStream_tbENKUlT_T0_SI_SN_E_clISD_PiSD_S15_EEDaS11_S12_SI_SN_EUlS11_E_NS1_11comp_targetILNS1_3genE10ELNS1_11target_archE1201ELNS1_3gpuE5ELNS1_3repE0EEENS1_47radix_sort_onesweep_sort_config_static_selectorELNS0_4arch9wavefront6targetE0EEEvSI_,"axG",@progbits,_ZN7rocprim17ROCPRIM_400000_NS6detail17trampoline_kernelINS0_14default_configENS1_35radix_sort_onesweep_config_selectorIiiEEZZNS1_29radix_sort_onesweep_iterationIS3_Lb1EN6thrust23THRUST_200600_302600_NS6detail15normal_iteratorINS8_10device_ptrIiEEEESD_SD_SD_jNS0_19identity_decomposerENS1_16block_id_wrapperIjLb0EEEEE10hipError_tT1_PNSt15iterator_traitsISI_E10value_typeET2_T3_PNSJ_ISO_E10value_typeET4_T5_PST_SU_PNS1_23onesweep_lookback_stateEbbT6_jjT7_P12ihipStream_tbENKUlT_T0_SI_SN_E_clISD_PiSD_S15_EEDaS11_S12_SI_SN_EUlS11_E_NS1_11comp_targetILNS1_3genE10ELNS1_11target_archE1201ELNS1_3gpuE5ELNS1_3repE0EEENS1_47radix_sort_onesweep_sort_config_static_selectorELNS0_4arch9wavefront6targetE0EEEvSI_,comdat
	.protected	_ZN7rocprim17ROCPRIM_400000_NS6detail17trampoline_kernelINS0_14default_configENS1_35radix_sort_onesweep_config_selectorIiiEEZZNS1_29radix_sort_onesweep_iterationIS3_Lb1EN6thrust23THRUST_200600_302600_NS6detail15normal_iteratorINS8_10device_ptrIiEEEESD_SD_SD_jNS0_19identity_decomposerENS1_16block_id_wrapperIjLb0EEEEE10hipError_tT1_PNSt15iterator_traitsISI_E10value_typeET2_T3_PNSJ_ISO_E10value_typeET4_T5_PST_SU_PNS1_23onesweep_lookback_stateEbbT6_jjT7_P12ihipStream_tbENKUlT_T0_SI_SN_E_clISD_PiSD_S15_EEDaS11_S12_SI_SN_EUlS11_E_NS1_11comp_targetILNS1_3genE10ELNS1_11target_archE1201ELNS1_3gpuE5ELNS1_3repE0EEENS1_47radix_sort_onesweep_sort_config_static_selectorELNS0_4arch9wavefront6targetE0EEEvSI_ ; -- Begin function _ZN7rocprim17ROCPRIM_400000_NS6detail17trampoline_kernelINS0_14default_configENS1_35radix_sort_onesweep_config_selectorIiiEEZZNS1_29radix_sort_onesweep_iterationIS3_Lb1EN6thrust23THRUST_200600_302600_NS6detail15normal_iteratorINS8_10device_ptrIiEEEESD_SD_SD_jNS0_19identity_decomposerENS1_16block_id_wrapperIjLb0EEEEE10hipError_tT1_PNSt15iterator_traitsISI_E10value_typeET2_T3_PNSJ_ISO_E10value_typeET4_T5_PST_SU_PNS1_23onesweep_lookback_stateEbbT6_jjT7_P12ihipStream_tbENKUlT_T0_SI_SN_E_clISD_PiSD_S15_EEDaS11_S12_SI_SN_EUlS11_E_NS1_11comp_targetILNS1_3genE10ELNS1_11target_archE1201ELNS1_3gpuE5ELNS1_3repE0EEENS1_47radix_sort_onesweep_sort_config_static_selectorELNS0_4arch9wavefront6targetE0EEEvSI_
	.globl	_ZN7rocprim17ROCPRIM_400000_NS6detail17trampoline_kernelINS0_14default_configENS1_35radix_sort_onesweep_config_selectorIiiEEZZNS1_29radix_sort_onesweep_iterationIS3_Lb1EN6thrust23THRUST_200600_302600_NS6detail15normal_iteratorINS8_10device_ptrIiEEEESD_SD_SD_jNS0_19identity_decomposerENS1_16block_id_wrapperIjLb0EEEEE10hipError_tT1_PNSt15iterator_traitsISI_E10value_typeET2_T3_PNSJ_ISO_E10value_typeET4_T5_PST_SU_PNS1_23onesweep_lookback_stateEbbT6_jjT7_P12ihipStream_tbENKUlT_T0_SI_SN_E_clISD_PiSD_S15_EEDaS11_S12_SI_SN_EUlS11_E_NS1_11comp_targetILNS1_3genE10ELNS1_11target_archE1201ELNS1_3gpuE5ELNS1_3repE0EEENS1_47radix_sort_onesweep_sort_config_static_selectorELNS0_4arch9wavefront6targetE0EEEvSI_
	.p2align	8
	.type	_ZN7rocprim17ROCPRIM_400000_NS6detail17trampoline_kernelINS0_14default_configENS1_35radix_sort_onesweep_config_selectorIiiEEZZNS1_29radix_sort_onesweep_iterationIS3_Lb1EN6thrust23THRUST_200600_302600_NS6detail15normal_iteratorINS8_10device_ptrIiEEEESD_SD_SD_jNS0_19identity_decomposerENS1_16block_id_wrapperIjLb0EEEEE10hipError_tT1_PNSt15iterator_traitsISI_E10value_typeET2_T3_PNSJ_ISO_E10value_typeET4_T5_PST_SU_PNS1_23onesweep_lookback_stateEbbT6_jjT7_P12ihipStream_tbENKUlT_T0_SI_SN_E_clISD_PiSD_S15_EEDaS11_S12_SI_SN_EUlS11_E_NS1_11comp_targetILNS1_3genE10ELNS1_11target_archE1201ELNS1_3gpuE5ELNS1_3repE0EEENS1_47radix_sort_onesweep_sort_config_static_selectorELNS0_4arch9wavefront6targetE0EEEvSI_,@function
_ZN7rocprim17ROCPRIM_400000_NS6detail17trampoline_kernelINS0_14default_configENS1_35radix_sort_onesweep_config_selectorIiiEEZZNS1_29radix_sort_onesweep_iterationIS3_Lb1EN6thrust23THRUST_200600_302600_NS6detail15normal_iteratorINS8_10device_ptrIiEEEESD_SD_SD_jNS0_19identity_decomposerENS1_16block_id_wrapperIjLb0EEEEE10hipError_tT1_PNSt15iterator_traitsISI_E10value_typeET2_T3_PNSJ_ISO_E10value_typeET4_T5_PST_SU_PNS1_23onesweep_lookback_stateEbbT6_jjT7_P12ihipStream_tbENKUlT_T0_SI_SN_E_clISD_PiSD_S15_EEDaS11_S12_SI_SN_EUlS11_E_NS1_11comp_targetILNS1_3genE10ELNS1_11target_archE1201ELNS1_3gpuE5ELNS1_3repE0EEENS1_47radix_sort_onesweep_sort_config_static_selectorELNS0_4arch9wavefront6targetE0EEEvSI_: ; @_ZN7rocprim17ROCPRIM_400000_NS6detail17trampoline_kernelINS0_14default_configENS1_35radix_sort_onesweep_config_selectorIiiEEZZNS1_29radix_sort_onesweep_iterationIS3_Lb1EN6thrust23THRUST_200600_302600_NS6detail15normal_iteratorINS8_10device_ptrIiEEEESD_SD_SD_jNS0_19identity_decomposerENS1_16block_id_wrapperIjLb0EEEEE10hipError_tT1_PNSt15iterator_traitsISI_E10value_typeET2_T3_PNSJ_ISO_E10value_typeET4_T5_PST_SU_PNS1_23onesweep_lookback_stateEbbT6_jjT7_P12ihipStream_tbENKUlT_T0_SI_SN_E_clISD_PiSD_S15_EEDaS11_S12_SI_SN_EUlS11_E_NS1_11comp_targetILNS1_3genE10ELNS1_11target_archE1201ELNS1_3gpuE5ELNS1_3repE0EEENS1_47radix_sort_onesweep_sort_config_static_selectorELNS0_4arch9wavefront6targetE0EEEvSI_
; %bb.0:
	.section	.rodata,"a",@progbits
	.p2align	6, 0x0
	.amdhsa_kernel _ZN7rocprim17ROCPRIM_400000_NS6detail17trampoline_kernelINS0_14default_configENS1_35radix_sort_onesweep_config_selectorIiiEEZZNS1_29radix_sort_onesweep_iterationIS3_Lb1EN6thrust23THRUST_200600_302600_NS6detail15normal_iteratorINS8_10device_ptrIiEEEESD_SD_SD_jNS0_19identity_decomposerENS1_16block_id_wrapperIjLb0EEEEE10hipError_tT1_PNSt15iterator_traitsISI_E10value_typeET2_T3_PNSJ_ISO_E10value_typeET4_T5_PST_SU_PNS1_23onesweep_lookback_stateEbbT6_jjT7_P12ihipStream_tbENKUlT_T0_SI_SN_E_clISD_PiSD_S15_EEDaS11_S12_SI_SN_EUlS11_E_NS1_11comp_targetILNS1_3genE10ELNS1_11target_archE1201ELNS1_3gpuE5ELNS1_3repE0EEENS1_47radix_sort_onesweep_sort_config_static_selectorELNS0_4arch9wavefront6targetE0EEEvSI_
		.amdhsa_group_segment_fixed_size 0
		.amdhsa_private_segment_fixed_size 0
		.amdhsa_kernarg_size 88
		.amdhsa_user_sgpr_count 6
		.amdhsa_user_sgpr_private_segment_buffer 1
		.amdhsa_user_sgpr_dispatch_ptr 0
		.amdhsa_user_sgpr_queue_ptr 0
		.amdhsa_user_sgpr_kernarg_segment_ptr 1
		.amdhsa_user_sgpr_dispatch_id 0
		.amdhsa_user_sgpr_flat_scratch_init 0
		.amdhsa_user_sgpr_private_segment_size 0
		.amdhsa_wavefront_size32 1
		.amdhsa_uses_dynamic_stack 0
		.amdhsa_system_sgpr_private_segment_wavefront_offset 0
		.amdhsa_system_sgpr_workgroup_id_x 1
		.amdhsa_system_sgpr_workgroup_id_y 0
		.amdhsa_system_sgpr_workgroup_id_z 0
		.amdhsa_system_sgpr_workgroup_info 0
		.amdhsa_system_vgpr_workitem_id 0
		.amdhsa_next_free_vgpr 1
		.amdhsa_next_free_sgpr 1
		.amdhsa_reserve_vcc 0
		.amdhsa_reserve_flat_scratch 0
		.amdhsa_float_round_mode_32 0
		.amdhsa_float_round_mode_16_64 0
		.amdhsa_float_denorm_mode_32 3
		.amdhsa_float_denorm_mode_16_64 3
		.amdhsa_dx10_clamp 1
		.amdhsa_ieee_mode 1
		.amdhsa_fp16_overflow 0
		.amdhsa_workgroup_processor_mode 1
		.amdhsa_memory_ordered 1
		.amdhsa_forward_progress 1
		.amdhsa_shared_vgpr_count 0
		.amdhsa_exception_fp_ieee_invalid_op 0
		.amdhsa_exception_fp_denorm_src 0
		.amdhsa_exception_fp_ieee_div_zero 0
		.amdhsa_exception_fp_ieee_overflow 0
		.amdhsa_exception_fp_ieee_underflow 0
		.amdhsa_exception_fp_ieee_inexact 0
		.amdhsa_exception_int_div_zero 0
	.end_amdhsa_kernel
	.section	.text._ZN7rocprim17ROCPRIM_400000_NS6detail17trampoline_kernelINS0_14default_configENS1_35radix_sort_onesweep_config_selectorIiiEEZZNS1_29radix_sort_onesweep_iterationIS3_Lb1EN6thrust23THRUST_200600_302600_NS6detail15normal_iteratorINS8_10device_ptrIiEEEESD_SD_SD_jNS0_19identity_decomposerENS1_16block_id_wrapperIjLb0EEEEE10hipError_tT1_PNSt15iterator_traitsISI_E10value_typeET2_T3_PNSJ_ISO_E10value_typeET4_T5_PST_SU_PNS1_23onesweep_lookback_stateEbbT6_jjT7_P12ihipStream_tbENKUlT_T0_SI_SN_E_clISD_PiSD_S15_EEDaS11_S12_SI_SN_EUlS11_E_NS1_11comp_targetILNS1_3genE10ELNS1_11target_archE1201ELNS1_3gpuE5ELNS1_3repE0EEENS1_47radix_sort_onesweep_sort_config_static_selectorELNS0_4arch9wavefront6targetE0EEEvSI_,"axG",@progbits,_ZN7rocprim17ROCPRIM_400000_NS6detail17trampoline_kernelINS0_14default_configENS1_35radix_sort_onesweep_config_selectorIiiEEZZNS1_29radix_sort_onesweep_iterationIS3_Lb1EN6thrust23THRUST_200600_302600_NS6detail15normal_iteratorINS8_10device_ptrIiEEEESD_SD_SD_jNS0_19identity_decomposerENS1_16block_id_wrapperIjLb0EEEEE10hipError_tT1_PNSt15iterator_traitsISI_E10value_typeET2_T3_PNSJ_ISO_E10value_typeET4_T5_PST_SU_PNS1_23onesweep_lookback_stateEbbT6_jjT7_P12ihipStream_tbENKUlT_T0_SI_SN_E_clISD_PiSD_S15_EEDaS11_S12_SI_SN_EUlS11_E_NS1_11comp_targetILNS1_3genE10ELNS1_11target_archE1201ELNS1_3gpuE5ELNS1_3repE0EEENS1_47radix_sort_onesweep_sort_config_static_selectorELNS0_4arch9wavefront6targetE0EEEvSI_,comdat
.Lfunc_end1041:
	.size	_ZN7rocprim17ROCPRIM_400000_NS6detail17trampoline_kernelINS0_14default_configENS1_35radix_sort_onesweep_config_selectorIiiEEZZNS1_29radix_sort_onesweep_iterationIS3_Lb1EN6thrust23THRUST_200600_302600_NS6detail15normal_iteratorINS8_10device_ptrIiEEEESD_SD_SD_jNS0_19identity_decomposerENS1_16block_id_wrapperIjLb0EEEEE10hipError_tT1_PNSt15iterator_traitsISI_E10value_typeET2_T3_PNSJ_ISO_E10value_typeET4_T5_PST_SU_PNS1_23onesweep_lookback_stateEbbT6_jjT7_P12ihipStream_tbENKUlT_T0_SI_SN_E_clISD_PiSD_S15_EEDaS11_S12_SI_SN_EUlS11_E_NS1_11comp_targetILNS1_3genE10ELNS1_11target_archE1201ELNS1_3gpuE5ELNS1_3repE0EEENS1_47radix_sort_onesweep_sort_config_static_selectorELNS0_4arch9wavefront6targetE0EEEvSI_, .Lfunc_end1041-_ZN7rocprim17ROCPRIM_400000_NS6detail17trampoline_kernelINS0_14default_configENS1_35radix_sort_onesweep_config_selectorIiiEEZZNS1_29radix_sort_onesweep_iterationIS3_Lb1EN6thrust23THRUST_200600_302600_NS6detail15normal_iteratorINS8_10device_ptrIiEEEESD_SD_SD_jNS0_19identity_decomposerENS1_16block_id_wrapperIjLb0EEEEE10hipError_tT1_PNSt15iterator_traitsISI_E10value_typeET2_T3_PNSJ_ISO_E10value_typeET4_T5_PST_SU_PNS1_23onesweep_lookback_stateEbbT6_jjT7_P12ihipStream_tbENKUlT_T0_SI_SN_E_clISD_PiSD_S15_EEDaS11_S12_SI_SN_EUlS11_E_NS1_11comp_targetILNS1_3genE10ELNS1_11target_archE1201ELNS1_3gpuE5ELNS1_3repE0EEENS1_47radix_sort_onesweep_sort_config_static_selectorELNS0_4arch9wavefront6targetE0EEEvSI_
                                        ; -- End function
	.set _ZN7rocprim17ROCPRIM_400000_NS6detail17trampoline_kernelINS0_14default_configENS1_35radix_sort_onesweep_config_selectorIiiEEZZNS1_29radix_sort_onesweep_iterationIS3_Lb1EN6thrust23THRUST_200600_302600_NS6detail15normal_iteratorINS8_10device_ptrIiEEEESD_SD_SD_jNS0_19identity_decomposerENS1_16block_id_wrapperIjLb0EEEEE10hipError_tT1_PNSt15iterator_traitsISI_E10value_typeET2_T3_PNSJ_ISO_E10value_typeET4_T5_PST_SU_PNS1_23onesweep_lookback_stateEbbT6_jjT7_P12ihipStream_tbENKUlT_T0_SI_SN_E_clISD_PiSD_S15_EEDaS11_S12_SI_SN_EUlS11_E_NS1_11comp_targetILNS1_3genE10ELNS1_11target_archE1201ELNS1_3gpuE5ELNS1_3repE0EEENS1_47radix_sort_onesweep_sort_config_static_selectorELNS0_4arch9wavefront6targetE0EEEvSI_.num_vgpr, 0
	.set _ZN7rocprim17ROCPRIM_400000_NS6detail17trampoline_kernelINS0_14default_configENS1_35radix_sort_onesweep_config_selectorIiiEEZZNS1_29radix_sort_onesweep_iterationIS3_Lb1EN6thrust23THRUST_200600_302600_NS6detail15normal_iteratorINS8_10device_ptrIiEEEESD_SD_SD_jNS0_19identity_decomposerENS1_16block_id_wrapperIjLb0EEEEE10hipError_tT1_PNSt15iterator_traitsISI_E10value_typeET2_T3_PNSJ_ISO_E10value_typeET4_T5_PST_SU_PNS1_23onesweep_lookback_stateEbbT6_jjT7_P12ihipStream_tbENKUlT_T0_SI_SN_E_clISD_PiSD_S15_EEDaS11_S12_SI_SN_EUlS11_E_NS1_11comp_targetILNS1_3genE10ELNS1_11target_archE1201ELNS1_3gpuE5ELNS1_3repE0EEENS1_47radix_sort_onesweep_sort_config_static_selectorELNS0_4arch9wavefront6targetE0EEEvSI_.num_agpr, 0
	.set _ZN7rocprim17ROCPRIM_400000_NS6detail17trampoline_kernelINS0_14default_configENS1_35radix_sort_onesweep_config_selectorIiiEEZZNS1_29radix_sort_onesweep_iterationIS3_Lb1EN6thrust23THRUST_200600_302600_NS6detail15normal_iteratorINS8_10device_ptrIiEEEESD_SD_SD_jNS0_19identity_decomposerENS1_16block_id_wrapperIjLb0EEEEE10hipError_tT1_PNSt15iterator_traitsISI_E10value_typeET2_T3_PNSJ_ISO_E10value_typeET4_T5_PST_SU_PNS1_23onesweep_lookback_stateEbbT6_jjT7_P12ihipStream_tbENKUlT_T0_SI_SN_E_clISD_PiSD_S15_EEDaS11_S12_SI_SN_EUlS11_E_NS1_11comp_targetILNS1_3genE10ELNS1_11target_archE1201ELNS1_3gpuE5ELNS1_3repE0EEENS1_47radix_sort_onesweep_sort_config_static_selectorELNS0_4arch9wavefront6targetE0EEEvSI_.numbered_sgpr, 0
	.set _ZN7rocprim17ROCPRIM_400000_NS6detail17trampoline_kernelINS0_14default_configENS1_35radix_sort_onesweep_config_selectorIiiEEZZNS1_29radix_sort_onesweep_iterationIS3_Lb1EN6thrust23THRUST_200600_302600_NS6detail15normal_iteratorINS8_10device_ptrIiEEEESD_SD_SD_jNS0_19identity_decomposerENS1_16block_id_wrapperIjLb0EEEEE10hipError_tT1_PNSt15iterator_traitsISI_E10value_typeET2_T3_PNSJ_ISO_E10value_typeET4_T5_PST_SU_PNS1_23onesweep_lookback_stateEbbT6_jjT7_P12ihipStream_tbENKUlT_T0_SI_SN_E_clISD_PiSD_S15_EEDaS11_S12_SI_SN_EUlS11_E_NS1_11comp_targetILNS1_3genE10ELNS1_11target_archE1201ELNS1_3gpuE5ELNS1_3repE0EEENS1_47radix_sort_onesweep_sort_config_static_selectorELNS0_4arch9wavefront6targetE0EEEvSI_.num_named_barrier, 0
	.set _ZN7rocprim17ROCPRIM_400000_NS6detail17trampoline_kernelINS0_14default_configENS1_35radix_sort_onesweep_config_selectorIiiEEZZNS1_29radix_sort_onesweep_iterationIS3_Lb1EN6thrust23THRUST_200600_302600_NS6detail15normal_iteratorINS8_10device_ptrIiEEEESD_SD_SD_jNS0_19identity_decomposerENS1_16block_id_wrapperIjLb0EEEEE10hipError_tT1_PNSt15iterator_traitsISI_E10value_typeET2_T3_PNSJ_ISO_E10value_typeET4_T5_PST_SU_PNS1_23onesweep_lookback_stateEbbT6_jjT7_P12ihipStream_tbENKUlT_T0_SI_SN_E_clISD_PiSD_S15_EEDaS11_S12_SI_SN_EUlS11_E_NS1_11comp_targetILNS1_3genE10ELNS1_11target_archE1201ELNS1_3gpuE5ELNS1_3repE0EEENS1_47radix_sort_onesweep_sort_config_static_selectorELNS0_4arch9wavefront6targetE0EEEvSI_.private_seg_size, 0
	.set _ZN7rocprim17ROCPRIM_400000_NS6detail17trampoline_kernelINS0_14default_configENS1_35radix_sort_onesweep_config_selectorIiiEEZZNS1_29radix_sort_onesweep_iterationIS3_Lb1EN6thrust23THRUST_200600_302600_NS6detail15normal_iteratorINS8_10device_ptrIiEEEESD_SD_SD_jNS0_19identity_decomposerENS1_16block_id_wrapperIjLb0EEEEE10hipError_tT1_PNSt15iterator_traitsISI_E10value_typeET2_T3_PNSJ_ISO_E10value_typeET4_T5_PST_SU_PNS1_23onesweep_lookback_stateEbbT6_jjT7_P12ihipStream_tbENKUlT_T0_SI_SN_E_clISD_PiSD_S15_EEDaS11_S12_SI_SN_EUlS11_E_NS1_11comp_targetILNS1_3genE10ELNS1_11target_archE1201ELNS1_3gpuE5ELNS1_3repE0EEENS1_47radix_sort_onesweep_sort_config_static_selectorELNS0_4arch9wavefront6targetE0EEEvSI_.uses_vcc, 0
	.set _ZN7rocprim17ROCPRIM_400000_NS6detail17trampoline_kernelINS0_14default_configENS1_35radix_sort_onesweep_config_selectorIiiEEZZNS1_29radix_sort_onesweep_iterationIS3_Lb1EN6thrust23THRUST_200600_302600_NS6detail15normal_iteratorINS8_10device_ptrIiEEEESD_SD_SD_jNS0_19identity_decomposerENS1_16block_id_wrapperIjLb0EEEEE10hipError_tT1_PNSt15iterator_traitsISI_E10value_typeET2_T3_PNSJ_ISO_E10value_typeET4_T5_PST_SU_PNS1_23onesweep_lookback_stateEbbT6_jjT7_P12ihipStream_tbENKUlT_T0_SI_SN_E_clISD_PiSD_S15_EEDaS11_S12_SI_SN_EUlS11_E_NS1_11comp_targetILNS1_3genE10ELNS1_11target_archE1201ELNS1_3gpuE5ELNS1_3repE0EEENS1_47radix_sort_onesweep_sort_config_static_selectorELNS0_4arch9wavefront6targetE0EEEvSI_.uses_flat_scratch, 0
	.set _ZN7rocprim17ROCPRIM_400000_NS6detail17trampoline_kernelINS0_14default_configENS1_35radix_sort_onesweep_config_selectorIiiEEZZNS1_29radix_sort_onesweep_iterationIS3_Lb1EN6thrust23THRUST_200600_302600_NS6detail15normal_iteratorINS8_10device_ptrIiEEEESD_SD_SD_jNS0_19identity_decomposerENS1_16block_id_wrapperIjLb0EEEEE10hipError_tT1_PNSt15iterator_traitsISI_E10value_typeET2_T3_PNSJ_ISO_E10value_typeET4_T5_PST_SU_PNS1_23onesweep_lookback_stateEbbT6_jjT7_P12ihipStream_tbENKUlT_T0_SI_SN_E_clISD_PiSD_S15_EEDaS11_S12_SI_SN_EUlS11_E_NS1_11comp_targetILNS1_3genE10ELNS1_11target_archE1201ELNS1_3gpuE5ELNS1_3repE0EEENS1_47radix_sort_onesweep_sort_config_static_selectorELNS0_4arch9wavefront6targetE0EEEvSI_.has_dyn_sized_stack, 0
	.set _ZN7rocprim17ROCPRIM_400000_NS6detail17trampoline_kernelINS0_14default_configENS1_35radix_sort_onesweep_config_selectorIiiEEZZNS1_29radix_sort_onesweep_iterationIS3_Lb1EN6thrust23THRUST_200600_302600_NS6detail15normal_iteratorINS8_10device_ptrIiEEEESD_SD_SD_jNS0_19identity_decomposerENS1_16block_id_wrapperIjLb0EEEEE10hipError_tT1_PNSt15iterator_traitsISI_E10value_typeET2_T3_PNSJ_ISO_E10value_typeET4_T5_PST_SU_PNS1_23onesweep_lookback_stateEbbT6_jjT7_P12ihipStream_tbENKUlT_T0_SI_SN_E_clISD_PiSD_S15_EEDaS11_S12_SI_SN_EUlS11_E_NS1_11comp_targetILNS1_3genE10ELNS1_11target_archE1201ELNS1_3gpuE5ELNS1_3repE0EEENS1_47radix_sort_onesweep_sort_config_static_selectorELNS0_4arch9wavefront6targetE0EEEvSI_.has_recursion, 0
	.set _ZN7rocprim17ROCPRIM_400000_NS6detail17trampoline_kernelINS0_14default_configENS1_35radix_sort_onesweep_config_selectorIiiEEZZNS1_29radix_sort_onesweep_iterationIS3_Lb1EN6thrust23THRUST_200600_302600_NS6detail15normal_iteratorINS8_10device_ptrIiEEEESD_SD_SD_jNS0_19identity_decomposerENS1_16block_id_wrapperIjLb0EEEEE10hipError_tT1_PNSt15iterator_traitsISI_E10value_typeET2_T3_PNSJ_ISO_E10value_typeET4_T5_PST_SU_PNS1_23onesweep_lookback_stateEbbT6_jjT7_P12ihipStream_tbENKUlT_T0_SI_SN_E_clISD_PiSD_S15_EEDaS11_S12_SI_SN_EUlS11_E_NS1_11comp_targetILNS1_3genE10ELNS1_11target_archE1201ELNS1_3gpuE5ELNS1_3repE0EEENS1_47radix_sort_onesweep_sort_config_static_selectorELNS0_4arch9wavefront6targetE0EEEvSI_.has_indirect_call, 0
	.section	.AMDGPU.csdata,"",@progbits
; Kernel info:
; codeLenInByte = 0
; TotalNumSgprs: 0
; NumVgprs: 0
; ScratchSize: 0
; MemoryBound: 0
; FloatMode: 240
; IeeeMode: 1
; LDSByteSize: 0 bytes/workgroup (compile time only)
; SGPRBlocks: 0
; VGPRBlocks: 0
; NumSGPRsForWavesPerEU: 1
; NumVGPRsForWavesPerEU: 1
; Occupancy: 16
; WaveLimiterHint : 0
; COMPUTE_PGM_RSRC2:SCRATCH_EN: 0
; COMPUTE_PGM_RSRC2:USER_SGPR: 6
; COMPUTE_PGM_RSRC2:TRAP_HANDLER: 0
; COMPUTE_PGM_RSRC2:TGID_X_EN: 1
; COMPUTE_PGM_RSRC2:TGID_Y_EN: 0
; COMPUTE_PGM_RSRC2:TGID_Z_EN: 0
; COMPUTE_PGM_RSRC2:TIDIG_COMP_CNT: 0
	.section	.text._ZN7rocprim17ROCPRIM_400000_NS6detail17trampoline_kernelINS0_14default_configENS1_35radix_sort_onesweep_config_selectorIiiEEZZNS1_29radix_sort_onesweep_iterationIS3_Lb1EN6thrust23THRUST_200600_302600_NS6detail15normal_iteratorINS8_10device_ptrIiEEEESD_SD_SD_jNS0_19identity_decomposerENS1_16block_id_wrapperIjLb0EEEEE10hipError_tT1_PNSt15iterator_traitsISI_E10value_typeET2_T3_PNSJ_ISO_E10value_typeET4_T5_PST_SU_PNS1_23onesweep_lookback_stateEbbT6_jjT7_P12ihipStream_tbENKUlT_T0_SI_SN_E_clISD_PiSD_S15_EEDaS11_S12_SI_SN_EUlS11_E_NS1_11comp_targetILNS1_3genE9ELNS1_11target_archE1100ELNS1_3gpuE3ELNS1_3repE0EEENS1_47radix_sort_onesweep_sort_config_static_selectorELNS0_4arch9wavefront6targetE0EEEvSI_,"axG",@progbits,_ZN7rocprim17ROCPRIM_400000_NS6detail17trampoline_kernelINS0_14default_configENS1_35radix_sort_onesweep_config_selectorIiiEEZZNS1_29radix_sort_onesweep_iterationIS3_Lb1EN6thrust23THRUST_200600_302600_NS6detail15normal_iteratorINS8_10device_ptrIiEEEESD_SD_SD_jNS0_19identity_decomposerENS1_16block_id_wrapperIjLb0EEEEE10hipError_tT1_PNSt15iterator_traitsISI_E10value_typeET2_T3_PNSJ_ISO_E10value_typeET4_T5_PST_SU_PNS1_23onesweep_lookback_stateEbbT6_jjT7_P12ihipStream_tbENKUlT_T0_SI_SN_E_clISD_PiSD_S15_EEDaS11_S12_SI_SN_EUlS11_E_NS1_11comp_targetILNS1_3genE9ELNS1_11target_archE1100ELNS1_3gpuE3ELNS1_3repE0EEENS1_47radix_sort_onesweep_sort_config_static_selectorELNS0_4arch9wavefront6targetE0EEEvSI_,comdat
	.protected	_ZN7rocprim17ROCPRIM_400000_NS6detail17trampoline_kernelINS0_14default_configENS1_35radix_sort_onesweep_config_selectorIiiEEZZNS1_29radix_sort_onesweep_iterationIS3_Lb1EN6thrust23THRUST_200600_302600_NS6detail15normal_iteratorINS8_10device_ptrIiEEEESD_SD_SD_jNS0_19identity_decomposerENS1_16block_id_wrapperIjLb0EEEEE10hipError_tT1_PNSt15iterator_traitsISI_E10value_typeET2_T3_PNSJ_ISO_E10value_typeET4_T5_PST_SU_PNS1_23onesweep_lookback_stateEbbT6_jjT7_P12ihipStream_tbENKUlT_T0_SI_SN_E_clISD_PiSD_S15_EEDaS11_S12_SI_SN_EUlS11_E_NS1_11comp_targetILNS1_3genE9ELNS1_11target_archE1100ELNS1_3gpuE3ELNS1_3repE0EEENS1_47radix_sort_onesweep_sort_config_static_selectorELNS0_4arch9wavefront6targetE0EEEvSI_ ; -- Begin function _ZN7rocprim17ROCPRIM_400000_NS6detail17trampoline_kernelINS0_14default_configENS1_35radix_sort_onesweep_config_selectorIiiEEZZNS1_29radix_sort_onesweep_iterationIS3_Lb1EN6thrust23THRUST_200600_302600_NS6detail15normal_iteratorINS8_10device_ptrIiEEEESD_SD_SD_jNS0_19identity_decomposerENS1_16block_id_wrapperIjLb0EEEEE10hipError_tT1_PNSt15iterator_traitsISI_E10value_typeET2_T3_PNSJ_ISO_E10value_typeET4_T5_PST_SU_PNS1_23onesweep_lookback_stateEbbT6_jjT7_P12ihipStream_tbENKUlT_T0_SI_SN_E_clISD_PiSD_S15_EEDaS11_S12_SI_SN_EUlS11_E_NS1_11comp_targetILNS1_3genE9ELNS1_11target_archE1100ELNS1_3gpuE3ELNS1_3repE0EEENS1_47radix_sort_onesweep_sort_config_static_selectorELNS0_4arch9wavefront6targetE0EEEvSI_
	.globl	_ZN7rocprim17ROCPRIM_400000_NS6detail17trampoline_kernelINS0_14default_configENS1_35radix_sort_onesweep_config_selectorIiiEEZZNS1_29radix_sort_onesweep_iterationIS3_Lb1EN6thrust23THRUST_200600_302600_NS6detail15normal_iteratorINS8_10device_ptrIiEEEESD_SD_SD_jNS0_19identity_decomposerENS1_16block_id_wrapperIjLb0EEEEE10hipError_tT1_PNSt15iterator_traitsISI_E10value_typeET2_T3_PNSJ_ISO_E10value_typeET4_T5_PST_SU_PNS1_23onesweep_lookback_stateEbbT6_jjT7_P12ihipStream_tbENKUlT_T0_SI_SN_E_clISD_PiSD_S15_EEDaS11_S12_SI_SN_EUlS11_E_NS1_11comp_targetILNS1_3genE9ELNS1_11target_archE1100ELNS1_3gpuE3ELNS1_3repE0EEENS1_47radix_sort_onesweep_sort_config_static_selectorELNS0_4arch9wavefront6targetE0EEEvSI_
	.p2align	8
	.type	_ZN7rocprim17ROCPRIM_400000_NS6detail17trampoline_kernelINS0_14default_configENS1_35radix_sort_onesweep_config_selectorIiiEEZZNS1_29radix_sort_onesweep_iterationIS3_Lb1EN6thrust23THRUST_200600_302600_NS6detail15normal_iteratorINS8_10device_ptrIiEEEESD_SD_SD_jNS0_19identity_decomposerENS1_16block_id_wrapperIjLb0EEEEE10hipError_tT1_PNSt15iterator_traitsISI_E10value_typeET2_T3_PNSJ_ISO_E10value_typeET4_T5_PST_SU_PNS1_23onesweep_lookback_stateEbbT6_jjT7_P12ihipStream_tbENKUlT_T0_SI_SN_E_clISD_PiSD_S15_EEDaS11_S12_SI_SN_EUlS11_E_NS1_11comp_targetILNS1_3genE9ELNS1_11target_archE1100ELNS1_3gpuE3ELNS1_3repE0EEENS1_47radix_sort_onesweep_sort_config_static_selectorELNS0_4arch9wavefront6targetE0EEEvSI_,@function
_ZN7rocprim17ROCPRIM_400000_NS6detail17trampoline_kernelINS0_14default_configENS1_35radix_sort_onesweep_config_selectorIiiEEZZNS1_29radix_sort_onesweep_iterationIS3_Lb1EN6thrust23THRUST_200600_302600_NS6detail15normal_iteratorINS8_10device_ptrIiEEEESD_SD_SD_jNS0_19identity_decomposerENS1_16block_id_wrapperIjLb0EEEEE10hipError_tT1_PNSt15iterator_traitsISI_E10value_typeET2_T3_PNSJ_ISO_E10value_typeET4_T5_PST_SU_PNS1_23onesweep_lookback_stateEbbT6_jjT7_P12ihipStream_tbENKUlT_T0_SI_SN_E_clISD_PiSD_S15_EEDaS11_S12_SI_SN_EUlS11_E_NS1_11comp_targetILNS1_3genE9ELNS1_11target_archE1100ELNS1_3gpuE3ELNS1_3repE0EEENS1_47radix_sort_onesweep_sort_config_static_selectorELNS0_4arch9wavefront6targetE0EEEvSI_: ; @_ZN7rocprim17ROCPRIM_400000_NS6detail17trampoline_kernelINS0_14default_configENS1_35radix_sort_onesweep_config_selectorIiiEEZZNS1_29radix_sort_onesweep_iterationIS3_Lb1EN6thrust23THRUST_200600_302600_NS6detail15normal_iteratorINS8_10device_ptrIiEEEESD_SD_SD_jNS0_19identity_decomposerENS1_16block_id_wrapperIjLb0EEEEE10hipError_tT1_PNSt15iterator_traitsISI_E10value_typeET2_T3_PNSJ_ISO_E10value_typeET4_T5_PST_SU_PNS1_23onesweep_lookback_stateEbbT6_jjT7_P12ihipStream_tbENKUlT_T0_SI_SN_E_clISD_PiSD_S15_EEDaS11_S12_SI_SN_EUlS11_E_NS1_11comp_targetILNS1_3genE9ELNS1_11target_archE1100ELNS1_3gpuE3ELNS1_3repE0EEENS1_47radix_sort_onesweep_sort_config_static_selectorELNS0_4arch9wavefront6targetE0EEEvSI_
; %bb.0:
	.section	.rodata,"a",@progbits
	.p2align	6, 0x0
	.amdhsa_kernel _ZN7rocprim17ROCPRIM_400000_NS6detail17trampoline_kernelINS0_14default_configENS1_35radix_sort_onesweep_config_selectorIiiEEZZNS1_29radix_sort_onesweep_iterationIS3_Lb1EN6thrust23THRUST_200600_302600_NS6detail15normal_iteratorINS8_10device_ptrIiEEEESD_SD_SD_jNS0_19identity_decomposerENS1_16block_id_wrapperIjLb0EEEEE10hipError_tT1_PNSt15iterator_traitsISI_E10value_typeET2_T3_PNSJ_ISO_E10value_typeET4_T5_PST_SU_PNS1_23onesweep_lookback_stateEbbT6_jjT7_P12ihipStream_tbENKUlT_T0_SI_SN_E_clISD_PiSD_S15_EEDaS11_S12_SI_SN_EUlS11_E_NS1_11comp_targetILNS1_3genE9ELNS1_11target_archE1100ELNS1_3gpuE3ELNS1_3repE0EEENS1_47radix_sort_onesweep_sort_config_static_selectorELNS0_4arch9wavefront6targetE0EEEvSI_
		.amdhsa_group_segment_fixed_size 0
		.amdhsa_private_segment_fixed_size 0
		.amdhsa_kernarg_size 88
		.amdhsa_user_sgpr_count 6
		.amdhsa_user_sgpr_private_segment_buffer 1
		.amdhsa_user_sgpr_dispatch_ptr 0
		.amdhsa_user_sgpr_queue_ptr 0
		.amdhsa_user_sgpr_kernarg_segment_ptr 1
		.amdhsa_user_sgpr_dispatch_id 0
		.amdhsa_user_sgpr_flat_scratch_init 0
		.amdhsa_user_sgpr_private_segment_size 0
		.amdhsa_wavefront_size32 1
		.amdhsa_uses_dynamic_stack 0
		.amdhsa_system_sgpr_private_segment_wavefront_offset 0
		.amdhsa_system_sgpr_workgroup_id_x 1
		.amdhsa_system_sgpr_workgroup_id_y 0
		.amdhsa_system_sgpr_workgroup_id_z 0
		.amdhsa_system_sgpr_workgroup_info 0
		.amdhsa_system_vgpr_workitem_id 0
		.amdhsa_next_free_vgpr 1
		.amdhsa_next_free_sgpr 1
		.amdhsa_reserve_vcc 0
		.amdhsa_reserve_flat_scratch 0
		.amdhsa_float_round_mode_32 0
		.amdhsa_float_round_mode_16_64 0
		.amdhsa_float_denorm_mode_32 3
		.amdhsa_float_denorm_mode_16_64 3
		.amdhsa_dx10_clamp 1
		.amdhsa_ieee_mode 1
		.amdhsa_fp16_overflow 0
		.amdhsa_workgroup_processor_mode 1
		.amdhsa_memory_ordered 1
		.amdhsa_forward_progress 1
		.amdhsa_shared_vgpr_count 0
		.amdhsa_exception_fp_ieee_invalid_op 0
		.amdhsa_exception_fp_denorm_src 0
		.amdhsa_exception_fp_ieee_div_zero 0
		.amdhsa_exception_fp_ieee_overflow 0
		.amdhsa_exception_fp_ieee_underflow 0
		.amdhsa_exception_fp_ieee_inexact 0
		.amdhsa_exception_int_div_zero 0
	.end_amdhsa_kernel
	.section	.text._ZN7rocprim17ROCPRIM_400000_NS6detail17trampoline_kernelINS0_14default_configENS1_35radix_sort_onesweep_config_selectorIiiEEZZNS1_29radix_sort_onesweep_iterationIS3_Lb1EN6thrust23THRUST_200600_302600_NS6detail15normal_iteratorINS8_10device_ptrIiEEEESD_SD_SD_jNS0_19identity_decomposerENS1_16block_id_wrapperIjLb0EEEEE10hipError_tT1_PNSt15iterator_traitsISI_E10value_typeET2_T3_PNSJ_ISO_E10value_typeET4_T5_PST_SU_PNS1_23onesweep_lookback_stateEbbT6_jjT7_P12ihipStream_tbENKUlT_T0_SI_SN_E_clISD_PiSD_S15_EEDaS11_S12_SI_SN_EUlS11_E_NS1_11comp_targetILNS1_3genE9ELNS1_11target_archE1100ELNS1_3gpuE3ELNS1_3repE0EEENS1_47radix_sort_onesweep_sort_config_static_selectorELNS0_4arch9wavefront6targetE0EEEvSI_,"axG",@progbits,_ZN7rocprim17ROCPRIM_400000_NS6detail17trampoline_kernelINS0_14default_configENS1_35radix_sort_onesweep_config_selectorIiiEEZZNS1_29radix_sort_onesweep_iterationIS3_Lb1EN6thrust23THRUST_200600_302600_NS6detail15normal_iteratorINS8_10device_ptrIiEEEESD_SD_SD_jNS0_19identity_decomposerENS1_16block_id_wrapperIjLb0EEEEE10hipError_tT1_PNSt15iterator_traitsISI_E10value_typeET2_T3_PNSJ_ISO_E10value_typeET4_T5_PST_SU_PNS1_23onesweep_lookback_stateEbbT6_jjT7_P12ihipStream_tbENKUlT_T0_SI_SN_E_clISD_PiSD_S15_EEDaS11_S12_SI_SN_EUlS11_E_NS1_11comp_targetILNS1_3genE9ELNS1_11target_archE1100ELNS1_3gpuE3ELNS1_3repE0EEENS1_47radix_sort_onesweep_sort_config_static_selectorELNS0_4arch9wavefront6targetE0EEEvSI_,comdat
.Lfunc_end1042:
	.size	_ZN7rocprim17ROCPRIM_400000_NS6detail17trampoline_kernelINS0_14default_configENS1_35radix_sort_onesweep_config_selectorIiiEEZZNS1_29radix_sort_onesweep_iterationIS3_Lb1EN6thrust23THRUST_200600_302600_NS6detail15normal_iteratorINS8_10device_ptrIiEEEESD_SD_SD_jNS0_19identity_decomposerENS1_16block_id_wrapperIjLb0EEEEE10hipError_tT1_PNSt15iterator_traitsISI_E10value_typeET2_T3_PNSJ_ISO_E10value_typeET4_T5_PST_SU_PNS1_23onesweep_lookback_stateEbbT6_jjT7_P12ihipStream_tbENKUlT_T0_SI_SN_E_clISD_PiSD_S15_EEDaS11_S12_SI_SN_EUlS11_E_NS1_11comp_targetILNS1_3genE9ELNS1_11target_archE1100ELNS1_3gpuE3ELNS1_3repE0EEENS1_47radix_sort_onesweep_sort_config_static_selectorELNS0_4arch9wavefront6targetE0EEEvSI_, .Lfunc_end1042-_ZN7rocprim17ROCPRIM_400000_NS6detail17trampoline_kernelINS0_14default_configENS1_35radix_sort_onesweep_config_selectorIiiEEZZNS1_29radix_sort_onesweep_iterationIS3_Lb1EN6thrust23THRUST_200600_302600_NS6detail15normal_iteratorINS8_10device_ptrIiEEEESD_SD_SD_jNS0_19identity_decomposerENS1_16block_id_wrapperIjLb0EEEEE10hipError_tT1_PNSt15iterator_traitsISI_E10value_typeET2_T3_PNSJ_ISO_E10value_typeET4_T5_PST_SU_PNS1_23onesweep_lookback_stateEbbT6_jjT7_P12ihipStream_tbENKUlT_T0_SI_SN_E_clISD_PiSD_S15_EEDaS11_S12_SI_SN_EUlS11_E_NS1_11comp_targetILNS1_3genE9ELNS1_11target_archE1100ELNS1_3gpuE3ELNS1_3repE0EEENS1_47radix_sort_onesweep_sort_config_static_selectorELNS0_4arch9wavefront6targetE0EEEvSI_
                                        ; -- End function
	.set _ZN7rocprim17ROCPRIM_400000_NS6detail17trampoline_kernelINS0_14default_configENS1_35radix_sort_onesweep_config_selectorIiiEEZZNS1_29radix_sort_onesweep_iterationIS3_Lb1EN6thrust23THRUST_200600_302600_NS6detail15normal_iteratorINS8_10device_ptrIiEEEESD_SD_SD_jNS0_19identity_decomposerENS1_16block_id_wrapperIjLb0EEEEE10hipError_tT1_PNSt15iterator_traitsISI_E10value_typeET2_T3_PNSJ_ISO_E10value_typeET4_T5_PST_SU_PNS1_23onesweep_lookback_stateEbbT6_jjT7_P12ihipStream_tbENKUlT_T0_SI_SN_E_clISD_PiSD_S15_EEDaS11_S12_SI_SN_EUlS11_E_NS1_11comp_targetILNS1_3genE9ELNS1_11target_archE1100ELNS1_3gpuE3ELNS1_3repE0EEENS1_47radix_sort_onesweep_sort_config_static_selectorELNS0_4arch9wavefront6targetE0EEEvSI_.num_vgpr, 0
	.set _ZN7rocprim17ROCPRIM_400000_NS6detail17trampoline_kernelINS0_14default_configENS1_35radix_sort_onesweep_config_selectorIiiEEZZNS1_29radix_sort_onesweep_iterationIS3_Lb1EN6thrust23THRUST_200600_302600_NS6detail15normal_iteratorINS8_10device_ptrIiEEEESD_SD_SD_jNS0_19identity_decomposerENS1_16block_id_wrapperIjLb0EEEEE10hipError_tT1_PNSt15iterator_traitsISI_E10value_typeET2_T3_PNSJ_ISO_E10value_typeET4_T5_PST_SU_PNS1_23onesweep_lookback_stateEbbT6_jjT7_P12ihipStream_tbENKUlT_T0_SI_SN_E_clISD_PiSD_S15_EEDaS11_S12_SI_SN_EUlS11_E_NS1_11comp_targetILNS1_3genE9ELNS1_11target_archE1100ELNS1_3gpuE3ELNS1_3repE0EEENS1_47radix_sort_onesweep_sort_config_static_selectorELNS0_4arch9wavefront6targetE0EEEvSI_.num_agpr, 0
	.set _ZN7rocprim17ROCPRIM_400000_NS6detail17trampoline_kernelINS0_14default_configENS1_35radix_sort_onesweep_config_selectorIiiEEZZNS1_29radix_sort_onesweep_iterationIS3_Lb1EN6thrust23THRUST_200600_302600_NS6detail15normal_iteratorINS8_10device_ptrIiEEEESD_SD_SD_jNS0_19identity_decomposerENS1_16block_id_wrapperIjLb0EEEEE10hipError_tT1_PNSt15iterator_traitsISI_E10value_typeET2_T3_PNSJ_ISO_E10value_typeET4_T5_PST_SU_PNS1_23onesweep_lookback_stateEbbT6_jjT7_P12ihipStream_tbENKUlT_T0_SI_SN_E_clISD_PiSD_S15_EEDaS11_S12_SI_SN_EUlS11_E_NS1_11comp_targetILNS1_3genE9ELNS1_11target_archE1100ELNS1_3gpuE3ELNS1_3repE0EEENS1_47radix_sort_onesweep_sort_config_static_selectorELNS0_4arch9wavefront6targetE0EEEvSI_.numbered_sgpr, 0
	.set _ZN7rocprim17ROCPRIM_400000_NS6detail17trampoline_kernelINS0_14default_configENS1_35radix_sort_onesweep_config_selectorIiiEEZZNS1_29radix_sort_onesweep_iterationIS3_Lb1EN6thrust23THRUST_200600_302600_NS6detail15normal_iteratorINS8_10device_ptrIiEEEESD_SD_SD_jNS0_19identity_decomposerENS1_16block_id_wrapperIjLb0EEEEE10hipError_tT1_PNSt15iterator_traitsISI_E10value_typeET2_T3_PNSJ_ISO_E10value_typeET4_T5_PST_SU_PNS1_23onesweep_lookback_stateEbbT6_jjT7_P12ihipStream_tbENKUlT_T0_SI_SN_E_clISD_PiSD_S15_EEDaS11_S12_SI_SN_EUlS11_E_NS1_11comp_targetILNS1_3genE9ELNS1_11target_archE1100ELNS1_3gpuE3ELNS1_3repE0EEENS1_47radix_sort_onesweep_sort_config_static_selectorELNS0_4arch9wavefront6targetE0EEEvSI_.num_named_barrier, 0
	.set _ZN7rocprim17ROCPRIM_400000_NS6detail17trampoline_kernelINS0_14default_configENS1_35radix_sort_onesweep_config_selectorIiiEEZZNS1_29radix_sort_onesweep_iterationIS3_Lb1EN6thrust23THRUST_200600_302600_NS6detail15normal_iteratorINS8_10device_ptrIiEEEESD_SD_SD_jNS0_19identity_decomposerENS1_16block_id_wrapperIjLb0EEEEE10hipError_tT1_PNSt15iterator_traitsISI_E10value_typeET2_T3_PNSJ_ISO_E10value_typeET4_T5_PST_SU_PNS1_23onesweep_lookback_stateEbbT6_jjT7_P12ihipStream_tbENKUlT_T0_SI_SN_E_clISD_PiSD_S15_EEDaS11_S12_SI_SN_EUlS11_E_NS1_11comp_targetILNS1_3genE9ELNS1_11target_archE1100ELNS1_3gpuE3ELNS1_3repE0EEENS1_47radix_sort_onesweep_sort_config_static_selectorELNS0_4arch9wavefront6targetE0EEEvSI_.private_seg_size, 0
	.set _ZN7rocprim17ROCPRIM_400000_NS6detail17trampoline_kernelINS0_14default_configENS1_35radix_sort_onesweep_config_selectorIiiEEZZNS1_29radix_sort_onesweep_iterationIS3_Lb1EN6thrust23THRUST_200600_302600_NS6detail15normal_iteratorINS8_10device_ptrIiEEEESD_SD_SD_jNS0_19identity_decomposerENS1_16block_id_wrapperIjLb0EEEEE10hipError_tT1_PNSt15iterator_traitsISI_E10value_typeET2_T3_PNSJ_ISO_E10value_typeET4_T5_PST_SU_PNS1_23onesweep_lookback_stateEbbT6_jjT7_P12ihipStream_tbENKUlT_T0_SI_SN_E_clISD_PiSD_S15_EEDaS11_S12_SI_SN_EUlS11_E_NS1_11comp_targetILNS1_3genE9ELNS1_11target_archE1100ELNS1_3gpuE3ELNS1_3repE0EEENS1_47radix_sort_onesweep_sort_config_static_selectorELNS0_4arch9wavefront6targetE0EEEvSI_.uses_vcc, 0
	.set _ZN7rocprim17ROCPRIM_400000_NS6detail17trampoline_kernelINS0_14default_configENS1_35radix_sort_onesweep_config_selectorIiiEEZZNS1_29radix_sort_onesweep_iterationIS3_Lb1EN6thrust23THRUST_200600_302600_NS6detail15normal_iteratorINS8_10device_ptrIiEEEESD_SD_SD_jNS0_19identity_decomposerENS1_16block_id_wrapperIjLb0EEEEE10hipError_tT1_PNSt15iterator_traitsISI_E10value_typeET2_T3_PNSJ_ISO_E10value_typeET4_T5_PST_SU_PNS1_23onesweep_lookback_stateEbbT6_jjT7_P12ihipStream_tbENKUlT_T0_SI_SN_E_clISD_PiSD_S15_EEDaS11_S12_SI_SN_EUlS11_E_NS1_11comp_targetILNS1_3genE9ELNS1_11target_archE1100ELNS1_3gpuE3ELNS1_3repE0EEENS1_47radix_sort_onesweep_sort_config_static_selectorELNS0_4arch9wavefront6targetE0EEEvSI_.uses_flat_scratch, 0
	.set _ZN7rocprim17ROCPRIM_400000_NS6detail17trampoline_kernelINS0_14default_configENS1_35radix_sort_onesweep_config_selectorIiiEEZZNS1_29radix_sort_onesweep_iterationIS3_Lb1EN6thrust23THRUST_200600_302600_NS6detail15normal_iteratorINS8_10device_ptrIiEEEESD_SD_SD_jNS0_19identity_decomposerENS1_16block_id_wrapperIjLb0EEEEE10hipError_tT1_PNSt15iterator_traitsISI_E10value_typeET2_T3_PNSJ_ISO_E10value_typeET4_T5_PST_SU_PNS1_23onesweep_lookback_stateEbbT6_jjT7_P12ihipStream_tbENKUlT_T0_SI_SN_E_clISD_PiSD_S15_EEDaS11_S12_SI_SN_EUlS11_E_NS1_11comp_targetILNS1_3genE9ELNS1_11target_archE1100ELNS1_3gpuE3ELNS1_3repE0EEENS1_47radix_sort_onesweep_sort_config_static_selectorELNS0_4arch9wavefront6targetE0EEEvSI_.has_dyn_sized_stack, 0
	.set _ZN7rocprim17ROCPRIM_400000_NS6detail17trampoline_kernelINS0_14default_configENS1_35radix_sort_onesweep_config_selectorIiiEEZZNS1_29radix_sort_onesweep_iterationIS3_Lb1EN6thrust23THRUST_200600_302600_NS6detail15normal_iteratorINS8_10device_ptrIiEEEESD_SD_SD_jNS0_19identity_decomposerENS1_16block_id_wrapperIjLb0EEEEE10hipError_tT1_PNSt15iterator_traitsISI_E10value_typeET2_T3_PNSJ_ISO_E10value_typeET4_T5_PST_SU_PNS1_23onesweep_lookback_stateEbbT6_jjT7_P12ihipStream_tbENKUlT_T0_SI_SN_E_clISD_PiSD_S15_EEDaS11_S12_SI_SN_EUlS11_E_NS1_11comp_targetILNS1_3genE9ELNS1_11target_archE1100ELNS1_3gpuE3ELNS1_3repE0EEENS1_47radix_sort_onesweep_sort_config_static_selectorELNS0_4arch9wavefront6targetE0EEEvSI_.has_recursion, 0
	.set _ZN7rocprim17ROCPRIM_400000_NS6detail17trampoline_kernelINS0_14default_configENS1_35radix_sort_onesweep_config_selectorIiiEEZZNS1_29radix_sort_onesweep_iterationIS3_Lb1EN6thrust23THRUST_200600_302600_NS6detail15normal_iteratorINS8_10device_ptrIiEEEESD_SD_SD_jNS0_19identity_decomposerENS1_16block_id_wrapperIjLb0EEEEE10hipError_tT1_PNSt15iterator_traitsISI_E10value_typeET2_T3_PNSJ_ISO_E10value_typeET4_T5_PST_SU_PNS1_23onesweep_lookback_stateEbbT6_jjT7_P12ihipStream_tbENKUlT_T0_SI_SN_E_clISD_PiSD_S15_EEDaS11_S12_SI_SN_EUlS11_E_NS1_11comp_targetILNS1_3genE9ELNS1_11target_archE1100ELNS1_3gpuE3ELNS1_3repE0EEENS1_47radix_sort_onesweep_sort_config_static_selectorELNS0_4arch9wavefront6targetE0EEEvSI_.has_indirect_call, 0
	.section	.AMDGPU.csdata,"",@progbits
; Kernel info:
; codeLenInByte = 0
; TotalNumSgprs: 0
; NumVgprs: 0
; ScratchSize: 0
; MemoryBound: 0
; FloatMode: 240
; IeeeMode: 1
; LDSByteSize: 0 bytes/workgroup (compile time only)
; SGPRBlocks: 0
; VGPRBlocks: 0
; NumSGPRsForWavesPerEU: 1
; NumVGPRsForWavesPerEU: 1
; Occupancy: 16
; WaveLimiterHint : 0
; COMPUTE_PGM_RSRC2:SCRATCH_EN: 0
; COMPUTE_PGM_RSRC2:USER_SGPR: 6
; COMPUTE_PGM_RSRC2:TRAP_HANDLER: 0
; COMPUTE_PGM_RSRC2:TGID_X_EN: 1
; COMPUTE_PGM_RSRC2:TGID_Y_EN: 0
; COMPUTE_PGM_RSRC2:TGID_Z_EN: 0
; COMPUTE_PGM_RSRC2:TIDIG_COMP_CNT: 0
	.section	.text._ZN7rocprim17ROCPRIM_400000_NS6detail17trampoline_kernelINS0_14default_configENS1_35radix_sort_onesweep_config_selectorIiiEEZZNS1_29radix_sort_onesweep_iterationIS3_Lb1EN6thrust23THRUST_200600_302600_NS6detail15normal_iteratorINS8_10device_ptrIiEEEESD_SD_SD_jNS0_19identity_decomposerENS1_16block_id_wrapperIjLb0EEEEE10hipError_tT1_PNSt15iterator_traitsISI_E10value_typeET2_T3_PNSJ_ISO_E10value_typeET4_T5_PST_SU_PNS1_23onesweep_lookback_stateEbbT6_jjT7_P12ihipStream_tbENKUlT_T0_SI_SN_E_clISD_PiSD_S15_EEDaS11_S12_SI_SN_EUlS11_E_NS1_11comp_targetILNS1_3genE8ELNS1_11target_archE1030ELNS1_3gpuE2ELNS1_3repE0EEENS1_47radix_sort_onesweep_sort_config_static_selectorELNS0_4arch9wavefront6targetE0EEEvSI_,"axG",@progbits,_ZN7rocprim17ROCPRIM_400000_NS6detail17trampoline_kernelINS0_14default_configENS1_35radix_sort_onesweep_config_selectorIiiEEZZNS1_29radix_sort_onesweep_iterationIS3_Lb1EN6thrust23THRUST_200600_302600_NS6detail15normal_iteratorINS8_10device_ptrIiEEEESD_SD_SD_jNS0_19identity_decomposerENS1_16block_id_wrapperIjLb0EEEEE10hipError_tT1_PNSt15iterator_traitsISI_E10value_typeET2_T3_PNSJ_ISO_E10value_typeET4_T5_PST_SU_PNS1_23onesweep_lookback_stateEbbT6_jjT7_P12ihipStream_tbENKUlT_T0_SI_SN_E_clISD_PiSD_S15_EEDaS11_S12_SI_SN_EUlS11_E_NS1_11comp_targetILNS1_3genE8ELNS1_11target_archE1030ELNS1_3gpuE2ELNS1_3repE0EEENS1_47radix_sort_onesweep_sort_config_static_selectorELNS0_4arch9wavefront6targetE0EEEvSI_,comdat
	.protected	_ZN7rocprim17ROCPRIM_400000_NS6detail17trampoline_kernelINS0_14default_configENS1_35radix_sort_onesweep_config_selectorIiiEEZZNS1_29radix_sort_onesweep_iterationIS3_Lb1EN6thrust23THRUST_200600_302600_NS6detail15normal_iteratorINS8_10device_ptrIiEEEESD_SD_SD_jNS0_19identity_decomposerENS1_16block_id_wrapperIjLb0EEEEE10hipError_tT1_PNSt15iterator_traitsISI_E10value_typeET2_T3_PNSJ_ISO_E10value_typeET4_T5_PST_SU_PNS1_23onesweep_lookback_stateEbbT6_jjT7_P12ihipStream_tbENKUlT_T0_SI_SN_E_clISD_PiSD_S15_EEDaS11_S12_SI_SN_EUlS11_E_NS1_11comp_targetILNS1_3genE8ELNS1_11target_archE1030ELNS1_3gpuE2ELNS1_3repE0EEENS1_47radix_sort_onesweep_sort_config_static_selectorELNS0_4arch9wavefront6targetE0EEEvSI_ ; -- Begin function _ZN7rocprim17ROCPRIM_400000_NS6detail17trampoline_kernelINS0_14default_configENS1_35radix_sort_onesweep_config_selectorIiiEEZZNS1_29radix_sort_onesweep_iterationIS3_Lb1EN6thrust23THRUST_200600_302600_NS6detail15normal_iteratorINS8_10device_ptrIiEEEESD_SD_SD_jNS0_19identity_decomposerENS1_16block_id_wrapperIjLb0EEEEE10hipError_tT1_PNSt15iterator_traitsISI_E10value_typeET2_T3_PNSJ_ISO_E10value_typeET4_T5_PST_SU_PNS1_23onesweep_lookback_stateEbbT6_jjT7_P12ihipStream_tbENKUlT_T0_SI_SN_E_clISD_PiSD_S15_EEDaS11_S12_SI_SN_EUlS11_E_NS1_11comp_targetILNS1_3genE8ELNS1_11target_archE1030ELNS1_3gpuE2ELNS1_3repE0EEENS1_47radix_sort_onesweep_sort_config_static_selectorELNS0_4arch9wavefront6targetE0EEEvSI_
	.globl	_ZN7rocprim17ROCPRIM_400000_NS6detail17trampoline_kernelINS0_14default_configENS1_35radix_sort_onesweep_config_selectorIiiEEZZNS1_29radix_sort_onesweep_iterationIS3_Lb1EN6thrust23THRUST_200600_302600_NS6detail15normal_iteratorINS8_10device_ptrIiEEEESD_SD_SD_jNS0_19identity_decomposerENS1_16block_id_wrapperIjLb0EEEEE10hipError_tT1_PNSt15iterator_traitsISI_E10value_typeET2_T3_PNSJ_ISO_E10value_typeET4_T5_PST_SU_PNS1_23onesweep_lookback_stateEbbT6_jjT7_P12ihipStream_tbENKUlT_T0_SI_SN_E_clISD_PiSD_S15_EEDaS11_S12_SI_SN_EUlS11_E_NS1_11comp_targetILNS1_3genE8ELNS1_11target_archE1030ELNS1_3gpuE2ELNS1_3repE0EEENS1_47radix_sort_onesweep_sort_config_static_selectorELNS0_4arch9wavefront6targetE0EEEvSI_
	.p2align	8
	.type	_ZN7rocprim17ROCPRIM_400000_NS6detail17trampoline_kernelINS0_14default_configENS1_35radix_sort_onesweep_config_selectorIiiEEZZNS1_29radix_sort_onesweep_iterationIS3_Lb1EN6thrust23THRUST_200600_302600_NS6detail15normal_iteratorINS8_10device_ptrIiEEEESD_SD_SD_jNS0_19identity_decomposerENS1_16block_id_wrapperIjLb0EEEEE10hipError_tT1_PNSt15iterator_traitsISI_E10value_typeET2_T3_PNSJ_ISO_E10value_typeET4_T5_PST_SU_PNS1_23onesweep_lookback_stateEbbT6_jjT7_P12ihipStream_tbENKUlT_T0_SI_SN_E_clISD_PiSD_S15_EEDaS11_S12_SI_SN_EUlS11_E_NS1_11comp_targetILNS1_3genE8ELNS1_11target_archE1030ELNS1_3gpuE2ELNS1_3repE0EEENS1_47radix_sort_onesweep_sort_config_static_selectorELNS0_4arch9wavefront6targetE0EEEvSI_,@function
_ZN7rocprim17ROCPRIM_400000_NS6detail17trampoline_kernelINS0_14default_configENS1_35radix_sort_onesweep_config_selectorIiiEEZZNS1_29radix_sort_onesweep_iterationIS3_Lb1EN6thrust23THRUST_200600_302600_NS6detail15normal_iteratorINS8_10device_ptrIiEEEESD_SD_SD_jNS0_19identity_decomposerENS1_16block_id_wrapperIjLb0EEEEE10hipError_tT1_PNSt15iterator_traitsISI_E10value_typeET2_T3_PNSJ_ISO_E10value_typeET4_T5_PST_SU_PNS1_23onesweep_lookback_stateEbbT6_jjT7_P12ihipStream_tbENKUlT_T0_SI_SN_E_clISD_PiSD_S15_EEDaS11_S12_SI_SN_EUlS11_E_NS1_11comp_targetILNS1_3genE8ELNS1_11target_archE1030ELNS1_3gpuE2ELNS1_3repE0EEENS1_47radix_sort_onesweep_sort_config_static_selectorELNS0_4arch9wavefront6targetE0EEEvSI_: ; @_ZN7rocprim17ROCPRIM_400000_NS6detail17trampoline_kernelINS0_14default_configENS1_35radix_sort_onesweep_config_selectorIiiEEZZNS1_29radix_sort_onesweep_iterationIS3_Lb1EN6thrust23THRUST_200600_302600_NS6detail15normal_iteratorINS8_10device_ptrIiEEEESD_SD_SD_jNS0_19identity_decomposerENS1_16block_id_wrapperIjLb0EEEEE10hipError_tT1_PNSt15iterator_traitsISI_E10value_typeET2_T3_PNSJ_ISO_E10value_typeET4_T5_PST_SU_PNS1_23onesweep_lookback_stateEbbT6_jjT7_P12ihipStream_tbENKUlT_T0_SI_SN_E_clISD_PiSD_S15_EEDaS11_S12_SI_SN_EUlS11_E_NS1_11comp_targetILNS1_3genE8ELNS1_11target_archE1030ELNS1_3gpuE2ELNS1_3repE0EEENS1_47radix_sort_onesweep_sort_config_static_selectorELNS0_4arch9wavefront6targetE0EEEvSI_
; %bb.0:
	s_clause 0x3
	s_load_dwordx4 s[44:47], s[4:5], 0x44
	s_load_dwordx8 s[36:43], s[4:5], 0x0
	s_load_dwordx4 s[28:31], s[4:5], 0x28
	s_load_dwordx2 s[26:27], s[4:5], 0x38
	v_mbcnt_lo_u32_b32 v11, -1, 0
	v_and_b32_e32 v12, 0x3e0, v0
	s_add_u32 s0, s0, s7
	s_addc_u32 s1, s1, 0
	s_mov_b32 s7, -1
	s_mul_i32 s34, s6, 0x3000
	s_waitcnt lgkmcnt(0)
	s_cmp_ge_u32 s6, s46
	s_cbranch_scc0 .LBB1043_132
; %bb.1:
	s_load_dword s25, s[4:5], 0x20
	s_mov_b32 s35, 0
	s_mul_i32 s7, s46, 0xffffd000
	v_mul_u32_u24_e32 v3, 12, v12
	v_lshlrev_b32_e32 v13, 2, v11
	s_lshl_b64 s[46:47], s[34:35], 2
	v_mov_b32_e32 v15, -1
	v_mov_b32_e32 v16, -1
	v_lshlrev_b32_e32 v14, 2, v3
	v_or_b32_e32 v5, v11, v3
	s_waitcnt lgkmcnt(0)
	s_add_i32 s25, s25, s7
	s_add_u32 s7, s36, s46
	s_addc_u32 s8, s37, s47
	v_add_co_u32 v3, s7, s7, v13
	v_add_co_ci_u32_e64 v4, null, s8, 0, s7
	v_cmp_gt_u32_e64 s7, s25, v5
	v_add_co_u32 v3, vcc_lo, v3, v14
	v_add_co_ci_u32_e64 v4, null, 0, v4, vcc_lo
	s_and_saveexec_b32 s8, s7
	s_cbranch_execz .LBB1043_3
; %bb.2:
	global_load_dword v6, v[3:4], off
	s_waitcnt vmcnt(0)
	v_xor_b32_e32 v16, 0x7fffffff, v6
.LBB1043_3:
	s_or_b32 exec_lo, exec_lo, s8
	v_or_b32_e32 v6, 32, v5
	v_cmp_gt_u32_e64 s8, s25, v6
	s_and_saveexec_b32 s9, s8
	s_cbranch_execz .LBB1043_5
; %bb.4:
	global_load_dword v6, v[3:4], off offset:128
	s_waitcnt vmcnt(0)
	v_xor_b32_e32 v15, 0x7fffffff, v6
.LBB1043_5:
	s_or_b32 exec_lo, exec_lo, s9
	v_or_b32_e32 v6, 64, v5
	v_mov_b32_e32 v17, -1
	v_mov_b32_e32 v18, -1
	v_cmp_gt_u32_e64 s9, s25, v6
	s_and_saveexec_b32 s10, s9
	s_cbranch_execz .LBB1043_7
; %bb.6:
	global_load_dword v6, v[3:4], off offset:256
	s_waitcnt vmcnt(0)
	v_xor_b32_e32 v18, 0x7fffffff, v6
.LBB1043_7:
	s_or_b32 exec_lo, exec_lo, s10
	v_or_b32_e32 v6, 0x60, v5
	v_cmp_gt_u32_e64 s10, s25, v6
	s_and_saveexec_b32 s11, s10
	s_cbranch_execz .LBB1043_9
; %bb.8:
	global_load_dword v6, v[3:4], off offset:384
	s_waitcnt vmcnt(0)
	v_xor_b32_e32 v17, 0x7fffffff, v6
.LBB1043_9:
	s_or_b32 exec_lo, exec_lo, s11
	v_add_nc_u32_e32 v6, 0x80, v5
	v_mov_b32_e32 v19, -1
	v_mov_b32_e32 v20, -1
	v_cmp_gt_u32_e64 s11, s25, v6
	s_and_saveexec_b32 s12, s11
	s_cbranch_execz .LBB1043_11
; %bb.10:
	global_load_dword v6, v[3:4], off offset:512
	s_waitcnt vmcnt(0)
	v_xor_b32_e32 v20, 0x7fffffff, v6
.LBB1043_11:
	s_or_b32 exec_lo, exec_lo, s12
	v_add_nc_u32_e32 v6, 0xa0, v5
	v_cmp_gt_u32_e64 s12, s25, v6
	s_and_saveexec_b32 s13, s12
	s_cbranch_execz .LBB1043_13
; %bb.12:
	global_load_dword v6, v[3:4], off offset:640
	s_waitcnt vmcnt(0)
	v_xor_b32_e32 v19, 0x7fffffff, v6
.LBB1043_13:
	s_or_b32 exec_lo, exec_lo, s13
	v_add_nc_u32_e32 v6, 0xc0, v5
	v_mov_b32_e32 v21, -1
	v_mov_b32_e32 v22, -1
	v_cmp_gt_u32_e64 s13, s25, v6
	s_and_saveexec_b32 s14, s13
	s_cbranch_execz .LBB1043_15
; %bb.14:
	global_load_dword v6, v[3:4], off offset:768
	s_waitcnt vmcnt(0)
	v_xor_b32_e32 v22, 0x7fffffff, v6
.LBB1043_15:
	s_or_b32 exec_lo, exec_lo, s14
	v_add_nc_u32_e32 v6, 0xe0, v5
	;; [unrolled: 22-line block ×4, first 2 shown]
	v_cmp_gt_u32_e64 s18, s25, v5
	s_and_saveexec_b32 s19, s18
	s_cbranch_execz .LBB1043_25
; %bb.24:
	global_load_dword v3, v[3:4], off offset:1408
	s_waitcnt vmcnt(0)
	v_xor_b32_e32 v25, 0x7fffffff, v3
.LBB1043_25:
	s_or_b32 exec_lo, exec_lo, s19
	s_clause 0x1
	s_load_dword s19, s[4:5], 0x64
	s_load_dword s33, s[4:5], 0x58
	s_add_u32 s20, s4, 0x58
	s_addc_u32 s21, s5, 0
	v_mov_b32_e32 v5, 0
	v_lshrrev_b32_e32 v4, s44, v16
	s_waitcnt lgkmcnt(0)
	s_lshr_b32 s22, s19, 16
	s_cmp_lt_u32 s6, s33
	s_cselect_b32 s19, 12, 18
	s_add_u32 s20, s20, s19
	s_addc_u32 s21, s21, 0
	s_lshl_b32 s19, -1, s45
	global_load_ushort v3, v5, s[20:21]
	s_not_b32 s35, s19
	v_and_b32_e32 v6, s35, v4
	v_and_b32_e32 v4, 1, v6
	v_lshlrev_b32_e32 v7, 30, v6
	v_lshlrev_b32_e32 v8, 29, v6
	;; [unrolled: 1-line block ×4, first 2 shown]
	v_add_co_u32 v4, s19, v4, -1
	v_cndmask_b32_e64 v10, 0, 1, s19
	v_not_b32_e32 v30, v7
	v_cmp_gt_i32_e64 s19, 0, v7
	v_not_b32_e32 v7, v8
	v_lshlrev_b32_e32 v28, 26, v6
	v_cmp_ne_u32_e32 vcc_lo, 0, v10
	v_ashrrev_i32_e32 v30, 31, v30
	v_lshlrev_b32_e32 v29, 25, v6
	v_ashrrev_i32_e32 v7, 31, v7
	v_lshlrev_b32_e32 v10, 24, v6
	v_xor_b32_e32 v4, vcc_lo, v4
	v_cmp_gt_i32_e32 vcc_lo, 0, v8
	v_not_b32_e32 v8, v9
	v_xor_b32_e32 v30, s19, v30
	v_cmp_gt_i32_e64 s19, 0, v9
	v_and_b32_e32 v4, exec_lo, v4
	v_not_b32_e32 v9, v27
	v_ashrrev_i32_e32 v8, 31, v8
	v_xor_b32_e32 v7, vcc_lo, v7
	v_cmp_gt_i32_e32 vcc_lo, 0, v27
	v_and_b32_e32 v4, v4, v30
	v_not_b32_e32 v27, v28
	v_ashrrev_i32_e32 v9, 31, v9
	v_xor_b32_e32 v8, s19, v8
	v_cmp_gt_i32_e64 s19, 0, v28
	v_and_b32_e32 v4, v4, v7
	v_not_b32_e32 v7, v29
	v_ashrrev_i32_e32 v27, 31, v27
	v_xor_b32_e32 v9, vcc_lo, v9
	v_cmp_gt_i32_e32 vcc_lo, 0, v29
	v_and_b32_e32 v4, v4, v8
	v_not_b32_e32 v8, v10
	v_ashrrev_i32_e32 v7, 31, v7
	v_xor_b32_e32 v27, s19, v27
	v_cmp_gt_i32_e64 s19, 0, v10
	v_and_b32_e32 v4, v4, v9
	v_ashrrev_i32_e32 v8, 31, v8
	v_xor_b32_e32 v7, vcc_lo, v7
	v_mad_u32_u24 v9, v2, s22, v1
	v_mul_lo_u32 v6, 0x84, v6
	v_and_b32_e32 v4, v4, v27
	v_xor_b32_e32 v8, s19, v8
	v_mul_u32_u24_e32 v30, 36, v0
	ds_write2_b32 v30, v5, v5 offset0:32 offset1:33
	ds_write2_b32 v30, v5, v5 offset0:34 offset1:35
	;; [unrolled: 1-line block ×3, first 2 shown]
	v_and_b32_e32 v7, v4, v7
	ds_write2_b32 v30, v5, v5 offset0:38 offset1:39
	ds_write_b32 v30, v5 offset:160
	s_waitcnt vmcnt(0) lgkmcnt(0)
	s_barrier
	buffer_gl0_inv
	; wave barrier
	v_mad_u64_u32 v[3:4], null, v9, v3, v[0:1]
	v_and_b32_e32 v4, v7, v8
	v_mbcnt_lo_u32_b32 v27, v4, 0
	v_lshrrev_b32_e32 v3, 5, v3
	v_cmp_ne_u32_e64 s19, 0, v4
	v_cmp_eq_u32_e32 vcc_lo, 0, v27
	v_lshl_add_u32 v31, v3, 2, v6
	s_and_b32 s20, s19, vcc_lo
	s_and_saveexec_b32 s19, s20
; %bb.26:
	v_bcnt_u32_b32 v4, v4, 0
	ds_write_b32 v31, v4 offset:128
; %bb.27:
	s_or_b32 exec_lo, exec_lo, s19
	v_lshrrev_b32_e32 v4, s44, v15
	; wave barrier
	v_and_b32_e32 v4, s35, v4
	v_and_b32_e32 v6, 1, v4
	v_lshlrev_b32_e32 v7, 30, v4
	v_lshlrev_b32_e32 v8, 29, v4
	;; [unrolled: 1-line block ×4, first 2 shown]
	v_add_co_u32 v6, s19, v6, -1
	v_cndmask_b32_e64 v10, 0, 1, s19
	v_not_b32_e32 v33, v7
	v_cmp_gt_i32_e64 s19, 0, v7
	v_not_b32_e32 v7, v8
	v_lshlrev_b32_e32 v29, 26, v4
	v_cmp_ne_u32_e32 vcc_lo, 0, v10
	v_ashrrev_i32_e32 v10, 31, v33
	v_lshlrev_b32_e32 v32, 25, v4
	v_ashrrev_i32_e32 v7, 31, v7
	v_mul_lo_u32 v5, 0x84, v4
	v_xor_b32_e32 v6, vcc_lo, v6
	v_cmp_gt_i32_e32 vcc_lo, 0, v8
	v_not_b32_e32 v8, v9
	v_xor_b32_e32 v10, s19, v10
	v_cmp_gt_i32_e64 s19, 0, v9
	v_and_b32_e32 v6, exec_lo, v6
	v_not_b32_e32 v9, v28
	v_ashrrev_i32_e32 v8, 31, v8
	v_xor_b32_e32 v7, vcc_lo, v7
	v_cmp_gt_i32_e32 vcc_lo, 0, v28
	v_and_b32_e32 v6, v6, v10
	v_not_b32_e32 v10, v29
	v_ashrrev_i32_e32 v9, 31, v9
	v_xor_b32_e32 v8, s19, v8
	v_lshlrev_b32_e32 v4, 24, v4
	v_and_b32_e32 v6, v6, v7
	v_cmp_gt_i32_e64 s19, 0, v29
	v_not_b32_e32 v7, v32
	v_ashrrev_i32_e32 v10, 31, v10
	v_xor_b32_e32 v9, vcc_lo, v9
	v_and_b32_e32 v6, v6, v8
	v_cmp_gt_i32_e32 vcc_lo, 0, v32
	v_not_b32_e32 v8, v4
	v_ashrrev_i32_e32 v7, 31, v7
	v_xor_b32_e32 v10, s19, v10
	v_and_b32_e32 v6, v6, v9
	v_cmp_gt_i32_e64 s19, 0, v4
	v_ashrrev_i32_e32 v4, 31, v8
	v_xor_b32_e32 v7, vcc_lo, v7
	v_lshl_add_u32 v34, v3, 2, v5
	v_and_b32_e32 v6, v6, v10
	v_xor_b32_e32 v4, s19, v4
	ds_read_b32 v28, v34 offset:128
	v_and_b32_e32 v5, v6, v7
	; wave barrier
	v_and_b32_e32 v4, v5, v4
	v_mbcnt_lo_u32_b32 v29, v4, 0
	v_cmp_ne_u32_e64 s19, 0, v4
	v_cmp_eq_u32_e32 vcc_lo, 0, v29
	s_and_b32 s20, s19, vcc_lo
	s_and_saveexec_b32 s19, s20
	s_cbranch_execz .LBB1043_29
; %bb.28:
	s_waitcnt lgkmcnt(0)
	v_bcnt_u32_b32 v4, v4, v28
	ds_write_b32 v34, v4 offset:128
.LBB1043_29:
	s_or_b32 exec_lo, exec_lo, s19
	v_lshrrev_b32_e32 v4, s44, v18
	; wave barrier
	v_and_b32_e32 v4, s35, v4
	v_and_b32_e32 v6, 1, v4
	v_lshlrev_b32_e32 v7, 30, v4
	v_lshlrev_b32_e32 v8, 29, v4
	;; [unrolled: 1-line block ×4, first 2 shown]
	v_add_co_u32 v6, s19, v6, -1
	v_cndmask_b32_e64 v10, 0, 1, s19
	v_not_b32_e32 v36, v7
	v_cmp_gt_i32_e64 s19, 0, v7
	v_not_b32_e32 v7, v8
	v_lshlrev_b32_e32 v33, 26, v4
	v_cmp_ne_u32_e32 vcc_lo, 0, v10
	v_ashrrev_i32_e32 v10, 31, v36
	v_lshlrev_b32_e32 v35, 25, v4
	v_ashrrev_i32_e32 v7, 31, v7
	v_mul_lo_u32 v5, 0x84, v4
	v_xor_b32_e32 v6, vcc_lo, v6
	v_cmp_gt_i32_e32 vcc_lo, 0, v8
	v_not_b32_e32 v8, v9
	v_xor_b32_e32 v10, s19, v10
	v_cmp_gt_i32_e64 s19, 0, v9
	v_and_b32_e32 v6, exec_lo, v6
	v_not_b32_e32 v9, v32
	v_ashrrev_i32_e32 v8, 31, v8
	v_xor_b32_e32 v7, vcc_lo, v7
	v_cmp_gt_i32_e32 vcc_lo, 0, v32
	v_and_b32_e32 v6, v6, v10
	v_not_b32_e32 v10, v33
	v_ashrrev_i32_e32 v9, 31, v9
	v_xor_b32_e32 v8, s19, v8
	v_lshlrev_b32_e32 v4, 24, v4
	v_and_b32_e32 v6, v6, v7
	v_cmp_gt_i32_e64 s19, 0, v33
	v_not_b32_e32 v7, v35
	v_ashrrev_i32_e32 v10, 31, v10
	v_xor_b32_e32 v9, vcc_lo, v9
	v_and_b32_e32 v6, v6, v8
	v_cmp_gt_i32_e32 vcc_lo, 0, v35
	v_not_b32_e32 v8, v4
	v_ashrrev_i32_e32 v7, 31, v7
	v_xor_b32_e32 v10, s19, v10
	v_and_b32_e32 v6, v6, v9
	v_cmp_gt_i32_e64 s19, 0, v4
	v_ashrrev_i32_e32 v4, 31, v8
	v_xor_b32_e32 v7, vcc_lo, v7
	v_lshl_add_u32 v37, v3, 2, v5
	v_and_b32_e32 v6, v6, v10
	v_xor_b32_e32 v4, s19, v4
	ds_read_b32 v32, v37 offset:128
	v_and_b32_e32 v5, v6, v7
	; wave barrier
	v_and_b32_e32 v4, v5, v4
	v_mbcnt_lo_u32_b32 v33, v4, 0
	v_cmp_ne_u32_e64 s19, 0, v4
	v_cmp_eq_u32_e32 vcc_lo, 0, v33
	s_and_b32 s20, s19, vcc_lo
	s_and_saveexec_b32 s19, s20
	s_cbranch_execz .LBB1043_31
; %bb.30:
	s_waitcnt lgkmcnt(0)
	v_bcnt_u32_b32 v4, v4, v32
	ds_write_b32 v37, v4 offset:128
.LBB1043_31:
	s_or_b32 exec_lo, exec_lo, s19
	v_lshrrev_b32_e32 v4, s44, v17
	; wave barrier
	v_and_b32_e32 v4, s35, v4
	v_and_b32_e32 v6, 1, v4
	v_lshlrev_b32_e32 v7, 30, v4
	v_lshlrev_b32_e32 v8, 29, v4
	;; [unrolled: 1-line block ×4, first 2 shown]
	v_add_co_u32 v6, s19, v6, -1
	v_cndmask_b32_e64 v10, 0, 1, s19
	v_not_b32_e32 v39, v7
	v_cmp_gt_i32_e64 s19, 0, v7
	v_not_b32_e32 v7, v8
	v_lshlrev_b32_e32 v36, 26, v4
	v_cmp_ne_u32_e32 vcc_lo, 0, v10
	v_ashrrev_i32_e32 v10, 31, v39
	v_lshlrev_b32_e32 v38, 25, v4
	v_ashrrev_i32_e32 v7, 31, v7
	v_mul_lo_u32 v5, 0x84, v4
	v_xor_b32_e32 v6, vcc_lo, v6
	v_cmp_gt_i32_e32 vcc_lo, 0, v8
	v_not_b32_e32 v8, v9
	v_xor_b32_e32 v10, s19, v10
	v_cmp_gt_i32_e64 s19, 0, v9
	v_and_b32_e32 v6, exec_lo, v6
	v_not_b32_e32 v9, v35
	v_ashrrev_i32_e32 v8, 31, v8
	v_xor_b32_e32 v7, vcc_lo, v7
	v_cmp_gt_i32_e32 vcc_lo, 0, v35
	v_and_b32_e32 v6, v6, v10
	v_not_b32_e32 v10, v36
	v_ashrrev_i32_e32 v9, 31, v9
	v_xor_b32_e32 v8, s19, v8
	v_lshlrev_b32_e32 v4, 24, v4
	v_and_b32_e32 v6, v6, v7
	v_cmp_gt_i32_e64 s19, 0, v36
	v_not_b32_e32 v7, v38
	v_ashrrev_i32_e32 v10, 31, v10
	v_xor_b32_e32 v9, vcc_lo, v9
	v_and_b32_e32 v6, v6, v8
	v_cmp_gt_i32_e32 vcc_lo, 0, v38
	v_not_b32_e32 v8, v4
	v_ashrrev_i32_e32 v7, 31, v7
	v_xor_b32_e32 v10, s19, v10
	v_and_b32_e32 v6, v6, v9
	v_cmp_gt_i32_e64 s19, 0, v4
	v_ashrrev_i32_e32 v4, 31, v8
	v_xor_b32_e32 v7, vcc_lo, v7
	v_lshl_add_u32 v40, v3, 2, v5
	v_and_b32_e32 v6, v6, v10
	v_xor_b32_e32 v4, s19, v4
	ds_read_b32 v35, v40 offset:128
	v_and_b32_e32 v5, v6, v7
	; wave barrier
	v_and_b32_e32 v4, v5, v4
	v_mbcnt_lo_u32_b32 v36, v4, 0
	v_cmp_ne_u32_e64 s19, 0, v4
	v_cmp_eq_u32_e32 vcc_lo, 0, v36
	s_and_b32 s20, s19, vcc_lo
	s_and_saveexec_b32 s19, s20
	s_cbranch_execz .LBB1043_33
; %bb.32:
	s_waitcnt lgkmcnt(0)
	v_bcnt_u32_b32 v4, v4, v35
	ds_write_b32 v40, v4 offset:128
.LBB1043_33:
	s_or_b32 exec_lo, exec_lo, s19
	v_lshrrev_b32_e32 v4, s44, v20
	; wave barrier
	v_and_b32_e32 v4, s35, v4
	v_and_b32_e32 v6, 1, v4
	v_lshlrev_b32_e32 v7, 30, v4
	v_lshlrev_b32_e32 v8, 29, v4
	;; [unrolled: 1-line block ×4, first 2 shown]
	v_add_co_u32 v6, s19, v6, -1
	v_cndmask_b32_e64 v10, 0, 1, s19
	v_not_b32_e32 v42, v7
	v_cmp_gt_i32_e64 s19, 0, v7
	v_not_b32_e32 v7, v8
	v_lshlrev_b32_e32 v39, 26, v4
	v_cmp_ne_u32_e32 vcc_lo, 0, v10
	v_ashrrev_i32_e32 v10, 31, v42
	v_lshlrev_b32_e32 v41, 25, v4
	v_ashrrev_i32_e32 v7, 31, v7
	v_mul_lo_u32 v5, 0x84, v4
	v_xor_b32_e32 v6, vcc_lo, v6
	v_cmp_gt_i32_e32 vcc_lo, 0, v8
	v_not_b32_e32 v8, v9
	v_xor_b32_e32 v10, s19, v10
	v_cmp_gt_i32_e64 s19, 0, v9
	v_and_b32_e32 v6, exec_lo, v6
	v_not_b32_e32 v9, v38
	v_ashrrev_i32_e32 v8, 31, v8
	v_xor_b32_e32 v7, vcc_lo, v7
	v_cmp_gt_i32_e32 vcc_lo, 0, v38
	v_and_b32_e32 v6, v6, v10
	v_not_b32_e32 v10, v39
	v_ashrrev_i32_e32 v9, 31, v9
	v_xor_b32_e32 v8, s19, v8
	v_lshlrev_b32_e32 v4, 24, v4
	v_and_b32_e32 v6, v6, v7
	v_cmp_gt_i32_e64 s19, 0, v39
	v_not_b32_e32 v7, v41
	v_ashrrev_i32_e32 v10, 31, v10
	v_xor_b32_e32 v9, vcc_lo, v9
	v_and_b32_e32 v6, v6, v8
	v_cmp_gt_i32_e32 vcc_lo, 0, v41
	v_not_b32_e32 v8, v4
	v_ashrrev_i32_e32 v7, 31, v7
	v_xor_b32_e32 v10, s19, v10
	v_and_b32_e32 v6, v6, v9
	v_cmp_gt_i32_e64 s19, 0, v4
	v_ashrrev_i32_e32 v4, 31, v8
	v_xor_b32_e32 v7, vcc_lo, v7
	v_lshl_add_u32 v43, v3, 2, v5
	v_and_b32_e32 v6, v6, v10
	v_xor_b32_e32 v4, s19, v4
	ds_read_b32 v38, v43 offset:128
	v_and_b32_e32 v5, v6, v7
	; wave barrier
	v_and_b32_e32 v4, v5, v4
	v_mbcnt_lo_u32_b32 v39, v4, 0
	v_cmp_ne_u32_e64 s19, 0, v4
	v_cmp_eq_u32_e32 vcc_lo, 0, v39
	s_and_b32 s20, s19, vcc_lo
	s_and_saveexec_b32 s19, s20
	s_cbranch_execz .LBB1043_35
; %bb.34:
	s_waitcnt lgkmcnt(0)
	v_bcnt_u32_b32 v4, v4, v38
	ds_write_b32 v43, v4 offset:128
.LBB1043_35:
	s_or_b32 exec_lo, exec_lo, s19
	v_lshrrev_b32_e32 v4, s44, v19
	; wave barrier
	v_and_b32_e32 v4, s35, v4
	v_and_b32_e32 v6, 1, v4
	v_lshlrev_b32_e32 v7, 30, v4
	v_lshlrev_b32_e32 v8, 29, v4
	;; [unrolled: 1-line block ×4, first 2 shown]
	v_add_co_u32 v6, s19, v6, -1
	v_cndmask_b32_e64 v10, 0, 1, s19
	v_not_b32_e32 v45, v7
	v_cmp_gt_i32_e64 s19, 0, v7
	v_not_b32_e32 v7, v8
	v_lshlrev_b32_e32 v42, 26, v4
	v_cmp_ne_u32_e32 vcc_lo, 0, v10
	v_ashrrev_i32_e32 v10, 31, v45
	v_lshlrev_b32_e32 v44, 25, v4
	v_ashrrev_i32_e32 v7, 31, v7
	v_mul_lo_u32 v5, 0x84, v4
	v_xor_b32_e32 v6, vcc_lo, v6
	v_cmp_gt_i32_e32 vcc_lo, 0, v8
	v_not_b32_e32 v8, v9
	v_xor_b32_e32 v10, s19, v10
	v_cmp_gt_i32_e64 s19, 0, v9
	v_and_b32_e32 v6, exec_lo, v6
	v_not_b32_e32 v9, v41
	v_ashrrev_i32_e32 v8, 31, v8
	v_xor_b32_e32 v7, vcc_lo, v7
	v_cmp_gt_i32_e32 vcc_lo, 0, v41
	v_and_b32_e32 v6, v6, v10
	v_not_b32_e32 v10, v42
	v_ashrrev_i32_e32 v9, 31, v9
	v_xor_b32_e32 v8, s19, v8
	v_lshlrev_b32_e32 v4, 24, v4
	v_and_b32_e32 v6, v6, v7
	v_cmp_gt_i32_e64 s19, 0, v42
	v_not_b32_e32 v7, v44
	v_ashrrev_i32_e32 v10, 31, v10
	v_xor_b32_e32 v9, vcc_lo, v9
	v_and_b32_e32 v6, v6, v8
	v_cmp_gt_i32_e32 vcc_lo, 0, v44
	v_not_b32_e32 v8, v4
	v_ashrrev_i32_e32 v7, 31, v7
	v_xor_b32_e32 v10, s19, v10
	v_and_b32_e32 v6, v6, v9
	v_cmp_gt_i32_e64 s19, 0, v4
	v_ashrrev_i32_e32 v4, 31, v8
	v_xor_b32_e32 v7, vcc_lo, v7
	v_lshl_add_u32 v46, v3, 2, v5
	v_and_b32_e32 v6, v6, v10
	v_xor_b32_e32 v4, s19, v4
	ds_read_b32 v41, v46 offset:128
	v_and_b32_e32 v5, v6, v7
	; wave barrier
	v_and_b32_e32 v4, v5, v4
	v_mbcnt_lo_u32_b32 v42, v4, 0
	v_cmp_ne_u32_e64 s19, 0, v4
	v_cmp_eq_u32_e32 vcc_lo, 0, v42
	s_and_b32 s20, s19, vcc_lo
	s_and_saveexec_b32 s19, s20
	s_cbranch_execz .LBB1043_37
; %bb.36:
	s_waitcnt lgkmcnt(0)
	v_bcnt_u32_b32 v4, v4, v41
	ds_write_b32 v46, v4 offset:128
.LBB1043_37:
	s_or_b32 exec_lo, exec_lo, s19
	v_lshrrev_b32_e32 v4, s44, v22
	; wave barrier
	v_and_b32_e32 v4, s35, v4
	v_and_b32_e32 v6, 1, v4
	v_lshlrev_b32_e32 v7, 30, v4
	v_lshlrev_b32_e32 v8, 29, v4
	;; [unrolled: 1-line block ×4, first 2 shown]
	v_add_co_u32 v6, s19, v6, -1
	v_cndmask_b32_e64 v10, 0, 1, s19
	v_not_b32_e32 v48, v7
	v_cmp_gt_i32_e64 s19, 0, v7
	v_not_b32_e32 v7, v8
	v_lshlrev_b32_e32 v45, 26, v4
	v_cmp_ne_u32_e32 vcc_lo, 0, v10
	v_ashrrev_i32_e32 v10, 31, v48
	v_lshlrev_b32_e32 v47, 25, v4
	v_ashrrev_i32_e32 v7, 31, v7
	v_mul_lo_u32 v5, 0x84, v4
	v_xor_b32_e32 v6, vcc_lo, v6
	v_cmp_gt_i32_e32 vcc_lo, 0, v8
	v_not_b32_e32 v8, v9
	v_xor_b32_e32 v10, s19, v10
	v_cmp_gt_i32_e64 s19, 0, v9
	v_and_b32_e32 v6, exec_lo, v6
	v_not_b32_e32 v9, v44
	v_ashrrev_i32_e32 v8, 31, v8
	v_xor_b32_e32 v7, vcc_lo, v7
	v_cmp_gt_i32_e32 vcc_lo, 0, v44
	v_and_b32_e32 v6, v6, v10
	v_not_b32_e32 v10, v45
	v_ashrrev_i32_e32 v9, 31, v9
	v_xor_b32_e32 v8, s19, v8
	v_lshlrev_b32_e32 v4, 24, v4
	v_and_b32_e32 v6, v6, v7
	v_cmp_gt_i32_e64 s19, 0, v45
	v_not_b32_e32 v7, v47
	v_ashrrev_i32_e32 v10, 31, v10
	v_xor_b32_e32 v9, vcc_lo, v9
	v_and_b32_e32 v6, v6, v8
	v_cmp_gt_i32_e32 vcc_lo, 0, v47
	v_not_b32_e32 v8, v4
	v_ashrrev_i32_e32 v7, 31, v7
	v_xor_b32_e32 v10, s19, v10
	v_and_b32_e32 v6, v6, v9
	v_cmp_gt_i32_e64 s19, 0, v4
	v_ashrrev_i32_e32 v4, 31, v8
	v_xor_b32_e32 v7, vcc_lo, v7
	v_lshl_add_u32 v49, v3, 2, v5
	v_and_b32_e32 v6, v6, v10
	v_xor_b32_e32 v4, s19, v4
	ds_read_b32 v44, v49 offset:128
	v_and_b32_e32 v5, v6, v7
	; wave barrier
	v_and_b32_e32 v4, v5, v4
	v_mbcnt_lo_u32_b32 v45, v4, 0
	v_cmp_ne_u32_e64 s19, 0, v4
	v_cmp_eq_u32_e32 vcc_lo, 0, v45
	s_and_b32 s20, s19, vcc_lo
	s_and_saveexec_b32 s19, s20
	s_cbranch_execz .LBB1043_39
; %bb.38:
	s_waitcnt lgkmcnt(0)
	v_bcnt_u32_b32 v4, v4, v44
	ds_write_b32 v49, v4 offset:128
.LBB1043_39:
	s_or_b32 exec_lo, exec_lo, s19
	v_lshrrev_b32_e32 v4, s44, v21
	; wave barrier
	v_and_b32_e32 v4, s35, v4
	v_and_b32_e32 v6, 1, v4
	v_lshlrev_b32_e32 v7, 30, v4
	v_lshlrev_b32_e32 v8, 29, v4
	;; [unrolled: 1-line block ×4, first 2 shown]
	v_add_co_u32 v6, s19, v6, -1
	v_cndmask_b32_e64 v10, 0, 1, s19
	v_not_b32_e32 v51, v7
	v_cmp_gt_i32_e64 s19, 0, v7
	v_not_b32_e32 v7, v8
	v_lshlrev_b32_e32 v48, 26, v4
	v_cmp_ne_u32_e32 vcc_lo, 0, v10
	v_ashrrev_i32_e32 v10, 31, v51
	v_lshlrev_b32_e32 v50, 25, v4
	v_ashrrev_i32_e32 v7, 31, v7
	v_mul_lo_u32 v5, 0x84, v4
	v_xor_b32_e32 v6, vcc_lo, v6
	v_cmp_gt_i32_e32 vcc_lo, 0, v8
	v_not_b32_e32 v8, v9
	v_xor_b32_e32 v10, s19, v10
	v_cmp_gt_i32_e64 s19, 0, v9
	v_and_b32_e32 v6, exec_lo, v6
	v_not_b32_e32 v9, v47
	v_ashrrev_i32_e32 v8, 31, v8
	v_xor_b32_e32 v7, vcc_lo, v7
	v_cmp_gt_i32_e32 vcc_lo, 0, v47
	v_and_b32_e32 v6, v6, v10
	v_not_b32_e32 v10, v48
	v_ashrrev_i32_e32 v9, 31, v9
	v_xor_b32_e32 v8, s19, v8
	v_lshlrev_b32_e32 v4, 24, v4
	v_and_b32_e32 v6, v6, v7
	v_cmp_gt_i32_e64 s19, 0, v48
	v_not_b32_e32 v7, v50
	v_ashrrev_i32_e32 v10, 31, v10
	v_xor_b32_e32 v9, vcc_lo, v9
	v_and_b32_e32 v6, v6, v8
	v_cmp_gt_i32_e32 vcc_lo, 0, v50
	v_not_b32_e32 v8, v4
	v_ashrrev_i32_e32 v7, 31, v7
	v_xor_b32_e32 v10, s19, v10
	v_and_b32_e32 v6, v6, v9
	v_cmp_gt_i32_e64 s19, 0, v4
	v_ashrrev_i32_e32 v4, 31, v8
	v_xor_b32_e32 v7, vcc_lo, v7
	v_lshl_add_u32 v52, v3, 2, v5
	v_and_b32_e32 v6, v6, v10
	v_xor_b32_e32 v4, s19, v4
	ds_read_b32 v47, v52 offset:128
	v_and_b32_e32 v5, v6, v7
	; wave barrier
	v_and_b32_e32 v4, v5, v4
	v_mbcnt_lo_u32_b32 v48, v4, 0
	v_cmp_ne_u32_e64 s19, 0, v4
	v_cmp_eq_u32_e32 vcc_lo, 0, v48
	s_and_b32 s20, s19, vcc_lo
	s_and_saveexec_b32 s19, s20
	s_cbranch_execz .LBB1043_41
; %bb.40:
	s_waitcnt lgkmcnt(0)
	v_bcnt_u32_b32 v4, v4, v47
	ds_write_b32 v52, v4 offset:128
.LBB1043_41:
	s_or_b32 exec_lo, exec_lo, s19
	v_lshrrev_b32_e32 v4, s44, v24
	; wave barrier
	v_and_b32_e32 v4, s35, v4
	v_and_b32_e32 v6, 1, v4
	v_lshlrev_b32_e32 v7, 30, v4
	v_lshlrev_b32_e32 v8, 29, v4
	;; [unrolled: 1-line block ×4, first 2 shown]
	v_add_co_u32 v6, s19, v6, -1
	v_cndmask_b32_e64 v10, 0, 1, s19
	v_not_b32_e32 v54, v7
	v_cmp_gt_i32_e64 s19, 0, v7
	v_not_b32_e32 v7, v8
	v_lshlrev_b32_e32 v51, 26, v4
	v_cmp_ne_u32_e32 vcc_lo, 0, v10
	v_ashrrev_i32_e32 v10, 31, v54
	v_lshlrev_b32_e32 v53, 25, v4
	v_ashrrev_i32_e32 v7, 31, v7
	v_mul_lo_u32 v5, 0x84, v4
	v_xor_b32_e32 v6, vcc_lo, v6
	v_cmp_gt_i32_e32 vcc_lo, 0, v8
	v_not_b32_e32 v8, v9
	v_xor_b32_e32 v10, s19, v10
	v_cmp_gt_i32_e64 s19, 0, v9
	v_and_b32_e32 v6, exec_lo, v6
	v_not_b32_e32 v9, v50
	v_ashrrev_i32_e32 v8, 31, v8
	v_xor_b32_e32 v7, vcc_lo, v7
	v_cmp_gt_i32_e32 vcc_lo, 0, v50
	v_and_b32_e32 v6, v6, v10
	v_not_b32_e32 v10, v51
	v_ashrrev_i32_e32 v9, 31, v9
	v_xor_b32_e32 v8, s19, v8
	v_lshlrev_b32_e32 v4, 24, v4
	v_and_b32_e32 v6, v6, v7
	v_cmp_gt_i32_e64 s19, 0, v51
	v_not_b32_e32 v7, v53
	v_ashrrev_i32_e32 v10, 31, v10
	v_xor_b32_e32 v9, vcc_lo, v9
	v_and_b32_e32 v6, v6, v8
	v_cmp_gt_i32_e32 vcc_lo, 0, v53
	v_not_b32_e32 v8, v4
	v_ashrrev_i32_e32 v7, 31, v7
	v_xor_b32_e32 v10, s19, v10
	v_and_b32_e32 v6, v6, v9
	v_cmp_gt_i32_e64 s19, 0, v4
	v_ashrrev_i32_e32 v4, 31, v8
	v_xor_b32_e32 v7, vcc_lo, v7
	v_lshl_add_u32 v55, v3, 2, v5
	v_and_b32_e32 v6, v6, v10
	v_xor_b32_e32 v4, s19, v4
	ds_read_b32 v50, v55 offset:128
	v_and_b32_e32 v5, v6, v7
	; wave barrier
	v_and_b32_e32 v4, v5, v4
	v_mbcnt_lo_u32_b32 v51, v4, 0
	v_cmp_ne_u32_e64 s19, 0, v4
	v_cmp_eq_u32_e32 vcc_lo, 0, v51
	s_and_b32 s20, s19, vcc_lo
	s_and_saveexec_b32 s19, s20
	s_cbranch_execz .LBB1043_43
; %bb.42:
	s_waitcnt lgkmcnt(0)
	v_bcnt_u32_b32 v4, v4, v50
	ds_write_b32 v55, v4 offset:128
.LBB1043_43:
	s_or_b32 exec_lo, exec_lo, s19
	v_lshrrev_b32_e32 v4, s44, v23
	; wave barrier
	v_and_b32_e32 v4, s35, v4
	v_and_b32_e32 v6, 1, v4
	v_lshlrev_b32_e32 v7, 30, v4
	v_lshlrev_b32_e32 v8, 29, v4
	;; [unrolled: 1-line block ×4, first 2 shown]
	v_add_co_u32 v6, s19, v6, -1
	v_cndmask_b32_e64 v10, 0, 1, s19
	v_not_b32_e32 v57, v7
	v_cmp_gt_i32_e64 s19, 0, v7
	v_not_b32_e32 v7, v8
	v_lshlrev_b32_e32 v54, 26, v4
	v_cmp_ne_u32_e32 vcc_lo, 0, v10
	v_ashrrev_i32_e32 v10, 31, v57
	v_lshlrev_b32_e32 v56, 25, v4
	v_ashrrev_i32_e32 v7, 31, v7
	v_mul_lo_u32 v5, 0x84, v4
	v_xor_b32_e32 v6, vcc_lo, v6
	v_cmp_gt_i32_e32 vcc_lo, 0, v8
	v_not_b32_e32 v8, v9
	v_xor_b32_e32 v10, s19, v10
	v_cmp_gt_i32_e64 s19, 0, v9
	v_and_b32_e32 v6, exec_lo, v6
	v_not_b32_e32 v9, v53
	v_ashrrev_i32_e32 v8, 31, v8
	v_xor_b32_e32 v7, vcc_lo, v7
	v_cmp_gt_i32_e32 vcc_lo, 0, v53
	v_and_b32_e32 v6, v6, v10
	v_not_b32_e32 v10, v54
	v_ashrrev_i32_e32 v9, 31, v9
	v_xor_b32_e32 v8, s19, v8
	v_lshlrev_b32_e32 v4, 24, v4
	v_and_b32_e32 v6, v6, v7
	v_cmp_gt_i32_e64 s19, 0, v54
	v_not_b32_e32 v7, v56
	v_ashrrev_i32_e32 v10, 31, v10
	v_xor_b32_e32 v9, vcc_lo, v9
	v_and_b32_e32 v6, v6, v8
	v_cmp_gt_i32_e32 vcc_lo, 0, v56
	v_not_b32_e32 v8, v4
	v_ashrrev_i32_e32 v7, 31, v7
	v_xor_b32_e32 v10, s19, v10
	v_and_b32_e32 v6, v6, v9
	v_cmp_gt_i32_e64 s19, 0, v4
	v_ashrrev_i32_e32 v4, 31, v8
	v_xor_b32_e32 v7, vcc_lo, v7
	v_lshl_add_u32 v58, v3, 2, v5
	v_and_b32_e32 v6, v6, v10
	v_xor_b32_e32 v4, s19, v4
	ds_read_b32 v53, v58 offset:128
	v_and_b32_e32 v5, v6, v7
	; wave barrier
	v_and_b32_e32 v4, v5, v4
	v_mbcnt_lo_u32_b32 v54, v4, 0
	v_cmp_ne_u32_e64 s19, 0, v4
	v_cmp_eq_u32_e32 vcc_lo, 0, v54
	s_and_b32 s20, s19, vcc_lo
	s_and_saveexec_b32 s19, s20
	s_cbranch_execz .LBB1043_45
; %bb.44:
	s_waitcnt lgkmcnt(0)
	v_bcnt_u32_b32 v4, v4, v53
	ds_write_b32 v58, v4 offset:128
.LBB1043_45:
	s_or_b32 exec_lo, exec_lo, s19
	v_lshrrev_b32_e32 v4, s44, v26
	; wave barrier
	v_and_b32_e32 v4, s35, v4
	v_and_b32_e32 v6, 1, v4
	v_lshlrev_b32_e32 v7, 30, v4
	v_lshlrev_b32_e32 v8, 29, v4
	;; [unrolled: 1-line block ×4, first 2 shown]
	v_add_co_u32 v6, s19, v6, -1
	v_cndmask_b32_e64 v10, 0, 1, s19
	v_not_b32_e32 v60, v7
	v_cmp_gt_i32_e64 s19, 0, v7
	v_not_b32_e32 v7, v8
	v_lshlrev_b32_e32 v57, 26, v4
	v_cmp_ne_u32_e32 vcc_lo, 0, v10
	v_ashrrev_i32_e32 v10, 31, v60
	v_lshlrev_b32_e32 v59, 25, v4
	v_ashrrev_i32_e32 v7, 31, v7
	v_mul_lo_u32 v5, 0x84, v4
	v_xor_b32_e32 v6, vcc_lo, v6
	v_cmp_gt_i32_e32 vcc_lo, 0, v8
	v_not_b32_e32 v8, v9
	v_xor_b32_e32 v10, s19, v10
	v_cmp_gt_i32_e64 s19, 0, v9
	v_and_b32_e32 v6, exec_lo, v6
	v_not_b32_e32 v9, v56
	v_ashrrev_i32_e32 v8, 31, v8
	v_xor_b32_e32 v7, vcc_lo, v7
	v_cmp_gt_i32_e32 vcc_lo, 0, v56
	v_and_b32_e32 v6, v6, v10
	v_not_b32_e32 v10, v57
	v_ashrrev_i32_e32 v9, 31, v9
	v_xor_b32_e32 v8, s19, v8
	v_lshlrev_b32_e32 v4, 24, v4
	v_and_b32_e32 v6, v6, v7
	v_cmp_gt_i32_e64 s19, 0, v57
	v_not_b32_e32 v7, v59
	v_ashrrev_i32_e32 v10, 31, v10
	v_xor_b32_e32 v9, vcc_lo, v9
	v_and_b32_e32 v6, v6, v8
	v_cmp_gt_i32_e32 vcc_lo, 0, v59
	v_not_b32_e32 v8, v4
	v_ashrrev_i32_e32 v7, 31, v7
	v_xor_b32_e32 v10, s19, v10
	v_and_b32_e32 v6, v6, v9
	v_cmp_gt_i32_e64 s19, 0, v4
	v_ashrrev_i32_e32 v4, 31, v8
	v_xor_b32_e32 v7, vcc_lo, v7
	v_lshl_add_u32 v61, v3, 2, v5
	v_and_b32_e32 v6, v6, v10
	v_xor_b32_e32 v4, s19, v4
	ds_read_b32 v56, v61 offset:128
	v_and_b32_e32 v5, v6, v7
	; wave barrier
	v_and_b32_e32 v4, v5, v4
	v_mbcnt_lo_u32_b32 v57, v4, 0
	v_cmp_ne_u32_e64 s19, 0, v4
	v_cmp_eq_u32_e32 vcc_lo, 0, v57
	s_and_b32 s20, s19, vcc_lo
	s_and_saveexec_b32 s19, s20
	s_cbranch_execz .LBB1043_47
; %bb.46:
	s_waitcnt lgkmcnt(0)
	v_bcnt_u32_b32 v4, v4, v56
	ds_write_b32 v61, v4 offset:128
.LBB1043_47:
	s_or_b32 exec_lo, exec_lo, s19
	v_lshrrev_b32_e32 v4, s44, v25
	; wave barrier
	v_and_b32_e32 v4, s35, v4
	v_and_b32_e32 v6, 1, v4
	v_lshlrev_b32_e32 v7, 30, v4
	v_lshlrev_b32_e32 v8, 29, v4
	;; [unrolled: 1-line block ×4, first 2 shown]
	v_add_co_u32 v6, s19, v6, -1
	v_cndmask_b32_e64 v10, 0, 1, s19
	v_not_b32_e32 v63, v7
	v_cmp_gt_i32_e64 s19, 0, v7
	v_not_b32_e32 v7, v8
	v_lshlrev_b32_e32 v60, 26, v4
	v_cmp_ne_u32_e32 vcc_lo, 0, v10
	v_ashrrev_i32_e32 v10, 31, v63
	v_lshlrev_b32_e32 v62, 25, v4
	v_ashrrev_i32_e32 v7, 31, v7
	v_mul_lo_u32 v5, 0x84, v4
	v_xor_b32_e32 v6, vcc_lo, v6
	v_cmp_gt_i32_e32 vcc_lo, 0, v8
	v_not_b32_e32 v8, v9
	v_xor_b32_e32 v10, s19, v10
	v_cmp_gt_i32_e64 s19, 0, v9
	v_and_b32_e32 v6, exec_lo, v6
	v_not_b32_e32 v9, v59
	v_ashrrev_i32_e32 v8, 31, v8
	v_xor_b32_e32 v7, vcc_lo, v7
	v_cmp_gt_i32_e32 vcc_lo, 0, v59
	v_and_b32_e32 v6, v6, v10
	v_not_b32_e32 v10, v60
	v_ashrrev_i32_e32 v9, 31, v9
	v_xor_b32_e32 v8, s19, v8
	v_lshlrev_b32_e32 v4, 24, v4
	v_and_b32_e32 v6, v6, v7
	v_cmp_gt_i32_e64 s19, 0, v60
	v_not_b32_e32 v7, v62
	v_ashrrev_i32_e32 v10, 31, v10
	v_xor_b32_e32 v9, vcc_lo, v9
	v_and_b32_e32 v6, v6, v8
	v_cmp_gt_i32_e32 vcc_lo, 0, v62
	v_not_b32_e32 v8, v4
	v_ashrrev_i32_e32 v7, 31, v7
	v_xor_b32_e32 v10, s19, v10
	v_and_b32_e32 v6, v6, v9
	v_cmp_gt_i32_e64 s19, 0, v4
	v_ashrrev_i32_e32 v4, 31, v8
	v_xor_b32_e32 v7, vcc_lo, v7
	v_lshl_add_u32 v62, v3, 2, v5
	v_and_b32_e32 v6, v6, v10
	v_xor_b32_e32 v3, s19, v4
	ds_read_b32 v59, v62 offset:128
	v_and_b32_e32 v4, v6, v7
	; wave barrier
	v_and_b32_e32 v3, v4, v3
	v_mbcnt_lo_u32_b32 v60, v3, 0
	v_cmp_ne_u32_e64 s19, 0, v3
	v_cmp_eq_u32_e32 vcc_lo, 0, v60
	s_and_b32 s20, s19, vcc_lo
	s_and_saveexec_b32 s19, s20
	s_cbranch_execz .LBB1043_49
; %bb.48:
	s_waitcnt lgkmcnt(0)
	v_bcnt_u32_b32 v3, v3, v59
	ds_write_b32 v62, v3 offset:128
.LBB1043_49:
	s_or_b32 exec_lo, exec_lo, s19
	; wave barrier
	s_waitcnt lgkmcnt(0)
	s_barrier
	buffer_gl0_inv
	ds_read2_b32 v[9:10], v30 offset0:32 offset1:33
	ds_read2_b32 v[7:8], v30 offset0:34 offset1:35
	;; [unrolled: 1-line block ×4, first 2 shown]
	ds_read_b32 v63, v30 offset:160
	v_and_b32_e32 v66, 16, v11
	v_and_b32_e32 v67, 31, v0
	s_mov_b32 s24, exec_lo
	v_cmp_eq_u32_e64 s22, 0, v66
	s_waitcnt lgkmcnt(3)
	v_add3_u32 v64, v10, v9, v7
	s_waitcnt lgkmcnt(2)
	v_add3_u32 v64, v64, v8, v5
	;; [unrolled: 2-line block ×4, first 2 shown]
	v_and_b32_e32 v64, 15, v11
	v_mov_b32_dpp v65, v63 row_shr:1 row_mask:0xf bank_mask:0xf
	v_cmp_eq_u32_e32 vcc_lo, 0, v64
	v_cmp_lt_u32_e64 s19, 1, v64
	v_cmp_lt_u32_e64 s20, 3, v64
	;; [unrolled: 1-line block ×3, first 2 shown]
	v_cndmask_b32_e64 v65, v65, 0, vcc_lo
	v_add_nc_u32_e32 v63, v65, v63
	v_mov_b32_dpp v65, v63 row_shr:2 row_mask:0xf bank_mask:0xf
	v_cndmask_b32_e64 v65, 0, v65, s19
	v_add_nc_u32_e32 v63, v63, v65
	v_mov_b32_dpp v65, v63 row_shr:4 row_mask:0xf bank_mask:0xf
	v_cndmask_b32_e64 v65, 0, v65, s20
	;; [unrolled: 3-line block ×3, first 2 shown]
	v_bfe_i32 v65, v11, 4, 1
	v_add_nc_u32_e32 v63, v63, v64
	ds_swizzle_b32 v64, v63 offset:swizzle(BROADCAST,32,15)
	s_waitcnt lgkmcnt(0)
	v_and_b32_e32 v65, v65, v64
	v_lshrrev_b32_e32 v64, 5, v0
	v_add_nc_u32_e32 v63, v63, v65
	v_cmpx_eq_u32_e32 31, v67
; %bb.50:
	v_lshlrev_b32_e32 v65, 2, v64
	ds_write_b32 v65, v63
; %bb.51:
	s_or_b32 exec_lo, exec_lo, s24
	v_cmp_lt_u32_e64 s23, 31, v0
	s_mov_b32 s48, exec_lo
	s_waitcnt lgkmcnt(0)
	s_barrier
	buffer_gl0_inv
	v_cmpx_gt_u32_e32 32, v0
	s_cbranch_execz .LBB1043_53
; %bb.52:
	v_lshlrev_b32_e32 v65, 2, v0
	ds_read_b32 v66, v65
	s_waitcnt lgkmcnt(0)
	v_mov_b32_dpp v67, v66 row_shr:1 row_mask:0xf bank_mask:0xf
	v_cndmask_b32_e64 v67, v67, 0, vcc_lo
	v_add_nc_u32_e32 v66, v67, v66
	v_mov_b32_dpp v67, v66 row_shr:2 row_mask:0xf bank_mask:0xf
	v_cndmask_b32_e64 v67, 0, v67, s19
	v_add_nc_u32_e32 v66, v66, v67
	v_mov_b32_dpp v67, v66 row_shr:4 row_mask:0xf bank_mask:0xf
	v_cndmask_b32_e64 v67, 0, v67, s20
	;; [unrolled: 3-line block ×3, first 2 shown]
	v_add_nc_u32_e32 v66, v66, v67
	ds_swizzle_b32 v67, v66 offset:swizzle(BROADCAST,32,15)
	s_waitcnt lgkmcnt(0)
	v_cndmask_b32_e64 v67, v67, 0, s22
	v_add_nc_u32_e32 v66, v66, v67
	ds_write_b32 v65, v66
.LBB1043_53:
	s_or_b32 exec_lo, exec_lo, s48
	v_mov_b32_e32 v65, 0
	s_waitcnt lgkmcnt(0)
	s_barrier
	buffer_gl0_inv
	s_and_saveexec_b32 s19, s23
; %bb.54:
	v_lshl_add_u32 v64, v64, 2, -4
	ds_read_b32 v65, v64
; %bb.55:
	s_or_b32 exec_lo, exec_lo, s19
	v_sub_co_u32 v64, vcc_lo, v11, 1
	s_waitcnt lgkmcnt(0)
	v_add_nc_u32_e32 v63, v65, v63
	v_cmp_gt_i32_e64 s19, 0, v64
	v_cndmask_b32_e64 v64, v64, v11, s19
	v_cmp_lt_u32_e64 s19, 0xff, v0
	v_lshlrev_b32_e32 v64, 2, v64
	ds_bpermute_b32 v63, v64, v63
	s_waitcnt lgkmcnt(0)
	v_cndmask_b32_e32 v63, v63, v65, vcc_lo
	v_cmp_ne_u32_e32 vcc_lo, 0, v0
	v_cndmask_b32_e32 v63, 0, v63, vcc_lo
	v_cmp_gt_u32_e32 vcc_lo, 0x100, v0
	v_add_nc_u32_e32 v9, v63, v9
	v_add_nc_u32_e32 v10, v9, v10
	;; [unrolled: 1-line block ×8, first 2 shown]
	ds_write2_b32 v30, v63, v9 offset0:32 offset1:33
	ds_write2_b32 v30, v10, v7 offset0:34 offset1:35
	;; [unrolled: 1-line block ×4, first 2 shown]
	ds_write_b32 v30, v4 offset:160
	s_waitcnt lgkmcnt(0)
	s_barrier
	buffer_gl0_inv
	ds_read_b32 v31, v31 offset:128
	ds_read_b32 v34, v34 offset:128
	;; [unrolled: 1-line block ×12, first 2 shown]
                                        ; implicit-def: $vgpr9
                                        ; implicit-def: $vgpr10
	s_and_saveexec_b32 s21, vcc_lo
	s_cbranch_execz .LBB1043_59
; %bb.56:
	v_mul_u32_u24_e32 v3, 0x84, v0
	v_add_nc_u32_e32 v4, 1, v0
	s_mov_b32 s22, exec_lo
	ds_read_b32 v9, v3 offset:128
	v_mov_b32_e32 v3, 0x3000
	v_cmpx_ne_u32_e32 0x100, v4
; %bb.57:
	v_mul_u32_u24_e32 v3, 0x84, v4
	ds_read_b32 v3, v3 offset:128
; %bb.58:
	s_or_b32 exec_lo, exec_lo, s22
	s_waitcnt lgkmcnt(0)
	v_sub_nc_u32_e32 v10, v3, v9
.LBB1043_59:
	s_or_b32 exec_lo, exec_lo, s21
	v_mov_b32_e32 v4, 0
	v_lshlrev_b32_e32 v30, 2, v0
	s_waitcnt lgkmcnt(0)
	s_barrier
	buffer_gl0_inv
	s_and_saveexec_b32 s20, vcc_lo
	s_cbranch_execz .LBB1043_69
; %bb.60:
	v_lshl_add_u32 v3, s6, 8, v0
	v_mov_b32_e32 v63, 0
	s_mov_b32 s21, 0
	s_mov_b32 s22, s6
                                        ; implicit-def: $sgpr23
	v_lshlrev_b64 v[5:6], 2, v[3:4]
	v_or_b32_e32 v3, 2.0, v10
	v_add_co_u32 v5, vcc_lo, s26, v5
	v_add_co_ci_u32_e64 v6, null, s27, v6, vcc_lo
	global_store_dword v[5:6], v3, off
	s_branch .LBB1043_63
	.p2align	6
.LBB1043_61:                            ;   in Loop: Header=BB1043_63 Depth=1
	s_or_b32 exec_lo, exec_lo, s24
.LBB1043_62:                            ;   in Loop: Header=BB1043_63 Depth=1
	s_or_b32 exec_lo, exec_lo, s23
	v_and_b32_e32 v7, 0x3fffffff, v3
	v_cmp_gt_i32_e64 s23, -2.0, v3
	v_add_nc_u32_e32 v63, v7, v63
	s_and_b32 s24, exec_lo, s23
	s_or_b32 s21, s24, s21
	s_andn2_b32 exec_lo, exec_lo, s21
	s_cbranch_execz .LBB1043_68
.LBB1043_63:                            ; =>This Loop Header: Depth=1
                                        ;     Child Loop BB1043_66 Depth 2
	s_or_b32 s23, s23, exec_lo
	s_cmp_eq_u32 s22, 0
	s_cbranch_scc1 .LBB1043_67
; %bb.64:                               ;   in Loop: Header=BB1043_63 Depth=1
	s_add_i32 s22, s22, -1
	s_mov_b32 s23, exec_lo
	v_lshl_or_b32 v3, s22, 8, v0
	v_lshlrev_b64 v[7:8], 2, v[3:4]
	v_add_co_u32 v7, vcc_lo, s26, v7
	v_add_co_ci_u32_e64 v8, null, s27, v8, vcc_lo
	global_load_dword v3, v[7:8], off glc dlc
	s_waitcnt vmcnt(0)
	v_cmpx_gt_u32_e32 2.0, v3
	s_cbranch_execz .LBB1043_62
; %bb.65:                               ;   in Loop: Header=BB1043_63 Depth=1
	s_mov_b32 s24, 0
.LBB1043_66:                            ;   Parent Loop BB1043_63 Depth=1
                                        ; =>  This Inner Loop Header: Depth=2
	global_load_dword v3, v[7:8], off glc dlc
	s_waitcnt vmcnt(0)
	v_cmp_lt_u32_e32 vcc_lo, 0x3fffffff, v3
	s_or_b32 s24, vcc_lo, s24
	s_andn2_b32 exec_lo, exec_lo, s24
	s_cbranch_execnz .LBB1043_66
	s_branch .LBB1043_61
.LBB1043_67:                            ;   in Loop: Header=BB1043_63 Depth=1
                                        ; implicit-def: $sgpr22
	s_and_b32 s24, exec_lo, s23
	s_or_b32 s21, s24, s21
	s_andn2_b32 exec_lo, exec_lo, s21
	s_cbranch_execnz .LBB1043_63
.LBB1043_68:
	s_or_b32 exec_lo, exec_lo, s21
	v_add_nc_u32_e32 v3, v63, v10
	v_sub_nc_u32_e32 v4, v63, v9
	v_or_b32_e32 v3, 0x80000000, v3
	global_store_dword v[5:6], v3, off
	global_load_dword v3, v30, s[28:29]
	s_waitcnt vmcnt(0)
	v_add_nc_u32_e32 v3, v4, v3
	ds_write_b32 v30, v3
.LBB1043_69:
	s_or_b32 exec_lo, exec_lo, s20
	v_add_nc_u32_e32 v5, v31, v27
	v_add3_u32 v6, v29, v28, v34
	v_add3_u32 v7, v33, v32, v37
	;; [unrolled: 1-line block ×11, first 2 shown]
	v_mov_b32_e32 v4, 0
	v_mov_b32_e32 v36, v5
	;; [unrolled: 1-line block ×14, first 2 shown]
	s_mov_b32 s20, 32
	s_mov_b32 s22, 0
	s_mov_b32 s21, -1
	s_branch .LBB1043_71
.LBB1043_70:                            ;   in Loop: Header=BB1043_71 Depth=1
	s_or_b32 exec_lo, exec_lo, s23
	v_add_nc_u32_e32 v48, 0x2000, v48
	v_add_nc_u32_e32 v47, 0xffffe000, v47
	;; [unrolled: 1-line block ×13, first 2 shown]
	s_xor_b32 s22, s21, -1
	s_mov_b32 s21, 0
	s_and_b32 vcc_lo, exec_lo, s22
	s_mov_b32 s22, s20
	s_waitcnt_vscnt null, 0x0
	s_barrier
	buffer_gl0_inv
	s_cbranch_vccnz .LBB1043_87
.LBB1043_71:                            ; =>This Inner Loop Header: Depth=1
	v_min_u32_e32 v3, 0x2000, v36
	v_min_u32_e32 v49, 0x2000, v37
	;; [unrolled: 1-line block ×5, first 2 shown]
	v_lshlrev_b32_e32 v3, 2, v3
	v_lshlrev_b32_e32 v49, 2, v49
	v_min_u32_e32 v53, 0x2000, v41
	v_lshlrev_b32_e32 v50, 2, v50
	s_mov_b32 s23, exec_lo
	ds_write_b32 v3, v16 offset:1024
	ds_write_b32 v49, v15 offset:1024
	v_min_u32_e32 v3, 0x2000, v42
	v_lshlrev_b32_e32 v49, 2, v51
	v_lshlrev_b32_e32 v51, 2, v52
	v_lshlrev_b32_e32 v52, 2, v53
	ds_write_b32 v50, v18 offset:1024
	v_lshlrev_b32_e32 v3, 2, v3
	ds_write_b32 v49, v17 offset:1024
	ds_write_b32 v51, v20 offset:1024
	;; [unrolled: 1-line block ×3, first 2 shown]
	v_min_u32_e32 v49, 0x2000, v43
	v_min_u32_e32 v50, 0x2000, v45
	;; [unrolled: 1-line block ×3, first 2 shown]
	ds_write_b32 v3, v22 offset:1024
	v_min_u32_e32 v3, 0x2000, v44
	v_lshlrev_b32_e32 v49, 2, v49
	v_min_u32_e32 v52, 0x2000, v47
	v_lshlrev_b32_e32 v50, 2, v50
	v_lshlrev_b32_e32 v51, 2, v51
	;; [unrolled: 1-line block ×3, first 2 shown]
	ds_write_b32 v49, v21 offset:1024
	v_lshlrev_b32_e32 v49, 2, v52
	ds_write_b32 v3, v24 offset:1024
	ds_write_b32 v50, v23 offset:1024
	;; [unrolled: 1-line block ×4, first 2 shown]
	s_waitcnt lgkmcnt(0)
	s_waitcnt_vscnt null, 0x0
	s_barrier
	buffer_gl0_inv
	v_cmpx_gt_u32_e64 s25, v48
	s_cbranch_execz .LBB1043_73
; %bb.72:                               ;   in Loop: Header=BB1043_71 Depth=1
	ds_read_b32 v51, v30 offset:1024
	s_waitcnt lgkmcnt(0)
	v_lshrrev_b32_e32 v3, s44, v51
	v_and_b32_e32 v52, s35, v3
	v_lshlrev_b32_e32 v3, 2, v52
	ds_read_b32 v3, v3
	s_waitcnt lgkmcnt(0)
	v_add_nc_u32_e32 v3, v48, v3
	v_lshlrev_b64 v[49:50], 2, v[3:4]
	v_xor_b32_e32 v3, 0x7fffffff, v51
	v_mov_b32_e32 v51, s22
	v_add_co_u32 v49, vcc_lo, s38, v49
	v_add_co_ci_u32_e64 v50, null, s39, v50, vcc_lo
	buffer_store_dword v52, v51, s[0:3], 0 offen
	global_store_dword v[49:50], v3, off
.LBB1043_73:                            ;   in Loop: Header=BB1043_71 Depth=1
	s_or_b32 exec_lo, exec_lo, s23
	v_add_nc_u32_e32 v3, 0x400, v48
	s_mov_b32 s23, exec_lo
	v_cmpx_gt_u32_e64 s25, v3
	s_cbranch_execz .LBB1043_75
; %bb.74:                               ;   in Loop: Header=BB1043_71 Depth=1
	ds_read_b32 v51, v30 offset:5120
	s_waitcnt lgkmcnt(0)
	v_lshrrev_b32_e32 v3, s44, v51
	v_and_b32_e32 v52, s35, v3
	v_lshlrev_b32_e32 v3, 2, v52
	ds_read_b32 v3, v3
	s_waitcnt lgkmcnt(0)
	v_add3_u32 v3, v48, v3, 0x400
	v_lshlrev_b64 v[49:50], 2, v[3:4]
	v_xor_b32_e32 v3, 0x7fffffff, v51
	v_mov_b32_e32 v51, s22
	v_add_co_u32 v49, vcc_lo, s38, v49
	v_add_co_ci_u32_e64 v50, null, s39, v50, vcc_lo
	buffer_store_dword v52, v51, s[0:3], 0 offen offset:4
	global_store_dword v[49:50], v3, off
.LBB1043_75:                            ;   in Loop: Header=BB1043_71 Depth=1
	s_or_b32 exec_lo, exec_lo, s23
	v_add_nc_u32_e32 v3, 0x800, v48
	s_mov_b32 s23, exec_lo
	v_cmpx_gt_u32_e64 s25, v3
	s_cbranch_execz .LBB1043_77
; %bb.76:                               ;   in Loop: Header=BB1043_71 Depth=1
	ds_read_b32 v51, v30 offset:9216
	s_waitcnt lgkmcnt(0)
	v_lshrrev_b32_e32 v3, s44, v51
	v_and_b32_e32 v52, s35, v3
	v_lshlrev_b32_e32 v3, 2, v52
	ds_read_b32 v3, v3
	s_waitcnt lgkmcnt(0)
	v_add3_u32 v3, v48, v3, 0x800
	v_lshlrev_b64 v[49:50], 2, v[3:4]
	v_xor_b32_e32 v3, 0x7fffffff, v51
	v_mov_b32_e32 v51, s22
	v_add_co_u32 v49, vcc_lo, s38, v49
	v_add_co_ci_u32_e64 v50, null, s39, v50, vcc_lo
	buffer_store_dword v52, v51, s[0:3], 0 offen offset:8
	global_store_dword v[49:50], v3, off
.LBB1043_77:                            ;   in Loop: Header=BB1043_71 Depth=1
	;; [unrolled: 22-line block ×6, first 2 shown]
	s_or_b32 exec_lo, exec_lo, s23
	v_add_nc_u32_e32 v3, 0x1c00, v48
	s_mov_b32 s23, exec_lo
	v_cmpx_gt_u32_e64 s25, v3
	s_cbranch_execz .LBB1043_70
; %bb.86:                               ;   in Loop: Header=BB1043_71 Depth=1
	ds_read_b32 v51, v30 offset:29696
	s_waitcnt lgkmcnt(0)
	v_lshrrev_b32_e32 v3, s44, v51
	v_and_b32_e32 v52, s35, v3
	v_lshlrev_b32_e32 v3, 2, v52
	ds_read_b32 v3, v3
	s_waitcnt lgkmcnt(0)
	v_add3_u32 v3, v48, v3, 0x1c00
	v_lshlrev_b64 v[49:50], 2, v[3:4]
	v_xor_b32_e32 v3, 0x7fffffff, v51
	v_mov_b32_e32 v51, s22
	v_add_co_u32 v49, vcc_lo, s38, v49
	v_add_co_ci_u32_e64 v50, null, s39, v50, vcc_lo
	buffer_store_dword v52, v51, s[0:3], 0 offen offset:28
	global_store_dword v[49:50], v3, off
	s_branch .LBB1043_70
.LBB1043_87:
	s_add_u32 s21, s40, s46
	s_addc_u32 s22, s41, s47
	v_add_co_u32 v3, s21, s21, v13
	v_add_co_ci_u32_e64 v4, null, s22, 0, s21
                                        ; implicit-def: $vgpr13
	v_add_co_u32 v3, vcc_lo, v3, v14
	v_add_co_ci_u32_e64 v4, null, 0, v4, vcc_lo
	s_and_saveexec_b32 s21, s7
	s_cbranch_execz .LBB1043_99
; %bb.88:
	global_load_dword v13, v[3:4], off
	s_or_b32 exec_lo, exec_lo, s21
                                        ; implicit-def: $vgpr14
	s_and_saveexec_b32 s7, s8
	s_cbranch_execnz .LBB1043_100
.LBB1043_89:
	s_or_b32 exec_lo, exec_lo, s7
                                        ; implicit-def: $vgpr15
	s_and_saveexec_b32 s7, s9
	s_cbranch_execz .LBB1043_101
.LBB1043_90:
	global_load_dword v15, v[3:4], off offset:256
	s_or_b32 exec_lo, exec_lo, s7
                                        ; implicit-def: $vgpr16
	s_and_saveexec_b32 s7, s10
	s_cbranch_execnz .LBB1043_102
.LBB1043_91:
	s_or_b32 exec_lo, exec_lo, s7
                                        ; implicit-def: $vgpr17
	s_and_saveexec_b32 s7, s11
	s_cbranch_execz .LBB1043_103
.LBB1043_92:
	global_load_dword v17, v[3:4], off offset:512
	s_or_b32 exec_lo, exec_lo, s7
                                        ; implicit-def: $vgpr18
	s_and_saveexec_b32 s7, s12
	s_cbranch_execnz .LBB1043_104
.LBB1043_93:
	s_or_b32 exec_lo, exec_lo, s7
                                        ; implicit-def: $vgpr19
	s_and_saveexec_b32 s7, s13
	s_cbranch_execz .LBB1043_105
.LBB1043_94:
	global_load_dword v19, v[3:4], off offset:768
	s_or_b32 exec_lo, exec_lo, s7
                                        ; implicit-def: $vgpr20
	s_and_saveexec_b32 s7, s14
	s_cbranch_execnz .LBB1043_106
.LBB1043_95:
	s_or_b32 exec_lo, exec_lo, s7
                                        ; implicit-def: $vgpr21
	s_and_saveexec_b32 s7, s15
	s_cbranch_execz .LBB1043_107
.LBB1043_96:
	global_load_dword v21, v[3:4], off offset:1024
	s_or_b32 exec_lo, exec_lo, s7
                                        ; implicit-def: $vgpr22
	s_and_saveexec_b32 s7, s16
	s_cbranch_execnz .LBB1043_108
.LBB1043_97:
	s_or_b32 exec_lo, exec_lo, s7
                                        ; implicit-def: $vgpr23
	s_and_saveexec_b32 s7, s17
	s_cbranch_execz .LBB1043_109
.LBB1043_98:
	global_load_dword v23, v[3:4], off offset:1280
	s_or_b32 exec_lo, exec_lo, s7
                                        ; implicit-def: $vgpr24
	s_and_saveexec_b32 s7, s18
	s_cbranch_execnz .LBB1043_110
	s_branch .LBB1043_111
.LBB1043_99:
	s_or_b32 exec_lo, exec_lo, s21
                                        ; implicit-def: $vgpr14
	s_and_saveexec_b32 s7, s8
	s_cbranch_execz .LBB1043_89
.LBB1043_100:
	global_load_dword v14, v[3:4], off offset:128
	s_or_b32 exec_lo, exec_lo, s7
                                        ; implicit-def: $vgpr15
	s_and_saveexec_b32 s7, s9
	s_cbranch_execnz .LBB1043_90
.LBB1043_101:
	s_or_b32 exec_lo, exec_lo, s7
                                        ; implicit-def: $vgpr16
	s_and_saveexec_b32 s7, s10
	s_cbranch_execz .LBB1043_91
.LBB1043_102:
	global_load_dword v16, v[3:4], off offset:384
	s_or_b32 exec_lo, exec_lo, s7
                                        ; implicit-def: $vgpr17
	s_and_saveexec_b32 s7, s11
	s_cbranch_execnz .LBB1043_92
.LBB1043_103:
	s_or_b32 exec_lo, exec_lo, s7
                                        ; implicit-def: $vgpr18
	s_and_saveexec_b32 s7, s12
	s_cbranch_execz .LBB1043_93
.LBB1043_104:
	global_load_dword v18, v[3:4], off offset:640
	s_or_b32 exec_lo, exec_lo, s7
                                        ; implicit-def: $vgpr19
	s_and_saveexec_b32 s7, s13
	s_cbranch_execnz .LBB1043_94
.LBB1043_105:
	s_or_b32 exec_lo, exec_lo, s7
                                        ; implicit-def: $vgpr20
	s_and_saveexec_b32 s7, s14
	s_cbranch_execz .LBB1043_95
.LBB1043_106:
	global_load_dword v20, v[3:4], off offset:896
	s_or_b32 exec_lo, exec_lo, s7
                                        ; implicit-def: $vgpr21
	s_and_saveexec_b32 s7, s15
	s_cbranch_execnz .LBB1043_96
.LBB1043_107:
	s_or_b32 exec_lo, exec_lo, s7
                                        ; implicit-def: $vgpr22
	s_and_saveexec_b32 s7, s16
	s_cbranch_execz .LBB1043_97
.LBB1043_108:
	global_load_dword v22, v[3:4], off offset:1152
	s_or_b32 exec_lo, exec_lo, s7
                                        ; implicit-def: $vgpr23
	s_and_saveexec_b32 s7, s17
	s_cbranch_execnz .LBB1043_98
.LBB1043_109:
	s_or_b32 exec_lo, exec_lo, s7
                                        ; implicit-def: $vgpr24
	s_and_saveexec_b32 s7, s18
	s_cbranch_execz .LBB1043_111
.LBB1043_110:
	global_load_dword v24, v[3:4], off offset:1408
.LBB1043_111:
	s_or_b32 exec_lo, exec_lo, s7
	v_mov_b32_e32 v4, 0
	v_mov_b32_e32 v25, v0
	s_mov_b32 s8, 0
	s_mov_b32 s7, -1
	s_branch .LBB1043_113
.LBB1043_112:                           ;   in Loop: Header=BB1043_113 Depth=1
	s_or_b32 exec_lo, exec_lo, s9
	v_add_nc_u32_e32 v25, 0x2000, v25
	v_add_nc_u32_e32 v35, 0xffffe000, v35
	;; [unrolled: 1-line block ×13, first 2 shown]
	s_xor_b32 s8, s7, -1
	s_mov_b32 s7, 0
	s_and_b32 vcc_lo, exec_lo, s8
	s_mov_b32 s8, s20
	s_waitcnt_vscnt null, 0x0
	s_barrier
	buffer_gl0_inv
	s_cbranch_vccnz .LBB1043_129
.LBB1043_113:                           ; =>This Inner Loop Header: Depth=1
	v_min_u32_e32 v3, 0x2000, v5
	v_min_u32_e32 v26, 0x2000, v6
	;; [unrolled: 1-line block ×5, first 2 shown]
	v_lshlrev_b32_e32 v3, 2, v3
	v_lshlrev_b32_e32 v26, 2, v26
	v_min_u32_e32 v39, 0x2000, v28
	v_lshlrev_b32_e32 v36, 2, v36
	s_mov_b32 s9, exec_lo
	s_waitcnt vmcnt(0)
	ds_write_b32 v3, v13 offset:1024
	ds_write_b32 v26, v14 offset:1024
	v_min_u32_e32 v3, 0x2000, v29
	v_lshlrev_b32_e32 v26, 2, v37
	v_lshlrev_b32_e32 v37, 2, v38
	;; [unrolled: 1-line block ×3, first 2 shown]
	ds_write_b32 v36, v15 offset:1024
	v_lshlrev_b32_e32 v3, 2, v3
	ds_write_b32 v26, v16 offset:1024
	ds_write_b32 v37, v17 offset:1024
	;; [unrolled: 1-line block ×3, first 2 shown]
	v_min_u32_e32 v26, 0x2000, v31
	v_min_u32_e32 v36, 0x2000, v33
	;; [unrolled: 1-line block ×3, first 2 shown]
	ds_write_b32 v3, v19 offset:1024
	v_min_u32_e32 v3, 0x2000, v32
	v_lshlrev_b32_e32 v26, 2, v26
	v_min_u32_e32 v38, 0x2000, v35
	v_lshlrev_b32_e32 v36, 2, v36
	v_lshlrev_b32_e32 v37, 2, v37
	v_lshlrev_b32_e32 v3, 2, v3
	ds_write_b32 v26, v20 offset:1024
	v_lshlrev_b32_e32 v26, 2, v38
	ds_write_b32 v3, v21 offset:1024
	ds_write_b32 v36, v22 offset:1024
	;; [unrolled: 1-line block ×4, first 2 shown]
	s_waitcnt lgkmcnt(0)
	s_barrier
	buffer_gl0_inv
	v_cmpx_gt_u32_e64 s25, v25
	s_cbranch_execz .LBB1043_115
; %bb.114:                              ;   in Loop: Header=BB1043_113 Depth=1
	v_mov_b32_e32 v3, s8
	buffer_load_dword v3, v3, s[0:3], 0 offen
	s_waitcnt vmcnt(0)
	v_lshlrev_b32_e32 v3, 2, v3
	ds_read_b32 v3, v3
	ds_read_b32 v26, v30 offset:1024
	s_waitcnt lgkmcnt(1)
	v_add_nc_u32_e32 v3, v25, v3
	v_lshlrev_b64 v[36:37], 2, v[3:4]
	v_add_co_u32 v36, vcc_lo, s42, v36
	v_add_co_ci_u32_e64 v37, null, s43, v37, vcc_lo
	s_waitcnt lgkmcnt(0)
	global_store_dword v[36:37], v26, off
.LBB1043_115:                           ;   in Loop: Header=BB1043_113 Depth=1
	s_or_b32 exec_lo, exec_lo, s9
	v_add_nc_u32_e32 v3, 0x400, v25
	s_mov_b32 s9, exec_lo
	v_cmpx_gt_u32_e64 s25, v3
	s_cbranch_execz .LBB1043_117
; %bb.116:                              ;   in Loop: Header=BB1043_113 Depth=1
	v_mov_b32_e32 v3, s8
	buffer_load_dword v3, v3, s[0:3], 0 offen offset:4
	s_waitcnt vmcnt(0)
	v_lshlrev_b32_e32 v3, 2, v3
	ds_read_b32 v3, v3
	ds_read_b32 v26, v30 offset:5120
	s_waitcnt lgkmcnt(1)
	v_add3_u32 v3, v25, v3, 0x400
	v_lshlrev_b64 v[36:37], 2, v[3:4]
	v_add_co_u32 v36, vcc_lo, s42, v36
	v_add_co_ci_u32_e64 v37, null, s43, v37, vcc_lo
	s_waitcnt lgkmcnt(0)
	global_store_dword v[36:37], v26, off
.LBB1043_117:                           ;   in Loop: Header=BB1043_113 Depth=1
	s_or_b32 exec_lo, exec_lo, s9
	v_add_nc_u32_e32 v3, 0x800, v25
	s_mov_b32 s9, exec_lo
	v_cmpx_gt_u32_e64 s25, v3
	s_cbranch_execz .LBB1043_119
; %bb.118:                              ;   in Loop: Header=BB1043_113 Depth=1
	v_mov_b32_e32 v3, s8
	buffer_load_dword v3, v3, s[0:3], 0 offen offset:8
	s_waitcnt vmcnt(0)
	v_lshlrev_b32_e32 v3, 2, v3
	ds_read_b32 v3, v3
	ds_read_b32 v26, v30 offset:9216
	s_waitcnt lgkmcnt(1)
	v_add3_u32 v3, v25, v3, 0x800
	v_lshlrev_b64 v[36:37], 2, v[3:4]
	v_add_co_u32 v36, vcc_lo, s42, v36
	v_add_co_ci_u32_e64 v37, null, s43, v37, vcc_lo
	s_waitcnt lgkmcnt(0)
	global_store_dword v[36:37], v26, off
.LBB1043_119:                           ;   in Loop: Header=BB1043_113 Depth=1
	;; [unrolled: 20-line block ×6, first 2 shown]
	s_or_b32 exec_lo, exec_lo, s9
	v_add_nc_u32_e32 v3, 0x1c00, v25
	s_mov_b32 s9, exec_lo
	v_cmpx_gt_u32_e64 s25, v3
	s_cbranch_execz .LBB1043_112
; %bb.128:                              ;   in Loop: Header=BB1043_113 Depth=1
	v_mov_b32_e32 v3, s8
	buffer_load_dword v3, v3, s[0:3], 0 offen offset:28
	s_waitcnt vmcnt(0)
	v_lshlrev_b32_e32 v3, 2, v3
	ds_read_b32 v3, v3
	ds_read_b32 v26, v30 offset:29696
	s_waitcnt lgkmcnt(1)
	v_add3_u32 v3, v25, v3, 0x1c00
	v_lshlrev_b64 v[36:37], 2, v[3:4]
	v_add_co_u32 v36, vcc_lo, s42, v36
	v_add_co_ci_u32_e64 v37, null, s43, v37, vcc_lo
	s_waitcnt lgkmcnt(0)
	global_store_dword v[36:37], v26, off
	s_branch .LBB1043_112
.LBB1043_129:
	s_add_i32 s33, s33, -1
	s_cmp_eq_u32 s6, s33
	s_cselect_b32 s7, -1, 0
	s_xor_b32 s8, s19, -1
	s_and_b32 s8, s8, s7
	s_and_saveexec_b32 s7, s8
	s_cbranch_execz .LBB1043_131
; %bb.130:
	ds_read_b32 v3, v30
	s_waitcnt lgkmcnt(0)
	v_add3_u32 v3, v9, v10, v3
	global_store_dword v30, v3, s[30:31]
.LBB1043_131:
	s_or_b32 exec_lo, exec_lo, s7
	s_mov_b32 s7, 0
.LBB1043_132:
	s_and_b32 vcc_lo, exec_lo, s7
	s_cbranch_vccz .LBB1043_199
; %bb.133:
	s_mov_b32 s35, 0
	v_mul_u32_u24_e32 v3, 12, v12
	v_lshlrev_b32_e32 v9, 2, v11
	s_lshl_b64 s[12:13], s[34:35], 2
	v_mov_b32_e32 v22, 0
	s_add_u32 s7, s36, s12
	s_addc_u32 s8, s37, s13
	v_lshlrev_b32_e32 v10, 2, v3
	v_add_co_u32 v3, s7, s7, v9
	v_add_co_ci_u32_e64 v4, null, s8, 0, s7
	v_add_co_u32 v18, vcc_lo, v3, v10
	v_add_co_ci_u32_e64 v19, null, 0, v4, vcc_lo
	global_load_dword v12, v[18:19], off
	s_clause 0x1
	s_load_dword s7, s[4:5], 0x64
	s_load_dword s11, s[4:5], 0x58
	s_add_u32 s4, s4, 0x58
	s_addc_u32 s5, s5, 0
	s_waitcnt lgkmcnt(0)
	s_lshr_b32 s7, s7, 16
	s_cmp_lt_u32 s6, s11
	v_mad_u32_u24 v1, v2, s7, v1
	s_cselect_b32 s8, 12, 18
	s_add_u32 s4, s4, s8
	s_addc_u32 s5, s5, 0
	global_load_ushort v16, v22, s[4:5]
	s_clause 0xa
	global_load_dword v13, v[18:19], off offset:128
	global_load_dword v14, v[18:19], off offset:256
	;; [unrolled: 1-line block ×11, first 2 shown]
	s_lshl_b32 s4, -1, s45
	s_not_b32 s14, s4
	s_waitcnt vmcnt(12)
	v_xor_b32_e32 v12, 0x7fffffff, v12
	v_lshrrev_b32_e32 v18, s44, v12
	v_and_b32_e32 v18, s14, v18
	v_and_b32_e32 v19, 1, v18
	v_lshlrev_b32_e32 v21, 30, v18
	v_lshlrev_b32_e32 v23, 29, v18
	;; [unrolled: 1-line block ×4, first 2 shown]
	v_add_co_u32 v19, s4, v19, -1
	v_cndmask_b32_e64 v25, 0, 1, s4
	v_not_b32_e32 v29, v21
	v_cmp_gt_i32_e64 s4, 0, v21
	v_not_b32_e32 v21, v23
	v_lshlrev_b32_e32 v27, 26, v18
	v_cmp_ne_u32_e32 vcc_lo, 0, v25
	v_ashrrev_i32_e32 v29, 31, v29
	v_lshlrev_b32_e32 v28, 25, v18
	v_ashrrev_i32_e32 v21, 31, v21
	v_lshlrev_b32_e32 v25, 24, v18
	v_xor_b32_e32 v19, vcc_lo, v19
	v_cmp_gt_i32_e32 vcc_lo, 0, v23
	v_not_b32_e32 v23, v24
	v_xor_b32_e32 v29, s4, v29
	v_cmp_gt_i32_e64 s4, 0, v24
	v_and_b32_e32 v19, exec_lo, v19
	v_not_b32_e32 v24, v26
	v_ashrrev_i32_e32 v23, 31, v23
	v_xor_b32_e32 v21, vcc_lo, v21
	v_cmp_gt_i32_e32 vcc_lo, 0, v26
	v_and_b32_e32 v19, v19, v29
	v_not_b32_e32 v26, v27
	v_ashrrev_i32_e32 v24, 31, v24
	v_xor_b32_e32 v23, s4, v23
	v_cmp_gt_i32_e64 s4, 0, v27
	v_and_b32_e32 v19, v19, v21
	v_not_b32_e32 v21, v28
	v_ashrrev_i32_e32 v26, 31, v26
	v_xor_b32_e32 v24, vcc_lo, v24
	v_cmp_gt_i32_e32 vcc_lo, 0, v28
	v_and_b32_e32 v19, v19, v23
	v_not_b32_e32 v23, v25
	v_ashrrev_i32_e32 v21, 31, v21
	v_xor_b32_e32 v26, s4, v26
	v_cmp_gt_i32_e64 s4, 0, v25
	v_and_b32_e32 v19, v19, v24
	v_ashrrev_i32_e32 v23, 31, v23
	v_xor_b32_e32 v21, vcc_lo, v21
	s_waitcnt vmcnt(11)
	v_mad_u64_u32 v[1:2], null, v1, v16, v[0:1]
	v_and_b32_e32 v19, v19, v26
	v_xor_b32_e32 v23, s4, v23
	v_mul_lo_u32 v18, 0x84, v18
	v_and_b32_e32 v19, v19, v21
	v_mul_u32_u24_e32 v21, 36, v0
	v_lshrrev_b32_e32 v1, 5, v1
	ds_write2_b32 v21, v22, v22 offset0:32 offset1:33
	ds_write2_b32 v21, v22, v22 offset0:34 offset1:35
	;; [unrolled: 1-line block ×3, first 2 shown]
	v_and_b32_e32 v2, v19, v23
	ds_write2_b32 v21, v22, v22 offset0:38 offset1:39
	ds_write_b32 v21, v22 offset:160
	v_lshl_add_u32 v22, v1, 2, v18
	s_waitcnt vmcnt(0) lgkmcnt(0)
	s_waitcnt_vscnt null, 0x0
	s_barrier
	v_mbcnt_lo_u32_b32 v16, v2, 0
	v_cmp_ne_u32_e64 s4, 0, v2
	buffer_gl0_inv
	; wave barrier
	v_cmp_eq_u32_e32 vcc_lo, 0, v16
	s_and_b32 s5, s4, vcc_lo
	s_and_saveexec_b32 s4, s5
; %bb.134:
	v_bcnt_u32_b32 v2, v2, 0
	ds_write_b32 v22, v2 offset:128
; %bb.135:
	s_or_b32 exec_lo, exec_lo, s4
	v_xor_b32_e32 v13, 0x7fffffff, v13
	; wave barrier
	v_lshrrev_b32_e32 v2, s44, v13
	v_and_b32_e32 v2, s14, v2
	v_and_b32_e32 v19, 1, v2
	v_lshlrev_b32_e32 v23, 30, v2
	v_lshlrev_b32_e32 v24, 29, v2
	;; [unrolled: 1-line block ×4, first 2 shown]
	v_add_co_u32 v19, s4, v19, -1
	v_cndmask_b32_e64 v26, 0, 1, s4
	v_not_b32_e32 v30, v23
	v_cmp_gt_i32_e64 s4, 0, v23
	v_not_b32_e32 v23, v24
	v_lshlrev_b32_e32 v28, 26, v2
	v_cmp_ne_u32_e32 vcc_lo, 0, v26
	v_ashrrev_i32_e32 v26, 31, v30
	v_lshlrev_b32_e32 v29, 25, v2
	v_ashrrev_i32_e32 v23, 31, v23
	v_mul_lo_u32 v18, 0x84, v2
	v_xor_b32_e32 v19, vcc_lo, v19
	v_cmp_gt_i32_e32 vcc_lo, 0, v24
	v_not_b32_e32 v24, v25
	v_xor_b32_e32 v26, s4, v26
	v_cmp_gt_i32_e64 s4, 0, v25
	v_and_b32_e32 v19, exec_lo, v19
	v_not_b32_e32 v25, v27
	v_ashrrev_i32_e32 v24, 31, v24
	v_xor_b32_e32 v23, vcc_lo, v23
	v_cmp_gt_i32_e32 vcc_lo, 0, v27
	v_and_b32_e32 v19, v19, v26
	v_not_b32_e32 v26, v28
	v_ashrrev_i32_e32 v25, 31, v25
	v_xor_b32_e32 v24, s4, v24
	v_lshlrev_b32_e32 v2, 24, v2
	v_and_b32_e32 v19, v19, v23
	v_cmp_gt_i32_e64 s4, 0, v28
	v_not_b32_e32 v23, v29
	v_ashrrev_i32_e32 v26, 31, v26
	v_xor_b32_e32 v25, vcc_lo, v25
	v_and_b32_e32 v19, v19, v24
	v_cmp_gt_i32_e32 vcc_lo, 0, v29
	v_not_b32_e32 v24, v2
	v_ashrrev_i32_e32 v23, 31, v23
	v_xor_b32_e32 v26, s4, v26
	v_and_b32_e32 v19, v19, v25
	v_cmp_gt_i32_e64 s4, 0, v2
	v_ashrrev_i32_e32 v2, 31, v24
	v_xor_b32_e32 v23, vcc_lo, v23
	v_and_b32_e32 v19, v19, v26
	v_lshl_add_u32 v26, v1, 2, v18
	v_xor_b32_e32 v2, s4, v2
	v_and_b32_e32 v19, v19, v23
	ds_read_b32 v18, v26 offset:128
	; wave barrier
	v_and_b32_e32 v2, v19, v2
	v_mbcnt_lo_u32_b32 v19, v2, 0
	v_cmp_ne_u32_e64 s4, 0, v2
	v_cmp_eq_u32_e32 vcc_lo, 0, v19
	s_and_b32 s5, s4, vcc_lo
	s_and_saveexec_b32 s4, s5
	s_cbranch_execz .LBB1043_137
; %bb.136:
	s_waitcnt lgkmcnt(0)
	v_bcnt_u32_b32 v2, v2, v18
	ds_write_b32 v26, v2 offset:128
.LBB1043_137:
	s_or_b32 exec_lo, exec_lo, s4
	v_xor_b32_e32 v14, 0x7fffffff, v14
	; wave barrier
	v_lshrrev_b32_e32 v2, s44, v14
	v_and_b32_e32 v2, s14, v2
	v_and_b32_e32 v24, 1, v2
	v_lshlrev_b32_e32 v25, 30, v2
	v_lshlrev_b32_e32 v27, 29, v2
	v_lshlrev_b32_e32 v28, 28, v2
	v_lshlrev_b32_e32 v30, 27, v2
	v_add_co_u32 v24, s4, v24, -1
	v_cndmask_b32_e64 v29, 0, 1, s4
	v_not_b32_e32 v33, v25
	v_cmp_gt_i32_e64 s4, 0, v25
	v_not_b32_e32 v25, v27
	v_lshlrev_b32_e32 v31, 26, v2
	v_cmp_ne_u32_e32 vcc_lo, 0, v29
	v_ashrrev_i32_e32 v29, 31, v33
	v_lshlrev_b32_e32 v32, 25, v2
	v_ashrrev_i32_e32 v25, 31, v25
	v_mul_lo_u32 v23, 0x84, v2
	v_xor_b32_e32 v24, vcc_lo, v24
	v_cmp_gt_i32_e32 vcc_lo, 0, v27
	v_not_b32_e32 v27, v28
	v_xor_b32_e32 v29, s4, v29
	v_cmp_gt_i32_e64 s4, 0, v28
	v_and_b32_e32 v24, exec_lo, v24
	v_not_b32_e32 v28, v30
	v_ashrrev_i32_e32 v27, 31, v27
	v_xor_b32_e32 v25, vcc_lo, v25
	v_cmp_gt_i32_e32 vcc_lo, 0, v30
	v_and_b32_e32 v24, v24, v29
	v_not_b32_e32 v29, v31
	v_ashrrev_i32_e32 v28, 31, v28
	v_xor_b32_e32 v27, s4, v27
	v_lshlrev_b32_e32 v2, 24, v2
	v_and_b32_e32 v24, v24, v25
	v_cmp_gt_i32_e64 s4, 0, v31
	v_not_b32_e32 v25, v32
	v_ashrrev_i32_e32 v29, 31, v29
	v_xor_b32_e32 v28, vcc_lo, v28
	v_and_b32_e32 v24, v24, v27
	v_cmp_gt_i32_e32 vcc_lo, 0, v32
	v_not_b32_e32 v27, v2
	v_ashrrev_i32_e32 v25, 31, v25
	v_xor_b32_e32 v29, s4, v29
	v_and_b32_e32 v24, v24, v28
	v_cmp_gt_i32_e64 s4, 0, v2
	v_ashrrev_i32_e32 v2, 31, v27
	v_xor_b32_e32 v25, vcc_lo, v25
	v_lshl_add_u32 v30, v1, 2, v23
	v_and_b32_e32 v24, v24, v29
	v_xor_b32_e32 v2, s4, v2
	ds_read_b32 v23, v30 offset:128
	v_and_b32_e32 v24, v24, v25
	; wave barrier
	v_and_b32_e32 v2, v24, v2
	v_mbcnt_lo_u32_b32 v24, v2, 0
	v_cmp_ne_u32_e64 s4, 0, v2
	v_cmp_eq_u32_e32 vcc_lo, 0, v24
	s_and_b32 s5, s4, vcc_lo
	s_and_saveexec_b32 s4, s5
	s_cbranch_execz .LBB1043_139
; %bb.138:
	s_waitcnt lgkmcnt(0)
	v_bcnt_u32_b32 v2, v2, v23
	ds_write_b32 v30, v2 offset:128
.LBB1043_139:
	s_or_b32 exec_lo, exec_lo, s4
	v_xor_b32_e32 v15, 0x7fffffff, v15
	; wave barrier
	v_lshrrev_b32_e32 v2, s44, v15
	v_and_b32_e32 v2, s14, v2
	v_and_b32_e32 v27, 1, v2
	v_lshlrev_b32_e32 v28, 30, v2
	v_lshlrev_b32_e32 v29, 29, v2
	v_lshlrev_b32_e32 v31, 28, v2
	v_lshlrev_b32_e32 v33, 27, v2
	v_add_co_u32 v27, s4, v27, -1
	v_cndmask_b32_e64 v32, 0, 1, s4
	v_not_b32_e32 v36, v28
	v_cmp_gt_i32_e64 s4, 0, v28
	v_not_b32_e32 v28, v29
	v_lshlrev_b32_e32 v34, 26, v2
	v_cmp_ne_u32_e32 vcc_lo, 0, v32
	v_ashrrev_i32_e32 v32, 31, v36
	v_lshlrev_b32_e32 v35, 25, v2
	v_ashrrev_i32_e32 v28, 31, v28
	v_mul_lo_u32 v25, 0x84, v2
	v_xor_b32_e32 v27, vcc_lo, v27
	v_cmp_gt_i32_e32 vcc_lo, 0, v29
	v_not_b32_e32 v29, v31
	v_xor_b32_e32 v32, s4, v32
	v_cmp_gt_i32_e64 s4, 0, v31
	v_and_b32_e32 v27, exec_lo, v27
	v_not_b32_e32 v31, v33
	v_ashrrev_i32_e32 v29, 31, v29
	v_xor_b32_e32 v28, vcc_lo, v28
	v_cmp_gt_i32_e32 vcc_lo, 0, v33
	v_and_b32_e32 v27, v27, v32
	v_not_b32_e32 v32, v34
	v_ashrrev_i32_e32 v31, 31, v31
	v_xor_b32_e32 v29, s4, v29
	v_lshlrev_b32_e32 v2, 24, v2
	v_and_b32_e32 v27, v27, v28
	v_cmp_gt_i32_e64 s4, 0, v34
	v_not_b32_e32 v28, v35
	v_ashrrev_i32_e32 v32, 31, v32
	v_xor_b32_e32 v31, vcc_lo, v31
	v_and_b32_e32 v27, v27, v29
	v_cmp_gt_i32_e32 vcc_lo, 0, v35
	v_not_b32_e32 v29, v2
	v_ashrrev_i32_e32 v28, 31, v28
	v_xor_b32_e32 v32, s4, v32
	v_and_b32_e32 v27, v27, v31
	v_cmp_gt_i32_e64 s4, 0, v2
	v_ashrrev_i32_e32 v2, 31, v29
	v_xor_b32_e32 v28, vcc_lo, v28
	v_lshl_add_u32 v34, v1, 2, v25
	v_and_b32_e32 v27, v27, v32
	v_xor_b32_e32 v2, s4, v2
	v_and_b32_e32 v25, v27, v28
	ds_read_b32 v27, v34 offset:128
	; wave barrier
	v_and_b32_e32 v2, v25, v2
	v_mbcnt_lo_u32_b32 v28, v2, 0
	v_cmp_ne_u32_e64 s4, 0, v2
	v_cmp_eq_u32_e32 vcc_lo, 0, v28
	s_and_b32 s5, s4, vcc_lo
	s_and_saveexec_b32 s4, s5
	s_cbranch_execz .LBB1043_141
; %bb.140:
	s_waitcnt lgkmcnt(0)
	v_bcnt_u32_b32 v2, v2, v27
	ds_write_b32 v34, v2 offset:128
.LBB1043_141:
	s_or_b32 exec_lo, exec_lo, s4
	v_xor_b32_e32 v17, 0x7fffffff, v17
	; wave barrier
	v_lshrrev_b32_e32 v2, s44, v17
	v_and_b32_e32 v2, s14, v2
	v_and_b32_e32 v29, 1, v2
	v_lshlrev_b32_e32 v31, 30, v2
	v_lshlrev_b32_e32 v32, 29, v2
	;; [unrolled: 1-line block ×4, first 2 shown]
	v_add_co_u32 v29, s4, v29, -1
	v_cndmask_b32_e64 v35, 0, 1, s4
	v_not_b32_e32 v39, v31
	v_cmp_gt_i32_e64 s4, 0, v31
	v_not_b32_e32 v31, v32
	v_lshlrev_b32_e32 v37, 26, v2
	v_cmp_ne_u32_e32 vcc_lo, 0, v35
	v_ashrrev_i32_e32 v35, 31, v39
	v_lshlrev_b32_e32 v38, 25, v2
	v_ashrrev_i32_e32 v31, 31, v31
	v_mul_lo_u32 v25, 0x84, v2
	v_xor_b32_e32 v29, vcc_lo, v29
	v_cmp_gt_i32_e32 vcc_lo, 0, v32
	v_not_b32_e32 v32, v33
	v_xor_b32_e32 v35, s4, v35
	v_cmp_gt_i32_e64 s4, 0, v33
	v_and_b32_e32 v29, exec_lo, v29
	v_not_b32_e32 v33, v36
	v_ashrrev_i32_e32 v32, 31, v32
	v_xor_b32_e32 v31, vcc_lo, v31
	v_cmp_gt_i32_e32 vcc_lo, 0, v36
	v_and_b32_e32 v29, v29, v35
	v_not_b32_e32 v35, v37
	v_ashrrev_i32_e32 v33, 31, v33
	v_xor_b32_e32 v32, s4, v32
	v_lshlrev_b32_e32 v2, 24, v2
	v_and_b32_e32 v29, v29, v31
	v_cmp_gt_i32_e64 s4, 0, v37
	v_not_b32_e32 v31, v38
	v_ashrrev_i32_e32 v35, 31, v35
	v_xor_b32_e32 v33, vcc_lo, v33
	v_and_b32_e32 v29, v29, v32
	v_cmp_gt_i32_e32 vcc_lo, 0, v38
	v_not_b32_e32 v32, v2
	v_ashrrev_i32_e32 v31, 31, v31
	v_xor_b32_e32 v35, s4, v35
	v_and_b32_e32 v29, v29, v33
	v_cmp_gt_i32_e64 s4, 0, v2
	v_ashrrev_i32_e32 v2, 31, v32
	v_xor_b32_e32 v31, vcc_lo, v31
	v_lshl_add_u32 v38, v1, 2, v25
	v_and_b32_e32 v29, v29, v35
	v_xor_b32_e32 v2, s4, v2
	v_and_b32_e32 v25, v29, v31
	ds_read_b32 v31, v38 offset:128
	; wave barrier
	v_and_b32_e32 v2, v25, v2
	v_mbcnt_lo_u32_b32 v32, v2, 0
	v_cmp_ne_u32_e64 s4, 0, v2
	v_cmp_eq_u32_e32 vcc_lo, 0, v32
	s_and_b32 s5, s4, vcc_lo
	s_and_saveexec_b32 s4, s5
	s_cbranch_execz .LBB1043_143
; %bb.142:
	s_waitcnt lgkmcnt(0)
	v_bcnt_u32_b32 v2, v2, v31
	ds_write_b32 v38, v2 offset:128
.LBB1043_143:
	s_or_b32 exec_lo, exec_lo, s4
	v_xor_b32_e32 v20, 0x7fffffff, v20
	; wave barrier
	v_lshrrev_b32_e32 v2, s44, v20
	v_and_b32_e32 v2, s14, v2
	v_and_b32_e32 v29, 1, v2
	v_lshlrev_b32_e32 v33, 30, v2
	v_lshlrev_b32_e32 v35, 29, v2
	;; [unrolled: 1-line block ×4, first 2 shown]
	v_add_co_u32 v29, s4, v29, -1
	v_cndmask_b32_e64 v37, 0, 1, s4
	v_not_b32_e32 v42, v33
	v_cmp_gt_i32_e64 s4, 0, v33
	v_not_b32_e32 v33, v35
	v_lshlrev_b32_e32 v40, 26, v2
	v_cmp_ne_u32_e32 vcc_lo, 0, v37
	v_ashrrev_i32_e32 v37, 31, v42
	v_lshlrev_b32_e32 v41, 25, v2
	v_ashrrev_i32_e32 v33, 31, v33
	v_mul_lo_u32 v25, 0x84, v2
	v_xor_b32_e32 v29, vcc_lo, v29
	v_cmp_gt_i32_e32 vcc_lo, 0, v35
	v_not_b32_e32 v35, v36
	v_xor_b32_e32 v37, s4, v37
	v_cmp_gt_i32_e64 s4, 0, v36
	v_and_b32_e32 v29, exec_lo, v29
	v_not_b32_e32 v36, v39
	v_ashrrev_i32_e32 v35, 31, v35
	v_xor_b32_e32 v33, vcc_lo, v33
	v_cmp_gt_i32_e32 vcc_lo, 0, v39
	v_and_b32_e32 v29, v29, v37
	v_not_b32_e32 v37, v40
	v_ashrrev_i32_e32 v36, 31, v36
	v_xor_b32_e32 v35, s4, v35
	v_lshlrev_b32_e32 v2, 24, v2
	v_and_b32_e32 v29, v29, v33
	v_cmp_gt_i32_e64 s4, 0, v40
	v_not_b32_e32 v33, v41
	v_ashrrev_i32_e32 v37, 31, v37
	v_xor_b32_e32 v36, vcc_lo, v36
	v_and_b32_e32 v29, v29, v35
	v_cmp_gt_i32_e32 vcc_lo, 0, v41
	v_not_b32_e32 v35, v2
	v_ashrrev_i32_e32 v33, 31, v33
	v_xor_b32_e32 v37, s4, v37
	v_and_b32_e32 v29, v29, v36
	v_cmp_gt_i32_e64 s4, 0, v2
	v_ashrrev_i32_e32 v2, 31, v35
	v_xor_b32_e32 v33, vcc_lo, v33
	v_lshl_add_u32 v43, v1, 2, v25
	v_and_b32_e32 v29, v29, v37
	v_xor_b32_e32 v2, s4, v2
	ds_read_b32 v35, v43 offset:128
	v_and_b32_e32 v25, v29, v33
	; wave barrier
	v_and_b32_e32 v2, v25, v2
	v_mbcnt_lo_u32_b32 v36, v2, 0
	v_cmp_ne_u32_e64 s4, 0, v2
	v_cmp_eq_u32_e32 vcc_lo, 0, v36
	s_and_b32 s5, s4, vcc_lo
	s_and_saveexec_b32 s4, s5
	s_cbranch_execz .LBB1043_145
; %bb.144:
	s_waitcnt lgkmcnt(0)
	v_bcnt_u32_b32 v2, v2, v35
	ds_write_b32 v43, v2 offset:128
.LBB1043_145:
	s_or_b32 exec_lo, exec_lo, s4
	v_xor_b32_e32 v25, 0x7fffffff, v8
	; wave barrier
	v_lshrrev_b32_e32 v2, s44, v25
	v_and_b32_e32 v2, s14, v2
	v_and_b32_e32 v29, 1, v2
	v_lshlrev_b32_e32 v33, 30, v2
	v_lshlrev_b32_e32 v37, 29, v2
	;; [unrolled: 1-line block ×4, first 2 shown]
	v_add_co_u32 v29, s4, v29, -1
	v_cndmask_b32_e64 v40, 0, 1, s4
	v_not_b32_e32 v45, v33
	v_cmp_gt_i32_e64 s4, 0, v33
	v_not_b32_e32 v33, v37
	v_lshlrev_b32_e32 v42, 26, v2
	v_cmp_ne_u32_e32 vcc_lo, 0, v40
	v_ashrrev_i32_e32 v40, 31, v45
	v_lshlrev_b32_e32 v44, 25, v2
	v_ashrrev_i32_e32 v33, 31, v33
	v_mul_lo_u32 v8, 0x84, v2
	v_xor_b32_e32 v29, vcc_lo, v29
	v_cmp_gt_i32_e32 vcc_lo, 0, v37
	v_not_b32_e32 v37, v39
	v_xor_b32_e32 v40, s4, v40
	v_cmp_gt_i32_e64 s4, 0, v39
	v_and_b32_e32 v29, exec_lo, v29
	v_not_b32_e32 v39, v41
	v_ashrrev_i32_e32 v37, 31, v37
	v_xor_b32_e32 v33, vcc_lo, v33
	v_cmp_gt_i32_e32 vcc_lo, 0, v41
	v_and_b32_e32 v29, v29, v40
	v_not_b32_e32 v40, v42
	v_ashrrev_i32_e32 v39, 31, v39
	v_xor_b32_e32 v37, s4, v37
	v_lshlrev_b32_e32 v2, 24, v2
	v_and_b32_e32 v29, v29, v33
	v_cmp_gt_i32_e64 s4, 0, v42
	v_not_b32_e32 v33, v44
	v_ashrrev_i32_e32 v40, 31, v40
	v_xor_b32_e32 v39, vcc_lo, v39
	v_and_b32_e32 v29, v29, v37
	v_cmp_gt_i32_e32 vcc_lo, 0, v44
	v_not_b32_e32 v37, v2
	v_ashrrev_i32_e32 v33, 31, v33
	v_xor_b32_e32 v40, s4, v40
	v_and_b32_e32 v29, v29, v39
	v_cmp_gt_i32_e64 s4, 0, v2
	v_ashrrev_i32_e32 v2, 31, v37
	v_xor_b32_e32 v33, vcc_lo, v33
	v_lshl_add_u32 v47, v1, 2, v8
	v_and_b32_e32 v29, v29, v40
	v_xor_b32_e32 v2, s4, v2
	ds_read_b32 v39, v47 offset:128
	v_and_b32_e32 v8, v29, v33
	; wave barrier
	v_and_b32_e32 v2, v8, v2
	v_mbcnt_lo_u32_b32 v41, v2, 0
	v_cmp_ne_u32_e64 s4, 0, v2
	v_cmp_eq_u32_e32 vcc_lo, 0, v41
	s_and_b32 s5, s4, vcc_lo
	s_and_saveexec_b32 s4, s5
	s_cbranch_execz .LBB1043_147
; %bb.146:
	s_waitcnt lgkmcnt(0)
	v_bcnt_u32_b32 v2, v2, v39
	ds_write_b32 v47, v2 offset:128
.LBB1043_147:
	s_or_b32 exec_lo, exec_lo, s4
	v_xor_b32_e32 v29, 0x7fffffff, v7
	; wave barrier
	v_lshrrev_b32_e32 v2, s44, v29
	v_and_b32_e32 v2, s14, v2
	v_and_b32_e32 v8, 1, v2
	v_lshlrev_b32_e32 v33, 30, v2
	v_lshlrev_b32_e32 v37, 29, v2
	;; [unrolled: 1-line block ×4, first 2 shown]
	v_add_co_u32 v8, s4, v8, -1
	v_cndmask_b32_e64 v42, 0, 1, s4
	v_not_b32_e32 v48, v33
	v_cmp_gt_i32_e64 s4, 0, v33
	v_not_b32_e32 v33, v37
	v_lshlrev_b32_e32 v45, 26, v2
	v_cmp_ne_u32_e32 vcc_lo, 0, v42
	v_ashrrev_i32_e32 v42, 31, v48
	v_lshlrev_b32_e32 v46, 25, v2
	v_ashrrev_i32_e32 v33, 31, v33
	v_mul_lo_u32 v7, 0x84, v2
	v_xor_b32_e32 v8, vcc_lo, v8
	v_cmp_gt_i32_e32 vcc_lo, 0, v37
	v_not_b32_e32 v37, v40
	v_xor_b32_e32 v42, s4, v42
	v_cmp_gt_i32_e64 s4, 0, v40
	v_and_b32_e32 v8, exec_lo, v8
	v_not_b32_e32 v40, v44
	v_ashrrev_i32_e32 v37, 31, v37
	v_xor_b32_e32 v33, vcc_lo, v33
	v_cmp_gt_i32_e32 vcc_lo, 0, v44
	v_and_b32_e32 v8, v8, v42
	v_not_b32_e32 v42, v45
	v_ashrrev_i32_e32 v40, 31, v40
	v_xor_b32_e32 v37, s4, v37
	v_lshlrev_b32_e32 v2, 24, v2
	v_and_b32_e32 v8, v8, v33
	v_cmp_gt_i32_e64 s4, 0, v45
	v_not_b32_e32 v33, v46
	v_ashrrev_i32_e32 v42, 31, v42
	v_xor_b32_e32 v40, vcc_lo, v40
	v_and_b32_e32 v8, v8, v37
	v_cmp_gt_i32_e32 vcc_lo, 0, v46
	v_not_b32_e32 v37, v2
	v_ashrrev_i32_e32 v33, 31, v33
	v_xor_b32_e32 v42, s4, v42
	v_and_b32_e32 v8, v8, v40
	v_cmp_gt_i32_e64 s4, 0, v2
	v_ashrrev_i32_e32 v2, 31, v37
	v_xor_b32_e32 v33, vcc_lo, v33
	v_lshl_add_u32 v50, v1, 2, v7
	v_and_b32_e32 v8, v8, v42
	v_xor_b32_e32 v2, s4, v2
	ds_read_b32 v44, v50 offset:128
	v_and_b32_e32 v7, v8, v33
	; wave barrier
	v_and_b32_e32 v2, v7, v2
	v_mbcnt_lo_u32_b32 v45, v2, 0
	v_cmp_ne_u32_e64 s4, 0, v2
	v_cmp_eq_u32_e32 vcc_lo, 0, v45
	s_and_b32 s5, s4, vcc_lo
	s_and_saveexec_b32 s4, s5
	s_cbranch_execz .LBB1043_149
; %bb.148:
	s_waitcnt lgkmcnt(0)
	v_bcnt_u32_b32 v2, v2, v44
	ds_write_b32 v50, v2 offset:128
.LBB1043_149:
	s_or_b32 exec_lo, exec_lo, s4
	v_xor_b32_e32 v33, 0x7fffffff, v6
	; wave barrier
	v_lshrrev_b32_e32 v2, s44, v33
	v_and_b32_e32 v2, s14, v2
	v_and_b32_e32 v7, 1, v2
	v_lshlrev_b32_e32 v8, 30, v2
	v_lshlrev_b32_e32 v37, 29, v2
	;; [unrolled: 1-line block ×4, first 2 shown]
	v_add_co_u32 v7, s4, v7, -1
	v_cndmask_b32_e64 v42, 0, 1, s4
	v_not_b32_e32 v51, v8
	v_cmp_gt_i32_e64 s4, 0, v8
	v_not_b32_e32 v8, v37
	v_lshlrev_b32_e32 v48, 26, v2
	v_cmp_ne_u32_e32 vcc_lo, 0, v42
	v_ashrrev_i32_e32 v42, 31, v51
	v_lshlrev_b32_e32 v49, 25, v2
	v_ashrrev_i32_e32 v8, 31, v8
	v_mul_lo_u32 v6, 0x84, v2
	v_xor_b32_e32 v7, vcc_lo, v7
	v_cmp_gt_i32_e32 vcc_lo, 0, v37
	v_not_b32_e32 v37, v40
	v_xor_b32_e32 v42, s4, v42
	v_cmp_gt_i32_e64 s4, 0, v40
	v_and_b32_e32 v7, exec_lo, v7
	v_not_b32_e32 v40, v46
	v_ashrrev_i32_e32 v37, 31, v37
	v_xor_b32_e32 v8, vcc_lo, v8
	v_cmp_gt_i32_e32 vcc_lo, 0, v46
	v_and_b32_e32 v7, v7, v42
	v_not_b32_e32 v42, v48
	v_ashrrev_i32_e32 v40, 31, v40
	v_xor_b32_e32 v37, s4, v37
	v_lshlrev_b32_e32 v2, 24, v2
	v_and_b32_e32 v7, v7, v8
	v_cmp_gt_i32_e64 s4, 0, v48
	v_not_b32_e32 v8, v49
	v_ashrrev_i32_e32 v42, 31, v42
	v_xor_b32_e32 v40, vcc_lo, v40
	v_and_b32_e32 v7, v7, v37
	v_cmp_gt_i32_e32 vcc_lo, 0, v49
	v_not_b32_e32 v37, v2
	v_ashrrev_i32_e32 v8, 31, v8
	v_xor_b32_e32 v42, s4, v42
	v_and_b32_e32 v7, v7, v40
	v_cmp_gt_i32_e64 s4, 0, v2
	v_ashrrev_i32_e32 v2, 31, v37
	v_xor_b32_e32 v8, vcc_lo, v8
	v_lshl_add_u32 v53, v1, 2, v6
	v_and_b32_e32 v7, v7, v42
	v_xor_b32_e32 v2, s4, v2
	ds_read_b32 v48, v53 offset:128
	v_and_b32_e32 v6, v7, v8
	; wave barrier
	v_and_b32_e32 v2, v6, v2
	v_mbcnt_lo_u32_b32 v49, v2, 0
	v_cmp_ne_u32_e64 s4, 0, v2
	v_cmp_eq_u32_e32 vcc_lo, 0, v49
	s_and_b32 s5, s4, vcc_lo
	s_and_saveexec_b32 s4, s5
	s_cbranch_execz .LBB1043_151
; %bb.150:
	s_waitcnt lgkmcnt(0)
	v_bcnt_u32_b32 v2, v2, v48
	ds_write_b32 v53, v2 offset:128
.LBB1043_151:
	s_or_b32 exec_lo, exec_lo, s4
	v_xor_b32_e32 v37, 0x7fffffff, v5
	; wave barrier
	v_lshrrev_b32_e32 v2, s44, v37
	v_and_b32_e32 v2, s14, v2
	v_and_b32_e32 v6, 1, v2
	v_lshlrev_b32_e32 v7, 30, v2
	v_lshlrev_b32_e32 v8, 29, v2
	;; [unrolled: 1-line block ×4, first 2 shown]
	v_add_co_u32 v6, s4, v6, -1
	v_cndmask_b32_e64 v42, 0, 1, s4
	v_not_b32_e32 v54, v7
	v_cmp_gt_i32_e64 s4, 0, v7
	v_not_b32_e32 v7, v8
	v_lshlrev_b32_e32 v51, 26, v2
	v_cmp_ne_u32_e32 vcc_lo, 0, v42
	v_ashrrev_i32_e32 v42, 31, v54
	v_lshlrev_b32_e32 v52, 25, v2
	v_ashrrev_i32_e32 v7, 31, v7
	v_mul_lo_u32 v5, 0x84, v2
	v_xor_b32_e32 v6, vcc_lo, v6
	v_cmp_gt_i32_e32 vcc_lo, 0, v8
	v_not_b32_e32 v8, v40
	v_xor_b32_e32 v42, s4, v42
	v_cmp_gt_i32_e64 s4, 0, v40
	v_and_b32_e32 v6, exec_lo, v6
	v_not_b32_e32 v40, v46
	v_ashrrev_i32_e32 v8, 31, v8
	v_xor_b32_e32 v7, vcc_lo, v7
	v_cmp_gt_i32_e32 vcc_lo, 0, v46
	v_and_b32_e32 v6, v6, v42
	v_not_b32_e32 v42, v51
	v_ashrrev_i32_e32 v40, 31, v40
	v_xor_b32_e32 v8, s4, v8
	v_lshlrev_b32_e32 v2, 24, v2
	v_and_b32_e32 v6, v6, v7
	v_cmp_gt_i32_e64 s4, 0, v51
	v_not_b32_e32 v7, v52
	v_ashrrev_i32_e32 v42, 31, v42
	v_xor_b32_e32 v40, vcc_lo, v40
	v_and_b32_e32 v6, v6, v8
	v_cmp_gt_i32_e32 vcc_lo, 0, v52
	v_not_b32_e32 v8, v2
	v_ashrrev_i32_e32 v7, 31, v7
	v_xor_b32_e32 v42, s4, v42
	v_and_b32_e32 v6, v6, v40
	v_cmp_gt_i32_e64 s4, 0, v2
	v_ashrrev_i32_e32 v2, 31, v8
	v_xor_b32_e32 v7, vcc_lo, v7
	v_lshl_add_u32 v56, v1, 2, v5
	v_and_b32_e32 v6, v6, v42
	v_xor_b32_e32 v2, s4, v2
	ds_read_b32 v51, v56 offset:128
	v_and_b32_e32 v5, v6, v7
	; wave barrier
	v_and_b32_e32 v2, v5, v2
	v_mbcnt_lo_u32_b32 v52, v2, 0
	v_cmp_ne_u32_e64 s4, 0, v2
	v_cmp_eq_u32_e32 vcc_lo, 0, v52
	s_and_b32 s5, s4, vcc_lo
	s_and_saveexec_b32 s4, s5
	s_cbranch_execz .LBB1043_153
; %bb.152:
	s_waitcnt lgkmcnt(0)
	v_bcnt_u32_b32 v2, v2, v51
	ds_write_b32 v56, v2 offset:128
.LBB1043_153:
	s_or_b32 exec_lo, exec_lo, s4
	v_xor_b32_e32 v42, 0x7fffffff, v4
	; wave barrier
	v_lshrrev_b32_e32 v2, s44, v42
	v_and_b32_e32 v2, s14, v2
	v_and_b32_e32 v5, 1, v2
	v_lshlrev_b32_e32 v6, 30, v2
	v_lshlrev_b32_e32 v7, 29, v2
	;; [unrolled: 1-line block ×4, first 2 shown]
	v_add_co_u32 v5, s4, v5, -1
	v_cndmask_b32_e64 v40, 0, 1, s4
	v_not_b32_e32 v57, v6
	v_cmp_gt_i32_e64 s4, 0, v6
	v_not_b32_e32 v6, v7
	v_lshlrev_b32_e32 v54, 26, v2
	v_cmp_ne_u32_e32 vcc_lo, 0, v40
	v_ashrrev_i32_e32 v40, 31, v57
	v_lshlrev_b32_e32 v55, 25, v2
	v_ashrrev_i32_e32 v6, 31, v6
	v_mul_lo_u32 v4, 0x84, v2
	v_xor_b32_e32 v5, vcc_lo, v5
	v_cmp_gt_i32_e32 vcc_lo, 0, v7
	v_not_b32_e32 v7, v8
	v_xor_b32_e32 v40, s4, v40
	v_cmp_gt_i32_e64 s4, 0, v8
	v_and_b32_e32 v5, exec_lo, v5
	v_not_b32_e32 v8, v46
	v_ashrrev_i32_e32 v7, 31, v7
	v_xor_b32_e32 v6, vcc_lo, v6
	v_cmp_gt_i32_e32 vcc_lo, 0, v46
	v_and_b32_e32 v5, v5, v40
	v_not_b32_e32 v40, v54
	v_ashrrev_i32_e32 v8, 31, v8
	v_xor_b32_e32 v7, s4, v7
	v_lshlrev_b32_e32 v2, 24, v2
	v_and_b32_e32 v5, v5, v6
	v_cmp_gt_i32_e64 s4, 0, v54
	v_not_b32_e32 v6, v55
	v_ashrrev_i32_e32 v40, 31, v40
	v_xor_b32_e32 v8, vcc_lo, v8
	v_and_b32_e32 v5, v5, v7
	v_cmp_gt_i32_e32 vcc_lo, 0, v55
	v_not_b32_e32 v7, v2
	v_ashrrev_i32_e32 v6, 31, v6
	v_xor_b32_e32 v40, s4, v40
	v_and_b32_e32 v5, v5, v8
	v_cmp_gt_i32_e64 s4, 0, v2
	v_ashrrev_i32_e32 v2, 31, v7
	v_xor_b32_e32 v6, vcc_lo, v6
	v_lshl_add_u32 v59, v1, 2, v4
	v_and_b32_e32 v5, v5, v40
	v_xor_b32_e32 v2, s4, v2
	ds_read_b32 v54, v59 offset:128
	v_and_b32_e32 v4, v5, v6
	; wave barrier
	v_and_b32_e32 v2, v4, v2
	v_mbcnt_lo_u32_b32 v55, v2, 0
	v_cmp_ne_u32_e64 s4, 0, v2
	v_cmp_eq_u32_e32 vcc_lo, 0, v55
	s_and_b32 s5, s4, vcc_lo
	s_and_saveexec_b32 s4, s5
	s_cbranch_execz .LBB1043_155
; %bb.154:
	s_waitcnt lgkmcnt(0)
	v_bcnt_u32_b32 v2, v2, v54
	ds_write_b32 v59, v2 offset:128
.LBB1043_155:
	s_or_b32 exec_lo, exec_lo, s4
	v_xor_b32_e32 v46, 0x7fffffff, v3
	; wave barrier
	v_lshrrev_b32_e32 v2, s44, v46
	v_and_b32_e32 v2, s14, v2
	v_and_b32_e32 v4, 1, v2
	v_lshlrev_b32_e32 v5, 30, v2
	v_lshlrev_b32_e32 v6, 29, v2
	;; [unrolled: 1-line block ×4, first 2 shown]
	v_add_co_u32 v4, s4, v4, -1
	v_cndmask_b32_e64 v8, 0, 1, s4
	v_not_b32_e32 v60, v5
	v_cmp_gt_i32_e64 s4, 0, v5
	v_not_b32_e32 v5, v6
	v_lshlrev_b32_e32 v57, 26, v2
	v_cmp_ne_u32_e32 vcc_lo, 0, v8
	v_ashrrev_i32_e32 v8, 31, v60
	v_lshlrev_b32_e32 v58, 25, v2
	v_ashrrev_i32_e32 v5, 31, v5
	v_mul_lo_u32 v3, 0x84, v2
	v_xor_b32_e32 v4, vcc_lo, v4
	v_cmp_gt_i32_e32 vcc_lo, 0, v6
	v_not_b32_e32 v6, v7
	v_xor_b32_e32 v8, s4, v8
	v_cmp_gt_i32_e64 s4, 0, v7
	v_and_b32_e32 v4, exec_lo, v4
	v_not_b32_e32 v7, v40
	v_ashrrev_i32_e32 v6, 31, v6
	v_xor_b32_e32 v5, vcc_lo, v5
	v_cmp_gt_i32_e32 vcc_lo, 0, v40
	v_and_b32_e32 v4, v4, v8
	v_not_b32_e32 v8, v57
	v_ashrrev_i32_e32 v7, 31, v7
	v_xor_b32_e32 v6, s4, v6
	v_lshlrev_b32_e32 v2, 24, v2
	v_and_b32_e32 v4, v4, v5
	v_cmp_gt_i32_e64 s4, 0, v57
	v_not_b32_e32 v5, v58
	v_ashrrev_i32_e32 v8, 31, v8
	v_xor_b32_e32 v7, vcc_lo, v7
	v_and_b32_e32 v4, v4, v6
	v_cmp_gt_i32_e32 vcc_lo, 0, v58
	v_not_b32_e32 v6, v2
	v_ashrrev_i32_e32 v5, 31, v5
	v_xor_b32_e32 v8, s4, v8
	v_and_b32_e32 v4, v4, v7
	v_cmp_gt_i32_e64 s4, 0, v2
	v_ashrrev_i32_e32 v2, 31, v6
	v_xor_b32_e32 v5, vcc_lo, v5
	v_lshl_add_u32 v60, v1, 2, v3
	v_and_b32_e32 v4, v4, v8
	v_xor_b32_e32 v1, s4, v2
	ds_read_b32 v57, v60 offset:128
	v_and_b32_e32 v2, v4, v5
	; wave barrier
	v_and_b32_e32 v1, v2, v1
	v_mbcnt_lo_u32_b32 v58, v1, 0
	v_cmp_ne_u32_e64 s4, 0, v1
	v_cmp_eq_u32_e32 vcc_lo, 0, v58
	s_and_b32 s5, s4, vcc_lo
	s_and_saveexec_b32 s4, s5
	s_cbranch_execz .LBB1043_157
; %bb.156:
	s_waitcnt lgkmcnt(0)
	v_bcnt_u32_b32 v1, v1, v57
	ds_write_b32 v60, v1 offset:128
.LBB1043_157:
	s_or_b32 exec_lo, exec_lo, s4
	; wave barrier
	s_waitcnt lgkmcnt(0)
	s_barrier
	buffer_gl0_inv
	ds_read2_b32 v[7:8], v21 offset0:32 offset1:33
	ds_read2_b32 v[5:6], v21 offset0:34 offset1:35
	;; [unrolled: 1-line block ×4, first 2 shown]
	ds_read_b32 v40, v21 offset:160
	v_and_b32_e32 v63, 16, v11
	v_and_b32_e32 v64, 31, v0
	s_mov_b32 s10, exec_lo
	v_cmp_eq_u32_e64 s8, 0, v63
	s_waitcnt lgkmcnt(3)
	v_add3_u32 v61, v8, v7, v5
	s_waitcnt lgkmcnt(2)
	v_add3_u32 v61, v61, v6, v3
	;; [unrolled: 2-line block ×4, first 2 shown]
	v_and_b32_e32 v61, 15, v11
	v_mov_b32_dpp v62, v40 row_shr:1 row_mask:0xf bank_mask:0xf
	v_cmp_eq_u32_e32 vcc_lo, 0, v61
	v_cmp_lt_u32_e64 s4, 1, v61
	v_cmp_lt_u32_e64 s5, 3, v61
	;; [unrolled: 1-line block ×3, first 2 shown]
	v_cndmask_b32_e64 v62, v62, 0, vcc_lo
	v_add_nc_u32_e32 v40, v62, v40
	v_mov_b32_dpp v62, v40 row_shr:2 row_mask:0xf bank_mask:0xf
	v_cndmask_b32_e64 v62, 0, v62, s4
	v_add_nc_u32_e32 v40, v40, v62
	v_mov_b32_dpp v62, v40 row_shr:4 row_mask:0xf bank_mask:0xf
	v_cndmask_b32_e64 v62, 0, v62, s5
	;; [unrolled: 3-line block ×3, first 2 shown]
	v_bfe_i32 v62, v11, 4, 1
	v_add_nc_u32_e32 v40, v40, v61
	ds_swizzle_b32 v61, v40 offset:swizzle(BROADCAST,32,15)
	s_waitcnt lgkmcnt(0)
	v_and_b32_e32 v61, v62, v61
	v_lshrrev_b32_e32 v62, 5, v0
	v_add_nc_u32_e32 v61, v40, v61
	v_cmpx_eq_u32_e32 31, v64
; %bb.158:
	v_lshlrev_b32_e32 v40, 2, v62
	ds_write_b32 v40, v61
; %bb.159:
	s_or_b32 exec_lo, exec_lo, s10
	v_cmp_lt_u32_e64 s9, 31, v0
	v_lshlrev_b32_e32 v40, 2, v0
	s_mov_b32 s15, exec_lo
	s_waitcnt lgkmcnt(0)
	s_barrier
	buffer_gl0_inv
	v_cmpx_gt_u32_e32 32, v0
	s_cbranch_execz .LBB1043_161
; %bb.160:
	ds_read_b32 v63, v40
	s_waitcnt lgkmcnt(0)
	v_mov_b32_dpp v64, v63 row_shr:1 row_mask:0xf bank_mask:0xf
	v_cndmask_b32_e64 v64, v64, 0, vcc_lo
	v_add_nc_u32_e32 v63, v64, v63
	v_mov_b32_dpp v64, v63 row_shr:2 row_mask:0xf bank_mask:0xf
	v_cndmask_b32_e64 v64, 0, v64, s4
	v_add_nc_u32_e32 v63, v63, v64
	v_mov_b32_dpp v64, v63 row_shr:4 row_mask:0xf bank_mask:0xf
	v_cndmask_b32_e64 v64, 0, v64, s5
	;; [unrolled: 3-line block ×3, first 2 shown]
	v_add_nc_u32_e32 v63, v63, v64
	ds_swizzle_b32 v64, v63 offset:swizzle(BROADCAST,32,15)
	s_waitcnt lgkmcnt(0)
	v_cndmask_b32_e64 v64, v64, 0, s8
	v_add_nc_u32_e32 v63, v63, v64
	ds_write_b32 v40, v63
.LBB1043_161:
	s_or_b32 exec_lo, exec_lo, s15
	v_mov_b32_e32 v63, 0
	s_waitcnt lgkmcnt(0)
	s_barrier
	buffer_gl0_inv
	s_and_saveexec_b32 s4, s9
; %bb.162:
	v_lshl_add_u32 v62, v62, 2, -4
	ds_read_b32 v63, v62
; %bb.163:
	s_or_b32 exec_lo, exec_lo, s4
	v_sub_co_u32 v62, vcc_lo, v11, 1
	s_waitcnt lgkmcnt(0)
	v_add_nc_u32_e32 v61, v63, v61
	v_cmp_gt_i32_e64 s4, 0, v62
	v_cndmask_b32_e64 v11, v62, v11, s4
	v_cmp_lt_u32_e64 s4, 0xff, v0
	v_lshlrev_b32_e32 v11, 2, v11
	ds_bpermute_b32 v11, v11, v61
	s_waitcnt lgkmcnt(0)
	v_cndmask_b32_e32 v11, v11, v63, vcc_lo
	v_cmp_ne_u32_e32 vcc_lo, 0, v0
	v_cndmask_b32_e32 v11, 0, v11, vcc_lo
	v_cmp_gt_u32_e32 vcc_lo, 0x100, v0
	v_add_nc_u32_e32 v7, v11, v7
	v_add_nc_u32_e32 v8, v7, v8
	;; [unrolled: 1-line block ×8, first 2 shown]
	ds_write2_b32 v21, v11, v7 offset0:32 offset1:33
	ds_write2_b32 v21, v8, v5 offset0:34 offset1:35
	;; [unrolled: 1-line block ×4, first 2 shown]
	ds_write_b32 v21, v2 offset:160
	s_waitcnt lgkmcnt(0)
	s_barrier
	buffer_gl0_inv
	ds_read_b32 v11, v22 offset:128
	ds_read_b32 v21, v26 offset:128
	;; [unrolled: 1-line block ×12, first 2 shown]
                                        ; implicit-def: $vgpr7
                                        ; implicit-def: $vgpr8
	s_and_saveexec_b32 s7, vcc_lo
	s_cbranch_execz .LBB1043_167
; %bb.164:
	v_mul_u32_u24_e32 v1, 0x84, v0
	v_add_nc_u32_e32 v2, 1, v0
	s_mov_b32 s8, exec_lo
	ds_read_b32 v7, v1 offset:128
	v_mov_b32_e32 v1, 0x3000
	v_cmpx_ne_u32_e32 0x100, v2
; %bb.165:
	v_mul_u32_u24_e32 v1, 0x84, v2
	ds_read_b32 v1, v1 offset:128
; %bb.166:
	s_or_b32 exec_lo, exec_lo, s8
	s_waitcnt lgkmcnt(0)
	v_sub_nc_u32_e32 v8, v1, v7
.LBB1043_167:
	s_or_b32 exec_lo, exec_lo, s7
	v_mov_b32_e32 v2, 0
	s_waitcnt lgkmcnt(0)
	s_barrier
	buffer_gl0_inv
	s_and_saveexec_b32 s5, vcc_lo
	s_cbranch_execz .LBB1043_177
; %bb.168:
	v_lshl_add_u32 v1, s6, 8, v0
	v_mov_b32_e32 v59, 0
	s_mov_b32 s7, 0
	s_mov_b32 s8, s6
                                        ; implicit-def: $sgpr9
	v_lshlrev_b64 v[3:4], 2, v[1:2]
	v_or_b32_e32 v1, 2.0, v8
	v_add_co_u32 v3, vcc_lo, s26, v3
	v_add_co_ci_u32_e64 v4, null, s27, v4, vcc_lo
	global_store_dword v[3:4], v1, off
	s_branch .LBB1043_171
	.p2align	6
.LBB1043_169:                           ;   in Loop: Header=BB1043_171 Depth=1
	s_or_b32 exec_lo, exec_lo, s10
.LBB1043_170:                           ;   in Loop: Header=BB1043_171 Depth=1
	s_or_b32 exec_lo, exec_lo, s9
	v_and_b32_e32 v5, 0x3fffffff, v1
	v_cmp_gt_i32_e64 s9, -2.0, v1
	v_add_nc_u32_e32 v59, v5, v59
	s_and_b32 s10, exec_lo, s9
	s_or_b32 s7, s10, s7
	s_andn2_b32 exec_lo, exec_lo, s7
	s_cbranch_execz .LBB1043_176
.LBB1043_171:                           ; =>This Loop Header: Depth=1
                                        ;     Child Loop BB1043_174 Depth 2
	s_or_b32 s9, s9, exec_lo
	s_cmp_eq_u32 s8, 0
	s_cbranch_scc1 .LBB1043_175
; %bb.172:                              ;   in Loop: Header=BB1043_171 Depth=1
	s_add_i32 s8, s8, -1
	s_mov_b32 s9, exec_lo
	v_lshl_or_b32 v1, s8, 8, v0
	v_lshlrev_b64 v[5:6], 2, v[1:2]
	v_add_co_u32 v5, vcc_lo, s26, v5
	v_add_co_ci_u32_e64 v6, null, s27, v6, vcc_lo
	global_load_dword v1, v[5:6], off glc dlc
	s_waitcnt vmcnt(0)
	v_cmpx_gt_u32_e32 2.0, v1
	s_cbranch_execz .LBB1043_170
; %bb.173:                              ;   in Loop: Header=BB1043_171 Depth=1
	s_mov_b32 s10, 0
.LBB1043_174:                           ;   Parent Loop BB1043_171 Depth=1
                                        ; =>  This Inner Loop Header: Depth=2
	global_load_dword v1, v[5:6], off glc dlc
	s_waitcnt vmcnt(0)
	v_cmp_lt_u32_e32 vcc_lo, 0x3fffffff, v1
	s_or_b32 s10, vcc_lo, s10
	s_andn2_b32 exec_lo, exec_lo, s10
	s_cbranch_execnz .LBB1043_174
	s_branch .LBB1043_169
.LBB1043_175:                           ;   in Loop: Header=BB1043_171 Depth=1
                                        ; implicit-def: $sgpr8
	s_and_b32 s10, exec_lo, s9
	s_or_b32 s7, s10, s7
	s_andn2_b32 exec_lo, exec_lo, s7
	s_cbranch_execnz .LBB1043_171
.LBB1043_176:
	s_or_b32 exec_lo, exec_lo, s7
	v_add_nc_u32_e32 v1, v59, v8
	v_sub_nc_u32_e32 v2, v59, v7
	v_or_b32_e32 v1, 0x80000000, v1
	global_store_dword v[3:4], v1, off
	global_load_dword v1, v40, s[28:29]
	s_waitcnt vmcnt(0)
	v_add_nc_u32_e32 v1, v2, v1
	ds_write_b32 v40, v1
.LBB1043_177:
	s_or_b32 exec_lo, exec_lo, s5
	v_add_nc_u32_e32 v3, v11, v16
	v_add3_u32 v4, v19, v18, v21
	v_add3_u32 v5, v24, v23, v22
	;; [unrolled: 1-line block ×11, first 2 shown]
	v_mov_b32_e32 v2, 0
	v_mov_b32_e32 v26, v3
	;; [unrolled: 1-line block ×13, first 2 shown]
	s_mov_b32 s5, 32
	s_mov_b32 s9, 0
	;; [unrolled: 1-line block ×3, first 2 shown]
	s_mov_b32 s8, -1
	s_branch .LBB1043_179
.LBB1043_178:                           ;   in Loop: Header=BB1043_179 Depth=1
	v_add_nc_u32_e32 v41, 0xffffe000, v41
	v_add_nc_u32_e32 v39, 0xffffe000, v39
	;; [unrolled: 1-line block ×12, first 2 shown]
	s_xor_b32 s9, s8, -1
	s_addk_i32 s7, 0x2000
	s_mov_b32 s8, 0
	s_and_b32 vcc_lo, exec_lo, s9
	s_mov_b32 s9, s5
	s_waitcnt_vscnt null, 0x0
	s_barrier
	buffer_gl0_inv
	s_cbranch_vccnz .LBB1043_187
.LBB1043_179:                           ; =>This Inner Loop Header: Depth=1
	v_min_u32_e32 v1, 0x2000, v26
	v_min_u32_e32 v43, 0x2000, v27
	v_min_u32_e32 v44, 0x2000, v28
	v_min_u32_e32 v45, 0x2000, v30
	v_min_u32_e32 v47, 0x2000, v31
	v_lshlrev_b32_e32 v1, 2, v1
	v_lshlrev_b32_e32 v43, 2, v43
	v_min_u32_e32 v48, 0x2000, v32
	v_min_u32_e32 v49, 0x2000, v34
	v_mov_b32_e32 v57, s9
	ds_write_b32 v1, v12 offset:1024
	ds_write_b32 v43, v13 offset:1024
	v_lshlrev_b32_e32 v1, 2, v44
	v_lshlrev_b32_e32 v43, 2, v45
	;; [unrolled: 1-line block ×5, first 2 shown]
	ds_write_b32 v1, v14 offset:1024
	ds_write_b32 v43, v15 offset:1024
	;; [unrolled: 1-line block ×5, first 2 shown]
	v_min_u32_e32 v1, 0x2000, v35
	v_min_u32_e32 v43, 0x2000, v36
	;; [unrolled: 1-line block ×5, first 2 shown]
	v_lshlrev_b32_e32 v1, 2, v1
	v_lshlrev_b32_e32 v43, 2, v43
	;; [unrolled: 1-line block ×5, first 2 shown]
	ds_write_b32 v1, v29 offset:1024
	ds_write_b32 v43, v33 offset:1024
	;; [unrolled: 1-line block ×5, first 2 shown]
	s_waitcnt lgkmcnt(0)
	s_waitcnt_vscnt null, 0x0
	s_barrier
	buffer_gl0_inv
	ds_read2st64_b32 v[44:45], v40 offset0:4 offset1:20
	ds_read2st64_b32 v[47:48], v40 offset0:36 offset1:52
	s_add_i32 s10, s7, 0x1000
	s_cmpk_lt_u32 s10, 0x3000
	s_waitcnt lgkmcnt(1)
	v_lshrrev_b32_e32 v1, s44, v44
	v_xor_b32_e32 v58, 0x7fffffff, v44
	v_xor_b32_e32 v59, 0x7fffffff, v45
	s_waitcnt lgkmcnt(0)
	v_xor_b32_e32 v60, 0x7fffffff, v47
	v_xor_b32_e32 v61, 0x7fffffff, v48
	v_and_b32_e32 v49, s14, v1
	v_lshrrev_b32_e32 v1, s44, v45
	v_lshlrev_b32_e32 v43, 2, v49
	v_and_b32_e32 v50, s14, v1
	v_lshrrev_b32_e32 v1, s44, v47
	ds_read_b32 v51, v43
	v_and_b32_e32 v53, s14, v1
	v_lshrrev_b32_e32 v1, s44, v48
	v_and_b32_e32 v54, s14, v1
	v_lshlrev_b32_e32 v1, 2, v54
	ds_read_b32 v56, v1
	v_lshlrev_b32_e32 v43, 2, v50
	ds_read_b32 v52, v43
	;; [unrolled: 2-line block ×3, first 2 shown]
	v_add_nc_u32_e32 v43, s7, v0
	buffer_store_dword v49, v57, s[0:3], 0 offen
	buffer_store_dword v50, v57, s[0:3], 0 offen offset:4
	buffer_store_dword v53, v57, s[0:3], 0 offen offset:8
	s_waitcnt lgkmcnt(3)
	v_add_nc_u32_e32 v1, v43, v51
	v_lshlrev_b64 v[44:45], 2, v[1:2]
	s_waitcnt lgkmcnt(1)
	v_add3_u32 v1, v43, v52, 0x400
	v_add_co_u32 v44, vcc_lo, s38, v44
	v_lshlrev_b64 v[47:48], 2, v[1:2]
	s_waitcnt lgkmcnt(0)
	v_add3_u32 v1, v43, v55, 0x800
	v_add_co_ci_u32_e64 v45, null, s39, v45, vcc_lo
	v_lshlrev_b64 v[49:50], 2, v[1:2]
	v_add3_u32 v1, v43, v56, 0xc00
	v_add_co_u32 v47, vcc_lo, s38, v47
	v_add_co_ci_u32_e64 v48, null, s39, v48, vcc_lo
	v_lshlrev_b64 v[51:52], 2, v[1:2]
	v_add_co_u32 v49, vcc_lo, s38, v49
	v_add_co_ci_u32_e64 v50, null, s39, v50, vcc_lo
	v_add_co_u32 v51, vcc_lo, s38, v51
	v_add_co_ci_u32_e64 v52, null, s39, v52, vcc_lo
	global_store_dword v[44:45], v58, off
	global_store_dword v[47:48], v59, off
	;; [unrolled: 1-line block ×4, first 2 shown]
	buffer_store_dword v54, v57, s[0:3], 0 offen offset:12
	s_cbranch_scc0 .LBB1043_183
; %bb.180:                              ;   in Loop: Header=BB1043_179 Depth=1
	ds_read_b32 v47, v40 offset:17408
	s_waitcnt lgkmcnt(0)
	v_lshrrev_b32_e32 v1, s44, v47
	v_and_b32_e32 v48, s14, v1
	v_lshlrev_b32_e32 v1, 2, v48
	ds_read_b32 v1, v1
	s_waitcnt lgkmcnt(0)
	v_add3_u32 v1, v43, v1, 0x1000
	v_lshlrev_b64 v[44:45], 2, v[1:2]
	v_xor_b32_e32 v1, 0x7fffffff, v47
	v_mov_b32_e32 v47, s9
	v_add_co_u32 v44, vcc_lo, s38, v44
	v_add_co_ci_u32_e64 v45, null, s39, v45, vcc_lo
	buffer_store_dword v48, v47, s[0:3], 0 offen offset:16
	global_store_dword v[44:45], v1, off
	s_add_i32 s10, s7, 0x1400
	s_cmpk_gt_u32 s10, 0x2fff
	s_cbranch_scc0 .LBB1043_184
.LBB1043_181:                           ;   in Loop: Header=BB1043_179 Depth=1
	s_add_i32 s10, s7, 0x1800
	s_cmpk_gt_u32 s10, 0x2fff
	s_cbranch_scc1 .LBB1043_185
.LBB1043_182:                           ;   in Loop: Header=BB1043_179 Depth=1
	ds_read_b32 v47, v40 offset:25600
	s_waitcnt lgkmcnt(0)
	v_lshrrev_b32_e32 v1, s44, v47
	v_and_b32_e32 v48, s14, v1
	v_lshlrev_b32_e32 v1, 2, v48
	ds_read_b32 v1, v1
	s_waitcnt lgkmcnt(0)
	v_add3_u32 v1, v43, v1, 0x1800
	v_lshlrev_b64 v[44:45], 2, v[1:2]
	v_xor_b32_e32 v1, 0x7fffffff, v47
	v_mov_b32_e32 v47, s9
	v_add_co_u32 v44, vcc_lo, s38, v44
	v_add_co_ci_u32_e64 v45, null, s39, v45, vcc_lo
	buffer_store_dword v48, v47, s[0:3], 0 offen offset:24
	global_store_dword v[44:45], v1, off
	s_add_i32 s10, s7, 0x1c00
	s_cmpk_gt_u32 s10, 0x2fff
	s_cbranch_scc1 .LBB1043_178
	s_branch .LBB1043_186
.LBB1043_183:                           ;   in Loop: Header=BB1043_179 Depth=1
	s_add_i32 s10, s7, 0x1400
	s_cmpk_gt_u32 s10, 0x2fff
	s_cbranch_scc1 .LBB1043_181
.LBB1043_184:                           ;   in Loop: Header=BB1043_179 Depth=1
	ds_read_b32 v47, v40 offset:21504
	s_waitcnt lgkmcnt(0)
	v_lshrrev_b32_e32 v1, s44, v47
	v_and_b32_e32 v48, s14, v1
	v_lshlrev_b32_e32 v1, 2, v48
	ds_read_b32 v1, v1
	s_waitcnt lgkmcnt(0)
	v_add3_u32 v1, v43, v1, 0x1400
	v_lshlrev_b64 v[44:45], 2, v[1:2]
	v_xor_b32_e32 v1, 0x7fffffff, v47
	v_mov_b32_e32 v47, s9
	v_add_co_u32 v44, vcc_lo, s38, v44
	v_add_co_ci_u32_e64 v45, null, s39, v45, vcc_lo
	buffer_store_dword v48, v47, s[0:3], 0 offen offset:20
	global_store_dword v[44:45], v1, off
	s_add_i32 s10, s7, 0x1800
	s_cmpk_gt_u32 s10, 0x2fff
	s_cbranch_scc0 .LBB1043_182
.LBB1043_185:                           ;   in Loop: Header=BB1043_179 Depth=1
	s_add_i32 s10, s7, 0x1c00
	s_cmpk_gt_u32 s10, 0x2fff
	s_cbranch_scc1 .LBB1043_178
.LBB1043_186:                           ;   in Loop: Header=BB1043_179 Depth=1
	ds_read_b32 v45, v40 offset:29696
	s_waitcnt lgkmcnt(0)
	v_lshrrev_b32_e32 v1, s44, v45
	v_and_b32_e32 v47, s14, v1
	v_lshlrev_b32_e32 v1, 2, v47
	ds_read_b32 v1, v1
	s_waitcnt lgkmcnt(0)
	v_add3_u32 v1, v43, v1, 0x1c00
	v_lshlrev_b64 v[43:44], 2, v[1:2]
	v_xor_b32_e32 v1, 0x7fffffff, v45
	v_mov_b32_e32 v45, s9
	v_add_co_u32 v43, vcc_lo, s38, v43
	v_add_co_ci_u32_e64 v44, null, s39, v44, vcc_lo
	buffer_store_dword v47, v45, s[0:3], 0 offen offset:28
	global_store_dword v[43:44], v1, off
	s_branch .LBB1043_178
.LBB1043_187:
	s_add_u32 s7, s40, s12
	s_addc_u32 s8, s41, s13
	v_add_co_u32 v1, s7, s7, v9
	v_add_co_ci_u32_e64 v2, null, s8, 0, s7
	s_mov_b32 s9, 0
	v_add_co_u32 v1, vcc_lo, v1, v10
	v_add_co_ci_u32_e64 v2, null, 0, v2, vcc_lo
	s_mov_b32 s8, -1
	s_mov_b32 s7, 0
	s_clause 0xb
	global_load_dword v9, v[1:2], off
	global_load_dword v10, v[1:2], off offset:128
	global_load_dword v12, v[1:2], off offset:256
	;; [unrolled: 1-line block ×11, first 2 shown]
	v_mov_b32_e32 v2, 0
	s_branch .LBB1043_189
.LBB1043_188:                           ;   in Loop: Header=BB1043_189 Depth=1
	v_add_nc_u32_e32 v24, 0xffffe000, v24
	v_add_nc_u32_e32 v23, 0xffffe000, v23
	;; [unrolled: 1-line block ×12, first 2 shown]
	s_xor_b32 s9, s8, -1
	s_addk_i32 s7, 0x2000
	s_mov_b32 s8, 0
	s_and_b32 vcc_lo, exec_lo, s9
	s_mov_b32 s9, s5
	s_waitcnt_vscnt null, 0x0
	s_barrier
	buffer_gl0_inv
	s_cbranch_vccnz .LBB1043_197
.LBB1043_189:                           ; =>This Inner Loop Header: Depth=1
	v_min_u32_e32 v1, 0x2000, v3
	v_min_u32_e32 v29, 0x2000, v4
	;; [unrolled: 1-line block ×5, first 2 shown]
	v_lshlrev_b32_e32 v1, 2, v1
	v_lshlrev_b32_e32 v29, 2, v29
	v_min_u32_e32 v33, 0x2000, v16
	v_lshlrev_b32_e32 v30, 2, v30
	s_add_i32 s10, s7, 0x1000
	s_waitcnt vmcnt(11)
	ds_write_b32 v1, v9 offset:1024
	s_waitcnt vmcnt(10)
	ds_write_b32 v29, v10 offset:1024
	v_min_u32_e32 v1, 0x2000, v18
	v_lshlrev_b32_e32 v29, 2, v31
	v_lshlrev_b32_e32 v31, 2, v32
	v_lshlrev_b32_e32 v32, 2, v33
	s_waitcnt vmcnt(9)
	ds_write_b32 v30, v12 offset:1024
	v_lshlrev_b32_e32 v1, 2, v1
	s_waitcnt vmcnt(8)
	ds_write_b32 v29, v13 offset:1024
	s_waitcnt vmcnt(7)
	ds_write_b32 v31, v14 offset:1024
	;; [unrolled: 2-line block ×3, first 2 shown]
	v_min_u32_e32 v29, 0x2000, v19
	v_min_u32_e32 v30, 0x2000, v22
	;; [unrolled: 1-line block ×3, first 2 shown]
	s_waitcnt vmcnt(5)
	ds_write_b32 v1, v17 offset:1024
	v_min_u32_e32 v1, 0x2000, v21
	v_lshlrev_b32_e32 v29, 2, v29
	v_min_u32_e32 v32, 0x2000, v24
	v_lshlrev_b32_e32 v30, 2, v30
	v_lshlrev_b32_e32 v31, 2, v31
	;; [unrolled: 1-line block ×3, first 2 shown]
	s_waitcnt vmcnt(4)
	ds_write_b32 v29, v20 offset:1024
	v_lshlrev_b32_e32 v29, 2, v32
	s_waitcnt vmcnt(3)
	ds_write_b32 v1, v25 offset:1024
	s_waitcnt vmcnt(2)
	ds_write_b32 v30, v26 offset:1024
	;; [unrolled: 2-line block ×3, first 2 shown]
	v_mov_b32_e32 v1, s9
	s_waitcnt vmcnt(0)
	ds_write_b32 v29, v28 offset:1024
	s_waitcnt lgkmcnt(0)
	s_barrier
	buffer_gl0_inv
	s_clause 0x3
	buffer_load_dword v29, v1, s[0:3], 0 offen
	buffer_load_dword v30, v1, s[0:3], 0 offen offset:4
	buffer_load_dword v31, v1, s[0:3], 0 offen offset:8
	;; [unrolled: 1-line block ×3, first 2 shown]
	s_cmpk_lt_u32 s10, 0x3000
	s_waitcnt vmcnt(3)
	v_lshlrev_b32_e32 v29, 2, v29
	s_waitcnt vmcnt(0)
	v_lshlrev_b32_e32 v1, 2, v1
	ds_read_b32 v32, v29
	ds_read_b32 v41, v1
	v_lshlrev_b32_e32 v29, 2, v30
	ds_read_b32 v34, v29
	v_lshlrev_b32_e32 v29, 2, v31
	ds_read2st64_b32 v[30:31], v40 offset0:4 offset1:20
	ds_read_b32 v36, v29
	v_add_nc_u32_e32 v29, s7, v0
	s_waitcnt lgkmcnt(4)
	v_add_nc_u32_e32 v1, v29, v32
	v_lshlrev_b64 v[32:33], 2, v[1:2]
	s_waitcnt lgkmcnt(2)
	v_add3_u32 v1, v29, v34, 0x400
	v_add_co_u32 v32, vcc_lo, s42, v32
	v_lshlrev_b64 v[34:35], 2, v[1:2]
	s_waitcnt lgkmcnt(0)
	v_add3_u32 v1, v29, v36, 0x800
	ds_read2st64_b32 v[36:37], v40 offset0:36 offset1:52
	v_add_co_ci_u32_e64 v33, null, s43, v33, vcc_lo
	v_lshlrev_b64 v[38:39], 2, v[1:2]
	v_add3_u32 v1, v29, v41, 0xc00
	global_store_dword v[32:33], v30, off
	v_add_co_u32 v32, vcc_lo, s42, v34
	v_add_co_ci_u32_e64 v33, null, s43, v35, vcc_lo
	v_lshlrev_b64 v[34:35], 2, v[1:2]
	v_add_co_u32 v38, vcc_lo, s42, v38
	v_add_co_ci_u32_e64 v39, null, s43, v39, vcc_lo
	global_store_dword v[32:33], v31, off
	v_add_co_u32 v34, vcc_lo, s42, v34
	v_add_co_ci_u32_e64 v35, null, s43, v35, vcc_lo
	s_waitcnt lgkmcnt(0)
	global_store_dword v[38:39], v36, off
	global_store_dword v[34:35], v37, off
	s_cbranch_scc0 .LBB1043_193
; %bb.190:                              ;   in Loop: Header=BB1043_189 Depth=1
	v_mov_b32_e32 v1, s9
	buffer_load_dword v1, v1, s[0:3], 0 offen offset:16
	s_waitcnt vmcnt(0)
	v_lshlrev_b32_e32 v1, 2, v1
	ds_read_b32 v1, v1
	ds_read_b32 v32, v40 offset:17408
	s_waitcnt lgkmcnt(1)
	v_add3_u32 v1, v29, v1, 0x1000
	v_lshlrev_b64 v[30:31], 2, v[1:2]
	v_add_co_u32 v30, vcc_lo, s42, v30
	v_add_co_ci_u32_e64 v31, null, s43, v31, vcc_lo
	s_waitcnt lgkmcnt(0)
	global_store_dword v[30:31], v32, off
	s_add_i32 s10, s7, 0x1400
	s_cmpk_gt_u32 s10, 0x2fff
	s_cbranch_scc0 .LBB1043_194
.LBB1043_191:                           ;   in Loop: Header=BB1043_189 Depth=1
	s_add_i32 s10, s7, 0x1800
	s_cmpk_gt_u32 s10, 0x2fff
	s_cbranch_scc1 .LBB1043_195
.LBB1043_192:                           ;   in Loop: Header=BB1043_189 Depth=1
	v_mov_b32_e32 v1, s9
	buffer_load_dword v1, v1, s[0:3], 0 offen offset:24
	s_waitcnt vmcnt(0)
	v_lshlrev_b32_e32 v1, 2, v1
	ds_read_b32 v1, v1
	ds_read_b32 v32, v40 offset:25600
	s_waitcnt lgkmcnt(1)
	v_add3_u32 v1, v29, v1, 0x1800
	v_lshlrev_b64 v[30:31], 2, v[1:2]
	v_add_co_u32 v30, vcc_lo, s42, v30
	v_add_co_ci_u32_e64 v31, null, s43, v31, vcc_lo
	s_waitcnt lgkmcnt(0)
	global_store_dword v[30:31], v32, off
	s_add_i32 s10, s7, 0x1c00
	s_cmpk_gt_u32 s10, 0x2fff
	s_cbranch_scc1 .LBB1043_188
	s_branch .LBB1043_196
.LBB1043_193:                           ;   in Loop: Header=BB1043_189 Depth=1
	s_add_i32 s10, s7, 0x1400
	s_cmpk_gt_u32 s10, 0x2fff
	s_cbranch_scc1 .LBB1043_191
.LBB1043_194:                           ;   in Loop: Header=BB1043_189 Depth=1
	v_mov_b32_e32 v1, s9
	buffer_load_dword v1, v1, s[0:3], 0 offen offset:20
	s_waitcnt vmcnt(0)
	v_lshlrev_b32_e32 v1, 2, v1
	ds_read_b32 v1, v1
	ds_read_b32 v32, v40 offset:21504
	s_waitcnt lgkmcnt(1)
	v_add3_u32 v1, v29, v1, 0x1400
	v_lshlrev_b64 v[30:31], 2, v[1:2]
	v_add_co_u32 v30, vcc_lo, s42, v30
	v_add_co_ci_u32_e64 v31, null, s43, v31, vcc_lo
	s_waitcnt lgkmcnt(0)
	global_store_dword v[30:31], v32, off
	s_add_i32 s10, s7, 0x1800
	s_cmpk_gt_u32 s10, 0x2fff
	s_cbranch_scc0 .LBB1043_192
.LBB1043_195:                           ;   in Loop: Header=BB1043_189 Depth=1
	s_add_i32 s10, s7, 0x1c00
	s_cmpk_gt_u32 s10, 0x2fff
	s_cbranch_scc1 .LBB1043_188
.LBB1043_196:                           ;   in Loop: Header=BB1043_189 Depth=1
	v_mov_b32_e32 v1, s9
	buffer_load_dword v1, v1, s[0:3], 0 offen offset:28
	s_waitcnt vmcnt(0)
	v_lshlrev_b32_e32 v1, 2, v1
	ds_read_b32 v1, v1
	ds_read_b32 v31, v40 offset:29696
	s_waitcnt lgkmcnt(1)
	v_add3_u32 v1, v29, v1, 0x1c00
	v_lshlrev_b64 v[29:30], 2, v[1:2]
	v_add_co_u32 v29, vcc_lo, s42, v29
	v_add_co_ci_u32_e64 v30, null, s43, v30, vcc_lo
	s_waitcnt lgkmcnt(0)
	global_store_dword v[29:30], v31, off
	s_branch .LBB1043_188
.LBB1043_197:
	s_add_i32 s11, s11, -1
	s_cmp_eq_u32 s6, s11
	s_cselect_b32 s5, -1, 0
	s_xor_b32 s4, s4, -1
	s_and_b32 s4, s4, s5
	s_and_saveexec_b32 s5, s4
	s_cbranch_execz .LBB1043_199
; %bb.198:
	ds_read_b32 v0, v40
	s_waitcnt lgkmcnt(0)
	v_add3_u32 v0, v7, v8, v0
	global_store_dword v40, v0, s[30:31]
.LBB1043_199:
	s_endpgm
	.section	.rodata,"a",@progbits
	.p2align	6, 0x0
	.amdhsa_kernel _ZN7rocprim17ROCPRIM_400000_NS6detail17trampoline_kernelINS0_14default_configENS1_35radix_sort_onesweep_config_selectorIiiEEZZNS1_29radix_sort_onesweep_iterationIS3_Lb1EN6thrust23THRUST_200600_302600_NS6detail15normal_iteratorINS8_10device_ptrIiEEEESD_SD_SD_jNS0_19identity_decomposerENS1_16block_id_wrapperIjLb0EEEEE10hipError_tT1_PNSt15iterator_traitsISI_E10value_typeET2_T3_PNSJ_ISO_E10value_typeET4_T5_PST_SU_PNS1_23onesweep_lookback_stateEbbT6_jjT7_P12ihipStream_tbENKUlT_T0_SI_SN_E_clISD_PiSD_S15_EEDaS11_S12_SI_SN_EUlS11_E_NS1_11comp_targetILNS1_3genE8ELNS1_11target_archE1030ELNS1_3gpuE2ELNS1_3repE0EEENS1_47radix_sort_onesweep_sort_config_static_selectorELNS0_4arch9wavefront6targetE0EEEvSI_
		.amdhsa_group_segment_fixed_size 37000
		.amdhsa_private_segment_fixed_size 64
		.amdhsa_kernarg_size 344
		.amdhsa_user_sgpr_count 6
		.amdhsa_user_sgpr_private_segment_buffer 1
		.amdhsa_user_sgpr_dispatch_ptr 0
		.amdhsa_user_sgpr_queue_ptr 0
		.amdhsa_user_sgpr_kernarg_segment_ptr 1
		.amdhsa_user_sgpr_dispatch_id 0
		.amdhsa_user_sgpr_flat_scratch_init 0
		.amdhsa_user_sgpr_private_segment_size 0
		.amdhsa_wavefront_size32 1
		.amdhsa_uses_dynamic_stack 0
		.amdhsa_system_sgpr_private_segment_wavefront_offset 1
		.amdhsa_system_sgpr_workgroup_id_x 1
		.amdhsa_system_sgpr_workgroup_id_y 0
		.amdhsa_system_sgpr_workgroup_id_z 0
		.amdhsa_system_sgpr_workgroup_info 0
		.amdhsa_system_vgpr_workitem_id 2
		.amdhsa_next_free_vgpr 68
		.amdhsa_next_free_sgpr 49
		.amdhsa_reserve_vcc 1
		.amdhsa_reserve_flat_scratch 0
		.amdhsa_float_round_mode_32 0
		.amdhsa_float_round_mode_16_64 0
		.amdhsa_float_denorm_mode_32 3
		.amdhsa_float_denorm_mode_16_64 3
		.amdhsa_dx10_clamp 1
		.amdhsa_ieee_mode 1
		.amdhsa_fp16_overflow 0
		.amdhsa_workgroup_processor_mode 1
		.amdhsa_memory_ordered 1
		.amdhsa_forward_progress 1
		.amdhsa_shared_vgpr_count 0
		.amdhsa_exception_fp_ieee_invalid_op 0
		.amdhsa_exception_fp_denorm_src 0
		.amdhsa_exception_fp_ieee_div_zero 0
		.amdhsa_exception_fp_ieee_overflow 0
		.amdhsa_exception_fp_ieee_underflow 0
		.amdhsa_exception_fp_ieee_inexact 0
		.amdhsa_exception_int_div_zero 0
	.end_amdhsa_kernel
	.section	.text._ZN7rocprim17ROCPRIM_400000_NS6detail17trampoline_kernelINS0_14default_configENS1_35radix_sort_onesweep_config_selectorIiiEEZZNS1_29radix_sort_onesweep_iterationIS3_Lb1EN6thrust23THRUST_200600_302600_NS6detail15normal_iteratorINS8_10device_ptrIiEEEESD_SD_SD_jNS0_19identity_decomposerENS1_16block_id_wrapperIjLb0EEEEE10hipError_tT1_PNSt15iterator_traitsISI_E10value_typeET2_T3_PNSJ_ISO_E10value_typeET4_T5_PST_SU_PNS1_23onesweep_lookback_stateEbbT6_jjT7_P12ihipStream_tbENKUlT_T0_SI_SN_E_clISD_PiSD_S15_EEDaS11_S12_SI_SN_EUlS11_E_NS1_11comp_targetILNS1_3genE8ELNS1_11target_archE1030ELNS1_3gpuE2ELNS1_3repE0EEENS1_47radix_sort_onesweep_sort_config_static_selectorELNS0_4arch9wavefront6targetE0EEEvSI_,"axG",@progbits,_ZN7rocprim17ROCPRIM_400000_NS6detail17trampoline_kernelINS0_14default_configENS1_35radix_sort_onesweep_config_selectorIiiEEZZNS1_29radix_sort_onesweep_iterationIS3_Lb1EN6thrust23THRUST_200600_302600_NS6detail15normal_iteratorINS8_10device_ptrIiEEEESD_SD_SD_jNS0_19identity_decomposerENS1_16block_id_wrapperIjLb0EEEEE10hipError_tT1_PNSt15iterator_traitsISI_E10value_typeET2_T3_PNSJ_ISO_E10value_typeET4_T5_PST_SU_PNS1_23onesweep_lookback_stateEbbT6_jjT7_P12ihipStream_tbENKUlT_T0_SI_SN_E_clISD_PiSD_S15_EEDaS11_S12_SI_SN_EUlS11_E_NS1_11comp_targetILNS1_3genE8ELNS1_11target_archE1030ELNS1_3gpuE2ELNS1_3repE0EEENS1_47radix_sort_onesweep_sort_config_static_selectorELNS0_4arch9wavefront6targetE0EEEvSI_,comdat
.Lfunc_end1043:
	.size	_ZN7rocprim17ROCPRIM_400000_NS6detail17trampoline_kernelINS0_14default_configENS1_35radix_sort_onesweep_config_selectorIiiEEZZNS1_29radix_sort_onesweep_iterationIS3_Lb1EN6thrust23THRUST_200600_302600_NS6detail15normal_iteratorINS8_10device_ptrIiEEEESD_SD_SD_jNS0_19identity_decomposerENS1_16block_id_wrapperIjLb0EEEEE10hipError_tT1_PNSt15iterator_traitsISI_E10value_typeET2_T3_PNSJ_ISO_E10value_typeET4_T5_PST_SU_PNS1_23onesweep_lookback_stateEbbT6_jjT7_P12ihipStream_tbENKUlT_T0_SI_SN_E_clISD_PiSD_S15_EEDaS11_S12_SI_SN_EUlS11_E_NS1_11comp_targetILNS1_3genE8ELNS1_11target_archE1030ELNS1_3gpuE2ELNS1_3repE0EEENS1_47radix_sort_onesweep_sort_config_static_selectorELNS0_4arch9wavefront6targetE0EEEvSI_, .Lfunc_end1043-_ZN7rocprim17ROCPRIM_400000_NS6detail17trampoline_kernelINS0_14default_configENS1_35radix_sort_onesweep_config_selectorIiiEEZZNS1_29radix_sort_onesweep_iterationIS3_Lb1EN6thrust23THRUST_200600_302600_NS6detail15normal_iteratorINS8_10device_ptrIiEEEESD_SD_SD_jNS0_19identity_decomposerENS1_16block_id_wrapperIjLb0EEEEE10hipError_tT1_PNSt15iterator_traitsISI_E10value_typeET2_T3_PNSJ_ISO_E10value_typeET4_T5_PST_SU_PNS1_23onesweep_lookback_stateEbbT6_jjT7_P12ihipStream_tbENKUlT_T0_SI_SN_E_clISD_PiSD_S15_EEDaS11_S12_SI_SN_EUlS11_E_NS1_11comp_targetILNS1_3genE8ELNS1_11target_archE1030ELNS1_3gpuE2ELNS1_3repE0EEENS1_47radix_sort_onesweep_sort_config_static_selectorELNS0_4arch9wavefront6targetE0EEEvSI_
                                        ; -- End function
	.set _ZN7rocprim17ROCPRIM_400000_NS6detail17trampoline_kernelINS0_14default_configENS1_35radix_sort_onesweep_config_selectorIiiEEZZNS1_29radix_sort_onesweep_iterationIS3_Lb1EN6thrust23THRUST_200600_302600_NS6detail15normal_iteratorINS8_10device_ptrIiEEEESD_SD_SD_jNS0_19identity_decomposerENS1_16block_id_wrapperIjLb0EEEEE10hipError_tT1_PNSt15iterator_traitsISI_E10value_typeET2_T3_PNSJ_ISO_E10value_typeET4_T5_PST_SU_PNS1_23onesweep_lookback_stateEbbT6_jjT7_P12ihipStream_tbENKUlT_T0_SI_SN_E_clISD_PiSD_S15_EEDaS11_S12_SI_SN_EUlS11_E_NS1_11comp_targetILNS1_3genE8ELNS1_11target_archE1030ELNS1_3gpuE2ELNS1_3repE0EEENS1_47radix_sort_onesweep_sort_config_static_selectorELNS0_4arch9wavefront6targetE0EEEvSI_.num_vgpr, 68
	.set _ZN7rocprim17ROCPRIM_400000_NS6detail17trampoline_kernelINS0_14default_configENS1_35radix_sort_onesweep_config_selectorIiiEEZZNS1_29radix_sort_onesweep_iterationIS3_Lb1EN6thrust23THRUST_200600_302600_NS6detail15normal_iteratorINS8_10device_ptrIiEEEESD_SD_SD_jNS0_19identity_decomposerENS1_16block_id_wrapperIjLb0EEEEE10hipError_tT1_PNSt15iterator_traitsISI_E10value_typeET2_T3_PNSJ_ISO_E10value_typeET4_T5_PST_SU_PNS1_23onesweep_lookback_stateEbbT6_jjT7_P12ihipStream_tbENKUlT_T0_SI_SN_E_clISD_PiSD_S15_EEDaS11_S12_SI_SN_EUlS11_E_NS1_11comp_targetILNS1_3genE8ELNS1_11target_archE1030ELNS1_3gpuE2ELNS1_3repE0EEENS1_47radix_sort_onesweep_sort_config_static_selectorELNS0_4arch9wavefront6targetE0EEEvSI_.num_agpr, 0
	.set _ZN7rocprim17ROCPRIM_400000_NS6detail17trampoline_kernelINS0_14default_configENS1_35radix_sort_onesweep_config_selectorIiiEEZZNS1_29radix_sort_onesweep_iterationIS3_Lb1EN6thrust23THRUST_200600_302600_NS6detail15normal_iteratorINS8_10device_ptrIiEEEESD_SD_SD_jNS0_19identity_decomposerENS1_16block_id_wrapperIjLb0EEEEE10hipError_tT1_PNSt15iterator_traitsISI_E10value_typeET2_T3_PNSJ_ISO_E10value_typeET4_T5_PST_SU_PNS1_23onesweep_lookback_stateEbbT6_jjT7_P12ihipStream_tbENKUlT_T0_SI_SN_E_clISD_PiSD_S15_EEDaS11_S12_SI_SN_EUlS11_E_NS1_11comp_targetILNS1_3genE8ELNS1_11target_archE1030ELNS1_3gpuE2ELNS1_3repE0EEENS1_47radix_sort_onesweep_sort_config_static_selectorELNS0_4arch9wavefront6targetE0EEEvSI_.numbered_sgpr, 49
	.set _ZN7rocprim17ROCPRIM_400000_NS6detail17trampoline_kernelINS0_14default_configENS1_35radix_sort_onesweep_config_selectorIiiEEZZNS1_29radix_sort_onesweep_iterationIS3_Lb1EN6thrust23THRUST_200600_302600_NS6detail15normal_iteratorINS8_10device_ptrIiEEEESD_SD_SD_jNS0_19identity_decomposerENS1_16block_id_wrapperIjLb0EEEEE10hipError_tT1_PNSt15iterator_traitsISI_E10value_typeET2_T3_PNSJ_ISO_E10value_typeET4_T5_PST_SU_PNS1_23onesweep_lookback_stateEbbT6_jjT7_P12ihipStream_tbENKUlT_T0_SI_SN_E_clISD_PiSD_S15_EEDaS11_S12_SI_SN_EUlS11_E_NS1_11comp_targetILNS1_3genE8ELNS1_11target_archE1030ELNS1_3gpuE2ELNS1_3repE0EEENS1_47radix_sort_onesweep_sort_config_static_selectorELNS0_4arch9wavefront6targetE0EEEvSI_.num_named_barrier, 0
	.set _ZN7rocprim17ROCPRIM_400000_NS6detail17trampoline_kernelINS0_14default_configENS1_35radix_sort_onesweep_config_selectorIiiEEZZNS1_29radix_sort_onesweep_iterationIS3_Lb1EN6thrust23THRUST_200600_302600_NS6detail15normal_iteratorINS8_10device_ptrIiEEEESD_SD_SD_jNS0_19identity_decomposerENS1_16block_id_wrapperIjLb0EEEEE10hipError_tT1_PNSt15iterator_traitsISI_E10value_typeET2_T3_PNSJ_ISO_E10value_typeET4_T5_PST_SU_PNS1_23onesweep_lookback_stateEbbT6_jjT7_P12ihipStream_tbENKUlT_T0_SI_SN_E_clISD_PiSD_S15_EEDaS11_S12_SI_SN_EUlS11_E_NS1_11comp_targetILNS1_3genE8ELNS1_11target_archE1030ELNS1_3gpuE2ELNS1_3repE0EEENS1_47radix_sort_onesweep_sort_config_static_selectorELNS0_4arch9wavefront6targetE0EEEvSI_.private_seg_size, 64
	.set _ZN7rocprim17ROCPRIM_400000_NS6detail17trampoline_kernelINS0_14default_configENS1_35radix_sort_onesweep_config_selectorIiiEEZZNS1_29radix_sort_onesweep_iterationIS3_Lb1EN6thrust23THRUST_200600_302600_NS6detail15normal_iteratorINS8_10device_ptrIiEEEESD_SD_SD_jNS0_19identity_decomposerENS1_16block_id_wrapperIjLb0EEEEE10hipError_tT1_PNSt15iterator_traitsISI_E10value_typeET2_T3_PNSJ_ISO_E10value_typeET4_T5_PST_SU_PNS1_23onesweep_lookback_stateEbbT6_jjT7_P12ihipStream_tbENKUlT_T0_SI_SN_E_clISD_PiSD_S15_EEDaS11_S12_SI_SN_EUlS11_E_NS1_11comp_targetILNS1_3genE8ELNS1_11target_archE1030ELNS1_3gpuE2ELNS1_3repE0EEENS1_47radix_sort_onesweep_sort_config_static_selectorELNS0_4arch9wavefront6targetE0EEEvSI_.uses_vcc, 1
	.set _ZN7rocprim17ROCPRIM_400000_NS6detail17trampoline_kernelINS0_14default_configENS1_35radix_sort_onesweep_config_selectorIiiEEZZNS1_29radix_sort_onesweep_iterationIS3_Lb1EN6thrust23THRUST_200600_302600_NS6detail15normal_iteratorINS8_10device_ptrIiEEEESD_SD_SD_jNS0_19identity_decomposerENS1_16block_id_wrapperIjLb0EEEEE10hipError_tT1_PNSt15iterator_traitsISI_E10value_typeET2_T3_PNSJ_ISO_E10value_typeET4_T5_PST_SU_PNS1_23onesweep_lookback_stateEbbT6_jjT7_P12ihipStream_tbENKUlT_T0_SI_SN_E_clISD_PiSD_S15_EEDaS11_S12_SI_SN_EUlS11_E_NS1_11comp_targetILNS1_3genE8ELNS1_11target_archE1030ELNS1_3gpuE2ELNS1_3repE0EEENS1_47radix_sort_onesweep_sort_config_static_selectorELNS0_4arch9wavefront6targetE0EEEvSI_.uses_flat_scratch, 0
	.set _ZN7rocprim17ROCPRIM_400000_NS6detail17trampoline_kernelINS0_14default_configENS1_35radix_sort_onesweep_config_selectorIiiEEZZNS1_29radix_sort_onesweep_iterationIS3_Lb1EN6thrust23THRUST_200600_302600_NS6detail15normal_iteratorINS8_10device_ptrIiEEEESD_SD_SD_jNS0_19identity_decomposerENS1_16block_id_wrapperIjLb0EEEEE10hipError_tT1_PNSt15iterator_traitsISI_E10value_typeET2_T3_PNSJ_ISO_E10value_typeET4_T5_PST_SU_PNS1_23onesweep_lookback_stateEbbT6_jjT7_P12ihipStream_tbENKUlT_T0_SI_SN_E_clISD_PiSD_S15_EEDaS11_S12_SI_SN_EUlS11_E_NS1_11comp_targetILNS1_3genE8ELNS1_11target_archE1030ELNS1_3gpuE2ELNS1_3repE0EEENS1_47radix_sort_onesweep_sort_config_static_selectorELNS0_4arch9wavefront6targetE0EEEvSI_.has_dyn_sized_stack, 0
	.set _ZN7rocprim17ROCPRIM_400000_NS6detail17trampoline_kernelINS0_14default_configENS1_35radix_sort_onesweep_config_selectorIiiEEZZNS1_29radix_sort_onesweep_iterationIS3_Lb1EN6thrust23THRUST_200600_302600_NS6detail15normal_iteratorINS8_10device_ptrIiEEEESD_SD_SD_jNS0_19identity_decomposerENS1_16block_id_wrapperIjLb0EEEEE10hipError_tT1_PNSt15iterator_traitsISI_E10value_typeET2_T3_PNSJ_ISO_E10value_typeET4_T5_PST_SU_PNS1_23onesweep_lookback_stateEbbT6_jjT7_P12ihipStream_tbENKUlT_T0_SI_SN_E_clISD_PiSD_S15_EEDaS11_S12_SI_SN_EUlS11_E_NS1_11comp_targetILNS1_3genE8ELNS1_11target_archE1030ELNS1_3gpuE2ELNS1_3repE0EEENS1_47radix_sort_onesweep_sort_config_static_selectorELNS0_4arch9wavefront6targetE0EEEvSI_.has_recursion, 0
	.set _ZN7rocprim17ROCPRIM_400000_NS6detail17trampoline_kernelINS0_14default_configENS1_35radix_sort_onesweep_config_selectorIiiEEZZNS1_29radix_sort_onesweep_iterationIS3_Lb1EN6thrust23THRUST_200600_302600_NS6detail15normal_iteratorINS8_10device_ptrIiEEEESD_SD_SD_jNS0_19identity_decomposerENS1_16block_id_wrapperIjLb0EEEEE10hipError_tT1_PNSt15iterator_traitsISI_E10value_typeET2_T3_PNSJ_ISO_E10value_typeET4_T5_PST_SU_PNS1_23onesweep_lookback_stateEbbT6_jjT7_P12ihipStream_tbENKUlT_T0_SI_SN_E_clISD_PiSD_S15_EEDaS11_S12_SI_SN_EUlS11_E_NS1_11comp_targetILNS1_3genE8ELNS1_11target_archE1030ELNS1_3gpuE2ELNS1_3repE0EEENS1_47radix_sort_onesweep_sort_config_static_selectorELNS0_4arch9wavefront6targetE0EEEvSI_.has_indirect_call, 0
	.section	.AMDGPU.csdata,"",@progbits
; Kernel info:
; codeLenInByte = 17368
; TotalNumSgprs: 51
; NumVgprs: 68
; ScratchSize: 64
; MemoryBound: 0
; FloatMode: 240
; IeeeMode: 1
; LDSByteSize: 37000 bytes/workgroup (compile time only)
; SGPRBlocks: 0
; VGPRBlocks: 8
; NumSGPRsForWavesPerEU: 51
; NumVGPRsForWavesPerEU: 68
; Occupancy: 12
; WaveLimiterHint : 1
; COMPUTE_PGM_RSRC2:SCRATCH_EN: 1
; COMPUTE_PGM_RSRC2:USER_SGPR: 6
; COMPUTE_PGM_RSRC2:TRAP_HANDLER: 0
; COMPUTE_PGM_RSRC2:TGID_X_EN: 1
; COMPUTE_PGM_RSRC2:TGID_Y_EN: 0
; COMPUTE_PGM_RSRC2:TGID_Z_EN: 0
; COMPUTE_PGM_RSRC2:TIDIG_COMP_CNT: 2
	.section	.text._ZN7rocprim17ROCPRIM_400000_NS6detail17trampoline_kernelINS0_14default_configENS1_35radix_sort_onesweep_config_selectorIiiEEZZNS1_29radix_sort_onesweep_iterationIS3_Lb1EN6thrust23THRUST_200600_302600_NS6detail15normal_iteratorINS8_10device_ptrIiEEEESD_SD_SD_jNS0_19identity_decomposerENS1_16block_id_wrapperIjLb0EEEEE10hipError_tT1_PNSt15iterator_traitsISI_E10value_typeET2_T3_PNSJ_ISO_E10value_typeET4_T5_PST_SU_PNS1_23onesweep_lookback_stateEbbT6_jjT7_P12ihipStream_tbENKUlT_T0_SI_SN_E_clIPiSD_S15_SD_EEDaS11_S12_SI_SN_EUlS11_E_NS1_11comp_targetILNS1_3genE0ELNS1_11target_archE4294967295ELNS1_3gpuE0ELNS1_3repE0EEENS1_47radix_sort_onesweep_sort_config_static_selectorELNS0_4arch9wavefront6targetE0EEEvSI_,"axG",@progbits,_ZN7rocprim17ROCPRIM_400000_NS6detail17trampoline_kernelINS0_14default_configENS1_35radix_sort_onesweep_config_selectorIiiEEZZNS1_29radix_sort_onesweep_iterationIS3_Lb1EN6thrust23THRUST_200600_302600_NS6detail15normal_iteratorINS8_10device_ptrIiEEEESD_SD_SD_jNS0_19identity_decomposerENS1_16block_id_wrapperIjLb0EEEEE10hipError_tT1_PNSt15iterator_traitsISI_E10value_typeET2_T3_PNSJ_ISO_E10value_typeET4_T5_PST_SU_PNS1_23onesweep_lookback_stateEbbT6_jjT7_P12ihipStream_tbENKUlT_T0_SI_SN_E_clIPiSD_S15_SD_EEDaS11_S12_SI_SN_EUlS11_E_NS1_11comp_targetILNS1_3genE0ELNS1_11target_archE4294967295ELNS1_3gpuE0ELNS1_3repE0EEENS1_47radix_sort_onesweep_sort_config_static_selectorELNS0_4arch9wavefront6targetE0EEEvSI_,comdat
	.protected	_ZN7rocprim17ROCPRIM_400000_NS6detail17trampoline_kernelINS0_14default_configENS1_35radix_sort_onesweep_config_selectorIiiEEZZNS1_29radix_sort_onesweep_iterationIS3_Lb1EN6thrust23THRUST_200600_302600_NS6detail15normal_iteratorINS8_10device_ptrIiEEEESD_SD_SD_jNS0_19identity_decomposerENS1_16block_id_wrapperIjLb0EEEEE10hipError_tT1_PNSt15iterator_traitsISI_E10value_typeET2_T3_PNSJ_ISO_E10value_typeET4_T5_PST_SU_PNS1_23onesweep_lookback_stateEbbT6_jjT7_P12ihipStream_tbENKUlT_T0_SI_SN_E_clIPiSD_S15_SD_EEDaS11_S12_SI_SN_EUlS11_E_NS1_11comp_targetILNS1_3genE0ELNS1_11target_archE4294967295ELNS1_3gpuE0ELNS1_3repE0EEENS1_47radix_sort_onesweep_sort_config_static_selectorELNS0_4arch9wavefront6targetE0EEEvSI_ ; -- Begin function _ZN7rocprim17ROCPRIM_400000_NS6detail17trampoline_kernelINS0_14default_configENS1_35radix_sort_onesweep_config_selectorIiiEEZZNS1_29radix_sort_onesweep_iterationIS3_Lb1EN6thrust23THRUST_200600_302600_NS6detail15normal_iteratorINS8_10device_ptrIiEEEESD_SD_SD_jNS0_19identity_decomposerENS1_16block_id_wrapperIjLb0EEEEE10hipError_tT1_PNSt15iterator_traitsISI_E10value_typeET2_T3_PNSJ_ISO_E10value_typeET4_T5_PST_SU_PNS1_23onesweep_lookback_stateEbbT6_jjT7_P12ihipStream_tbENKUlT_T0_SI_SN_E_clIPiSD_S15_SD_EEDaS11_S12_SI_SN_EUlS11_E_NS1_11comp_targetILNS1_3genE0ELNS1_11target_archE4294967295ELNS1_3gpuE0ELNS1_3repE0EEENS1_47radix_sort_onesweep_sort_config_static_selectorELNS0_4arch9wavefront6targetE0EEEvSI_
	.globl	_ZN7rocprim17ROCPRIM_400000_NS6detail17trampoline_kernelINS0_14default_configENS1_35radix_sort_onesweep_config_selectorIiiEEZZNS1_29radix_sort_onesweep_iterationIS3_Lb1EN6thrust23THRUST_200600_302600_NS6detail15normal_iteratorINS8_10device_ptrIiEEEESD_SD_SD_jNS0_19identity_decomposerENS1_16block_id_wrapperIjLb0EEEEE10hipError_tT1_PNSt15iterator_traitsISI_E10value_typeET2_T3_PNSJ_ISO_E10value_typeET4_T5_PST_SU_PNS1_23onesweep_lookback_stateEbbT6_jjT7_P12ihipStream_tbENKUlT_T0_SI_SN_E_clIPiSD_S15_SD_EEDaS11_S12_SI_SN_EUlS11_E_NS1_11comp_targetILNS1_3genE0ELNS1_11target_archE4294967295ELNS1_3gpuE0ELNS1_3repE0EEENS1_47radix_sort_onesweep_sort_config_static_selectorELNS0_4arch9wavefront6targetE0EEEvSI_
	.p2align	8
	.type	_ZN7rocprim17ROCPRIM_400000_NS6detail17trampoline_kernelINS0_14default_configENS1_35radix_sort_onesweep_config_selectorIiiEEZZNS1_29radix_sort_onesweep_iterationIS3_Lb1EN6thrust23THRUST_200600_302600_NS6detail15normal_iteratorINS8_10device_ptrIiEEEESD_SD_SD_jNS0_19identity_decomposerENS1_16block_id_wrapperIjLb0EEEEE10hipError_tT1_PNSt15iterator_traitsISI_E10value_typeET2_T3_PNSJ_ISO_E10value_typeET4_T5_PST_SU_PNS1_23onesweep_lookback_stateEbbT6_jjT7_P12ihipStream_tbENKUlT_T0_SI_SN_E_clIPiSD_S15_SD_EEDaS11_S12_SI_SN_EUlS11_E_NS1_11comp_targetILNS1_3genE0ELNS1_11target_archE4294967295ELNS1_3gpuE0ELNS1_3repE0EEENS1_47radix_sort_onesweep_sort_config_static_selectorELNS0_4arch9wavefront6targetE0EEEvSI_,@function
_ZN7rocprim17ROCPRIM_400000_NS6detail17trampoline_kernelINS0_14default_configENS1_35radix_sort_onesweep_config_selectorIiiEEZZNS1_29radix_sort_onesweep_iterationIS3_Lb1EN6thrust23THRUST_200600_302600_NS6detail15normal_iteratorINS8_10device_ptrIiEEEESD_SD_SD_jNS0_19identity_decomposerENS1_16block_id_wrapperIjLb0EEEEE10hipError_tT1_PNSt15iterator_traitsISI_E10value_typeET2_T3_PNSJ_ISO_E10value_typeET4_T5_PST_SU_PNS1_23onesweep_lookback_stateEbbT6_jjT7_P12ihipStream_tbENKUlT_T0_SI_SN_E_clIPiSD_S15_SD_EEDaS11_S12_SI_SN_EUlS11_E_NS1_11comp_targetILNS1_3genE0ELNS1_11target_archE4294967295ELNS1_3gpuE0ELNS1_3repE0EEENS1_47radix_sort_onesweep_sort_config_static_selectorELNS0_4arch9wavefront6targetE0EEEvSI_: ; @_ZN7rocprim17ROCPRIM_400000_NS6detail17trampoline_kernelINS0_14default_configENS1_35radix_sort_onesweep_config_selectorIiiEEZZNS1_29radix_sort_onesweep_iterationIS3_Lb1EN6thrust23THRUST_200600_302600_NS6detail15normal_iteratorINS8_10device_ptrIiEEEESD_SD_SD_jNS0_19identity_decomposerENS1_16block_id_wrapperIjLb0EEEEE10hipError_tT1_PNSt15iterator_traitsISI_E10value_typeET2_T3_PNSJ_ISO_E10value_typeET4_T5_PST_SU_PNS1_23onesweep_lookback_stateEbbT6_jjT7_P12ihipStream_tbENKUlT_T0_SI_SN_E_clIPiSD_S15_SD_EEDaS11_S12_SI_SN_EUlS11_E_NS1_11comp_targetILNS1_3genE0ELNS1_11target_archE4294967295ELNS1_3gpuE0ELNS1_3repE0EEENS1_47radix_sort_onesweep_sort_config_static_selectorELNS0_4arch9wavefront6targetE0EEEvSI_
; %bb.0:
	.section	.rodata,"a",@progbits
	.p2align	6, 0x0
	.amdhsa_kernel _ZN7rocprim17ROCPRIM_400000_NS6detail17trampoline_kernelINS0_14default_configENS1_35radix_sort_onesweep_config_selectorIiiEEZZNS1_29radix_sort_onesweep_iterationIS3_Lb1EN6thrust23THRUST_200600_302600_NS6detail15normal_iteratorINS8_10device_ptrIiEEEESD_SD_SD_jNS0_19identity_decomposerENS1_16block_id_wrapperIjLb0EEEEE10hipError_tT1_PNSt15iterator_traitsISI_E10value_typeET2_T3_PNSJ_ISO_E10value_typeET4_T5_PST_SU_PNS1_23onesweep_lookback_stateEbbT6_jjT7_P12ihipStream_tbENKUlT_T0_SI_SN_E_clIPiSD_S15_SD_EEDaS11_S12_SI_SN_EUlS11_E_NS1_11comp_targetILNS1_3genE0ELNS1_11target_archE4294967295ELNS1_3gpuE0ELNS1_3repE0EEENS1_47radix_sort_onesweep_sort_config_static_selectorELNS0_4arch9wavefront6targetE0EEEvSI_
		.amdhsa_group_segment_fixed_size 0
		.amdhsa_private_segment_fixed_size 0
		.amdhsa_kernarg_size 88
		.amdhsa_user_sgpr_count 6
		.amdhsa_user_sgpr_private_segment_buffer 1
		.amdhsa_user_sgpr_dispatch_ptr 0
		.amdhsa_user_sgpr_queue_ptr 0
		.amdhsa_user_sgpr_kernarg_segment_ptr 1
		.amdhsa_user_sgpr_dispatch_id 0
		.amdhsa_user_sgpr_flat_scratch_init 0
		.amdhsa_user_sgpr_private_segment_size 0
		.amdhsa_wavefront_size32 1
		.amdhsa_uses_dynamic_stack 0
		.amdhsa_system_sgpr_private_segment_wavefront_offset 0
		.amdhsa_system_sgpr_workgroup_id_x 1
		.amdhsa_system_sgpr_workgroup_id_y 0
		.amdhsa_system_sgpr_workgroup_id_z 0
		.amdhsa_system_sgpr_workgroup_info 0
		.amdhsa_system_vgpr_workitem_id 0
		.amdhsa_next_free_vgpr 1
		.amdhsa_next_free_sgpr 1
		.amdhsa_reserve_vcc 0
		.amdhsa_reserve_flat_scratch 0
		.amdhsa_float_round_mode_32 0
		.amdhsa_float_round_mode_16_64 0
		.amdhsa_float_denorm_mode_32 3
		.amdhsa_float_denorm_mode_16_64 3
		.amdhsa_dx10_clamp 1
		.amdhsa_ieee_mode 1
		.amdhsa_fp16_overflow 0
		.amdhsa_workgroup_processor_mode 1
		.amdhsa_memory_ordered 1
		.amdhsa_forward_progress 1
		.amdhsa_shared_vgpr_count 0
		.amdhsa_exception_fp_ieee_invalid_op 0
		.amdhsa_exception_fp_denorm_src 0
		.amdhsa_exception_fp_ieee_div_zero 0
		.amdhsa_exception_fp_ieee_overflow 0
		.amdhsa_exception_fp_ieee_underflow 0
		.amdhsa_exception_fp_ieee_inexact 0
		.amdhsa_exception_int_div_zero 0
	.end_amdhsa_kernel
	.section	.text._ZN7rocprim17ROCPRIM_400000_NS6detail17trampoline_kernelINS0_14default_configENS1_35radix_sort_onesweep_config_selectorIiiEEZZNS1_29radix_sort_onesweep_iterationIS3_Lb1EN6thrust23THRUST_200600_302600_NS6detail15normal_iteratorINS8_10device_ptrIiEEEESD_SD_SD_jNS0_19identity_decomposerENS1_16block_id_wrapperIjLb0EEEEE10hipError_tT1_PNSt15iterator_traitsISI_E10value_typeET2_T3_PNSJ_ISO_E10value_typeET4_T5_PST_SU_PNS1_23onesweep_lookback_stateEbbT6_jjT7_P12ihipStream_tbENKUlT_T0_SI_SN_E_clIPiSD_S15_SD_EEDaS11_S12_SI_SN_EUlS11_E_NS1_11comp_targetILNS1_3genE0ELNS1_11target_archE4294967295ELNS1_3gpuE0ELNS1_3repE0EEENS1_47radix_sort_onesweep_sort_config_static_selectorELNS0_4arch9wavefront6targetE0EEEvSI_,"axG",@progbits,_ZN7rocprim17ROCPRIM_400000_NS6detail17trampoline_kernelINS0_14default_configENS1_35radix_sort_onesweep_config_selectorIiiEEZZNS1_29radix_sort_onesweep_iterationIS3_Lb1EN6thrust23THRUST_200600_302600_NS6detail15normal_iteratorINS8_10device_ptrIiEEEESD_SD_SD_jNS0_19identity_decomposerENS1_16block_id_wrapperIjLb0EEEEE10hipError_tT1_PNSt15iterator_traitsISI_E10value_typeET2_T3_PNSJ_ISO_E10value_typeET4_T5_PST_SU_PNS1_23onesweep_lookback_stateEbbT6_jjT7_P12ihipStream_tbENKUlT_T0_SI_SN_E_clIPiSD_S15_SD_EEDaS11_S12_SI_SN_EUlS11_E_NS1_11comp_targetILNS1_3genE0ELNS1_11target_archE4294967295ELNS1_3gpuE0ELNS1_3repE0EEENS1_47radix_sort_onesweep_sort_config_static_selectorELNS0_4arch9wavefront6targetE0EEEvSI_,comdat
.Lfunc_end1044:
	.size	_ZN7rocprim17ROCPRIM_400000_NS6detail17trampoline_kernelINS0_14default_configENS1_35radix_sort_onesweep_config_selectorIiiEEZZNS1_29radix_sort_onesweep_iterationIS3_Lb1EN6thrust23THRUST_200600_302600_NS6detail15normal_iteratorINS8_10device_ptrIiEEEESD_SD_SD_jNS0_19identity_decomposerENS1_16block_id_wrapperIjLb0EEEEE10hipError_tT1_PNSt15iterator_traitsISI_E10value_typeET2_T3_PNSJ_ISO_E10value_typeET4_T5_PST_SU_PNS1_23onesweep_lookback_stateEbbT6_jjT7_P12ihipStream_tbENKUlT_T0_SI_SN_E_clIPiSD_S15_SD_EEDaS11_S12_SI_SN_EUlS11_E_NS1_11comp_targetILNS1_3genE0ELNS1_11target_archE4294967295ELNS1_3gpuE0ELNS1_3repE0EEENS1_47radix_sort_onesweep_sort_config_static_selectorELNS0_4arch9wavefront6targetE0EEEvSI_, .Lfunc_end1044-_ZN7rocprim17ROCPRIM_400000_NS6detail17trampoline_kernelINS0_14default_configENS1_35radix_sort_onesweep_config_selectorIiiEEZZNS1_29radix_sort_onesweep_iterationIS3_Lb1EN6thrust23THRUST_200600_302600_NS6detail15normal_iteratorINS8_10device_ptrIiEEEESD_SD_SD_jNS0_19identity_decomposerENS1_16block_id_wrapperIjLb0EEEEE10hipError_tT1_PNSt15iterator_traitsISI_E10value_typeET2_T3_PNSJ_ISO_E10value_typeET4_T5_PST_SU_PNS1_23onesweep_lookback_stateEbbT6_jjT7_P12ihipStream_tbENKUlT_T0_SI_SN_E_clIPiSD_S15_SD_EEDaS11_S12_SI_SN_EUlS11_E_NS1_11comp_targetILNS1_3genE0ELNS1_11target_archE4294967295ELNS1_3gpuE0ELNS1_3repE0EEENS1_47radix_sort_onesweep_sort_config_static_selectorELNS0_4arch9wavefront6targetE0EEEvSI_
                                        ; -- End function
	.set _ZN7rocprim17ROCPRIM_400000_NS6detail17trampoline_kernelINS0_14default_configENS1_35radix_sort_onesweep_config_selectorIiiEEZZNS1_29radix_sort_onesweep_iterationIS3_Lb1EN6thrust23THRUST_200600_302600_NS6detail15normal_iteratorINS8_10device_ptrIiEEEESD_SD_SD_jNS0_19identity_decomposerENS1_16block_id_wrapperIjLb0EEEEE10hipError_tT1_PNSt15iterator_traitsISI_E10value_typeET2_T3_PNSJ_ISO_E10value_typeET4_T5_PST_SU_PNS1_23onesweep_lookback_stateEbbT6_jjT7_P12ihipStream_tbENKUlT_T0_SI_SN_E_clIPiSD_S15_SD_EEDaS11_S12_SI_SN_EUlS11_E_NS1_11comp_targetILNS1_3genE0ELNS1_11target_archE4294967295ELNS1_3gpuE0ELNS1_3repE0EEENS1_47radix_sort_onesweep_sort_config_static_selectorELNS0_4arch9wavefront6targetE0EEEvSI_.num_vgpr, 0
	.set _ZN7rocprim17ROCPRIM_400000_NS6detail17trampoline_kernelINS0_14default_configENS1_35radix_sort_onesweep_config_selectorIiiEEZZNS1_29radix_sort_onesweep_iterationIS3_Lb1EN6thrust23THRUST_200600_302600_NS6detail15normal_iteratorINS8_10device_ptrIiEEEESD_SD_SD_jNS0_19identity_decomposerENS1_16block_id_wrapperIjLb0EEEEE10hipError_tT1_PNSt15iterator_traitsISI_E10value_typeET2_T3_PNSJ_ISO_E10value_typeET4_T5_PST_SU_PNS1_23onesweep_lookback_stateEbbT6_jjT7_P12ihipStream_tbENKUlT_T0_SI_SN_E_clIPiSD_S15_SD_EEDaS11_S12_SI_SN_EUlS11_E_NS1_11comp_targetILNS1_3genE0ELNS1_11target_archE4294967295ELNS1_3gpuE0ELNS1_3repE0EEENS1_47radix_sort_onesweep_sort_config_static_selectorELNS0_4arch9wavefront6targetE0EEEvSI_.num_agpr, 0
	.set _ZN7rocprim17ROCPRIM_400000_NS6detail17trampoline_kernelINS0_14default_configENS1_35radix_sort_onesweep_config_selectorIiiEEZZNS1_29radix_sort_onesweep_iterationIS3_Lb1EN6thrust23THRUST_200600_302600_NS6detail15normal_iteratorINS8_10device_ptrIiEEEESD_SD_SD_jNS0_19identity_decomposerENS1_16block_id_wrapperIjLb0EEEEE10hipError_tT1_PNSt15iterator_traitsISI_E10value_typeET2_T3_PNSJ_ISO_E10value_typeET4_T5_PST_SU_PNS1_23onesweep_lookback_stateEbbT6_jjT7_P12ihipStream_tbENKUlT_T0_SI_SN_E_clIPiSD_S15_SD_EEDaS11_S12_SI_SN_EUlS11_E_NS1_11comp_targetILNS1_3genE0ELNS1_11target_archE4294967295ELNS1_3gpuE0ELNS1_3repE0EEENS1_47radix_sort_onesweep_sort_config_static_selectorELNS0_4arch9wavefront6targetE0EEEvSI_.numbered_sgpr, 0
	.set _ZN7rocprim17ROCPRIM_400000_NS6detail17trampoline_kernelINS0_14default_configENS1_35radix_sort_onesweep_config_selectorIiiEEZZNS1_29radix_sort_onesweep_iterationIS3_Lb1EN6thrust23THRUST_200600_302600_NS6detail15normal_iteratorINS8_10device_ptrIiEEEESD_SD_SD_jNS0_19identity_decomposerENS1_16block_id_wrapperIjLb0EEEEE10hipError_tT1_PNSt15iterator_traitsISI_E10value_typeET2_T3_PNSJ_ISO_E10value_typeET4_T5_PST_SU_PNS1_23onesweep_lookback_stateEbbT6_jjT7_P12ihipStream_tbENKUlT_T0_SI_SN_E_clIPiSD_S15_SD_EEDaS11_S12_SI_SN_EUlS11_E_NS1_11comp_targetILNS1_3genE0ELNS1_11target_archE4294967295ELNS1_3gpuE0ELNS1_3repE0EEENS1_47radix_sort_onesweep_sort_config_static_selectorELNS0_4arch9wavefront6targetE0EEEvSI_.num_named_barrier, 0
	.set _ZN7rocprim17ROCPRIM_400000_NS6detail17trampoline_kernelINS0_14default_configENS1_35radix_sort_onesweep_config_selectorIiiEEZZNS1_29radix_sort_onesweep_iterationIS3_Lb1EN6thrust23THRUST_200600_302600_NS6detail15normal_iteratorINS8_10device_ptrIiEEEESD_SD_SD_jNS0_19identity_decomposerENS1_16block_id_wrapperIjLb0EEEEE10hipError_tT1_PNSt15iterator_traitsISI_E10value_typeET2_T3_PNSJ_ISO_E10value_typeET4_T5_PST_SU_PNS1_23onesweep_lookback_stateEbbT6_jjT7_P12ihipStream_tbENKUlT_T0_SI_SN_E_clIPiSD_S15_SD_EEDaS11_S12_SI_SN_EUlS11_E_NS1_11comp_targetILNS1_3genE0ELNS1_11target_archE4294967295ELNS1_3gpuE0ELNS1_3repE0EEENS1_47radix_sort_onesweep_sort_config_static_selectorELNS0_4arch9wavefront6targetE0EEEvSI_.private_seg_size, 0
	.set _ZN7rocprim17ROCPRIM_400000_NS6detail17trampoline_kernelINS0_14default_configENS1_35radix_sort_onesweep_config_selectorIiiEEZZNS1_29radix_sort_onesweep_iterationIS3_Lb1EN6thrust23THRUST_200600_302600_NS6detail15normal_iteratorINS8_10device_ptrIiEEEESD_SD_SD_jNS0_19identity_decomposerENS1_16block_id_wrapperIjLb0EEEEE10hipError_tT1_PNSt15iterator_traitsISI_E10value_typeET2_T3_PNSJ_ISO_E10value_typeET4_T5_PST_SU_PNS1_23onesweep_lookback_stateEbbT6_jjT7_P12ihipStream_tbENKUlT_T0_SI_SN_E_clIPiSD_S15_SD_EEDaS11_S12_SI_SN_EUlS11_E_NS1_11comp_targetILNS1_3genE0ELNS1_11target_archE4294967295ELNS1_3gpuE0ELNS1_3repE0EEENS1_47radix_sort_onesweep_sort_config_static_selectorELNS0_4arch9wavefront6targetE0EEEvSI_.uses_vcc, 0
	.set _ZN7rocprim17ROCPRIM_400000_NS6detail17trampoline_kernelINS0_14default_configENS1_35radix_sort_onesweep_config_selectorIiiEEZZNS1_29radix_sort_onesweep_iterationIS3_Lb1EN6thrust23THRUST_200600_302600_NS6detail15normal_iteratorINS8_10device_ptrIiEEEESD_SD_SD_jNS0_19identity_decomposerENS1_16block_id_wrapperIjLb0EEEEE10hipError_tT1_PNSt15iterator_traitsISI_E10value_typeET2_T3_PNSJ_ISO_E10value_typeET4_T5_PST_SU_PNS1_23onesweep_lookback_stateEbbT6_jjT7_P12ihipStream_tbENKUlT_T0_SI_SN_E_clIPiSD_S15_SD_EEDaS11_S12_SI_SN_EUlS11_E_NS1_11comp_targetILNS1_3genE0ELNS1_11target_archE4294967295ELNS1_3gpuE0ELNS1_3repE0EEENS1_47radix_sort_onesweep_sort_config_static_selectorELNS0_4arch9wavefront6targetE0EEEvSI_.uses_flat_scratch, 0
	.set _ZN7rocprim17ROCPRIM_400000_NS6detail17trampoline_kernelINS0_14default_configENS1_35radix_sort_onesweep_config_selectorIiiEEZZNS1_29radix_sort_onesweep_iterationIS3_Lb1EN6thrust23THRUST_200600_302600_NS6detail15normal_iteratorINS8_10device_ptrIiEEEESD_SD_SD_jNS0_19identity_decomposerENS1_16block_id_wrapperIjLb0EEEEE10hipError_tT1_PNSt15iterator_traitsISI_E10value_typeET2_T3_PNSJ_ISO_E10value_typeET4_T5_PST_SU_PNS1_23onesweep_lookback_stateEbbT6_jjT7_P12ihipStream_tbENKUlT_T0_SI_SN_E_clIPiSD_S15_SD_EEDaS11_S12_SI_SN_EUlS11_E_NS1_11comp_targetILNS1_3genE0ELNS1_11target_archE4294967295ELNS1_3gpuE0ELNS1_3repE0EEENS1_47radix_sort_onesweep_sort_config_static_selectorELNS0_4arch9wavefront6targetE0EEEvSI_.has_dyn_sized_stack, 0
	.set _ZN7rocprim17ROCPRIM_400000_NS6detail17trampoline_kernelINS0_14default_configENS1_35radix_sort_onesweep_config_selectorIiiEEZZNS1_29radix_sort_onesweep_iterationIS3_Lb1EN6thrust23THRUST_200600_302600_NS6detail15normal_iteratorINS8_10device_ptrIiEEEESD_SD_SD_jNS0_19identity_decomposerENS1_16block_id_wrapperIjLb0EEEEE10hipError_tT1_PNSt15iterator_traitsISI_E10value_typeET2_T3_PNSJ_ISO_E10value_typeET4_T5_PST_SU_PNS1_23onesweep_lookback_stateEbbT6_jjT7_P12ihipStream_tbENKUlT_T0_SI_SN_E_clIPiSD_S15_SD_EEDaS11_S12_SI_SN_EUlS11_E_NS1_11comp_targetILNS1_3genE0ELNS1_11target_archE4294967295ELNS1_3gpuE0ELNS1_3repE0EEENS1_47radix_sort_onesweep_sort_config_static_selectorELNS0_4arch9wavefront6targetE0EEEvSI_.has_recursion, 0
	.set _ZN7rocprim17ROCPRIM_400000_NS6detail17trampoline_kernelINS0_14default_configENS1_35radix_sort_onesweep_config_selectorIiiEEZZNS1_29radix_sort_onesweep_iterationIS3_Lb1EN6thrust23THRUST_200600_302600_NS6detail15normal_iteratorINS8_10device_ptrIiEEEESD_SD_SD_jNS0_19identity_decomposerENS1_16block_id_wrapperIjLb0EEEEE10hipError_tT1_PNSt15iterator_traitsISI_E10value_typeET2_T3_PNSJ_ISO_E10value_typeET4_T5_PST_SU_PNS1_23onesweep_lookback_stateEbbT6_jjT7_P12ihipStream_tbENKUlT_T0_SI_SN_E_clIPiSD_S15_SD_EEDaS11_S12_SI_SN_EUlS11_E_NS1_11comp_targetILNS1_3genE0ELNS1_11target_archE4294967295ELNS1_3gpuE0ELNS1_3repE0EEENS1_47radix_sort_onesweep_sort_config_static_selectorELNS0_4arch9wavefront6targetE0EEEvSI_.has_indirect_call, 0
	.section	.AMDGPU.csdata,"",@progbits
; Kernel info:
; codeLenInByte = 0
; TotalNumSgprs: 0
; NumVgprs: 0
; ScratchSize: 0
; MemoryBound: 0
; FloatMode: 240
; IeeeMode: 1
; LDSByteSize: 0 bytes/workgroup (compile time only)
; SGPRBlocks: 0
; VGPRBlocks: 0
; NumSGPRsForWavesPerEU: 1
; NumVGPRsForWavesPerEU: 1
; Occupancy: 16
; WaveLimiterHint : 0
; COMPUTE_PGM_RSRC2:SCRATCH_EN: 0
; COMPUTE_PGM_RSRC2:USER_SGPR: 6
; COMPUTE_PGM_RSRC2:TRAP_HANDLER: 0
; COMPUTE_PGM_RSRC2:TGID_X_EN: 1
; COMPUTE_PGM_RSRC2:TGID_Y_EN: 0
; COMPUTE_PGM_RSRC2:TGID_Z_EN: 0
; COMPUTE_PGM_RSRC2:TIDIG_COMP_CNT: 0
	.section	.text._ZN7rocprim17ROCPRIM_400000_NS6detail17trampoline_kernelINS0_14default_configENS1_35radix_sort_onesweep_config_selectorIiiEEZZNS1_29radix_sort_onesweep_iterationIS3_Lb1EN6thrust23THRUST_200600_302600_NS6detail15normal_iteratorINS8_10device_ptrIiEEEESD_SD_SD_jNS0_19identity_decomposerENS1_16block_id_wrapperIjLb0EEEEE10hipError_tT1_PNSt15iterator_traitsISI_E10value_typeET2_T3_PNSJ_ISO_E10value_typeET4_T5_PST_SU_PNS1_23onesweep_lookback_stateEbbT6_jjT7_P12ihipStream_tbENKUlT_T0_SI_SN_E_clIPiSD_S15_SD_EEDaS11_S12_SI_SN_EUlS11_E_NS1_11comp_targetILNS1_3genE6ELNS1_11target_archE950ELNS1_3gpuE13ELNS1_3repE0EEENS1_47radix_sort_onesweep_sort_config_static_selectorELNS0_4arch9wavefront6targetE0EEEvSI_,"axG",@progbits,_ZN7rocprim17ROCPRIM_400000_NS6detail17trampoline_kernelINS0_14default_configENS1_35radix_sort_onesweep_config_selectorIiiEEZZNS1_29radix_sort_onesweep_iterationIS3_Lb1EN6thrust23THRUST_200600_302600_NS6detail15normal_iteratorINS8_10device_ptrIiEEEESD_SD_SD_jNS0_19identity_decomposerENS1_16block_id_wrapperIjLb0EEEEE10hipError_tT1_PNSt15iterator_traitsISI_E10value_typeET2_T3_PNSJ_ISO_E10value_typeET4_T5_PST_SU_PNS1_23onesweep_lookback_stateEbbT6_jjT7_P12ihipStream_tbENKUlT_T0_SI_SN_E_clIPiSD_S15_SD_EEDaS11_S12_SI_SN_EUlS11_E_NS1_11comp_targetILNS1_3genE6ELNS1_11target_archE950ELNS1_3gpuE13ELNS1_3repE0EEENS1_47radix_sort_onesweep_sort_config_static_selectorELNS0_4arch9wavefront6targetE0EEEvSI_,comdat
	.protected	_ZN7rocprim17ROCPRIM_400000_NS6detail17trampoline_kernelINS0_14default_configENS1_35radix_sort_onesweep_config_selectorIiiEEZZNS1_29radix_sort_onesweep_iterationIS3_Lb1EN6thrust23THRUST_200600_302600_NS6detail15normal_iteratorINS8_10device_ptrIiEEEESD_SD_SD_jNS0_19identity_decomposerENS1_16block_id_wrapperIjLb0EEEEE10hipError_tT1_PNSt15iterator_traitsISI_E10value_typeET2_T3_PNSJ_ISO_E10value_typeET4_T5_PST_SU_PNS1_23onesweep_lookback_stateEbbT6_jjT7_P12ihipStream_tbENKUlT_T0_SI_SN_E_clIPiSD_S15_SD_EEDaS11_S12_SI_SN_EUlS11_E_NS1_11comp_targetILNS1_3genE6ELNS1_11target_archE950ELNS1_3gpuE13ELNS1_3repE0EEENS1_47radix_sort_onesweep_sort_config_static_selectorELNS0_4arch9wavefront6targetE0EEEvSI_ ; -- Begin function _ZN7rocprim17ROCPRIM_400000_NS6detail17trampoline_kernelINS0_14default_configENS1_35radix_sort_onesweep_config_selectorIiiEEZZNS1_29radix_sort_onesweep_iterationIS3_Lb1EN6thrust23THRUST_200600_302600_NS6detail15normal_iteratorINS8_10device_ptrIiEEEESD_SD_SD_jNS0_19identity_decomposerENS1_16block_id_wrapperIjLb0EEEEE10hipError_tT1_PNSt15iterator_traitsISI_E10value_typeET2_T3_PNSJ_ISO_E10value_typeET4_T5_PST_SU_PNS1_23onesweep_lookback_stateEbbT6_jjT7_P12ihipStream_tbENKUlT_T0_SI_SN_E_clIPiSD_S15_SD_EEDaS11_S12_SI_SN_EUlS11_E_NS1_11comp_targetILNS1_3genE6ELNS1_11target_archE950ELNS1_3gpuE13ELNS1_3repE0EEENS1_47radix_sort_onesweep_sort_config_static_selectorELNS0_4arch9wavefront6targetE0EEEvSI_
	.globl	_ZN7rocprim17ROCPRIM_400000_NS6detail17trampoline_kernelINS0_14default_configENS1_35radix_sort_onesweep_config_selectorIiiEEZZNS1_29radix_sort_onesweep_iterationIS3_Lb1EN6thrust23THRUST_200600_302600_NS6detail15normal_iteratorINS8_10device_ptrIiEEEESD_SD_SD_jNS0_19identity_decomposerENS1_16block_id_wrapperIjLb0EEEEE10hipError_tT1_PNSt15iterator_traitsISI_E10value_typeET2_T3_PNSJ_ISO_E10value_typeET4_T5_PST_SU_PNS1_23onesweep_lookback_stateEbbT6_jjT7_P12ihipStream_tbENKUlT_T0_SI_SN_E_clIPiSD_S15_SD_EEDaS11_S12_SI_SN_EUlS11_E_NS1_11comp_targetILNS1_3genE6ELNS1_11target_archE950ELNS1_3gpuE13ELNS1_3repE0EEENS1_47radix_sort_onesweep_sort_config_static_selectorELNS0_4arch9wavefront6targetE0EEEvSI_
	.p2align	8
	.type	_ZN7rocprim17ROCPRIM_400000_NS6detail17trampoline_kernelINS0_14default_configENS1_35radix_sort_onesweep_config_selectorIiiEEZZNS1_29radix_sort_onesweep_iterationIS3_Lb1EN6thrust23THRUST_200600_302600_NS6detail15normal_iteratorINS8_10device_ptrIiEEEESD_SD_SD_jNS0_19identity_decomposerENS1_16block_id_wrapperIjLb0EEEEE10hipError_tT1_PNSt15iterator_traitsISI_E10value_typeET2_T3_PNSJ_ISO_E10value_typeET4_T5_PST_SU_PNS1_23onesweep_lookback_stateEbbT6_jjT7_P12ihipStream_tbENKUlT_T0_SI_SN_E_clIPiSD_S15_SD_EEDaS11_S12_SI_SN_EUlS11_E_NS1_11comp_targetILNS1_3genE6ELNS1_11target_archE950ELNS1_3gpuE13ELNS1_3repE0EEENS1_47radix_sort_onesweep_sort_config_static_selectorELNS0_4arch9wavefront6targetE0EEEvSI_,@function
_ZN7rocprim17ROCPRIM_400000_NS6detail17trampoline_kernelINS0_14default_configENS1_35radix_sort_onesweep_config_selectorIiiEEZZNS1_29radix_sort_onesweep_iterationIS3_Lb1EN6thrust23THRUST_200600_302600_NS6detail15normal_iteratorINS8_10device_ptrIiEEEESD_SD_SD_jNS0_19identity_decomposerENS1_16block_id_wrapperIjLb0EEEEE10hipError_tT1_PNSt15iterator_traitsISI_E10value_typeET2_T3_PNSJ_ISO_E10value_typeET4_T5_PST_SU_PNS1_23onesweep_lookback_stateEbbT6_jjT7_P12ihipStream_tbENKUlT_T0_SI_SN_E_clIPiSD_S15_SD_EEDaS11_S12_SI_SN_EUlS11_E_NS1_11comp_targetILNS1_3genE6ELNS1_11target_archE950ELNS1_3gpuE13ELNS1_3repE0EEENS1_47radix_sort_onesweep_sort_config_static_selectorELNS0_4arch9wavefront6targetE0EEEvSI_: ; @_ZN7rocprim17ROCPRIM_400000_NS6detail17trampoline_kernelINS0_14default_configENS1_35radix_sort_onesweep_config_selectorIiiEEZZNS1_29radix_sort_onesweep_iterationIS3_Lb1EN6thrust23THRUST_200600_302600_NS6detail15normal_iteratorINS8_10device_ptrIiEEEESD_SD_SD_jNS0_19identity_decomposerENS1_16block_id_wrapperIjLb0EEEEE10hipError_tT1_PNSt15iterator_traitsISI_E10value_typeET2_T3_PNSJ_ISO_E10value_typeET4_T5_PST_SU_PNS1_23onesweep_lookback_stateEbbT6_jjT7_P12ihipStream_tbENKUlT_T0_SI_SN_E_clIPiSD_S15_SD_EEDaS11_S12_SI_SN_EUlS11_E_NS1_11comp_targetILNS1_3genE6ELNS1_11target_archE950ELNS1_3gpuE13ELNS1_3repE0EEENS1_47radix_sort_onesweep_sort_config_static_selectorELNS0_4arch9wavefront6targetE0EEEvSI_
; %bb.0:
	.section	.rodata,"a",@progbits
	.p2align	6, 0x0
	.amdhsa_kernel _ZN7rocprim17ROCPRIM_400000_NS6detail17trampoline_kernelINS0_14default_configENS1_35radix_sort_onesweep_config_selectorIiiEEZZNS1_29radix_sort_onesweep_iterationIS3_Lb1EN6thrust23THRUST_200600_302600_NS6detail15normal_iteratorINS8_10device_ptrIiEEEESD_SD_SD_jNS0_19identity_decomposerENS1_16block_id_wrapperIjLb0EEEEE10hipError_tT1_PNSt15iterator_traitsISI_E10value_typeET2_T3_PNSJ_ISO_E10value_typeET4_T5_PST_SU_PNS1_23onesweep_lookback_stateEbbT6_jjT7_P12ihipStream_tbENKUlT_T0_SI_SN_E_clIPiSD_S15_SD_EEDaS11_S12_SI_SN_EUlS11_E_NS1_11comp_targetILNS1_3genE6ELNS1_11target_archE950ELNS1_3gpuE13ELNS1_3repE0EEENS1_47radix_sort_onesweep_sort_config_static_selectorELNS0_4arch9wavefront6targetE0EEEvSI_
		.amdhsa_group_segment_fixed_size 0
		.amdhsa_private_segment_fixed_size 0
		.amdhsa_kernarg_size 88
		.amdhsa_user_sgpr_count 6
		.amdhsa_user_sgpr_private_segment_buffer 1
		.amdhsa_user_sgpr_dispatch_ptr 0
		.amdhsa_user_sgpr_queue_ptr 0
		.amdhsa_user_sgpr_kernarg_segment_ptr 1
		.amdhsa_user_sgpr_dispatch_id 0
		.amdhsa_user_sgpr_flat_scratch_init 0
		.amdhsa_user_sgpr_private_segment_size 0
		.amdhsa_wavefront_size32 1
		.amdhsa_uses_dynamic_stack 0
		.amdhsa_system_sgpr_private_segment_wavefront_offset 0
		.amdhsa_system_sgpr_workgroup_id_x 1
		.amdhsa_system_sgpr_workgroup_id_y 0
		.amdhsa_system_sgpr_workgroup_id_z 0
		.amdhsa_system_sgpr_workgroup_info 0
		.amdhsa_system_vgpr_workitem_id 0
		.amdhsa_next_free_vgpr 1
		.amdhsa_next_free_sgpr 1
		.amdhsa_reserve_vcc 0
		.amdhsa_reserve_flat_scratch 0
		.amdhsa_float_round_mode_32 0
		.amdhsa_float_round_mode_16_64 0
		.amdhsa_float_denorm_mode_32 3
		.amdhsa_float_denorm_mode_16_64 3
		.amdhsa_dx10_clamp 1
		.amdhsa_ieee_mode 1
		.amdhsa_fp16_overflow 0
		.amdhsa_workgroup_processor_mode 1
		.amdhsa_memory_ordered 1
		.amdhsa_forward_progress 1
		.amdhsa_shared_vgpr_count 0
		.amdhsa_exception_fp_ieee_invalid_op 0
		.amdhsa_exception_fp_denorm_src 0
		.amdhsa_exception_fp_ieee_div_zero 0
		.amdhsa_exception_fp_ieee_overflow 0
		.amdhsa_exception_fp_ieee_underflow 0
		.amdhsa_exception_fp_ieee_inexact 0
		.amdhsa_exception_int_div_zero 0
	.end_amdhsa_kernel
	.section	.text._ZN7rocprim17ROCPRIM_400000_NS6detail17trampoline_kernelINS0_14default_configENS1_35radix_sort_onesweep_config_selectorIiiEEZZNS1_29radix_sort_onesweep_iterationIS3_Lb1EN6thrust23THRUST_200600_302600_NS6detail15normal_iteratorINS8_10device_ptrIiEEEESD_SD_SD_jNS0_19identity_decomposerENS1_16block_id_wrapperIjLb0EEEEE10hipError_tT1_PNSt15iterator_traitsISI_E10value_typeET2_T3_PNSJ_ISO_E10value_typeET4_T5_PST_SU_PNS1_23onesweep_lookback_stateEbbT6_jjT7_P12ihipStream_tbENKUlT_T0_SI_SN_E_clIPiSD_S15_SD_EEDaS11_S12_SI_SN_EUlS11_E_NS1_11comp_targetILNS1_3genE6ELNS1_11target_archE950ELNS1_3gpuE13ELNS1_3repE0EEENS1_47radix_sort_onesweep_sort_config_static_selectorELNS0_4arch9wavefront6targetE0EEEvSI_,"axG",@progbits,_ZN7rocprim17ROCPRIM_400000_NS6detail17trampoline_kernelINS0_14default_configENS1_35radix_sort_onesweep_config_selectorIiiEEZZNS1_29radix_sort_onesweep_iterationIS3_Lb1EN6thrust23THRUST_200600_302600_NS6detail15normal_iteratorINS8_10device_ptrIiEEEESD_SD_SD_jNS0_19identity_decomposerENS1_16block_id_wrapperIjLb0EEEEE10hipError_tT1_PNSt15iterator_traitsISI_E10value_typeET2_T3_PNSJ_ISO_E10value_typeET4_T5_PST_SU_PNS1_23onesweep_lookback_stateEbbT6_jjT7_P12ihipStream_tbENKUlT_T0_SI_SN_E_clIPiSD_S15_SD_EEDaS11_S12_SI_SN_EUlS11_E_NS1_11comp_targetILNS1_3genE6ELNS1_11target_archE950ELNS1_3gpuE13ELNS1_3repE0EEENS1_47radix_sort_onesweep_sort_config_static_selectorELNS0_4arch9wavefront6targetE0EEEvSI_,comdat
.Lfunc_end1045:
	.size	_ZN7rocprim17ROCPRIM_400000_NS6detail17trampoline_kernelINS0_14default_configENS1_35radix_sort_onesweep_config_selectorIiiEEZZNS1_29radix_sort_onesweep_iterationIS3_Lb1EN6thrust23THRUST_200600_302600_NS6detail15normal_iteratorINS8_10device_ptrIiEEEESD_SD_SD_jNS0_19identity_decomposerENS1_16block_id_wrapperIjLb0EEEEE10hipError_tT1_PNSt15iterator_traitsISI_E10value_typeET2_T3_PNSJ_ISO_E10value_typeET4_T5_PST_SU_PNS1_23onesweep_lookback_stateEbbT6_jjT7_P12ihipStream_tbENKUlT_T0_SI_SN_E_clIPiSD_S15_SD_EEDaS11_S12_SI_SN_EUlS11_E_NS1_11comp_targetILNS1_3genE6ELNS1_11target_archE950ELNS1_3gpuE13ELNS1_3repE0EEENS1_47radix_sort_onesweep_sort_config_static_selectorELNS0_4arch9wavefront6targetE0EEEvSI_, .Lfunc_end1045-_ZN7rocprim17ROCPRIM_400000_NS6detail17trampoline_kernelINS0_14default_configENS1_35radix_sort_onesweep_config_selectorIiiEEZZNS1_29radix_sort_onesweep_iterationIS3_Lb1EN6thrust23THRUST_200600_302600_NS6detail15normal_iteratorINS8_10device_ptrIiEEEESD_SD_SD_jNS0_19identity_decomposerENS1_16block_id_wrapperIjLb0EEEEE10hipError_tT1_PNSt15iterator_traitsISI_E10value_typeET2_T3_PNSJ_ISO_E10value_typeET4_T5_PST_SU_PNS1_23onesweep_lookback_stateEbbT6_jjT7_P12ihipStream_tbENKUlT_T0_SI_SN_E_clIPiSD_S15_SD_EEDaS11_S12_SI_SN_EUlS11_E_NS1_11comp_targetILNS1_3genE6ELNS1_11target_archE950ELNS1_3gpuE13ELNS1_3repE0EEENS1_47radix_sort_onesweep_sort_config_static_selectorELNS0_4arch9wavefront6targetE0EEEvSI_
                                        ; -- End function
	.set _ZN7rocprim17ROCPRIM_400000_NS6detail17trampoline_kernelINS0_14default_configENS1_35radix_sort_onesweep_config_selectorIiiEEZZNS1_29radix_sort_onesweep_iterationIS3_Lb1EN6thrust23THRUST_200600_302600_NS6detail15normal_iteratorINS8_10device_ptrIiEEEESD_SD_SD_jNS0_19identity_decomposerENS1_16block_id_wrapperIjLb0EEEEE10hipError_tT1_PNSt15iterator_traitsISI_E10value_typeET2_T3_PNSJ_ISO_E10value_typeET4_T5_PST_SU_PNS1_23onesweep_lookback_stateEbbT6_jjT7_P12ihipStream_tbENKUlT_T0_SI_SN_E_clIPiSD_S15_SD_EEDaS11_S12_SI_SN_EUlS11_E_NS1_11comp_targetILNS1_3genE6ELNS1_11target_archE950ELNS1_3gpuE13ELNS1_3repE0EEENS1_47radix_sort_onesweep_sort_config_static_selectorELNS0_4arch9wavefront6targetE0EEEvSI_.num_vgpr, 0
	.set _ZN7rocprim17ROCPRIM_400000_NS6detail17trampoline_kernelINS0_14default_configENS1_35radix_sort_onesweep_config_selectorIiiEEZZNS1_29radix_sort_onesweep_iterationIS3_Lb1EN6thrust23THRUST_200600_302600_NS6detail15normal_iteratorINS8_10device_ptrIiEEEESD_SD_SD_jNS0_19identity_decomposerENS1_16block_id_wrapperIjLb0EEEEE10hipError_tT1_PNSt15iterator_traitsISI_E10value_typeET2_T3_PNSJ_ISO_E10value_typeET4_T5_PST_SU_PNS1_23onesweep_lookback_stateEbbT6_jjT7_P12ihipStream_tbENKUlT_T0_SI_SN_E_clIPiSD_S15_SD_EEDaS11_S12_SI_SN_EUlS11_E_NS1_11comp_targetILNS1_3genE6ELNS1_11target_archE950ELNS1_3gpuE13ELNS1_3repE0EEENS1_47radix_sort_onesweep_sort_config_static_selectorELNS0_4arch9wavefront6targetE0EEEvSI_.num_agpr, 0
	.set _ZN7rocprim17ROCPRIM_400000_NS6detail17trampoline_kernelINS0_14default_configENS1_35radix_sort_onesweep_config_selectorIiiEEZZNS1_29radix_sort_onesweep_iterationIS3_Lb1EN6thrust23THRUST_200600_302600_NS6detail15normal_iteratorINS8_10device_ptrIiEEEESD_SD_SD_jNS0_19identity_decomposerENS1_16block_id_wrapperIjLb0EEEEE10hipError_tT1_PNSt15iterator_traitsISI_E10value_typeET2_T3_PNSJ_ISO_E10value_typeET4_T5_PST_SU_PNS1_23onesweep_lookback_stateEbbT6_jjT7_P12ihipStream_tbENKUlT_T0_SI_SN_E_clIPiSD_S15_SD_EEDaS11_S12_SI_SN_EUlS11_E_NS1_11comp_targetILNS1_3genE6ELNS1_11target_archE950ELNS1_3gpuE13ELNS1_3repE0EEENS1_47radix_sort_onesweep_sort_config_static_selectorELNS0_4arch9wavefront6targetE0EEEvSI_.numbered_sgpr, 0
	.set _ZN7rocprim17ROCPRIM_400000_NS6detail17trampoline_kernelINS0_14default_configENS1_35radix_sort_onesweep_config_selectorIiiEEZZNS1_29radix_sort_onesweep_iterationIS3_Lb1EN6thrust23THRUST_200600_302600_NS6detail15normal_iteratorINS8_10device_ptrIiEEEESD_SD_SD_jNS0_19identity_decomposerENS1_16block_id_wrapperIjLb0EEEEE10hipError_tT1_PNSt15iterator_traitsISI_E10value_typeET2_T3_PNSJ_ISO_E10value_typeET4_T5_PST_SU_PNS1_23onesweep_lookback_stateEbbT6_jjT7_P12ihipStream_tbENKUlT_T0_SI_SN_E_clIPiSD_S15_SD_EEDaS11_S12_SI_SN_EUlS11_E_NS1_11comp_targetILNS1_3genE6ELNS1_11target_archE950ELNS1_3gpuE13ELNS1_3repE0EEENS1_47radix_sort_onesweep_sort_config_static_selectorELNS0_4arch9wavefront6targetE0EEEvSI_.num_named_barrier, 0
	.set _ZN7rocprim17ROCPRIM_400000_NS6detail17trampoline_kernelINS0_14default_configENS1_35radix_sort_onesweep_config_selectorIiiEEZZNS1_29radix_sort_onesweep_iterationIS3_Lb1EN6thrust23THRUST_200600_302600_NS6detail15normal_iteratorINS8_10device_ptrIiEEEESD_SD_SD_jNS0_19identity_decomposerENS1_16block_id_wrapperIjLb0EEEEE10hipError_tT1_PNSt15iterator_traitsISI_E10value_typeET2_T3_PNSJ_ISO_E10value_typeET4_T5_PST_SU_PNS1_23onesweep_lookback_stateEbbT6_jjT7_P12ihipStream_tbENKUlT_T0_SI_SN_E_clIPiSD_S15_SD_EEDaS11_S12_SI_SN_EUlS11_E_NS1_11comp_targetILNS1_3genE6ELNS1_11target_archE950ELNS1_3gpuE13ELNS1_3repE0EEENS1_47radix_sort_onesweep_sort_config_static_selectorELNS0_4arch9wavefront6targetE0EEEvSI_.private_seg_size, 0
	.set _ZN7rocprim17ROCPRIM_400000_NS6detail17trampoline_kernelINS0_14default_configENS1_35radix_sort_onesweep_config_selectorIiiEEZZNS1_29radix_sort_onesweep_iterationIS3_Lb1EN6thrust23THRUST_200600_302600_NS6detail15normal_iteratorINS8_10device_ptrIiEEEESD_SD_SD_jNS0_19identity_decomposerENS1_16block_id_wrapperIjLb0EEEEE10hipError_tT1_PNSt15iterator_traitsISI_E10value_typeET2_T3_PNSJ_ISO_E10value_typeET4_T5_PST_SU_PNS1_23onesweep_lookback_stateEbbT6_jjT7_P12ihipStream_tbENKUlT_T0_SI_SN_E_clIPiSD_S15_SD_EEDaS11_S12_SI_SN_EUlS11_E_NS1_11comp_targetILNS1_3genE6ELNS1_11target_archE950ELNS1_3gpuE13ELNS1_3repE0EEENS1_47radix_sort_onesweep_sort_config_static_selectorELNS0_4arch9wavefront6targetE0EEEvSI_.uses_vcc, 0
	.set _ZN7rocprim17ROCPRIM_400000_NS6detail17trampoline_kernelINS0_14default_configENS1_35radix_sort_onesweep_config_selectorIiiEEZZNS1_29radix_sort_onesweep_iterationIS3_Lb1EN6thrust23THRUST_200600_302600_NS6detail15normal_iteratorINS8_10device_ptrIiEEEESD_SD_SD_jNS0_19identity_decomposerENS1_16block_id_wrapperIjLb0EEEEE10hipError_tT1_PNSt15iterator_traitsISI_E10value_typeET2_T3_PNSJ_ISO_E10value_typeET4_T5_PST_SU_PNS1_23onesweep_lookback_stateEbbT6_jjT7_P12ihipStream_tbENKUlT_T0_SI_SN_E_clIPiSD_S15_SD_EEDaS11_S12_SI_SN_EUlS11_E_NS1_11comp_targetILNS1_3genE6ELNS1_11target_archE950ELNS1_3gpuE13ELNS1_3repE0EEENS1_47radix_sort_onesweep_sort_config_static_selectorELNS0_4arch9wavefront6targetE0EEEvSI_.uses_flat_scratch, 0
	.set _ZN7rocprim17ROCPRIM_400000_NS6detail17trampoline_kernelINS0_14default_configENS1_35radix_sort_onesweep_config_selectorIiiEEZZNS1_29radix_sort_onesweep_iterationIS3_Lb1EN6thrust23THRUST_200600_302600_NS6detail15normal_iteratorINS8_10device_ptrIiEEEESD_SD_SD_jNS0_19identity_decomposerENS1_16block_id_wrapperIjLb0EEEEE10hipError_tT1_PNSt15iterator_traitsISI_E10value_typeET2_T3_PNSJ_ISO_E10value_typeET4_T5_PST_SU_PNS1_23onesweep_lookback_stateEbbT6_jjT7_P12ihipStream_tbENKUlT_T0_SI_SN_E_clIPiSD_S15_SD_EEDaS11_S12_SI_SN_EUlS11_E_NS1_11comp_targetILNS1_3genE6ELNS1_11target_archE950ELNS1_3gpuE13ELNS1_3repE0EEENS1_47radix_sort_onesweep_sort_config_static_selectorELNS0_4arch9wavefront6targetE0EEEvSI_.has_dyn_sized_stack, 0
	.set _ZN7rocprim17ROCPRIM_400000_NS6detail17trampoline_kernelINS0_14default_configENS1_35radix_sort_onesweep_config_selectorIiiEEZZNS1_29radix_sort_onesweep_iterationIS3_Lb1EN6thrust23THRUST_200600_302600_NS6detail15normal_iteratorINS8_10device_ptrIiEEEESD_SD_SD_jNS0_19identity_decomposerENS1_16block_id_wrapperIjLb0EEEEE10hipError_tT1_PNSt15iterator_traitsISI_E10value_typeET2_T3_PNSJ_ISO_E10value_typeET4_T5_PST_SU_PNS1_23onesweep_lookback_stateEbbT6_jjT7_P12ihipStream_tbENKUlT_T0_SI_SN_E_clIPiSD_S15_SD_EEDaS11_S12_SI_SN_EUlS11_E_NS1_11comp_targetILNS1_3genE6ELNS1_11target_archE950ELNS1_3gpuE13ELNS1_3repE0EEENS1_47radix_sort_onesweep_sort_config_static_selectorELNS0_4arch9wavefront6targetE0EEEvSI_.has_recursion, 0
	.set _ZN7rocprim17ROCPRIM_400000_NS6detail17trampoline_kernelINS0_14default_configENS1_35radix_sort_onesweep_config_selectorIiiEEZZNS1_29radix_sort_onesweep_iterationIS3_Lb1EN6thrust23THRUST_200600_302600_NS6detail15normal_iteratorINS8_10device_ptrIiEEEESD_SD_SD_jNS0_19identity_decomposerENS1_16block_id_wrapperIjLb0EEEEE10hipError_tT1_PNSt15iterator_traitsISI_E10value_typeET2_T3_PNSJ_ISO_E10value_typeET4_T5_PST_SU_PNS1_23onesweep_lookback_stateEbbT6_jjT7_P12ihipStream_tbENKUlT_T0_SI_SN_E_clIPiSD_S15_SD_EEDaS11_S12_SI_SN_EUlS11_E_NS1_11comp_targetILNS1_3genE6ELNS1_11target_archE950ELNS1_3gpuE13ELNS1_3repE0EEENS1_47radix_sort_onesweep_sort_config_static_selectorELNS0_4arch9wavefront6targetE0EEEvSI_.has_indirect_call, 0
	.section	.AMDGPU.csdata,"",@progbits
; Kernel info:
; codeLenInByte = 0
; TotalNumSgprs: 0
; NumVgprs: 0
; ScratchSize: 0
; MemoryBound: 0
; FloatMode: 240
; IeeeMode: 1
; LDSByteSize: 0 bytes/workgroup (compile time only)
; SGPRBlocks: 0
; VGPRBlocks: 0
; NumSGPRsForWavesPerEU: 1
; NumVGPRsForWavesPerEU: 1
; Occupancy: 16
; WaveLimiterHint : 0
; COMPUTE_PGM_RSRC2:SCRATCH_EN: 0
; COMPUTE_PGM_RSRC2:USER_SGPR: 6
; COMPUTE_PGM_RSRC2:TRAP_HANDLER: 0
; COMPUTE_PGM_RSRC2:TGID_X_EN: 1
; COMPUTE_PGM_RSRC2:TGID_Y_EN: 0
; COMPUTE_PGM_RSRC2:TGID_Z_EN: 0
; COMPUTE_PGM_RSRC2:TIDIG_COMP_CNT: 0
	.section	.text._ZN7rocprim17ROCPRIM_400000_NS6detail17trampoline_kernelINS0_14default_configENS1_35radix_sort_onesweep_config_selectorIiiEEZZNS1_29radix_sort_onesweep_iterationIS3_Lb1EN6thrust23THRUST_200600_302600_NS6detail15normal_iteratorINS8_10device_ptrIiEEEESD_SD_SD_jNS0_19identity_decomposerENS1_16block_id_wrapperIjLb0EEEEE10hipError_tT1_PNSt15iterator_traitsISI_E10value_typeET2_T3_PNSJ_ISO_E10value_typeET4_T5_PST_SU_PNS1_23onesweep_lookback_stateEbbT6_jjT7_P12ihipStream_tbENKUlT_T0_SI_SN_E_clIPiSD_S15_SD_EEDaS11_S12_SI_SN_EUlS11_E_NS1_11comp_targetILNS1_3genE5ELNS1_11target_archE942ELNS1_3gpuE9ELNS1_3repE0EEENS1_47radix_sort_onesweep_sort_config_static_selectorELNS0_4arch9wavefront6targetE0EEEvSI_,"axG",@progbits,_ZN7rocprim17ROCPRIM_400000_NS6detail17trampoline_kernelINS0_14default_configENS1_35radix_sort_onesweep_config_selectorIiiEEZZNS1_29radix_sort_onesweep_iterationIS3_Lb1EN6thrust23THRUST_200600_302600_NS6detail15normal_iteratorINS8_10device_ptrIiEEEESD_SD_SD_jNS0_19identity_decomposerENS1_16block_id_wrapperIjLb0EEEEE10hipError_tT1_PNSt15iterator_traitsISI_E10value_typeET2_T3_PNSJ_ISO_E10value_typeET4_T5_PST_SU_PNS1_23onesweep_lookback_stateEbbT6_jjT7_P12ihipStream_tbENKUlT_T0_SI_SN_E_clIPiSD_S15_SD_EEDaS11_S12_SI_SN_EUlS11_E_NS1_11comp_targetILNS1_3genE5ELNS1_11target_archE942ELNS1_3gpuE9ELNS1_3repE0EEENS1_47radix_sort_onesweep_sort_config_static_selectorELNS0_4arch9wavefront6targetE0EEEvSI_,comdat
	.protected	_ZN7rocprim17ROCPRIM_400000_NS6detail17trampoline_kernelINS0_14default_configENS1_35radix_sort_onesweep_config_selectorIiiEEZZNS1_29radix_sort_onesweep_iterationIS3_Lb1EN6thrust23THRUST_200600_302600_NS6detail15normal_iteratorINS8_10device_ptrIiEEEESD_SD_SD_jNS0_19identity_decomposerENS1_16block_id_wrapperIjLb0EEEEE10hipError_tT1_PNSt15iterator_traitsISI_E10value_typeET2_T3_PNSJ_ISO_E10value_typeET4_T5_PST_SU_PNS1_23onesweep_lookback_stateEbbT6_jjT7_P12ihipStream_tbENKUlT_T0_SI_SN_E_clIPiSD_S15_SD_EEDaS11_S12_SI_SN_EUlS11_E_NS1_11comp_targetILNS1_3genE5ELNS1_11target_archE942ELNS1_3gpuE9ELNS1_3repE0EEENS1_47radix_sort_onesweep_sort_config_static_selectorELNS0_4arch9wavefront6targetE0EEEvSI_ ; -- Begin function _ZN7rocprim17ROCPRIM_400000_NS6detail17trampoline_kernelINS0_14default_configENS1_35radix_sort_onesweep_config_selectorIiiEEZZNS1_29radix_sort_onesweep_iterationIS3_Lb1EN6thrust23THRUST_200600_302600_NS6detail15normal_iteratorINS8_10device_ptrIiEEEESD_SD_SD_jNS0_19identity_decomposerENS1_16block_id_wrapperIjLb0EEEEE10hipError_tT1_PNSt15iterator_traitsISI_E10value_typeET2_T3_PNSJ_ISO_E10value_typeET4_T5_PST_SU_PNS1_23onesweep_lookback_stateEbbT6_jjT7_P12ihipStream_tbENKUlT_T0_SI_SN_E_clIPiSD_S15_SD_EEDaS11_S12_SI_SN_EUlS11_E_NS1_11comp_targetILNS1_3genE5ELNS1_11target_archE942ELNS1_3gpuE9ELNS1_3repE0EEENS1_47radix_sort_onesweep_sort_config_static_selectorELNS0_4arch9wavefront6targetE0EEEvSI_
	.globl	_ZN7rocprim17ROCPRIM_400000_NS6detail17trampoline_kernelINS0_14default_configENS1_35radix_sort_onesweep_config_selectorIiiEEZZNS1_29radix_sort_onesweep_iterationIS3_Lb1EN6thrust23THRUST_200600_302600_NS6detail15normal_iteratorINS8_10device_ptrIiEEEESD_SD_SD_jNS0_19identity_decomposerENS1_16block_id_wrapperIjLb0EEEEE10hipError_tT1_PNSt15iterator_traitsISI_E10value_typeET2_T3_PNSJ_ISO_E10value_typeET4_T5_PST_SU_PNS1_23onesweep_lookback_stateEbbT6_jjT7_P12ihipStream_tbENKUlT_T0_SI_SN_E_clIPiSD_S15_SD_EEDaS11_S12_SI_SN_EUlS11_E_NS1_11comp_targetILNS1_3genE5ELNS1_11target_archE942ELNS1_3gpuE9ELNS1_3repE0EEENS1_47radix_sort_onesweep_sort_config_static_selectorELNS0_4arch9wavefront6targetE0EEEvSI_
	.p2align	8
	.type	_ZN7rocprim17ROCPRIM_400000_NS6detail17trampoline_kernelINS0_14default_configENS1_35radix_sort_onesweep_config_selectorIiiEEZZNS1_29radix_sort_onesweep_iterationIS3_Lb1EN6thrust23THRUST_200600_302600_NS6detail15normal_iteratorINS8_10device_ptrIiEEEESD_SD_SD_jNS0_19identity_decomposerENS1_16block_id_wrapperIjLb0EEEEE10hipError_tT1_PNSt15iterator_traitsISI_E10value_typeET2_T3_PNSJ_ISO_E10value_typeET4_T5_PST_SU_PNS1_23onesweep_lookback_stateEbbT6_jjT7_P12ihipStream_tbENKUlT_T0_SI_SN_E_clIPiSD_S15_SD_EEDaS11_S12_SI_SN_EUlS11_E_NS1_11comp_targetILNS1_3genE5ELNS1_11target_archE942ELNS1_3gpuE9ELNS1_3repE0EEENS1_47radix_sort_onesweep_sort_config_static_selectorELNS0_4arch9wavefront6targetE0EEEvSI_,@function
_ZN7rocprim17ROCPRIM_400000_NS6detail17trampoline_kernelINS0_14default_configENS1_35radix_sort_onesweep_config_selectorIiiEEZZNS1_29radix_sort_onesweep_iterationIS3_Lb1EN6thrust23THRUST_200600_302600_NS6detail15normal_iteratorINS8_10device_ptrIiEEEESD_SD_SD_jNS0_19identity_decomposerENS1_16block_id_wrapperIjLb0EEEEE10hipError_tT1_PNSt15iterator_traitsISI_E10value_typeET2_T3_PNSJ_ISO_E10value_typeET4_T5_PST_SU_PNS1_23onesweep_lookback_stateEbbT6_jjT7_P12ihipStream_tbENKUlT_T0_SI_SN_E_clIPiSD_S15_SD_EEDaS11_S12_SI_SN_EUlS11_E_NS1_11comp_targetILNS1_3genE5ELNS1_11target_archE942ELNS1_3gpuE9ELNS1_3repE0EEENS1_47radix_sort_onesweep_sort_config_static_selectorELNS0_4arch9wavefront6targetE0EEEvSI_: ; @_ZN7rocprim17ROCPRIM_400000_NS6detail17trampoline_kernelINS0_14default_configENS1_35radix_sort_onesweep_config_selectorIiiEEZZNS1_29radix_sort_onesweep_iterationIS3_Lb1EN6thrust23THRUST_200600_302600_NS6detail15normal_iteratorINS8_10device_ptrIiEEEESD_SD_SD_jNS0_19identity_decomposerENS1_16block_id_wrapperIjLb0EEEEE10hipError_tT1_PNSt15iterator_traitsISI_E10value_typeET2_T3_PNSJ_ISO_E10value_typeET4_T5_PST_SU_PNS1_23onesweep_lookback_stateEbbT6_jjT7_P12ihipStream_tbENKUlT_T0_SI_SN_E_clIPiSD_S15_SD_EEDaS11_S12_SI_SN_EUlS11_E_NS1_11comp_targetILNS1_3genE5ELNS1_11target_archE942ELNS1_3gpuE9ELNS1_3repE0EEENS1_47radix_sort_onesweep_sort_config_static_selectorELNS0_4arch9wavefront6targetE0EEEvSI_
; %bb.0:
	.section	.rodata,"a",@progbits
	.p2align	6, 0x0
	.amdhsa_kernel _ZN7rocprim17ROCPRIM_400000_NS6detail17trampoline_kernelINS0_14default_configENS1_35radix_sort_onesweep_config_selectorIiiEEZZNS1_29radix_sort_onesweep_iterationIS3_Lb1EN6thrust23THRUST_200600_302600_NS6detail15normal_iteratorINS8_10device_ptrIiEEEESD_SD_SD_jNS0_19identity_decomposerENS1_16block_id_wrapperIjLb0EEEEE10hipError_tT1_PNSt15iterator_traitsISI_E10value_typeET2_T3_PNSJ_ISO_E10value_typeET4_T5_PST_SU_PNS1_23onesweep_lookback_stateEbbT6_jjT7_P12ihipStream_tbENKUlT_T0_SI_SN_E_clIPiSD_S15_SD_EEDaS11_S12_SI_SN_EUlS11_E_NS1_11comp_targetILNS1_3genE5ELNS1_11target_archE942ELNS1_3gpuE9ELNS1_3repE0EEENS1_47radix_sort_onesweep_sort_config_static_selectorELNS0_4arch9wavefront6targetE0EEEvSI_
		.amdhsa_group_segment_fixed_size 0
		.amdhsa_private_segment_fixed_size 0
		.amdhsa_kernarg_size 88
		.amdhsa_user_sgpr_count 6
		.amdhsa_user_sgpr_private_segment_buffer 1
		.amdhsa_user_sgpr_dispatch_ptr 0
		.amdhsa_user_sgpr_queue_ptr 0
		.amdhsa_user_sgpr_kernarg_segment_ptr 1
		.amdhsa_user_sgpr_dispatch_id 0
		.amdhsa_user_sgpr_flat_scratch_init 0
		.amdhsa_user_sgpr_private_segment_size 0
		.amdhsa_wavefront_size32 1
		.amdhsa_uses_dynamic_stack 0
		.amdhsa_system_sgpr_private_segment_wavefront_offset 0
		.amdhsa_system_sgpr_workgroup_id_x 1
		.amdhsa_system_sgpr_workgroup_id_y 0
		.amdhsa_system_sgpr_workgroup_id_z 0
		.amdhsa_system_sgpr_workgroup_info 0
		.amdhsa_system_vgpr_workitem_id 0
		.amdhsa_next_free_vgpr 1
		.amdhsa_next_free_sgpr 1
		.amdhsa_reserve_vcc 0
		.amdhsa_reserve_flat_scratch 0
		.amdhsa_float_round_mode_32 0
		.amdhsa_float_round_mode_16_64 0
		.amdhsa_float_denorm_mode_32 3
		.amdhsa_float_denorm_mode_16_64 3
		.amdhsa_dx10_clamp 1
		.amdhsa_ieee_mode 1
		.amdhsa_fp16_overflow 0
		.amdhsa_workgroup_processor_mode 1
		.amdhsa_memory_ordered 1
		.amdhsa_forward_progress 1
		.amdhsa_shared_vgpr_count 0
		.amdhsa_exception_fp_ieee_invalid_op 0
		.amdhsa_exception_fp_denorm_src 0
		.amdhsa_exception_fp_ieee_div_zero 0
		.amdhsa_exception_fp_ieee_overflow 0
		.amdhsa_exception_fp_ieee_underflow 0
		.amdhsa_exception_fp_ieee_inexact 0
		.amdhsa_exception_int_div_zero 0
	.end_amdhsa_kernel
	.section	.text._ZN7rocprim17ROCPRIM_400000_NS6detail17trampoline_kernelINS0_14default_configENS1_35radix_sort_onesweep_config_selectorIiiEEZZNS1_29radix_sort_onesweep_iterationIS3_Lb1EN6thrust23THRUST_200600_302600_NS6detail15normal_iteratorINS8_10device_ptrIiEEEESD_SD_SD_jNS0_19identity_decomposerENS1_16block_id_wrapperIjLb0EEEEE10hipError_tT1_PNSt15iterator_traitsISI_E10value_typeET2_T3_PNSJ_ISO_E10value_typeET4_T5_PST_SU_PNS1_23onesweep_lookback_stateEbbT6_jjT7_P12ihipStream_tbENKUlT_T0_SI_SN_E_clIPiSD_S15_SD_EEDaS11_S12_SI_SN_EUlS11_E_NS1_11comp_targetILNS1_3genE5ELNS1_11target_archE942ELNS1_3gpuE9ELNS1_3repE0EEENS1_47radix_sort_onesweep_sort_config_static_selectorELNS0_4arch9wavefront6targetE0EEEvSI_,"axG",@progbits,_ZN7rocprim17ROCPRIM_400000_NS6detail17trampoline_kernelINS0_14default_configENS1_35radix_sort_onesweep_config_selectorIiiEEZZNS1_29radix_sort_onesweep_iterationIS3_Lb1EN6thrust23THRUST_200600_302600_NS6detail15normal_iteratorINS8_10device_ptrIiEEEESD_SD_SD_jNS0_19identity_decomposerENS1_16block_id_wrapperIjLb0EEEEE10hipError_tT1_PNSt15iterator_traitsISI_E10value_typeET2_T3_PNSJ_ISO_E10value_typeET4_T5_PST_SU_PNS1_23onesweep_lookback_stateEbbT6_jjT7_P12ihipStream_tbENKUlT_T0_SI_SN_E_clIPiSD_S15_SD_EEDaS11_S12_SI_SN_EUlS11_E_NS1_11comp_targetILNS1_3genE5ELNS1_11target_archE942ELNS1_3gpuE9ELNS1_3repE0EEENS1_47radix_sort_onesweep_sort_config_static_selectorELNS0_4arch9wavefront6targetE0EEEvSI_,comdat
.Lfunc_end1046:
	.size	_ZN7rocprim17ROCPRIM_400000_NS6detail17trampoline_kernelINS0_14default_configENS1_35radix_sort_onesweep_config_selectorIiiEEZZNS1_29radix_sort_onesweep_iterationIS3_Lb1EN6thrust23THRUST_200600_302600_NS6detail15normal_iteratorINS8_10device_ptrIiEEEESD_SD_SD_jNS0_19identity_decomposerENS1_16block_id_wrapperIjLb0EEEEE10hipError_tT1_PNSt15iterator_traitsISI_E10value_typeET2_T3_PNSJ_ISO_E10value_typeET4_T5_PST_SU_PNS1_23onesweep_lookback_stateEbbT6_jjT7_P12ihipStream_tbENKUlT_T0_SI_SN_E_clIPiSD_S15_SD_EEDaS11_S12_SI_SN_EUlS11_E_NS1_11comp_targetILNS1_3genE5ELNS1_11target_archE942ELNS1_3gpuE9ELNS1_3repE0EEENS1_47radix_sort_onesweep_sort_config_static_selectorELNS0_4arch9wavefront6targetE0EEEvSI_, .Lfunc_end1046-_ZN7rocprim17ROCPRIM_400000_NS6detail17trampoline_kernelINS0_14default_configENS1_35radix_sort_onesweep_config_selectorIiiEEZZNS1_29radix_sort_onesweep_iterationIS3_Lb1EN6thrust23THRUST_200600_302600_NS6detail15normal_iteratorINS8_10device_ptrIiEEEESD_SD_SD_jNS0_19identity_decomposerENS1_16block_id_wrapperIjLb0EEEEE10hipError_tT1_PNSt15iterator_traitsISI_E10value_typeET2_T3_PNSJ_ISO_E10value_typeET4_T5_PST_SU_PNS1_23onesweep_lookback_stateEbbT6_jjT7_P12ihipStream_tbENKUlT_T0_SI_SN_E_clIPiSD_S15_SD_EEDaS11_S12_SI_SN_EUlS11_E_NS1_11comp_targetILNS1_3genE5ELNS1_11target_archE942ELNS1_3gpuE9ELNS1_3repE0EEENS1_47radix_sort_onesweep_sort_config_static_selectorELNS0_4arch9wavefront6targetE0EEEvSI_
                                        ; -- End function
	.set _ZN7rocprim17ROCPRIM_400000_NS6detail17trampoline_kernelINS0_14default_configENS1_35radix_sort_onesweep_config_selectorIiiEEZZNS1_29radix_sort_onesweep_iterationIS3_Lb1EN6thrust23THRUST_200600_302600_NS6detail15normal_iteratorINS8_10device_ptrIiEEEESD_SD_SD_jNS0_19identity_decomposerENS1_16block_id_wrapperIjLb0EEEEE10hipError_tT1_PNSt15iterator_traitsISI_E10value_typeET2_T3_PNSJ_ISO_E10value_typeET4_T5_PST_SU_PNS1_23onesweep_lookback_stateEbbT6_jjT7_P12ihipStream_tbENKUlT_T0_SI_SN_E_clIPiSD_S15_SD_EEDaS11_S12_SI_SN_EUlS11_E_NS1_11comp_targetILNS1_3genE5ELNS1_11target_archE942ELNS1_3gpuE9ELNS1_3repE0EEENS1_47radix_sort_onesweep_sort_config_static_selectorELNS0_4arch9wavefront6targetE0EEEvSI_.num_vgpr, 0
	.set _ZN7rocprim17ROCPRIM_400000_NS6detail17trampoline_kernelINS0_14default_configENS1_35radix_sort_onesweep_config_selectorIiiEEZZNS1_29radix_sort_onesweep_iterationIS3_Lb1EN6thrust23THRUST_200600_302600_NS6detail15normal_iteratorINS8_10device_ptrIiEEEESD_SD_SD_jNS0_19identity_decomposerENS1_16block_id_wrapperIjLb0EEEEE10hipError_tT1_PNSt15iterator_traitsISI_E10value_typeET2_T3_PNSJ_ISO_E10value_typeET4_T5_PST_SU_PNS1_23onesweep_lookback_stateEbbT6_jjT7_P12ihipStream_tbENKUlT_T0_SI_SN_E_clIPiSD_S15_SD_EEDaS11_S12_SI_SN_EUlS11_E_NS1_11comp_targetILNS1_3genE5ELNS1_11target_archE942ELNS1_3gpuE9ELNS1_3repE0EEENS1_47radix_sort_onesweep_sort_config_static_selectorELNS0_4arch9wavefront6targetE0EEEvSI_.num_agpr, 0
	.set _ZN7rocprim17ROCPRIM_400000_NS6detail17trampoline_kernelINS0_14default_configENS1_35radix_sort_onesweep_config_selectorIiiEEZZNS1_29radix_sort_onesweep_iterationIS3_Lb1EN6thrust23THRUST_200600_302600_NS6detail15normal_iteratorINS8_10device_ptrIiEEEESD_SD_SD_jNS0_19identity_decomposerENS1_16block_id_wrapperIjLb0EEEEE10hipError_tT1_PNSt15iterator_traitsISI_E10value_typeET2_T3_PNSJ_ISO_E10value_typeET4_T5_PST_SU_PNS1_23onesweep_lookback_stateEbbT6_jjT7_P12ihipStream_tbENKUlT_T0_SI_SN_E_clIPiSD_S15_SD_EEDaS11_S12_SI_SN_EUlS11_E_NS1_11comp_targetILNS1_3genE5ELNS1_11target_archE942ELNS1_3gpuE9ELNS1_3repE0EEENS1_47radix_sort_onesweep_sort_config_static_selectorELNS0_4arch9wavefront6targetE0EEEvSI_.numbered_sgpr, 0
	.set _ZN7rocprim17ROCPRIM_400000_NS6detail17trampoline_kernelINS0_14default_configENS1_35radix_sort_onesweep_config_selectorIiiEEZZNS1_29radix_sort_onesweep_iterationIS3_Lb1EN6thrust23THRUST_200600_302600_NS6detail15normal_iteratorINS8_10device_ptrIiEEEESD_SD_SD_jNS0_19identity_decomposerENS1_16block_id_wrapperIjLb0EEEEE10hipError_tT1_PNSt15iterator_traitsISI_E10value_typeET2_T3_PNSJ_ISO_E10value_typeET4_T5_PST_SU_PNS1_23onesweep_lookback_stateEbbT6_jjT7_P12ihipStream_tbENKUlT_T0_SI_SN_E_clIPiSD_S15_SD_EEDaS11_S12_SI_SN_EUlS11_E_NS1_11comp_targetILNS1_3genE5ELNS1_11target_archE942ELNS1_3gpuE9ELNS1_3repE0EEENS1_47radix_sort_onesweep_sort_config_static_selectorELNS0_4arch9wavefront6targetE0EEEvSI_.num_named_barrier, 0
	.set _ZN7rocprim17ROCPRIM_400000_NS6detail17trampoline_kernelINS0_14default_configENS1_35radix_sort_onesweep_config_selectorIiiEEZZNS1_29radix_sort_onesweep_iterationIS3_Lb1EN6thrust23THRUST_200600_302600_NS6detail15normal_iteratorINS8_10device_ptrIiEEEESD_SD_SD_jNS0_19identity_decomposerENS1_16block_id_wrapperIjLb0EEEEE10hipError_tT1_PNSt15iterator_traitsISI_E10value_typeET2_T3_PNSJ_ISO_E10value_typeET4_T5_PST_SU_PNS1_23onesweep_lookback_stateEbbT6_jjT7_P12ihipStream_tbENKUlT_T0_SI_SN_E_clIPiSD_S15_SD_EEDaS11_S12_SI_SN_EUlS11_E_NS1_11comp_targetILNS1_3genE5ELNS1_11target_archE942ELNS1_3gpuE9ELNS1_3repE0EEENS1_47radix_sort_onesweep_sort_config_static_selectorELNS0_4arch9wavefront6targetE0EEEvSI_.private_seg_size, 0
	.set _ZN7rocprim17ROCPRIM_400000_NS6detail17trampoline_kernelINS0_14default_configENS1_35radix_sort_onesweep_config_selectorIiiEEZZNS1_29radix_sort_onesweep_iterationIS3_Lb1EN6thrust23THRUST_200600_302600_NS6detail15normal_iteratorINS8_10device_ptrIiEEEESD_SD_SD_jNS0_19identity_decomposerENS1_16block_id_wrapperIjLb0EEEEE10hipError_tT1_PNSt15iterator_traitsISI_E10value_typeET2_T3_PNSJ_ISO_E10value_typeET4_T5_PST_SU_PNS1_23onesweep_lookback_stateEbbT6_jjT7_P12ihipStream_tbENKUlT_T0_SI_SN_E_clIPiSD_S15_SD_EEDaS11_S12_SI_SN_EUlS11_E_NS1_11comp_targetILNS1_3genE5ELNS1_11target_archE942ELNS1_3gpuE9ELNS1_3repE0EEENS1_47radix_sort_onesweep_sort_config_static_selectorELNS0_4arch9wavefront6targetE0EEEvSI_.uses_vcc, 0
	.set _ZN7rocprim17ROCPRIM_400000_NS6detail17trampoline_kernelINS0_14default_configENS1_35radix_sort_onesweep_config_selectorIiiEEZZNS1_29radix_sort_onesweep_iterationIS3_Lb1EN6thrust23THRUST_200600_302600_NS6detail15normal_iteratorINS8_10device_ptrIiEEEESD_SD_SD_jNS0_19identity_decomposerENS1_16block_id_wrapperIjLb0EEEEE10hipError_tT1_PNSt15iterator_traitsISI_E10value_typeET2_T3_PNSJ_ISO_E10value_typeET4_T5_PST_SU_PNS1_23onesweep_lookback_stateEbbT6_jjT7_P12ihipStream_tbENKUlT_T0_SI_SN_E_clIPiSD_S15_SD_EEDaS11_S12_SI_SN_EUlS11_E_NS1_11comp_targetILNS1_3genE5ELNS1_11target_archE942ELNS1_3gpuE9ELNS1_3repE0EEENS1_47radix_sort_onesweep_sort_config_static_selectorELNS0_4arch9wavefront6targetE0EEEvSI_.uses_flat_scratch, 0
	.set _ZN7rocprim17ROCPRIM_400000_NS6detail17trampoline_kernelINS0_14default_configENS1_35radix_sort_onesweep_config_selectorIiiEEZZNS1_29radix_sort_onesweep_iterationIS3_Lb1EN6thrust23THRUST_200600_302600_NS6detail15normal_iteratorINS8_10device_ptrIiEEEESD_SD_SD_jNS0_19identity_decomposerENS1_16block_id_wrapperIjLb0EEEEE10hipError_tT1_PNSt15iterator_traitsISI_E10value_typeET2_T3_PNSJ_ISO_E10value_typeET4_T5_PST_SU_PNS1_23onesweep_lookback_stateEbbT6_jjT7_P12ihipStream_tbENKUlT_T0_SI_SN_E_clIPiSD_S15_SD_EEDaS11_S12_SI_SN_EUlS11_E_NS1_11comp_targetILNS1_3genE5ELNS1_11target_archE942ELNS1_3gpuE9ELNS1_3repE0EEENS1_47radix_sort_onesweep_sort_config_static_selectorELNS0_4arch9wavefront6targetE0EEEvSI_.has_dyn_sized_stack, 0
	.set _ZN7rocprim17ROCPRIM_400000_NS6detail17trampoline_kernelINS0_14default_configENS1_35radix_sort_onesweep_config_selectorIiiEEZZNS1_29radix_sort_onesweep_iterationIS3_Lb1EN6thrust23THRUST_200600_302600_NS6detail15normal_iteratorINS8_10device_ptrIiEEEESD_SD_SD_jNS0_19identity_decomposerENS1_16block_id_wrapperIjLb0EEEEE10hipError_tT1_PNSt15iterator_traitsISI_E10value_typeET2_T3_PNSJ_ISO_E10value_typeET4_T5_PST_SU_PNS1_23onesweep_lookback_stateEbbT6_jjT7_P12ihipStream_tbENKUlT_T0_SI_SN_E_clIPiSD_S15_SD_EEDaS11_S12_SI_SN_EUlS11_E_NS1_11comp_targetILNS1_3genE5ELNS1_11target_archE942ELNS1_3gpuE9ELNS1_3repE0EEENS1_47radix_sort_onesweep_sort_config_static_selectorELNS0_4arch9wavefront6targetE0EEEvSI_.has_recursion, 0
	.set _ZN7rocprim17ROCPRIM_400000_NS6detail17trampoline_kernelINS0_14default_configENS1_35radix_sort_onesweep_config_selectorIiiEEZZNS1_29radix_sort_onesweep_iterationIS3_Lb1EN6thrust23THRUST_200600_302600_NS6detail15normal_iteratorINS8_10device_ptrIiEEEESD_SD_SD_jNS0_19identity_decomposerENS1_16block_id_wrapperIjLb0EEEEE10hipError_tT1_PNSt15iterator_traitsISI_E10value_typeET2_T3_PNSJ_ISO_E10value_typeET4_T5_PST_SU_PNS1_23onesweep_lookback_stateEbbT6_jjT7_P12ihipStream_tbENKUlT_T0_SI_SN_E_clIPiSD_S15_SD_EEDaS11_S12_SI_SN_EUlS11_E_NS1_11comp_targetILNS1_3genE5ELNS1_11target_archE942ELNS1_3gpuE9ELNS1_3repE0EEENS1_47radix_sort_onesweep_sort_config_static_selectorELNS0_4arch9wavefront6targetE0EEEvSI_.has_indirect_call, 0
	.section	.AMDGPU.csdata,"",@progbits
; Kernel info:
; codeLenInByte = 0
; TotalNumSgprs: 0
; NumVgprs: 0
; ScratchSize: 0
; MemoryBound: 0
; FloatMode: 240
; IeeeMode: 1
; LDSByteSize: 0 bytes/workgroup (compile time only)
; SGPRBlocks: 0
; VGPRBlocks: 0
; NumSGPRsForWavesPerEU: 1
; NumVGPRsForWavesPerEU: 1
; Occupancy: 16
; WaveLimiterHint : 0
; COMPUTE_PGM_RSRC2:SCRATCH_EN: 0
; COMPUTE_PGM_RSRC2:USER_SGPR: 6
; COMPUTE_PGM_RSRC2:TRAP_HANDLER: 0
; COMPUTE_PGM_RSRC2:TGID_X_EN: 1
; COMPUTE_PGM_RSRC2:TGID_Y_EN: 0
; COMPUTE_PGM_RSRC2:TGID_Z_EN: 0
; COMPUTE_PGM_RSRC2:TIDIG_COMP_CNT: 0
	.section	.text._ZN7rocprim17ROCPRIM_400000_NS6detail17trampoline_kernelINS0_14default_configENS1_35radix_sort_onesweep_config_selectorIiiEEZZNS1_29radix_sort_onesweep_iterationIS3_Lb1EN6thrust23THRUST_200600_302600_NS6detail15normal_iteratorINS8_10device_ptrIiEEEESD_SD_SD_jNS0_19identity_decomposerENS1_16block_id_wrapperIjLb0EEEEE10hipError_tT1_PNSt15iterator_traitsISI_E10value_typeET2_T3_PNSJ_ISO_E10value_typeET4_T5_PST_SU_PNS1_23onesweep_lookback_stateEbbT6_jjT7_P12ihipStream_tbENKUlT_T0_SI_SN_E_clIPiSD_S15_SD_EEDaS11_S12_SI_SN_EUlS11_E_NS1_11comp_targetILNS1_3genE2ELNS1_11target_archE906ELNS1_3gpuE6ELNS1_3repE0EEENS1_47radix_sort_onesweep_sort_config_static_selectorELNS0_4arch9wavefront6targetE0EEEvSI_,"axG",@progbits,_ZN7rocprim17ROCPRIM_400000_NS6detail17trampoline_kernelINS0_14default_configENS1_35radix_sort_onesweep_config_selectorIiiEEZZNS1_29radix_sort_onesweep_iterationIS3_Lb1EN6thrust23THRUST_200600_302600_NS6detail15normal_iteratorINS8_10device_ptrIiEEEESD_SD_SD_jNS0_19identity_decomposerENS1_16block_id_wrapperIjLb0EEEEE10hipError_tT1_PNSt15iterator_traitsISI_E10value_typeET2_T3_PNSJ_ISO_E10value_typeET4_T5_PST_SU_PNS1_23onesweep_lookback_stateEbbT6_jjT7_P12ihipStream_tbENKUlT_T0_SI_SN_E_clIPiSD_S15_SD_EEDaS11_S12_SI_SN_EUlS11_E_NS1_11comp_targetILNS1_3genE2ELNS1_11target_archE906ELNS1_3gpuE6ELNS1_3repE0EEENS1_47radix_sort_onesweep_sort_config_static_selectorELNS0_4arch9wavefront6targetE0EEEvSI_,comdat
	.protected	_ZN7rocprim17ROCPRIM_400000_NS6detail17trampoline_kernelINS0_14default_configENS1_35radix_sort_onesweep_config_selectorIiiEEZZNS1_29radix_sort_onesweep_iterationIS3_Lb1EN6thrust23THRUST_200600_302600_NS6detail15normal_iteratorINS8_10device_ptrIiEEEESD_SD_SD_jNS0_19identity_decomposerENS1_16block_id_wrapperIjLb0EEEEE10hipError_tT1_PNSt15iterator_traitsISI_E10value_typeET2_T3_PNSJ_ISO_E10value_typeET4_T5_PST_SU_PNS1_23onesweep_lookback_stateEbbT6_jjT7_P12ihipStream_tbENKUlT_T0_SI_SN_E_clIPiSD_S15_SD_EEDaS11_S12_SI_SN_EUlS11_E_NS1_11comp_targetILNS1_3genE2ELNS1_11target_archE906ELNS1_3gpuE6ELNS1_3repE0EEENS1_47radix_sort_onesweep_sort_config_static_selectorELNS0_4arch9wavefront6targetE0EEEvSI_ ; -- Begin function _ZN7rocprim17ROCPRIM_400000_NS6detail17trampoline_kernelINS0_14default_configENS1_35radix_sort_onesweep_config_selectorIiiEEZZNS1_29radix_sort_onesweep_iterationIS3_Lb1EN6thrust23THRUST_200600_302600_NS6detail15normal_iteratorINS8_10device_ptrIiEEEESD_SD_SD_jNS0_19identity_decomposerENS1_16block_id_wrapperIjLb0EEEEE10hipError_tT1_PNSt15iterator_traitsISI_E10value_typeET2_T3_PNSJ_ISO_E10value_typeET4_T5_PST_SU_PNS1_23onesweep_lookback_stateEbbT6_jjT7_P12ihipStream_tbENKUlT_T0_SI_SN_E_clIPiSD_S15_SD_EEDaS11_S12_SI_SN_EUlS11_E_NS1_11comp_targetILNS1_3genE2ELNS1_11target_archE906ELNS1_3gpuE6ELNS1_3repE0EEENS1_47radix_sort_onesweep_sort_config_static_selectorELNS0_4arch9wavefront6targetE0EEEvSI_
	.globl	_ZN7rocprim17ROCPRIM_400000_NS6detail17trampoline_kernelINS0_14default_configENS1_35radix_sort_onesweep_config_selectorIiiEEZZNS1_29radix_sort_onesweep_iterationIS3_Lb1EN6thrust23THRUST_200600_302600_NS6detail15normal_iteratorINS8_10device_ptrIiEEEESD_SD_SD_jNS0_19identity_decomposerENS1_16block_id_wrapperIjLb0EEEEE10hipError_tT1_PNSt15iterator_traitsISI_E10value_typeET2_T3_PNSJ_ISO_E10value_typeET4_T5_PST_SU_PNS1_23onesweep_lookback_stateEbbT6_jjT7_P12ihipStream_tbENKUlT_T0_SI_SN_E_clIPiSD_S15_SD_EEDaS11_S12_SI_SN_EUlS11_E_NS1_11comp_targetILNS1_3genE2ELNS1_11target_archE906ELNS1_3gpuE6ELNS1_3repE0EEENS1_47radix_sort_onesweep_sort_config_static_selectorELNS0_4arch9wavefront6targetE0EEEvSI_
	.p2align	8
	.type	_ZN7rocprim17ROCPRIM_400000_NS6detail17trampoline_kernelINS0_14default_configENS1_35radix_sort_onesweep_config_selectorIiiEEZZNS1_29radix_sort_onesweep_iterationIS3_Lb1EN6thrust23THRUST_200600_302600_NS6detail15normal_iteratorINS8_10device_ptrIiEEEESD_SD_SD_jNS0_19identity_decomposerENS1_16block_id_wrapperIjLb0EEEEE10hipError_tT1_PNSt15iterator_traitsISI_E10value_typeET2_T3_PNSJ_ISO_E10value_typeET4_T5_PST_SU_PNS1_23onesweep_lookback_stateEbbT6_jjT7_P12ihipStream_tbENKUlT_T0_SI_SN_E_clIPiSD_S15_SD_EEDaS11_S12_SI_SN_EUlS11_E_NS1_11comp_targetILNS1_3genE2ELNS1_11target_archE906ELNS1_3gpuE6ELNS1_3repE0EEENS1_47radix_sort_onesweep_sort_config_static_selectorELNS0_4arch9wavefront6targetE0EEEvSI_,@function
_ZN7rocprim17ROCPRIM_400000_NS6detail17trampoline_kernelINS0_14default_configENS1_35radix_sort_onesweep_config_selectorIiiEEZZNS1_29radix_sort_onesweep_iterationIS3_Lb1EN6thrust23THRUST_200600_302600_NS6detail15normal_iteratorINS8_10device_ptrIiEEEESD_SD_SD_jNS0_19identity_decomposerENS1_16block_id_wrapperIjLb0EEEEE10hipError_tT1_PNSt15iterator_traitsISI_E10value_typeET2_T3_PNSJ_ISO_E10value_typeET4_T5_PST_SU_PNS1_23onesweep_lookback_stateEbbT6_jjT7_P12ihipStream_tbENKUlT_T0_SI_SN_E_clIPiSD_S15_SD_EEDaS11_S12_SI_SN_EUlS11_E_NS1_11comp_targetILNS1_3genE2ELNS1_11target_archE906ELNS1_3gpuE6ELNS1_3repE0EEENS1_47radix_sort_onesweep_sort_config_static_selectorELNS0_4arch9wavefront6targetE0EEEvSI_: ; @_ZN7rocprim17ROCPRIM_400000_NS6detail17trampoline_kernelINS0_14default_configENS1_35radix_sort_onesweep_config_selectorIiiEEZZNS1_29radix_sort_onesweep_iterationIS3_Lb1EN6thrust23THRUST_200600_302600_NS6detail15normal_iteratorINS8_10device_ptrIiEEEESD_SD_SD_jNS0_19identity_decomposerENS1_16block_id_wrapperIjLb0EEEEE10hipError_tT1_PNSt15iterator_traitsISI_E10value_typeET2_T3_PNSJ_ISO_E10value_typeET4_T5_PST_SU_PNS1_23onesweep_lookback_stateEbbT6_jjT7_P12ihipStream_tbENKUlT_T0_SI_SN_E_clIPiSD_S15_SD_EEDaS11_S12_SI_SN_EUlS11_E_NS1_11comp_targetILNS1_3genE2ELNS1_11target_archE906ELNS1_3gpuE6ELNS1_3repE0EEENS1_47radix_sort_onesweep_sort_config_static_selectorELNS0_4arch9wavefront6targetE0EEEvSI_
; %bb.0:
	.section	.rodata,"a",@progbits
	.p2align	6, 0x0
	.amdhsa_kernel _ZN7rocprim17ROCPRIM_400000_NS6detail17trampoline_kernelINS0_14default_configENS1_35radix_sort_onesweep_config_selectorIiiEEZZNS1_29radix_sort_onesweep_iterationIS3_Lb1EN6thrust23THRUST_200600_302600_NS6detail15normal_iteratorINS8_10device_ptrIiEEEESD_SD_SD_jNS0_19identity_decomposerENS1_16block_id_wrapperIjLb0EEEEE10hipError_tT1_PNSt15iterator_traitsISI_E10value_typeET2_T3_PNSJ_ISO_E10value_typeET4_T5_PST_SU_PNS1_23onesweep_lookback_stateEbbT6_jjT7_P12ihipStream_tbENKUlT_T0_SI_SN_E_clIPiSD_S15_SD_EEDaS11_S12_SI_SN_EUlS11_E_NS1_11comp_targetILNS1_3genE2ELNS1_11target_archE906ELNS1_3gpuE6ELNS1_3repE0EEENS1_47radix_sort_onesweep_sort_config_static_selectorELNS0_4arch9wavefront6targetE0EEEvSI_
		.amdhsa_group_segment_fixed_size 0
		.amdhsa_private_segment_fixed_size 0
		.amdhsa_kernarg_size 88
		.amdhsa_user_sgpr_count 6
		.amdhsa_user_sgpr_private_segment_buffer 1
		.amdhsa_user_sgpr_dispatch_ptr 0
		.amdhsa_user_sgpr_queue_ptr 0
		.amdhsa_user_sgpr_kernarg_segment_ptr 1
		.amdhsa_user_sgpr_dispatch_id 0
		.amdhsa_user_sgpr_flat_scratch_init 0
		.amdhsa_user_sgpr_private_segment_size 0
		.amdhsa_wavefront_size32 1
		.amdhsa_uses_dynamic_stack 0
		.amdhsa_system_sgpr_private_segment_wavefront_offset 0
		.amdhsa_system_sgpr_workgroup_id_x 1
		.amdhsa_system_sgpr_workgroup_id_y 0
		.amdhsa_system_sgpr_workgroup_id_z 0
		.amdhsa_system_sgpr_workgroup_info 0
		.amdhsa_system_vgpr_workitem_id 0
		.amdhsa_next_free_vgpr 1
		.amdhsa_next_free_sgpr 1
		.amdhsa_reserve_vcc 0
		.amdhsa_reserve_flat_scratch 0
		.amdhsa_float_round_mode_32 0
		.amdhsa_float_round_mode_16_64 0
		.amdhsa_float_denorm_mode_32 3
		.amdhsa_float_denorm_mode_16_64 3
		.amdhsa_dx10_clamp 1
		.amdhsa_ieee_mode 1
		.amdhsa_fp16_overflow 0
		.amdhsa_workgroup_processor_mode 1
		.amdhsa_memory_ordered 1
		.amdhsa_forward_progress 1
		.amdhsa_shared_vgpr_count 0
		.amdhsa_exception_fp_ieee_invalid_op 0
		.amdhsa_exception_fp_denorm_src 0
		.amdhsa_exception_fp_ieee_div_zero 0
		.amdhsa_exception_fp_ieee_overflow 0
		.amdhsa_exception_fp_ieee_underflow 0
		.amdhsa_exception_fp_ieee_inexact 0
		.amdhsa_exception_int_div_zero 0
	.end_amdhsa_kernel
	.section	.text._ZN7rocprim17ROCPRIM_400000_NS6detail17trampoline_kernelINS0_14default_configENS1_35radix_sort_onesweep_config_selectorIiiEEZZNS1_29radix_sort_onesweep_iterationIS3_Lb1EN6thrust23THRUST_200600_302600_NS6detail15normal_iteratorINS8_10device_ptrIiEEEESD_SD_SD_jNS0_19identity_decomposerENS1_16block_id_wrapperIjLb0EEEEE10hipError_tT1_PNSt15iterator_traitsISI_E10value_typeET2_T3_PNSJ_ISO_E10value_typeET4_T5_PST_SU_PNS1_23onesweep_lookback_stateEbbT6_jjT7_P12ihipStream_tbENKUlT_T0_SI_SN_E_clIPiSD_S15_SD_EEDaS11_S12_SI_SN_EUlS11_E_NS1_11comp_targetILNS1_3genE2ELNS1_11target_archE906ELNS1_3gpuE6ELNS1_3repE0EEENS1_47radix_sort_onesweep_sort_config_static_selectorELNS0_4arch9wavefront6targetE0EEEvSI_,"axG",@progbits,_ZN7rocprim17ROCPRIM_400000_NS6detail17trampoline_kernelINS0_14default_configENS1_35radix_sort_onesweep_config_selectorIiiEEZZNS1_29radix_sort_onesweep_iterationIS3_Lb1EN6thrust23THRUST_200600_302600_NS6detail15normal_iteratorINS8_10device_ptrIiEEEESD_SD_SD_jNS0_19identity_decomposerENS1_16block_id_wrapperIjLb0EEEEE10hipError_tT1_PNSt15iterator_traitsISI_E10value_typeET2_T3_PNSJ_ISO_E10value_typeET4_T5_PST_SU_PNS1_23onesweep_lookback_stateEbbT6_jjT7_P12ihipStream_tbENKUlT_T0_SI_SN_E_clIPiSD_S15_SD_EEDaS11_S12_SI_SN_EUlS11_E_NS1_11comp_targetILNS1_3genE2ELNS1_11target_archE906ELNS1_3gpuE6ELNS1_3repE0EEENS1_47radix_sort_onesweep_sort_config_static_selectorELNS0_4arch9wavefront6targetE0EEEvSI_,comdat
.Lfunc_end1047:
	.size	_ZN7rocprim17ROCPRIM_400000_NS6detail17trampoline_kernelINS0_14default_configENS1_35radix_sort_onesweep_config_selectorIiiEEZZNS1_29radix_sort_onesweep_iterationIS3_Lb1EN6thrust23THRUST_200600_302600_NS6detail15normal_iteratorINS8_10device_ptrIiEEEESD_SD_SD_jNS0_19identity_decomposerENS1_16block_id_wrapperIjLb0EEEEE10hipError_tT1_PNSt15iterator_traitsISI_E10value_typeET2_T3_PNSJ_ISO_E10value_typeET4_T5_PST_SU_PNS1_23onesweep_lookback_stateEbbT6_jjT7_P12ihipStream_tbENKUlT_T0_SI_SN_E_clIPiSD_S15_SD_EEDaS11_S12_SI_SN_EUlS11_E_NS1_11comp_targetILNS1_3genE2ELNS1_11target_archE906ELNS1_3gpuE6ELNS1_3repE0EEENS1_47radix_sort_onesweep_sort_config_static_selectorELNS0_4arch9wavefront6targetE0EEEvSI_, .Lfunc_end1047-_ZN7rocprim17ROCPRIM_400000_NS6detail17trampoline_kernelINS0_14default_configENS1_35radix_sort_onesweep_config_selectorIiiEEZZNS1_29radix_sort_onesweep_iterationIS3_Lb1EN6thrust23THRUST_200600_302600_NS6detail15normal_iteratorINS8_10device_ptrIiEEEESD_SD_SD_jNS0_19identity_decomposerENS1_16block_id_wrapperIjLb0EEEEE10hipError_tT1_PNSt15iterator_traitsISI_E10value_typeET2_T3_PNSJ_ISO_E10value_typeET4_T5_PST_SU_PNS1_23onesweep_lookback_stateEbbT6_jjT7_P12ihipStream_tbENKUlT_T0_SI_SN_E_clIPiSD_S15_SD_EEDaS11_S12_SI_SN_EUlS11_E_NS1_11comp_targetILNS1_3genE2ELNS1_11target_archE906ELNS1_3gpuE6ELNS1_3repE0EEENS1_47radix_sort_onesweep_sort_config_static_selectorELNS0_4arch9wavefront6targetE0EEEvSI_
                                        ; -- End function
	.set _ZN7rocprim17ROCPRIM_400000_NS6detail17trampoline_kernelINS0_14default_configENS1_35radix_sort_onesweep_config_selectorIiiEEZZNS1_29radix_sort_onesweep_iterationIS3_Lb1EN6thrust23THRUST_200600_302600_NS6detail15normal_iteratorINS8_10device_ptrIiEEEESD_SD_SD_jNS0_19identity_decomposerENS1_16block_id_wrapperIjLb0EEEEE10hipError_tT1_PNSt15iterator_traitsISI_E10value_typeET2_T3_PNSJ_ISO_E10value_typeET4_T5_PST_SU_PNS1_23onesweep_lookback_stateEbbT6_jjT7_P12ihipStream_tbENKUlT_T0_SI_SN_E_clIPiSD_S15_SD_EEDaS11_S12_SI_SN_EUlS11_E_NS1_11comp_targetILNS1_3genE2ELNS1_11target_archE906ELNS1_3gpuE6ELNS1_3repE0EEENS1_47radix_sort_onesweep_sort_config_static_selectorELNS0_4arch9wavefront6targetE0EEEvSI_.num_vgpr, 0
	.set _ZN7rocprim17ROCPRIM_400000_NS6detail17trampoline_kernelINS0_14default_configENS1_35radix_sort_onesweep_config_selectorIiiEEZZNS1_29radix_sort_onesweep_iterationIS3_Lb1EN6thrust23THRUST_200600_302600_NS6detail15normal_iteratorINS8_10device_ptrIiEEEESD_SD_SD_jNS0_19identity_decomposerENS1_16block_id_wrapperIjLb0EEEEE10hipError_tT1_PNSt15iterator_traitsISI_E10value_typeET2_T3_PNSJ_ISO_E10value_typeET4_T5_PST_SU_PNS1_23onesweep_lookback_stateEbbT6_jjT7_P12ihipStream_tbENKUlT_T0_SI_SN_E_clIPiSD_S15_SD_EEDaS11_S12_SI_SN_EUlS11_E_NS1_11comp_targetILNS1_3genE2ELNS1_11target_archE906ELNS1_3gpuE6ELNS1_3repE0EEENS1_47radix_sort_onesweep_sort_config_static_selectorELNS0_4arch9wavefront6targetE0EEEvSI_.num_agpr, 0
	.set _ZN7rocprim17ROCPRIM_400000_NS6detail17trampoline_kernelINS0_14default_configENS1_35radix_sort_onesweep_config_selectorIiiEEZZNS1_29radix_sort_onesweep_iterationIS3_Lb1EN6thrust23THRUST_200600_302600_NS6detail15normal_iteratorINS8_10device_ptrIiEEEESD_SD_SD_jNS0_19identity_decomposerENS1_16block_id_wrapperIjLb0EEEEE10hipError_tT1_PNSt15iterator_traitsISI_E10value_typeET2_T3_PNSJ_ISO_E10value_typeET4_T5_PST_SU_PNS1_23onesweep_lookback_stateEbbT6_jjT7_P12ihipStream_tbENKUlT_T0_SI_SN_E_clIPiSD_S15_SD_EEDaS11_S12_SI_SN_EUlS11_E_NS1_11comp_targetILNS1_3genE2ELNS1_11target_archE906ELNS1_3gpuE6ELNS1_3repE0EEENS1_47radix_sort_onesweep_sort_config_static_selectorELNS0_4arch9wavefront6targetE0EEEvSI_.numbered_sgpr, 0
	.set _ZN7rocprim17ROCPRIM_400000_NS6detail17trampoline_kernelINS0_14default_configENS1_35radix_sort_onesweep_config_selectorIiiEEZZNS1_29radix_sort_onesweep_iterationIS3_Lb1EN6thrust23THRUST_200600_302600_NS6detail15normal_iteratorINS8_10device_ptrIiEEEESD_SD_SD_jNS0_19identity_decomposerENS1_16block_id_wrapperIjLb0EEEEE10hipError_tT1_PNSt15iterator_traitsISI_E10value_typeET2_T3_PNSJ_ISO_E10value_typeET4_T5_PST_SU_PNS1_23onesweep_lookback_stateEbbT6_jjT7_P12ihipStream_tbENKUlT_T0_SI_SN_E_clIPiSD_S15_SD_EEDaS11_S12_SI_SN_EUlS11_E_NS1_11comp_targetILNS1_3genE2ELNS1_11target_archE906ELNS1_3gpuE6ELNS1_3repE0EEENS1_47radix_sort_onesweep_sort_config_static_selectorELNS0_4arch9wavefront6targetE0EEEvSI_.num_named_barrier, 0
	.set _ZN7rocprim17ROCPRIM_400000_NS6detail17trampoline_kernelINS0_14default_configENS1_35radix_sort_onesweep_config_selectorIiiEEZZNS1_29radix_sort_onesweep_iterationIS3_Lb1EN6thrust23THRUST_200600_302600_NS6detail15normal_iteratorINS8_10device_ptrIiEEEESD_SD_SD_jNS0_19identity_decomposerENS1_16block_id_wrapperIjLb0EEEEE10hipError_tT1_PNSt15iterator_traitsISI_E10value_typeET2_T3_PNSJ_ISO_E10value_typeET4_T5_PST_SU_PNS1_23onesweep_lookback_stateEbbT6_jjT7_P12ihipStream_tbENKUlT_T0_SI_SN_E_clIPiSD_S15_SD_EEDaS11_S12_SI_SN_EUlS11_E_NS1_11comp_targetILNS1_3genE2ELNS1_11target_archE906ELNS1_3gpuE6ELNS1_3repE0EEENS1_47radix_sort_onesweep_sort_config_static_selectorELNS0_4arch9wavefront6targetE0EEEvSI_.private_seg_size, 0
	.set _ZN7rocprim17ROCPRIM_400000_NS6detail17trampoline_kernelINS0_14default_configENS1_35radix_sort_onesweep_config_selectorIiiEEZZNS1_29radix_sort_onesweep_iterationIS3_Lb1EN6thrust23THRUST_200600_302600_NS6detail15normal_iteratorINS8_10device_ptrIiEEEESD_SD_SD_jNS0_19identity_decomposerENS1_16block_id_wrapperIjLb0EEEEE10hipError_tT1_PNSt15iterator_traitsISI_E10value_typeET2_T3_PNSJ_ISO_E10value_typeET4_T5_PST_SU_PNS1_23onesweep_lookback_stateEbbT6_jjT7_P12ihipStream_tbENKUlT_T0_SI_SN_E_clIPiSD_S15_SD_EEDaS11_S12_SI_SN_EUlS11_E_NS1_11comp_targetILNS1_3genE2ELNS1_11target_archE906ELNS1_3gpuE6ELNS1_3repE0EEENS1_47radix_sort_onesweep_sort_config_static_selectorELNS0_4arch9wavefront6targetE0EEEvSI_.uses_vcc, 0
	.set _ZN7rocprim17ROCPRIM_400000_NS6detail17trampoline_kernelINS0_14default_configENS1_35radix_sort_onesweep_config_selectorIiiEEZZNS1_29radix_sort_onesweep_iterationIS3_Lb1EN6thrust23THRUST_200600_302600_NS6detail15normal_iteratorINS8_10device_ptrIiEEEESD_SD_SD_jNS0_19identity_decomposerENS1_16block_id_wrapperIjLb0EEEEE10hipError_tT1_PNSt15iterator_traitsISI_E10value_typeET2_T3_PNSJ_ISO_E10value_typeET4_T5_PST_SU_PNS1_23onesweep_lookback_stateEbbT6_jjT7_P12ihipStream_tbENKUlT_T0_SI_SN_E_clIPiSD_S15_SD_EEDaS11_S12_SI_SN_EUlS11_E_NS1_11comp_targetILNS1_3genE2ELNS1_11target_archE906ELNS1_3gpuE6ELNS1_3repE0EEENS1_47radix_sort_onesweep_sort_config_static_selectorELNS0_4arch9wavefront6targetE0EEEvSI_.uses_flat_scratch, 0
	.set _ZN7rocprim17ROCPRIM_400000_NS6detail17trampoline_kernelINS0_14default_configENS1_35radix_sort_onesweep_config_selectorIiiEEZZNS1_29radix_sort_onesweep_iterationIS3_Lb1EN6thrust23THRUST_200600_302600_NS6detail15normal_iteratorINS8_10device_ptrIiEEEESD_SD_SD_jNS0_19identity_decomposerENS1_16block_id_wrapperIjLb0EEEEE10hipError_tT1_PNSt15iterator_traitsISI_E10value_typeET2_T3_PNSJ_ISO_E10value_typeET4_T5_PST_SU_PNS1_23onesweep_lookback_stateEbbT6_jjT7_P12ihipStream_tbENKUlT_T0_SI_SN_E_clIPiSD_S15_SD_EEDaS11_S12_SI_SN_EUlS11_E_NS1_11comp_targetILNS1_3genE2ELNS1_11target_archE906ELNS1_3gpuE6ELNS1_3repE0EEENS1_47radix_sort_onesweep_sort_config_static_selectorELNS0_4arch9wavefront6targetE0EEEvSI_.has_dyn_sized_stack, 0
	.set _ZN7rocprim17ROCPRIM_400000_NS6detail17trampoline_kernelINS0_14default_configENS1_35radix_sort_onesweep_config_selectorIiiEEZZNS1_29radix_sort_onesweep_iterationIS3_Lb1EN6thrust23THRUST_200600_302600_NS6detail15normal_iteratorINS8_10device_ptrIiEEEESD_SD_SD_jNS0_19identity_decomposerENS1_16block_id_wrapperIjLb0EEEEE10hipError_tT1_PNSt15iterator_traitsISI_E10value_typeET2_T3_PNSJ_ISO_E10value_typeET4_T5_PST_SU_PNS1_23onesweep_lookback_stateEbbT6_jjT7_P12ihipStream_tbENKUlT_T0_SI_SN_E_clIPiSD_S15_SD_EEDaS11_S12_SI_SN_EUlS11_E_NS1_11comp_targetILNS1_3genE2ELNS1_11target_archE906ELNS1_3gpuE6ELNS1_3repE0EEENS1_47radix_sort_onesweep_sort_config_static_selectorELNS0_4arch9wavefront6targetE0EEEvSI_.has_recursion, 0
	.set _ZN7rocprim17ROCPRIM_400000_NS6detail17trampoline_kernelINS0_14default_configENS1_35radix_sort_onesweep_config_selectorIiiEEZZNS1_29radix_sort_onesweep_iterationIS3_Lb1EN6thrust23THRUST_200600_302600_NS6detail15normal_iteratorINS8_10device_ptrIiEEEESD_SD_SD_jNS0_19identity_decomposerENS1_16block_id_wrapperIjLb0EEEEE10hipError_tT1_PNSt15iterator_traitsISI_E10value_typeET2_T3_PNSJ_ISO_E10value_typeET4_T5_PST_SU_PNS1_23onesweep_lookback_stateEbbT6_jjT7_P12ihipStream_tbENKUlT_T0_SI_SN_E_clIPiSD_S15_SD_EEDaS11_S12_SI_SN_EUlS11_E_NS1_11comp_targetILNS1_3genE2ELNS1_11target_archE906ELNS1_3gpuE6ELNS1_3repE0EEENS1_47radix_sort_onesweep_sort_config_static_selectorELNS0_4arch9wavefront6targetE0EEEvSI_.has_indirect_call, 0
	.section	.AMDGPU.csdata,"",@progbits
; Kernel info:
; codeLenInByte = 0
; TotalNumSgprs: 0
; NumVgprs: 0
; ScratchSize: 0
; MemoryBound: 0
; FloatMode: 240
; IeeeMode: 1
; LDSByteSize: 0 bytes/workgroup (compile time only)
; SGPRBlocks: 0
; VGPRBlocks: 0
; NumSGPRsForWavesPerEU: 1
; NumVGPRsForWavesPerEU: 1
; Occupancy: 16
; WaveLimiterHint : 0
; COMPUTE_PGM_RSRC2:SCRATCH_EN: 0
; COMPUTE_PGM_RSRC2:USER_SGPR: 6
; COMPUTE_PGM_RSRC2:TRAP_HANDLER: 0
; COMPUTE_PGM_RSRC2:TGID_X_EN: 1
; COMPUTE_PGM_RSRC2:TGID_Y_EN: 0
; COMPUTE_PGM_RSRC2:TGID_Z_EN: 0
; COMPUTE_PGM_RSRC2:TIDIG_COMP_CNT: 0
	.section	.text._ZN7rocprim17ROCPRIM_400000_NS6detail17trampoline_kernelINS0_14default_configENS1_35radix_sort_onesweep_config_selectorIiiEEZZNS1_29radix_sort_onesweep_iterationIS3_Lb1EN6thrust23THRUST_200600_302600_NS6detail15normal_iteratorINS8_10device_ptrIiEEEESD_SD_SD_jNS0_19identity_decomposerENS1_16block_id_wrapperIjLb0EEEEE10hipError_tT1_PNSt15iterator_traitsISI_E10value_typeET2_T3_PNSJ_ISO_E10value_typeET4_T5_PST_SU_PNS1_23onesweep_lookback_stateEbbT6_jjT7_P12ihipStream_tbENKUlT_T0_SI_SN_E_clIPiSD_S15_SD_EEDaS11_S12_SI_SN_EUlS11_E_NS1_11comp_targetILNS1_3genE4ELNS1_11target_archE910ELNS1_3gpuE8ELNS1_3repE0EEENS1_47radix_sort_onesweep_sort_config_static_selectorELNS0_4arch9wavefront6targetE0EEEvSI_,"axG",@progbits,_ZN7rocprim17ROCPRIM_400000_NS6detail17trampoline_kernelINS0_14default_configENS1_35radix_sort_onesweep_config_selectorIiiEEZZNS1_29radix_sort_onesweep_iterationIS3_Lb1EN6thrust23THRUST_200600_302600_NS6detail15normal_iteratorINS8_10device_ptrIiEEEESD_SD_SD_jNS0_19identity_decomposerENS1_16block_id_wrapperIjLb0EEEEE10hipError_tT1_PNSt15iterator_traitsISI_E10value_typeET2_T3_PNSJ_ISO_E10value_typeET4_T5_PST_SU_PNS1_23onesweep_lookback_stateEbbT6_jjT7_P12ihipStream_tbENKUlT_T0_SI_SN_E_clIPiSD_S15_SD_EEDaS11_S12_SI_SN_EUlS11_E_NS1_11comp_targetILNS1_3genE4ELNS1_11target_archE910ELNS1_3gpuE8ELNS1_3repE0EEENS1_47radix_sort_onesweep_sort_config_static_selectorELNS0_4arch9wavefront6targetE0EEEvSI_,comdat
	.protected	_ZN7rocprim17ROCPRIM_400000_NS6detail17trampoline_kernelINS0_14default_configENS1_35radix_sort_onesweep_config_selectorIiiEEZZNS1_29radix_sort_onesweep_iterationIS3_Lb1EN6thrust23THRUST_200600_302600_NS6detail15normal_iteratorINS8_10device_ptrIiEEEESD_SD_SD_jNS0_19identity_decomposerENS1_16block_id_wrapperIjLb0EEEEE10hipError_tT1_PNSt15iterator_traitsISI_E10value_typeET2_T3_PNSJ_ISO_E10value_typeET4_T5_PST_SU_PNS1_23onesweep_lookback_stateEbbT6_jjT7_P12ihipStream_tbENKUlT_T0_SI_SN_E_clIPiSD_S15_SD_EEDaS11_S12_SI_SN_EUlS11_E_NS1_11comp_targetILNS1_3genE4ELNS1_11target_archE910ELNS1_3gpuE8ELNS1_3repE0EEENS1_47radix_sort_onesweep_sort_config_static_selectorELNS0_4arch9wavefront6targetE0EEEvSI_ ; -- Begin function _ZN7rocprim17ROCPRIM_400000_NS6detail17trampoline_kernelINS0_14default_configENS1_35radix_sort_onesweep_config_selectorIiiEEZZNS1_29radix_sort_onesweep_iterationIS3_Lb1EN6thrust23THRUST_200600_302600_NS6detail15normal_iteratorINS8_10device_ptrIiEEEESD_SD_SD_jNS0_19identity_decomposerENS1_16block_id_wrapperIjLb0EEEEE10hipError_tT1_PNSt15iterator_traitsISI_E10value_typeET2_T3_PNSJ_ISO_E10value_typeET4_T5_PST_SU_PNS1_23onesweep_lookback_stateEbbT6_jjT7_P12ihipStream_tbENKUlT_T0_SI_SN_E_clIPiSD_S15_SD_EEDaS11_S12_SI_SN_EUlS11_E_NS1_11comp_targetILNS1_3genE4ELNS1_11target_archE910ELNS1_3gpuE8ELNS1_3repE0EEENS1_47radix_sort_onesweep_sort_config_static_selectorELNS0_4arch9wavefront6targetE0EEEvSI_
	.globl	_ZN7rocprim17ROCPRIM_400000_NS6detail17trampoline_kernelINS0_14default_configENS1_35radix_sort_onesweep_config_selectorIiiEEZZNS1_29radix_sort_onesweep_iterationIS3_Lb1EN6thrust23THRUST_200600_302600_NS6detail15normal_iteratorINS8_10device_ptrIiEEEESD_SD_SD_jNS0_19identity_decomposerENS1_16block_id_wrapperIjLb0EEEEE10hipError_tT1_PNSt15iterator_traitsISI_E10value_typeET2_T3_PNSJ_ISO_E10value_typeET4_T5_PST_SU_PNS1_23onesweep_lookback_stateEbbT6_jjT7_P12ihipStream_tbENKUlT_T0_SI_SN_E_clIPiSD_S15_SD_EEDaS11_S12_SI_SN_EUlS11_E_NS1_11comp_targetILNS1_3genE4ELNS1_11target_archE910ELNS1_3gpuE8ELNS1_3repE0EEENS1_47radix_sort_onesweep_sort_config_static_selectorELNS0_4arch9wavefront6targetE0EEEvSI_
	.p2align	8
	.type	_ZN7rocprim17ROCPRIM_400000_NS6detail17trampoline_kernelINS0_14default_configENS1_35radix_sort_onesweep_config_selectorIiiEEZZNS1_29radix_sort_onesweep_iterationIS3_Lb1EN6thrust23THRUST_200600_302600_NS6detail15normal_iteratorINS8_10device_ptrIiEEEESD_SD_SD_jNS0_19identity_decomposerENS1_16block_id_wrapperIjLb0EEEEE10hipError_tT1_PNSt15iterator_traitsISI_E10value_typeET2_T3_PNSJ_ISO_E10value_typeET4_T5_PST_SU_PNS1_23onesweep_lookback_stateEbbT6_jjT7_P12ihipStream_tbENKUlT_T0_SI_SN_E_clIPiSD_S15_SD_EEDaS11_S12_SI_SN_EUlS11_E_NS1_11comp_targetILNS1_3genE4ELNS1_11target_archE910ELNS1_3gpuE8ELNS1_3repE0EEENS1_47radix_sort_onesweep_sort_config_static_selectorELNS0_4arch9wavefront6targetE0EEEvSI_,@function
_ZN7rocprim17ROCPRIM_400000_NS6detail17trampoline_kernelINS0_14default_configENS1_35radix_sort_onesweep_config_selectorIiiEEZZNS1_29radix_sort_onesweep_iterationIS3_Lb1EN6thrust23THRUST_200600_302600_NS6detail15normal_iteratorINS8_10device_ptrIiEEEESD_SD_SD_jNS0_19identity_decomposerENS1_16block_id_wrapperIjLb0EEEEE10hipError_tT1_PNSt15iterator_traitsISI_E10value_typeET2_T3_PNSJ_ISO_E10value_typeET4_T5_PST_SU_PNS1_23onesweep_lookback_stateEbbT6_jjT7_P12ihipStream_tbENKUlT_T0_SI_SN_E_clIPiSD_S15_SD_EEDaS11_S12_SI_SN_EUlS11_E_NS1_11comp_targetILNS1_3genE4ELNS1_11target_archE910ELNS1_3gpuE8ELNS1_3repE0EEENS1_47radix_sort_onesweep_sort_config_static_selectorELNS0_4arch9wavefront6targetE0EEEvSI_: ; @_ZN7rocprim17ROCPRIM_400000_NS6detail17trampoline_kernelINS0_14default_configENS1_35radix_sort_onesweep_config_selectorIiiEEZZNS1_29radix_sort_onesweep_iterationIS3_Lb1EN6thrust23THRUST_200600_302600_NS6detail15normal_iteratorINS8_10device_ptrIiEEEESD_SD_SD_jNS0_19identity_decomposerENS1_16block_id_wrapperIjLb0EEEEE10hipError_tT1_PNSt15iterator_traitsISI_E10value_typeET2_T3_PNSJ_ISO_E10value_typeET4_T5_PST_SU_PNS1_23onesweep_lookback_stateEbbT6_jjT7_P12ihipStream_tbENKUlT_T0_SI_SN_E_clIPiSD_S15_SD_EEDaS11_S12_SI_SN_EUlS11_E_NS1_11comp_targetILNS1_3genE4ELNS1_11target_archE910ELNS1_3gpuE8ELNS1_3repE0EEENS1_47radix_sort_onesweep_sort_config_static_selectorELNS0_4arch9wavefront6targetE0EEEvSI_
; %bb.0:
	.section	.rodata,"a",@progbits
	.p2align	6, 0x0
	.amdhsa_kernel _ZN7rocprim17ROCPRIM_400000_NS6detail17trampoline_kernelINS0_14default_configENS1_35radix_sort_onesweep_config_selectorIiiEEZZNS1_29radix_sort_onesweep_iterationIS3_Lb1EN6thrust23THRUST_200600_302600_NS6detail15normal_iteratorINS8_10device_ptrIiEEEESD_SD_SD_jNS0_19identity_decomposerENS1_16block_id_wrapperIjLb0EEEEE10hipError_tT1_PNSt15iterator_traitsISI_E10value_typeET2_T3_PNSJ_ISO_E10value_typeET4_T5_PST_SU_PNS1_23onesweep_lookback_stateEbbT6_jjT7_P12ihipStream_tbENKUlT_T0_SI_SN_E_clIPiSD_S15_SD_EEDaS11_S12_SI_SN_EUlS11_E_NS1_11comp_targetILNS1_3genE4ELNS1_11target_archE910ELNS1_3gpuE8ELNS1_3repE0EEENS1_47radix_sort_onesweep_sort_config_static_selectorELNS0_4arch9wavefront6targetE0EEEvSI_
		.amdhsa_group_segment_fixed_size 0
		.amdhsa_private_segment_fixed_size 0
		.amdhsa_kernarg_size 88
		.amdhsa_user_sgpr_count 6
		.amdhsa_user_sgpr_private_segment_buffer 1
		.amdhsa_user_sgpr_dispatch_ptr 0
		.amdhsa_user_sgpr_queue_ptr 0
		.amdhsa_user_sgpr_kernarg_segment_ptr 1
		.amdhsa_user_sgpr_dispatch_id 0
		.amdhsa_user_sgpr_flat_scratch_init 0
		.amdhsa_user_sgpr_private_segment_size 0
		.amdhsa_wavefront_size32 1
		.amdhsa_uses_dynamic_stack 0
		.amdhsa_system_sgpr_private_segment_wavefront_offset 0
		.amdhsa_system_sgpr_workgroup_id_x 1
		.amdhsa_system_sgpr_workgroup_id_y 0
		.amdhsa_system_sgpr_workgroup_id_z 0
		.amdhsa_system_sgpr_workgroup_info 0
		.amdhsa_system_vgpr_workitem_id 0
		.amdhsa_next_free_vgpr 1
		.amdhsa_next_free_sgpr 1
		.amdhsa_reserve_vcc 0
		.amdhsa_reserve_flat_scratch 0
		.amdhsa_float_round_mode_32 0
		.amdhsa_float_round_mode_16_64 0
		.amdhsa_float_denorm_mode_32 3
		.amdhsa_float_denorm_mode_16_64 3
		.amdhsa_dx10_clamp 1
		.amdhsa_ieee_mode 1
		.amdhsa_fp16_overflow 0
		.amdhsa_workgroup_processor_mode 1
		.amdhsa_memory_ordered 1
		.amdhsa_forward_progress 1
		.amdhsa_shared_vgpr_count 0
		.amdhsa_exception_fp_ieee_invalid_op 0
		.amdhsa_exception_fp_denorm_src 0
		.amdhsa_exception_fp_ieee_div_zero 0
		.amdhsa_exception_fp_ieee_overflow 0
		.amdhsa_exception_fp_ieee_underflow 0
		.amdhsa_exception_fp_ieee_inexact 0
		.amdhsa_exception_int_div_zero 0
	.end_amdhsa_kernel
	.section	.text._ZN7rocprim17ROCPRIM_400000_NS6detail17trampoline_kernelINS0_14default_configENS1_35radix_sort_onesweep_config_selectorIiiEEZZNS1_29radix_sort_onesweep_iterationIS3_Lb1EN6thrust23THRUST_200600_302600_NS6detail15normal_iteratorINS8_10device_ptrIiEEEESD_SD_SD_jNS0_19identity_decomposerENS1_16block_id_wrapperIjLb0EEEEE10hipError_tT1_PNSt15iterator_traitsISI_E10value_typeET2_T3_PNSJ_ISO_E10value_typeET4_T5_PST_SU_PNS1_23onesweep_lookback_stateEbbT6_jjT7_P12ihipStream_tbENKUlT_T0_SI_SN_E_clIPiSD_S15_SD_EEDaS11_S12_SI_SN_EUlS11_E_NS1_11comp_targetILNS1_3genE4ELNS1_11target_archE910ELNS1_3gpuE8ELNS1_3repE0EEENS1_47radix_sort_onesweep_sort_config_static_selectorELNS0_4arch9wavefront6targetE0EEEvSI_,"axG",@progbits,_ZN7rocprim17ROCPRIM_400000_NS6detail17trampoline_kernelINS0_14default_configENS1_35radix_sort_onesweep_config_selectorIiiEEZZNS1_29radix_sort_onesweep_iterationIS3_Lb1EN6thrust23THRUST_200600_302600_NS6detail15normal_iteratorINS8_10device_ptrIiEEEESD_SD_SD_jNS0_19identity_decomposerENS1_16block_id_wrapperIjLb0EEEEE10hipError_tT1_PNSt15iterator_traitsISI_E10value_typeET2_T3_PNSJ_ISO_E10value_typeET4_T5_PST_SU_PNS1_23onesweep_lookback_stateEbbT6_jjT7_P12ihipStream_tbENKUlT_T0_SI_SN_E_clIPiSD_S15_SD_EEDaS11_S12_SI_SN_EUlS11_E_NS1_11comp_targetILNS1_3genE4ELNS1_11target_archE910ELNS1_3gpuE8ELNS1_3repE0EEENS1_47radix_sort_onesweep_sort_config_static_selectorELNS0_4arch9wavefront6targetE0EEEvSI_,comdat
.Lfunc_end1048:
	.size	_ZN7rocprim17ROCPRIM_400000_NS6detail17trampoline_kernelINS0_14default_configENS1_35radix_sort_onesweep_config_selectorIiiEEZZNS1_29radix_sort_onesweep_iterationIS3_Lb1EN6thrust23THRUST_200600_302600_NS6detail15normal_iteratorINS8_10device_ptrIiEEEESD_SD_SD_jNS0_19identity_decomposerENS1_16block_id_wrapperIjLb0EEEEE10hipError_tT1_PNSt15iterator_traitsISI_E10value_typeET2_T3_PNSJ_ISO_E10value_typeET4_T5_PST_SU_PNS1_23onesweep_lookback_stateEbbT6_jjT7_P12ihipStream_tbENKUlT_T0_SI_SN_E_clIPiSD_S15_SD_EEDaS11_S12_SI_SN_EUlS11_E_NS1_11comp_targetILNS1_3genE4ELNS1_11target_archE910ELNS1_3gpuE8ELNS1_3repE0EEENS1_47radix_sort_onesweep_sort_config_static_selectorELNS0_4arch9wavefront6targetE0EEEvSI_, .Lfunc_end1048-_ZN7rocprim17ROCPRIM_400000_NS6detail17trampoline_kernelINS0_14default_configENS1_35radix_sort_onesweep_config_selectorIiiEEZZNS1_29radix_sort_onesweep_iterationIS3_Lb1EN6thrust23THRUST_200600_302600_NS6detail15normal_iteratorINS8_10device_ptrIiEEEESD_SD_SD_jNS0_19identity_decomposerENS1_16block_id_wrapperIjLb0EEEEE10hipError_tT1_PNSt15iterator_traitsISI_E10value_typeET2_T3_PNSJ_ISO_E10value_typeET4_T5_PST_SU_PNS1_23onesweep_lookback_stateEbbT6_jjT7_P12ihipStream_tbENKUlT_T0_SI_SN_E_clIPiSD_S15_SD_EEDaS11_S12_SI_SN_EUlS11_E_NS1_11comp_targetILNS1_3genE4ELNS1_11target_archE910ELNS1_3gpuE8ELNS1_3repE0EEENS1_47radix_sort_onesweep_sort_config_static_selectorELNS0_4arch9wavefront6targetE0EEEvSI_
                                        ; -- End function
	.set _ZN7rocprim17ROCPRIM_400000_NS6detail17trampoline_kernelINS0_14default_configENS1_35radix_sort_onesweep_config_selectorIiiEEZZNS1_29radix_sort_onesweep_iterationIS3_Lb1EN6thrust23THRUST_200600_302600_NS6detail15normal_iteratorINS8_10device_ptrIiEEEESD_SD_SD_jNS0_19identity_decomposerENS1_16block_id_wrapperIjLb0EEEEE10hipError_tT1_PNSt15iterator_traitsISI_E10value_typeET2_T3_PNSJ_ISO_E10value_typeET4_T5_PST_SU_PNS1_23onesweep_lookback_stateEbbT6_jjT7_P12ihipStream_tbENKUlT_T0_SI_SN_E_clIPiSD_S15_SD_EEDaS11_S12_SI_SN_EUlS11_E_NS1_11comp_targetILNS1_3genE4ELNS1_11target_archE910ELNS1_3gpuE8ELNS1_3repE0EEENS1_47radix_sort_onesweep_sort_config_static_selectorELNS0_4arch9wavefront6targetE0EEEvSI_.num_vgpr, 0
	.set _ZN7rocprim17ROCPRIM_400000_NS6detail17trampoline_kernelINS0_14default_configENS1_35radix_sort_onesweep_config_selectorIiiEEZZNS1_29radix_sort_onesweep_iterationIS3_Lb1EN6thrust23THRUST_200600_302600_NS6detail15normal_iteratorINS8_10device_ptrIiEEEESD_SD_SD_jNS0_19identity_decomposerENS1_16block_id_wrapperIjLb0EEEEE10hipError_tT1_PNSt15iterator_traitsISI_E10value_typeET2_T3_PNSJ_ISO_E10value_typeET4_T5_PST_SU_PNS1_23onesweep_lookback_stateEbbT6_jjT7_P12ihipStream_tbENKUlT_T0_SI_SN_E_clIPiSD_S15_SD_EEDaS11_S12_SI_SN_EUlS11_E_NS1_11comp_targetILNS1_3genE4ELNS1_11target_archE910ELNS1_3gpuE8ELNS1_3repE0EEENS1_47radix_sort_onesweep_sort_config_static_selectorELNS0_4arch9wavefront6targetE0EEEvSI_.num_agpr, 0
	.set _ZN7rocprim17ROCPRIM_400000_NS6detail17trampoline_kernelINS0_14default_configENS1_35radix_sort_onesweep_config_selectorIiiEEZZNS1_29radix_sort_onesweep_iterationIS3_Lb1EN6thrust23THRUST_200600_302600_NS6detail15normal_iteratorINS8_10device_ptrIiEEEESD_SD_SD_jNS0_19identity_decomposerENS1_16block_id_wrapperIjLb0EEEEE10hipError_tT1_PNSt15iterator_traitsISI_E10value_typeET2_T3_PNSJ_ISO_E10value_typeET4_T5_PST_SU_PNS1_23onesweep_lookback_stateEbbT6_jjT7_P12ihipStream_tbENKUlT_T0_SI_SN_E_clIPiSD_S15_SD_EEDaS11_S12_SI_SN_EUlS11_E_NS1_11comp_targetILNS1_3genE4ELNS1_11target_archE910ELNS1_3gpuE8ELNS1_3repE0EEENS1_47radix_sort_onesweep_sort_config_static_selectorELNS0_4arch9wavefront6targetE0EEEvSI_.numbered_sgpr, 0
	.set _ZN7rocprim17ROCPRIM_400000_NS6detail17trampoline_kernelINS0_14default_configENS1_35radix_sort_onesweep_config_selectorIiiEEZZNS1_29radix_sort_onesweep_iterationIS3_Lb1EN6thrust23THRUST_200600_302600_NS6detail15normal_iteratorINS8_10device_ptrIiEEEESD_SD_SD_jNS0_19identity_decomposerENS1_16block_id_wrapperIjLb0EEEEE10hipError_tT1_PNSt15iterator_traitsISI_E10value_typeET2_T3_PNSJ_ISO_E10value_typeET4_T5_PST_SU_PNS1_23onesweep_lookback_stateEbbT6_jjT7_P12ihipStream_tbENKUlT_T0_SI_SN_E_clIPiSD_S15_SD_EEDaS11_S12_SI_SN_EUlS11_E_NS1_11comp_targetILNS1_3genE4ELNS1_11target_archE910ELNS1_3gpuE8ELNS1_3repE0EEENS1_47radix_sort_onesweep_sort_config_static_selectorELNS0_4arch9wavefront6targetE0EEEvSI_.num_named_barrier, 0
	.set _ZN7rocprim17ROCPRIM_400000_NS6detail17trampoline_kernelINS0_14default_configENS1_35radix_sort_onesweep_config_selectorIiiEEZZNS1_29radix_sort_onesweep_iterationIS3_Lb1EN6thrust23THRUST_200600_302600_NS6detail15normal_iteratorINS8_10device_ptrIiEEEESD_SD_SD_jNS0_19identity_decomposerENS1_16block_id_wrapperIjLb0EEEEE10hipError_tT1_PNSt15iterator_traitsISI_E10value_typeET2_T3_PNSJ_ISO_E10value_typeET4_T5_PST_SU_PNS1_23onesweep_lookback_stateEbbT6_jjT7_P12ihipStream_tbENKUlT_T0_SI_SN_E_clIPiSD_S15_SD_EEDaS11_S12_SI_SN_EUlS11_E_NS1_11comp_targetILNS1_3genE4ELNS1_11target_archE910ELNS1_3gpuE8ELNS1_3repE0EEENS1_47radix_sort_onesweep_sort_config_static_selectorELNS0_4arch9wavefront6targetE0EEEvSI_.private_seg_size, 0
	.set _ZN7rocprim17ROCPRIM_400000_NS6detail17trampoline_kernelINS0_14default_configENS1_35radix_sort_onesweep_config_selectorIiiEEZZNS1_29radix_sort_onesweep_iterationIS3_Lb1EN6thrust23THRUST_200600_302600_NS6detail15normal_iteratorINS8_10device_ptrIiEEEESD_SD_SD_jNS0_19identity_decomposerENS1_16block_id_wrapperIjLb0EEEEE10hipError_tT1_PNSt15iterator_traitsISI_E10value_typeET2_T3_PNSJ_ISO_E10value_typeET4_T5_PST_SU_PNS1_23onesweep_lookback_stateEbbT6_jjT7_P12ihipStream_tbENKUlT_T0_SI_SN_E_clIPiSD_S15_SD_EEDaS11_S12_SI_SN_EUlS11_E_NS1_11comp_targetILNS1_3genE4ELNS1_11target_archE910ELNS1_3gpuE8ELNS1_3repE0EEENS1_47radix_sort_onesweep_sort_config_static_selectorELNS0_4arch9wavefront6targetE0EEEvSI_.uses_vcc, 0
	.set _ZN7rocprim17ROCPRIM_400000_NS6detail17trampoline_kernelINS0_14default_configENS1_35radix_sort_onesweep_config_selectorIiiEEZZNS1_29radix_sort_onesweep_iterationIS3_Lb1EN6thrust23THRUST_200600_302600_NS6detail15normal_iteratorINS8_10device_ptrIiEEEESD_SD_SD_jNS0_19identity_decomposerENS1_16block_id_wrapperIjLb0EEEEE10hipError_tT1_PNSt15iterator_traitsISI_E10value_typeET2_T3_PNSJ_ISO_E10value_typeET4_T5_PST_SU_PNS1_23onesweep_lookback_stateEbbT6_jjT7_P12ihipStream_tbENKUlT_T0_SI_SN_E_clIPiSD_S15_SD_EEDaS11_S12_SI_SN_EUlS11_E_NS1_11comp_targetILNS1_3genE4ELNS1_11target_archE910ELNS1_3gpuE8ELNS1_3repE0EEENS1_47radix_sort_onesweep_sort_config_static_selectorELNS0_4arch9wavefront6targetE0EEEvSI_.uses_flat_scratch, 0
	.set _ZN7rocprim17ROCPRIM_400000_NS6detail17trampoline_kernelINS0_14default_configENS1_35radix_sort_onesweep_config_selectorIiiEEZZNS1_29radix_sort_onesweep_iterationIS3_Lb1EN6thrust23THRUST_200600_302600_NS6detail15normal_iteratorINS8_10device_ptrIiEEEESD_SD_SD_jNS0_19identity_decomposerENS1_16block_id_wrapperIjLb0EEEEE10hipError_tT1_PNSt15iterator_traitsISI_E10value_typeET2_T3_PNSJ_ISO_E10value_typeET4_T5_PST_SU_PNS1_23onesweep_lookback_stateEbbT6_jjT7_P12ihipStream_tbENKUlT_T0_SI_SN_E_clIPiSD_S15_SD_EEDaS11_S12_SI_SN_EUlS11_E_NS1_11comp_targetILNS1_3genE4ELNS1_11target_archE910ELNS1_3gpuE8ELNS1_3repE0EEENS1_47radix_sort_onesweep_sort_config_static_selectorELNS0_4arch9wavefront6targetE0EEEvSI_.has_dyn_sized_stack, 0
	.set _ZN7rocprim17ROCPRIM_400000_NS6detail17trampoline_kernelINS0_14default_configENS1_35radix_sort_onesweep_config_selectorIiiEEZZNS1_29radix_sort_onesweep_iterationIS3_Lb1EN6thrust23THRUST_200600_302600_NS6detail15normal_iteratorINS8_10device_ptrIiEEEESD_SD_SD_jNS0_19identity_decomposerENS1_16block_id_wrapperIjLb0EEEEE10hipError_tT1_PNSt15iterator_traitsISI_E10value_typeET2_T3_PNSJ_ISO_E10value_typeET4_T5_PST_SU_PNS1_23onesweep_lookback_stateEbbT6_jjT7_P12ihipStream_tbENKUlT_T0_SI_SN_E_clIPiSD_S15_SD_EEDaS11_S12_SI_SN_EUlS11_E_NS1_11comp_targetILNS1_3genE4ELNS1_11target_archE910ELNS1_3gpuE8ELNS1_3repE0EEENS1_47radix_sort_onesweep_sort_config_static_selectorELNS0_4arch9wavefront6targetE0EEEvSI_.has_recursion, 0
	.set _ZN7rocprim17ROCPRIM_400000_NS6detail17trampoline_kernelINS0_14default_configENS1_35radix_sort_onesweep_config_selectorIiiEEZZNS1_29radix_sort_onesweep_iterationIS3_Lb1EN6thrust23THRUST_200600_302600_NS6detail15normal_iteratorINS8_10device_ptrIiEEEESD_SD_SD_jNS0_19identity_decomposerENS1_16block_id_wrapperIjLb0EEEEE10hipError_tT1_PNSt15iterator_traitsISI_E10value_typeET2_T3_PNSJ_ISO_E10value_typeET4_T5_PST_SU_PNS1_23onesweep_lookback_stateEbbT6_jjT7_P12ihipStream_tbENKUlT_T0_SI_SN_E_clIPiSD_S15_SD_EEDaS11_S12_SI_SN_EUlS11_E_NS1_11comp_targetILNS1_3genE4ELNS1_11target_archE910ELNS1_3gpuE8ELNS1_3repE0EEENS1_47radix_sort_onesweep_sort_config_static_selectorELNS0_4arch9wavefront6targetE0EEEvSI_.has_indirect_call, 0
	.section	.AMDGPU.csdata,"",@progbits
; Kernel info:
; codeLenInByte = 0
; TotalNumSgprs: 0
; NumVgprs: 0
; ScratchSize: 0
; MemoryBound: 0
; FloatMode: 240
; IeeeMode: 1
; LDSByteSize: 0 bytes/workgroup (compile time only)
; SGPRBlocks: 0
; VGPRBlocks: 0
; NumSGPRsForWavesPerEU: 1
; NumVGPRsForWavesPerEU: 1
; Occupancy: 16
; WaveLimiterHint : 0
; COMPUTE_PGM_RSRC2:SCRATCH_EN: 0
; COMPUTE_PGM_RSRC2:USER_SGPR: 6
; COMPUTE_PGM_RSRC2:TRAP_HANDLER: 0
; COMPUTE_PGM_RSRC2:TGID_X_EN: 1
; COMPUTE_PGM_RSRC2:TGID_Y_EN: 0
; COMPUTE_PGM_RSRC2:TGID_Z_EN: 0
; COMPUTE_PGM_RSRC2:TIDIG_COMP_CNT: 0
	.section	.text._ZN7rocprim17ROCPRIM_400000_NS6detail17trampoline_kernelINS0_14default_configENS1_35radix_sort_onesweep_config_selectorIiiEEZZNS1_29radix_sort_onesweep_iterationIS3_Lb1EN6thrust23THRUST_200600_302600_NS6detail15normal_iteratorINS8_10device_ptrIiEEEESD_SD_SD_jNS0_19identity_decomposerENS1_16block_id_wrapperIjLb0EEEEE10hipError_tT1_PNSt15iterator_traitsISI_E10value_typeET2_T3_PNSJ_ISO_E10value_typeET4_T5_PST_SU_PNS1_23onesweep_lookback_stateEbbT6_jjT7_P12ihipStream_tbENKUlT_T0_SI_SN_E_clIPiSD_S15_SD_EEDaS11_S12_SI_SN_EUlS11_E_NS1_11comp_targetILNS1_3genE3ELNS1_11target_archE908ELNS1_3gpuE7ELNS1_3repE0EEENS1_47radix_sort_onesweep_sort_config_static_selectorELNS0_4arch9wavefront6targetE0EEEvSI_,"axG",@progbits,_ZN7rocprim17ROCPRIM_400000_NS6detail17trampoline_kernelINS0_14default_configENS1_35radix_sort_onesweep_config_selectorIiiEEZZNS1_29radix_sort_onesweep_iterationIS3_Lb1EN6thrust23THRUST_200600_302600_NS6detail15normal_iteratorINS8_10device_ptrIiEEEESD_SD_SD_jNS0_19identity_decomposerENS1_16block_id_wrapperIjLb0EEEEE10hipError_tT1_PNSt15iterator_traitsISI_E10value_typeET2_T3_PNSJ_ISO_E10value_typeET4_T5_PST_SU_PNS1_23onesweep_lookback_stateEbbT6_jjT7_P12ihipStream_tbENKUlT_T0_SI_SN_E_clIPiSD_S15_SD_EEDaS11_S12_SI_SN_EUlS11_E_NS1_11comp_targetILNS1_3genE3ELNS1_11target_archE908ELNS1_3gpuE7ELNS1_3repE0EEENS1_47radix_sort_onesweep_sort_config_static_selectorELNS0_4arch9wavefront6targetE0EEEvSI_,comdat
	.protected	_ZN7rocprim17ROCPRIM_400000_NS6detail17trampoline_kernelINS0_14default_configENS1_35radix_sort_onesweep_config_selectorIiiEEZZNS1_29radix_sort_onesweep_iterationIS3_Lb1EN6thrust23THRUST_200600_302600_NS6detail15normal_iteratorINS8_10device_ptrIiEEEESD_SD_SD_jNS0_19identity_decomposerENS1_16block_id_wrapperIjLb0EEEEE10hipError_tT1_PNSt15iterator_traitsISI_E10value_typeET2_T3_PNSJ_ISO_E10value_typeET4_T5_PST_SU_PNS1_23onesweep_lookback_stateEbbT6_jjT7_P12ihipStream_tbENKUlT_T0_SI_SN_E_clIPiSD_S15_SD_EEDaS11_S12_SI_SN_EUlS11_E_NS1_11comp_targetILNS1_3genE3ELNS1_11target_archE908ELNS1_3gpuE7ELNS1_3repE0EEENS1_47radix_sort_onesweep_sort_config_static_selectorELNS0_4arch9wavefront6targetE0EEEvSI_ ; -- Begin function _ZN7rocprim17ROCPRIM_400000_NS6detail17trampoline_kernelINS0_14default_configENS1_35radix_sort_onesweep_config_selectorIiiEEZZNS1_29radix_sort_onesweep_iterationIS3_Lb1EN6thrust23THRUST_200600_302600_NS6detail15normal_iteratorINS8_10device_ptrIiEEEESD_SD_SD_jNS0_19identity_decomposerENS1_16block_id_wrapperIjLb0EEEEE10hipError_tT1_PNSt15iterator_traitsISI_E10value_typeET2_T3_PNSJ_ISO_E10value_typeET4_T5_PST_SU_PNS1_23onesweep_lookback_stateEbbT6_jjT7_P12ihipStream_tbENKUlT_T0_SI_SN_E_clIPiSD_S15_SD_EEDaS11_S12_SI_SN_EUlS11_E_NS1_11comp_targetILNS1_3genE3ELNS1_11target_archE908ELNS1_3gpuE7ELNS1_3repE0EEENS1_47radix_sort_onesweep_sort_config_static_selectorELNS0_4arch9wavefront6targetE0EEEvSI_
	.globl	_ZN7rocprim17ROCPRIM_400000_NS6detail17trampoline_kernelINS0_14default_configENS1_35radix_sort_onesweep_config_selectorIiiEEZZNS1_29radix_sort_onesweep_iterationIS3_Lb1EN6thrust23THRUST_200600_302600_NS6detail15normal_iteratorINS8_10device_ptrIiEEEESD_SD_SD_jNS0_19identity_decomposerENS1_16block_id_wrapperIjLb0EEEEE10hipError_tT1_PNSt15iterator_traitsISI_E10value_typeET2_T3_PNSJ_ISO_E10value_typeET4_T5_PST_SU_PNS1_23onesweep_lookback_stateEbbT6_jjT7_P12ihipStream_tbENKUlT_T0_SI_SN_E_clIPiSD_S15_SD_EEDaS11_S12_SI_SN_EUlS11_E_NS1_11comp_targetILNS1_3genE3ELNS1_11target_archE908ELNS1_3gpuE7ELNS1_3repE0EEENS1_47radix_sort_onesweep_sort_config_static_selectorELNS0_4arch9wavefront6targetE0EEEvSI_
	.p2align	8
	.type	_ZN7rocprim17ROCPRIM_400000_NS6detail17trampoline_kernelINS0_14default_configENS1_35radix_sort_onesweep_config_selectorIiiEEZZNS1_29radix_sort_onesweep_iterationIS3_Lb1EN6thrust23THRUST_200600_302600_NS6detail15normal_iteratorINS8_10device_ptrIiEEEESD_SD_SD_jNS0_19identity_decomposerENS1_16block_id_wrapperIjLb0EEEEE10hipError_tT1_PNSt15iterator_traitsISI_E10value_typeET2_T3_PNSJ_ISO_E10value_typeET4_T5_PST_SU_PNS1_23onesweep_lookback_stateEbbT6_jjT7_P12ihipStream_tbENKUlT_T0_SI_SN_E_clIPiSD_S15_SD_EEDaS11_S12_SI_SN_EUlS11_E_NS1_11comp_targetILNS1_3genE3ELNS1_11target_archE908ELNS1_3gpuE7ELNS1_3repE0EEENS1_47radix_sort_onesweep_sort_config_static_selectorELNS0_4arch9wavefront6targetE0EEEvSI_,@function
_ZN7rocprim17ROCPRIM_400000_NS6detail17trampoline_kernelINS0_14default_configENS1_35radix_sort_onesweep_config_selectorIiiEEZZNS1_29radix_sort_onesweep_iterationIS3_Lb1EN6thrust23THRUST_200600_302600_NS6detail15normal_iteratorINS8_10device_ptrIiEEEESD_SD_SD_jNS0_19identity_decomposerENS1_16block_id_wrapperIjLb0EEEEE10hipError_tT1_PNSt15iterator_traitsISI_E10value_typeET2_T3_PNSJ_ISO_E10value_typeET4_T5_PST_SU_PNS1_23onesweep_lookback_stateEbbT6_jjT7_P12ihipStream_tbENKUlT_T0_SI_SN_E_clIPiSD_S15_SD_EEDaS11_S12_SI_SN_EUlS11_E_NS1_11comp_targetILNS1_3genE3ELNS1_11target_archE908ELNS1_3gpuE7ELNS1_3repE0EEENS1_47radix_sort_onesweep_sort_config_static_selectorELNS0_4arch9wavefront6targetE0EEEvSI_: ; @_ZN7rocprim17ROCPRIM_400000_NS6detail17trampoline_kernelINS0_14default_configENS1_35radix_sort_onesweep_config_selectorIiiEEZZNS1_29radix_sort_onesweep_iterationIS3_Lb1EN6thrust23THRUST_200600_302600_NS6detail15normal_iteratorINS8_10device_ptrIiEEEESD_SD_SD_jNS0_19identity_decomposerENS1_16block_id_wrapperIjLb0EEEEE10hipError_tT1_PNSt15iterator_traitsISI_E10value_typeET2_T3_PNSJ_ISO_E10value_typeET4_T5_PST_SU_PNS1_23onesweep_lookback_stateEbbT6_jjT7_P12ihipStream_tbENKUlT_T0_SI_SN_E_clIPiSD_S15_SD_EEDaS11_S12_SI_SN_EUlS11_E_NS1_11comp_targetILNS1_3genE3ELNS1_11target_archE908ELNS1_3gpuE7ELNS1_3repE0EEENS1_47radix_sort_onesweep_sort_config_static_selectorELNS0_4arch9wavefront6targetE0EEEvSI_
; %bb.0:
	.section	.rodata,"a",@progbits
	.p2align	6, 0x0
	.amdhsa_kernel _ZN7rocprim17ROCPRIM_400000_NS6detail17trampoline_kernelINS0_14default_configENS1_35radix_sort_onesweep_config_selectorIiiEEZZNS1_29radix_sort_onesweep_iterationIS3_Lb1EN6thrust23THRUST_200600_302600_NS6detail15normal_iteratorINS8_10device_ptrIiEEEESD_SD_SD_jNS0_19identity_decomposerENS1_16block_id_wrapperIjLb0EEEEE10hipError_tT1_PNSt15iterator_traitsISI_E10value_typeET2_T3_PNSJ_ISO_E10value_typeET4_T5_PST_SU_PNS1_23onesweep_lookback_stateEbbT6_jjT7_P12ihipStream_tbENKUlT_T0_SI_SN_E_clIPiSD_S15_SD_EEDaS11_S12_SI_SN_EUlS11_E_NS1_11comp_targetILNS1_3genE3ELNS1_11target_archE908ELNS1_3gpuE7ELNS1_3repE0EEENS1_47radix_sort_onesweep_sort_config_static_selectorELNS0_4arch9wavefront6targetE0EEEvSI_
		.amdhsa_group_segment_fixed_size 0
		.amdhsa_private_segment_fixed_size 0
		.amdhsa_kernarg_size 88
		.amdhsa_user_sgpr_count 6
		.amdhsa_user_sgpr_private_segment_buffer 1
		.amdhsa_user_sgpr_dispatch_ptr 0
		.amdhsa_user_sgpr_queue_ptr 0
		.amdhsa_user_sgpr_kernarg_segment_ptr 1
		.amdhsa_user_sgpr_dispatch_id 0
		.amdhsa_user_sgpr_flat_scratch_init 0
		.amdhsa_user_sgpr_private_segment_size 0
		.amdhsa_wavefront_size32 1
		.amdhsa_uses_dynamic_stack 0
		.amdhsa_system_sgpr_private_segment_wavefront_offset 0
		.amdhsa_system_sgpr_workgroup_id_x 1
		.amdhsa_system_sgpr_workgroup_id_y 0
		.amdhsa_system_sgpr_workgroup_id_z 0
		.amdhsa_system_sgpr_workgroup_info 0
		.amdhsa_system_vgpr_workitem_id 0
		.amdhsa_next_free_vgpr 1
		.amdhsa_next_free_sgpr 1
		.amdhsa_reserve_vcc 0
		.amdhsa_reserve_flat_scratch 0
		.amdhsa_float_round_mode_32 0
		.amdhsa_float_round_mode_16_64 0
		.amdhsa_float_denorm_mode_32 3
		.amdhsa_float_denorm_mode_16_64 3
		.amdhsa_dx10_clamp 1
		.amdhsa_ieee_mode 1
		.amdhsa_fp16_overflow 0
		.amdhsa_workgroup_processor_mode 1
		.amdhsa_memory_ordered 1
		.amdhsa_forward_progress 1
		.amdhsa_shared_vgpr_count 0
		.amdhsa_exception_fp_ieee_invalid_op 0
		.amdhsa_exception_fp_denorm_src 0
		.amdhsa_exception_fp_ieee_div_zero 0
		.amdhsa_exception_fp_ieee_overflow 0
		.amdhsa_exception_fp_ieee_underflow 0
		.amdhsa_exception_fp_ieee_inexact 0
		.amdhsa_exception_int_div_zero 0
	.end_amdhsa_kernel
	.section	.text._ZN7rocprim17ROCPRIM_400000_NS6detail17trampoline_kernelINS0_14default_configENS1_35radix_sort_onesweep_config_selectorIiiEEZZNS1_29radix_sort_onesweep_iterationIS3_Lb1EN6thrust23THRUST_200600_302600_NS6detail15normal_iteratorINS8_10device_ptrIiEEEESD_SD_SD_jNS0_19identity_decomposerENS1_16block_id_wrapperIjLb0EEEEE10hipError_tT1_PNSt15iterator_traitsISI_E10value_typeET2_T3_PNSJ_ISO_E10value_typeET4_T5_PST_SU_PNS1_23onesweep_lookback_stateEbbT6_jjT7_P12ihipStream_tbENKUlT_T0_SI_SN_E_clIPiSD_S15_SD_EEDaS11_S12_SI_SN_EUlS11_E_NS1_11comp_targetILNS1_3genE3ELNS1_11target_archE908ELNS1_3gpuE7ELNS1_3repE0EEENS1_47radix_sort_onesweep_sort_config_static_selectorELNS0_4arch9wavefront6targetE0EEEvSI_,"axG",@progbits,_ZN7rocprim17ROCPRIM_400000_NS6detail17trampoline_kernelINS0_14default_configENS1_35radix_sort_onesweep_config_selectorIiiEEZZNS1_29radix_sort_onesweep_iterationIS3_Lb1EN6thrust23THRUST_200600_302600_NS6detail15normal_iteratorINS8_10device_ptrIiEEEESD_SD_SD_jNS0_19identity_decomposerENS1_16block_id_wrapperIjLb0EEEEE10hipError_tT1_PNSt15iterator_traitsISI_E10value_typeET2_T3_PNSJ_ISO_E10value_typeET4_T5_PST_SU_PNS1_23onesweep_lookback_stateEbbT6_jjT7_P12ihipStream_tbENKUlT_T0_SI_SN_E_clIPiSD_S15_SD_EEDaS11_S12_SI_SN_EUlS11_E_NS1_11comp_targetILNS1_3genE3ELNS1_11target_archE908ELNS1_3gpuE7ELNS1_3repE0EEENS1_47radix_sort_onesweep_sort_config_static_selectorELNS0_4arch9wavefront6targetE0EEEvSI_,comdat
.Lfunc_end1049:
	.size	_ZN7rocprim17ROCPRIM_400000_NS6detail17trampoline_kernelINS0_14default_configENS1_35radix_sort_onesweep_config_selectorIiiEEZZNS1_29radix_sort_onesweep_iterationIS3_Lb1EN6thrust23THRUST_200600_302600_NS6detail15normal_iteratorINS8_10device_ptrIiEEEESD_SD_SD_jNS0_19identity_decomposerENS1_16block_id_wrapperIjLb0EEEEE10hipError_tT1_PNSt15iterator_traitsISI_E10value_typeET2_T3_PNSJ_ISO_E10value_typeET4_T5_PST_SU_PNS1_23onesweep_lookback_stateEbbT6_jjT7_P12ihipStream_tbENKUlT_T0_SI_SN_E_clIPiSD_S15_SD_EEDaS11_S12_SI_SN_EUlS11_E_NS1_11comp_targetILNS1_3genE3ELNS1_11target_archE908ELNS1_3gpuE7ELNS1_3repE0EEENS1_47radix_sort_onesweep_sort_config_static_selectorELNS0_4arch9wavefront6targetE0EEEvSI_, .Lfunc_end1049-_ZN7rocprim17ROCPRIM_400000_NS6detail17trampoline_kernelINS0_14default_configENS1_35radix_sort_onesweep_config_selectorIiiEEZZNS1_29radix_sort_onesweep_iterationIS3_Lb1EN6thrust23THRUST_200600_302600_NS6detail15normal_iteratorINS8_10device_ptrIiEEEESD_SD_SD_jNS0_19identity_decomposerENS1_16block_id_wrapperIjLb0EEEEE10hipError_tT1_PNSt15iterator_traitsISI_E10value_typeET2_T3_PNSJ_ISO_E10value_typeET4_T5_PST_SU_PNS1_23onesweep_lookback_stateEbbT6_jjT7_P12ihipStream_tbENKUlT_T0_SI_SN_E_clIPiSD_S15_SD_EEDaS11_S12_SI_SN_EUlS11_E_NS1_11comp_targetILNS1_3genE3ELNS1_11target_archE908ELNS1_3gpuE7ELNS1_3repE0EEENS1_47radix_sort_onesweep_sort_config_static_selectorELNS0_4arch9wavefront6targetE0EEEvSI_
                                        ; -- End function
	.set _ZN7rocprim17ROCPRIM_400000_NS6detail17trampoline_kernelINS0_14default_configENS1_35radix_sort_onesweep_config_selectorIiiEEZZNS1_29radix_sort_onesweep_iterationIS3_Lb1EN6thrust23THRUST_200600_302600_NS6detail15normal_iteratorINS8_10device_ptrIiEEEESD_SD_SD_jNS0_19identity_decomposerENS1_16block_id_wrapperIjLb0EEEEE10hipError_tT1_PNSt15iterator_traitsISI_E10value_typeET2_T3_PNSJ_ISO_E10value_typeET4_T5_PST_SU_PNS1_23onesweep_lookback_stateEbbT6_jjT7_P12ihipStream_tbENKUlT_T0_SI_SN_E_clIPiSD_S15_SD_EEDaS11_S12_SI_SN_EUlS11_E_NS1_11comp_targetILNS1_3genE3ELNS1_11target_archE908ELNS1_3gpuE7ELNS1_3repE0EEENS1_47radix_sort_onesweep_sort_config_static_selectorELNS0_4arch9wavefront6targetE0EEEvSI_.num_vgpr, 0
	.set _ZN7rocprim17ROCPRIM_400000_NS6detail17trampoline_kernelINS0_14default_configENS1_35radix_sort_onesweep_config_selectorIiiEEZZNS1_29radix_sort_onesweep_iterationIS3_Lb1EN6thrust23THRUST_200600_302600_NS6detail15normal_iteratorINS8_10device_ptrIiEEEESD_SD_SD_jNS0_19identity_decomposerENS1_16block_id_wrapperIjLb0EEEEE10hipError_tT1_PNSt15iterator_traitsISI_E10value_typeET2_T3_PNSJ_ISO_E10value_typeET4_T5_PST_SU_PNS1_23onesweep_lookback_stateEbbT6_jjT7_P12ihipStream_tbENKUlT_T0_SI_SN_E_clIPiSD_S15_SD_EEDaS11_S12_SI_SN_EUlS11_E_NS1_11comp_targetILNS1_3genE3ELNS1_11target_archE908ELNS1_3gpuE7ELNS1_3repE0EEENS1_47radix_sort_onesweep_sort_config_static_selectorELNS0_4arch9wavefront6targetE0EEEvSI_.num_agpr, 0
	.set _ZN7rocprim17ROCPRIM_400000_NS6detail17trampoline_kernelINS0_14default_configENS1_35radix_sort_onesweep_config_selectorIiiEEZZNS1_29radix_sort_onesweep_iterationIS3_Lb1EN6thrust23THRUST_200600_302600_NS6detail15normal_iteratorINS8_10device_ptrIiEEEESD_SD_SD_jNS0_19identity_decomposerENS1_16block_id_wrapperIjLb0EEEEE10hipError_tT1_PNSt15iterator_traitsISI_E10value_typeET2_T3_PNSJ_ISO_E10value_typeET4_T5_PST_SU_PNS1_23onesweep_lookback_stateEbbT6_jjT7_P12ihipStream_tbENKUlT_T0_SI_SN_E_clIPiSD_S15_SD_EEDaS11_S12_SI_SN_EUlS11_E_NS1_11comp_targetILNS1_3genE3ELNS1_11target_archE908ELNS1_3gpuE7ELNS1_3repE0EEENS1_47radix_sort_onesweep_sort_config_static_selectorELNS0_4arch9wavefront6targetE0EEEvSI_.numbered_sgpr, 0
	.set _ZN7rocprim17ROCPRIM_400000_NS6detail17trampoline_kernelINS0_14default_configENS1_35radix_sort_onesweep_config_selectorIiiEEZZNS1_29radix_sort_onesweep_iterationIS3_Lb1EN6thrust23THRUST_200600_302600_NS6detail15normal_iteratorINS8_10device_ptrIiEEEESD_SD_SD_jNS0_19identity_decomposerENS1_16block_id_wrapperIjLb0EEEEE10hipError_tT1_PNSt15iterator_traitsISI_E10value_typeET2_T3_PNSJ_ISO_E10value_typeET4_T5_PST_SU_PNS1_23onesweep_lookback_stateEbbT6_jjT7_P12ihipStream_tbENKUlT_T0_SI_SN_E_clIPiSD_S15_SD_EEDaS11_S12_SI_SN_EUlS11_E_NS1_11comp_targetILNS1_3genE3ELNS1_11target_archE908ELNS1_3gpuE7ELNS1_3repE0EEENS1_47radix_sort_onesweep_sort_config_static_selectorELNS0_4arch9wavefront6targetE0EEEvSI_.num_named_barrier, 0
	.set _ZN7rocprim17ROCPRIM_400000_NS6detail17trampoline_kernelINS0_14default_configENS1_35radix_sort_onesweep_config_selectorIiiEEZZNS1_29radix_sort_onesweep_iterationIS3_Lb1EN6thrust23THRUST_200600_302600_NS6detail15normal_iteratorINS8_10device_ptrIiEEEESD_SD_SD_jNS0_19identity_decomposerENS1_16block_id_wrapperIjLb0EEEEE10hipError_tT1_PNSt15iterator_traitsISI_E10value_typeET2_T3_PNSJ_ISO_E10value_typeET4_T5_PST_SU_PNS1_23onesweep_lookback_stateEbbT6_jjT7_P12ihipStream_tbENKUlT_T0_SI_SN_E_clIPiSD_S15_SD_EEDaS11_S12_SI_SN_EUlS11_E_NS1_11comp_targetILNS1_3genE3ELNS1_11target_archE908ELNS1_3gpuE7ELNS1_3repE0EEENS1_47radix_sort_onesweep_sort_config_static_selectorELNS0_4arch9wavefront6targetE0EEEvSI_.private_seg_size, 0
	.set _ZN7rocprim17ROCPRIM_400000_NS6detail17trampoline_kernelINS0_14default_configENS1_35radix_sort_onesweep_config_selectorIiiEEZZNS1_29radix_sort_onesweep_iterationIS3_Lb1EN6thrust23THRUST_200600_302600_NS6detail15normal_iteratorINS8_10device_ptrIiEEEESD_SD_SD_jNS0_19identity_decomposerENS1_16block_id_wrapperIjLb0EEEEE10hipError_tT1_PNSt15iterator_traitsISI_E10value_typeET2_T3_PNSJ_ISO_E10value_typeET4_T5_PST_SU_PNS1_23onesweep_lookback_stateEbbT6_jjT7_P12ihipStream_tbENKUlT_T0_SI_SN_E_clIPiSD_S15_SD_EEDaS11_S12_SI_SN_EUlS11_E_NS1_11comp_targetILNS1_3genE3ELNS1_11target_archE908ELNS1_3gpuE7ELNS1_3repE0EEENS1_47radix_sort_onesweep_sort_config_static_selectorELNS0_4arch9wavefront6targetE0EEEvSI_.uses_vcc, 0
	.set _ZN7rocprim17ROCPRIM_400000_NS6detail17trampoline_kernelINS0_14default_configENS1_35radix_sort_onesweep_config_selectorIiiEEZZNS1_29radix_sort_onesweep_iterationIS3_Lb1EN6thrust23THRUST_200600_302600_NS6detail15normal_iteratorINS8_10device_ptrIiEEEESD_SD_SD_jNS0_19identity_decomposerENS1_16block_id_wrapperIjLb0EEEEE10hipError_tT1_PNSt15iterator_traitsISI_E10value_typeET2_T3_PNSJ_ISO_E10value_typeET4_T5_PST_SU_PNS1_23onesweep_lookback_stateEbbT6_jjT7_P12ihipStream_tbENKUlT_T0_SI_SN_E_clIPiSD_S15_SD_EEDaS11_S12_SI_SN_EUlS11_E_NS1_11comp_targetILNS1_3genE3ELNS1_11target_archE908ELNS1_3gpuE7ELNS1_3repE0EEENS1_47radix_sort_onesweep_sort_config_static_selectorELNS0_4arch9wavefront6targetE0EEEvSI_.uses_flat_scratch, 0
	.set _ZN7rocprim17ROCPRIM_400000_NS6detail17trampoline_kernelINS0_14default_configENS1_35radix_sort_onesweep_config_selectorIiiEEZZNS1_29radix_sort_onesweep_iterationIS3_Lb1EN6thrust23THRUST_200600_302600_NS6detail15normal_iteratorINS8_10device_ptrIiEEEESD_SD_SD_jNS0_19identity_decomposerENS1_16block_id_wrapperIjLb0EEEEE10hipError_tT1_PNSt15iterator_traitsISI_E10value_typeET2_T3_PNSJ_ISO_E10value_typeET4_T5_PST_SU_PNS1_23onesweep_lookback_stateEbbT6_jjT7_P12ihipStream_tbENKUlT_T0_SI_SN_E_clIPiSD_S15_SD_EEDaS11_S12_SI_SN_EUlS11_E_NS1_11comp_targetILNS1_3genE3ELNS1_11target_archE908ELNS1_3gpuE7ELNS1_3repE0EEENS1_47radix_sort_onesweep_sort_config_static_selectorELNS0_4arch9wavefront6targetE0EEEvSI_.has_dyn_sized_stack, 0
	.set _ZN7rocprim17ROCPRIM_400000_NS6detail17trampoline_kernelINS0_14default_configENS1_35radix_sort_onesweep_config_selectorIiiEEZZNS1_29radix_sort_onesweep_iterationIS3_Lb1EN6thrust23THRUST_200600_302600_NS6detail15normal_iteratorINS8_10device_ptrIiEEEESD_SD_SD_jNS0_19identity_decomposerENS1_16block_id_wrapperIjLb0EEEEE10hipError_tT1_PNSt15iterator_traitsISI_E10value_typeET2_T3_PNSJ_ISO_E10value_typeET4_T5_PST_SU_PNS1_23onesweep_lookback_stateEbbT6_jjT7_P12ihipStream_tbENKUlT_T0_SI_SN_E_clIPiSD_S15_SD_EEDaS11_S12_SI_SN_EUlS11_E_NS1_11comp_targetILNS1_3genE3ELNS1_11target_archE908ELNS1_3gpuE7ELNS1_3repE0EEENS1_47radix_sort_onesweep_sort_config_static_selectorELNS0_4arch9wavefront6targetE0EEEvSI_.has_recursion, 0
	.set _ZN7rocprim17ROCPRIM_400000_NS6detail17trampoline_kernelINS0_14default_configENS1_35radix_sort_onesweep_config_selectorIiiEEZZNS1_29radix_sort_onesweep_iterationIS3_Lb1EN6thrust23THRUST_200600_302600_NS6detail15normal_iteratorINS8_10device_ptrIiEEEESD_SD_SD_jNS0_19identity_decomposerENS1_16block_id_wrapperIjLb0EEEEE10hipError_tT1_PNSt15iterator_traitsISI_E10value_typeET2_T3_PNSJ_ISO_E10value_typeET4_T5_PST_SU_PNS1_23onesweep_lookback_stateEbbT6_jjT7_P12ihipStream_tbENKUlT_T0_SI_SN_E_clIPiSD_S15_SD_EEDaS11_S12_SI_SN_EUlS11_E_NS1_11comp_targetILNS1_3genE3ELNS1_11target_archE908ELNS1_3gpuE7ELNS1_3repE0EEENS1_47radix_sort_onesweep_sort_config_static_selectorELNS0_4arch9wavefront6targetE0EEEvSI_.has_indirect_call, 0
	.section	.AMDGPU.csdata,"",@progbits
; Kernel info:
; codeLenInByte = 0
; TotalNumSgprs: 0
; NumVgprs: 0
; ScratchSize: 0
; MemoryBound: 0
; FloatMode: 240
; IeeeMode: 1
; LDSByteSize: 0 bytes/workgroup (compile time only)
; SGPRBlocks: 0
; VGPRBlocks: 0
; NumSGPRsForWavesPerEU: 1
; NumVGPRsForWavesPerEU: 1
; Occupancy: 16
; WaveLimiterHint : 0
; COMPUTE_PGM_RSRC2:SCRATCH_EN: 0
; COMPUTE_PGM_RSRC2:USER_SGPR: 6
; COMPUTE_PGM_RSRC2:TRAP_HANDLER: 0
; COMPUTE_PGM_RSRC2:TGID_X_EN: 1
; COMPUTE_PGM_RSRC2:TGID_Y_EN: 0
; COMPUTE_PGM_RSRC2:TGID_Z_EN: 0
; COMPUTE_PGM_RSRC2:TIDIG_COMP_CNT: 0
	.section	.text._ZN7rocprim17ROCPRIM_400000_NS6detail17trampoline_kernelINS0_14default_configENS1_35radix_sort_onesweep_config_selectorIiiEEZZNS1_29radix_sort_onesweep_iterationIS3_Lb1EN6thrust23THRUST_200600_302600_NS6detail15normal_iteratorINS8_10device_ptrIiEEEESD_SD_SD_jNS0_19identity_decomposerENS1_16block_id_wrapperIjLb0EEEEE10hipError_tT1_PNSt15iterator_traitsISI_E10value_typeET2_T3_PNSJ_ISO_E10value_typeET4_T5_PST_SU_PNS1_23onesweep_lookback_stateEbbT6_jjT7_P12ihipStream_tbENKUlT_T0_SI_SN_E_clIPiSD_S15_SD_EEDaS11_S12_SI_SN_EUlS11_E_NS1_11comp_targetILNS1_3genE10ELNS1_11target_archE1201ELNS1_3gpuE5ELNS1_3repE0EEENS1_47radix_sort_onesweep_sort_config_static_selectorELNS0_4arch9wavefront6targetE0EEEvSI_,"axG",@progbits,_ZN7rocprim17ROCPRIM_400000_NS6detail17trampoline_kernelINS0_14default_configENS1_35radix_sort_onesweep_config_selectorIiiEEZZNS1_29radix_sort_onesweep_iterationIS3_Lb1EN6thrust23THRUST_200600_302600_NS6detail15normal_iteratorINS8_10device_ptrIiEEEESD_SD_SD_jNS0_19identity_decomposerENS1_16block_id_wrapperIjLb0EEEEE10hipError_tT1_PNSt15iterator_traitsISI_E10value_typeET2_T3_PNSJ_ISO_E10value_typeET4_T5_PST_SU_PNS1_23onesweep_lookback_stateEbbT6_jjT7_P12ihipStream_tbENKUlT_T0_SI_SN_E_clIPiSD_S15_SD_EEDaS11_S12_SI_SN_EUlS11_E_NS1_11comp_targetILNS1_3genE10ELNS1_11target_archE1201ELNS1_3gpuE5ELNS1_3repE0EEENS1_47radix_sort_onesweep_sort_config_static_selectorELNS0_4arch9wavefront6targetE0EEEvSI_,comdat
	.protected	_ZN7rocprim17ROCPRIM_400000_NS6detail17trampoline_kernelINS0_14default_configENS1_35radix_sort_onesweep_config_selectorIiiEEZZNS1_29radix_sort_onesweep_iterationIS3_Lb1EN6thrust23THRUST_200600_302600_NS6detail15normal_iteratorINS8_10device_ptrIiEEEESD_SD_SD_jNS0_19identity_decomposerENS1_16block_id_wrapperIjLb0EEEEE10hipError_tT1_PNSt15iterator_traitsISI_E10value_typeET2_T3_PNSJ_ISO_E10value_typeET4_T5_PST_SU_PNS1_23onesweep_lookback_stateEbbT6_jjT7_P12ihipStream_tbENKUlT_T0_SI_SN_E_clIPiSD_S15_SD_EEDaS11_S12_SI_SN_EUlS11_E_NS1_11comp_targetILNS1_3genE10ELNS1_11target_archE1201ELNS1_3gpuE5ELNS1_3repE0EEENS1_47radix_sort_onesweep_sort_config_static_selectorELNS0_4arch9wavefront6targetE0EEEvSI_ ; -- Begin function _ZN7rocprim17ROCPRIM_400000_NS6detail17trampoline_kernelINS0_14default_configENS1_35radix_sort_onesweep_config_selectorIiiEEZZNS1_29radix_sort_onesweep_iterationIS3_Lb1EN6thrust23THRUST_200600_302600_NS6detail15normal_iteratorINS8_10device_ptrIiEEEESD_SD_SD_jNS0_19identity_decomposerENS1_16block_id_wrapperIjLb0EEEEE10hipError_tT1_PNSt15iterator_traitsISI_E10value_typeET2_T3_PNSJ_ISO_E10value_typeET4_T5_PST_SU_PNS1_23onesweep_lookback_stateEbbT6_jjT7_P12ihipStream_tbENKUlT_T0_SI_SN_E_clIPiSD_S15_SD_EEDaS11_S12_SI_SN_EUlS11_E_NS1_11comp_targetILNS1_3genE10ELNS1_11target_archE1201ELNS1_3gpuE5ELNS1_3repE0EEENS1_47radix_sort_onesweep_sort_config_static_selectorELNS0_4arch9wavefront6targetE0EEEvSI_
	.globl	_ZN7rocprim17ROCPRIM_400000_NS6detail17trampoline_kernelINS0_14default_configENS1_35radix_sort_onesweep_config_selectorIiiEEZZNS1_29radix_sort_onesweep_iterationIS3_Lb1EN6thrust23THRUST_200600_302600_NS6detail15normal_iteratorINS8_10device_ptrIiEEEESD_SD_SD_jNS0_19identity_decomposerENS1_16block_id_wrapperIjLb0EEEEE10hipError_tT1_PNSt15iterator_traitsISI_E10value_typeET2_T3_PNSJ_ISO_E10value_typeET4_T5_PST_SU_PNS1_23onesweep_lookback_stateEbbT6_jjT7_P12ihipStream_tbENKUlT_T0_SI_SN_E_clIPiSD_S15_SD_EEDaS11_S12_SI_SN_EUlS11_E_NS1_11comp_targetILNS1_3genE10ELNS1_11target_archE1201ELNS1_3gpuE5ELNS1_3repE0EEENS1_47radix_sort_onesweep_sort_config_static_selectorELNS0_4arch9wavefront6targetE0EEEvSI_
	.p2align	8
	.type	_ZN7rocprim17ROCPRIM_400000_NS6detail17trampoline_kernelINS0_14default_configENS1_35radix_sort_onesweep_config_selectorIiiEEZZNS1_29radix_sort_onesweep_iterationIS3_Lb1EN6thrust23THRUST_200600_302600_NS6detail15normal_iteratorINS8_10device_ptrIiEEEESD_SD_SD_jNS0_19identity_decomposerENS1_16block_id_wrapperIjLb0EEEEE10hipError_tT1_PNSt15iterator_traitsISI_E10value_typeET2_T3_PNSJ_ISO_E10value_typeET4_T5_PST_SU_PNS1_23onesweep_lookback_stateEbbT6_jjT7_P12ihipStream_tbENKUlT_T0_SI_SN_E_clIPiSD_S15_SD_EEDaS11_S12_SI_SN_EUlS11_E_NS1_11comp_targetILNS1_3genE10ELNS1_11target_archE1201ELNS1_3gpuE5ELNS1_3repE0EEENS1_47radix_sort_onesweep_sort_config_static_selectorELNS0_4arch9wavefront6targetE0EEEvSI_,@function
_ZN7rocprim17ROCPRIM_400000_NS6detail17trampoline_kernelINS0_14default_configENS1_35radix_sort_onesweep_config_selectorIiiEEZZNS1_29radix_sort_onesweep_iterationIS3_Lb1EN6thrust23THRUST_200600_302600_NS6detail15normal_iteratorINS8_10device_ptrIiEEEESD_SD_SD_jNS0_19identity_decomposerENS1_16block_id_wrapperIjLb0EEEEE10hipError_tT1_PNSt15iterator_traitsISI_E10value_typeET2_T3_PNSJ_ISO_E10value_typeET4_T5_PST_SU_PNS1_23onesweep_lookback_stateEbbT6_jjT7_P12ihipStream_tbENKUlT_T0_SI_SN_E_clIPiSD_S15_SD_EEDaS11_S12_SI_SN_EUlS11_E_NS1_11comp_targetILNS1_3genE10ELNS1_11target_archE1201ELNS1_3gpuE5ELNS1_3repE0EEENS1_47radix_sort_onesweep_sort_config_static_selectorELNS0_4arch9wavefront6targetE0EEEvSI_: ; @_ZN7rocprim17ROCPRIM_400000_NS6detail17trampoline_kernelINS0_14default_configENS1_35radix_sort_onesweep_config_selectorIiiEEZZNS1_29radix_sort_onesweep_iterationIS3_Lb1EN6thrust23THRUST_200600_302600_NS6detail15normal_iteratorINS8_10device_ptrIiEEEESD_SD_SD_jNS0_19identity_decomposerENS1_16block_id_wrapperIjLb0EEEEE10hipError_tT1_PNSt15iterator_traitsISI_E10value_typeET2_T3_PNSJ_ISO_E10value_typeET4_T5_PST_SU_PNS1_23onesweep_lookback_stateEbbT6_jjT7_P12ihipStream_tbENKUlT_T0_SI_SN_E_clIPiSD_S15_SD_EEDaS11_S12_SI_SN_EUlS11_E_NS1_11comp_targetILNS1_3genE10ELNS1_11target_archE1201ELNS1_3gpuE5ELNS1_3repE0EEENS1_47radix_sort_onesweep_sort_config_static_selectorELNS0_4arch9wavefront6targetE0EEEvSI_
; %bb.0:
	.section	.rodata,"a",@progbits
	.p2align	6, 0x0
	.amdhsa_kernel _ZN7rocprim17ROCPRIM_400000_NS6detail17trampoline_kernelINS0_14default_configENS1_35radix_sort_onesweep_config_selectorIiiEEZZNS1_29radix_sort_onesweep_iterationIS3_Lb1EN6thrust23THRUST_200600_302600_NS6detail15normal_iteratorINS8_10device_ptrIiEEEESD_SD_SD_jNS0_19identity_decomposerENS1_16block_id_wrapperIjLb0EEEEE10hipError_tT1_PNSt15iterator_traitsISI_E10value_typeET2_T3_PNSJ_ISO_E10value_typeET4_T5_PST_SU_PNS1_23onesweep_lookback_stateEbbT6_jjT7_P12ihipStream_tbENKUlT_T0_SI_SN_E_clIPiSD_S15_SD_EEDaS11_S12_SI_SN_EUlS11_E_NS1_11comp_targetILNS1_3genE10ELNS1_11target_archE1201ELNS1_3gpuE5ELNS1_3repE0EEENS1_47radix_sort_onesweep_sort_config_static_selectorELNS0_4arch9wavefront6targetE0EEEvSI_
		.amdhsa_group_segment_fixed_size 0
		.amdhsa_private_segment_fixed_size 0
		.amdhsa_kernarg_size 88
		.amdhsa_user_sgpr_count 6
		.amdhsa_user_sgpr_private_segment_buffer 1
		.amdhsa_user_sgpr_dispatch_ptr 0
		.amdhsa_user_sgpr_queue_ptr 0
		.amdhsa_user_sgpr_kernarg_segment_ptr 1
		.amdhsa_user_sgpr_dispatch_id 0
		.amdhsa_user_sgpr_flat_scratch_init 0
		.amdhsa_user_sgpr_private_segment_size 0
		.amdhsa_wavefront_size32 1
		.amdhsa_uses_dynamic_stack 0
		.amdhsa_system_sgpr_private_segment_wavefront_offset 0
		.amdhsa_system_sgpr_workgroup_id_x 1
		.amdhsa_system_sgpr_workgroup_id_y 0
		.amdhsa_system_sgpr_workgroup_id_z 0
		.amdhsa_system_sgpr_workgroup_info 0
		.amdhsa_system_vgpr_workitem_id 0
		.amdhsa_next_free_vgpr 1
		.amdhsa_next_free_sgpr 1
		.amdhsa_reserve_vcc 0
		.amdhsa_reserve_flat_scratch 0
		.amdhsa_float_round_mode_32 0
		.amdhsa_float_round_mode_16_64 0
		.amdhsa_float_denorm_mode_32 3
		.amdhsa_float_denorm_mode_16_64 3
		.amdhsa_dx10_clamp 1
		.amdhsa_ieee_mode 1
		.amdhsa_fp16_overflow 0
		.amdhsa_workgroup_processor_mode 1
		.amdhsa_memory_ordered 1
		.amdhsa_forward_progress 1
		.amdhsa_shared_vgpr_count 0
		.amdhsa_exception_fp_ieee_invalid_op 0
		.amdhsa_exception_fp_denorm_src 0
		.amdhsa_exception_fp_ieee_div_zero 0
		.amdhsa_exception_fp_ieee_overflow 0
		.amdhsa_exception_fp_ieee_underflow 0
		.amdhsa_exception_fp_ieee_inexact 0
		.amdhsa_exception_int_div_zero 0
	.end_amdhsa_kernel
	.section	.text._ZN7rocprim17ROCPRIM_400000_NS6detail17trampoline_kernelINS0_14default_configENS1_35radix_sort_onesweep_config_selectorIiiEEZZNS1_29radix_sort_onesweep_iterationIS3_Lb1EN6thrust23THRUST_200600_302600_NS6detail15normal_iteratorINS8_10device_ptrIiEEEESD_SD_SD_jNS0_19identity_decomposerENS1_16block_id_wrapperIjLb0EEEEE10hipError_tT1_PNSt15iterator_traitsISI_E10value_typeET2_T3_PNSJ_ISO_E10value_typeET4_T5_PST_SU_PNS1_23onesweep_lookback_stateEbbT6_jjT7_P12ihipStream_tbENKUlT_T0_SI_SN_E_clIPiSD_S15_SD_EEDaS11_S12_SI_SN_EUlS11_E_NS1_11comp_targetILNS1_3genE10ELNS1_11target_archE1201ELNS1_3gpuE5ELNS1_3repE0EEENS1_47radix_sort_onesweep_sort_config_static_selectorELNS0_4arch9wavefront6targetE0EEEvSI_,"axG",@progbits,_ZN7rocprim17ROCPRIM_400000_NS6detail17trampoline_kernelINS0_14default_configENS1_35radix_sort_onesweep_config_selectorIiiEEZZNS1_29radix_sort_onesweep_iterationIS3_Lb1EN6thrust23THRUST_200600_302600_NS6detail15normal_iteratorINS8_10device_ptrIiEEEESD_SD_SD_jNS0_19identity_decomposerENS1_16block_id_wrapperIjLb0EEEEE10hipError_tT1_PNSt15iterator_traitsISI_E10value_typeET2_T3_PNSJ_ISO_E10value_typeET4_T5_PST_SU_PNS1_23onesweep_lookback_stateEbbT6_jjT7_P12ihipStream_tbENKUlT_T0_SI_SN_E_clIPiSD_S15_SD_EEDaS11_S12_SI_SN_EUlS11_E_NS1_11comp_targetILNS1_3genE10ELNS1_11target_archE1201ELNS1_3gpuE5ELNS1_3repE0EEENS1_47radix_sort_onesweep_sort_config_static_selectorELNS0_4arch9wavefront6targetE0EEEvSI_,comdat
.Lfunc_end1050:
	.size	_ZN7rocprim17ROCPRIM_400000_NS6detail17trampoline_kernelINS0_14default_configENS1_35radix_sort_onesweep_config_selectorIiiEEZZNS1_29radix_sort_onesweep_iterationIS3_Lb1EN6thrust23THRUST_200600_302600_NS6detail15normal_iteratorINS8_10device_ptrIiEEEESD_SD_SD_jNS0_19identity_decomposerENS1_16block_id_wrapperIjLb0EEEEE10hipError_tT1_PNSt15iterator_traitsISI_E10value_typeET2_T3_PNSJ_ISO_E10value_typeET4_T5_PST_SU_PNS1_23onesweep_lookback_stateEbbT6_jjT7_P12ihipStream_tbENKUlT_T0_SI_SN_E_clIPiSD_S15_SD_EEDaS11_S12_SI_SN_EUlS11_E_NS1_11comp_targetILNS1_3genE10ELNS1_11target_archE1201ELNS1_3gpuE5ELNS1_3repE0EEENS1_47radix_sort_onesweep_sort_config_static_selectorELNS0_4arch9wavefront6targetE0EEEvSI_, .Lfunc_end1050-_ZN7rocprim17ROCPRIM_400000_NS6detail17trampoline_kernelINS0_14default_configENS1_35radix_sort_onesweep_config_selectorIiiEEZZNS1_29radix_sort_onesweep_iterationIS3_Lb1EN6thrust23THRUST_200600_302600_NS6detail15normal_iteratorINS8_10device_ptrIiEEEESD_SD_SD_jNS0_19identity_decomposerENS1_16block_id_wrapperIjLb0EEEEE10hipError_tT1_PNSt15iterator_traitsISI_E10value_typeET2_T3_PNSJ_ISO_E10value_typeET4_T5_PST_SU_PNS1_23onesweep_lookback_stateEbbT6_jjT7_P12ihipStream_tbENKUlT_T0_SI_SN_E_clIPiSD_S15_SD_EEDaS11_S12_SI_SN_EUlS11_E_NS1_11comp_targetILNS1_3genE10ELNS1_11target_archE1201ELNS1_3gpuE5ELNS1_3repE0EEENS1_47radix_sort_onesweep_sort_config_static_selectorELNS0_4arch9wavefront6targetE0EEEvSI_
                                        ; -- End function
	.set _ZN7rocprim17ROCPRIM_400000_NS6detail17trampoline_kernelINS0_14default_configENS1_35radix_sort_onesweep_config_selectorIiiEEZZNS1_29radix_sort_onesweep_iterationIS3_Lb1EN6thrust23THRUST_200600_302600_NS6detail15normal_iteratorINS8_10device_ptrIiEEEESD_SD_SD_jNS0_19identity_decomposerENS1_16block_id_wrapperIjLb0EEEEE10hipError_tT1_PNSt15iterator_traitsISI_E10value_typeET2_T3_PNSJ_ISO_E10value_typeET4_T5_PST_SU_PNS1_23onesweep_lookback_stateEbbT6_jjT7_P12ihipStream_tbENKUlT_T0_SI_SN_E_clIPiSD_S15_SD_EEDaS11_S12_SI_SN_EUlS11_E_NS1_11comp_targetILNS1_3genE10ELNS1_11target_archE1201ELNS1_3gpuE5ELNS1_3repE0EEENS1_47radix_sort_onesweep_sort_config_static_selectorELNS0_4arch9wavefront6targetE0EEEvSI_.num_vgpr, 0
	.set _ZN7rocprim17ROCPRIM_400000_NS6detail17trampoline_kernelINS0_14default_configENS1_35radix_sort_onesweep_config_selectorIiiEEZZNS1_29radix_sort_onesweep_iterationIS3_Lb1EN6thrust23THRUST_200600_302600_NS6detail15normal_iteratorINS8_10device_ptrIiEEEESD_SD_SD_jNS0_19identity_decomposerENS1_16block_id_wrapperIjLb0EEEEE10hipError_tT1_PNSt15iterator_traitsISI_E10value_typeET2_T3_PNSJ_ISO_E10value_typeET4_T5_PST_SU_PNS1_23onesweep_lookback_stateEbbT6_jjT7_P12ihipStream_tbENKUlT_T0_SI_SN_E_clIPiSD_S15_SD_EEDaS11_S12_SI_SN_EUlS11_E_NS1_11comp_targetILNS1_3genE10ELNS1_11target_archE1201ELNS1_3gpuE5ELNS1_3repE0EEENS1_47radix_sort_onesweep_sort_config_static_selectorELNS0_4arch9wavefront6targetE0EEEvSI_.num_agpr, 0
	.set _ZN7rocprim17ROCPRIM_400000_NS6detail17trampoline_kernelINS0_14default_configENS1_35radix_sort_onesweep_config_selectorIiiEEZZNS1_29radix_sort_onesweep_iterationIS3_Lb1EN6thrust23THRUST_200600_302600_NS6detail15normal_iteratorINS8_10device_ptrIiEEEESD_SD_SD_jNS0_19identity_decomposerENS1_16block_id_wrapperIjLb0EEEEE10hipError_tT1_PNSt15iterator_traitsISI_E10value_typeET2_T3_PNSJ_ISO_E10value_typeET4_T5_PST_SU_PNS1_23onesweep_lookback_stateEbbT6_jjT7_P12ihipStream_tbENKUlT_T0_SI_SN_E_clIPiSD_S15_SD_EEDaS11_S12_SI_SN_EUlS11_E_NS1_11comp_targetILNS1_3genE10ELNS1_11target_archE1201ELNS1_3gpuE5ELNS1_3repE0EEENS1_47radix_sort_onesweep_sort_config_static_selectorELNS0_4arch9wavefront6targetE0EEEvSI_.numbered_sgpr, 0
	.set _ZN7rocprim17ROCPRIM_400000_NS6detail17trampoline_kernelINS0_14default_configENS1_35radix_sort_onesweep_config_selectorIiiEEZZNS1_29radix_sort_onesweep_iterationIS3_Lb1EN6thrust23THRUST_200600_302600_NS6detail15normal_iteratorINS8_10device_ptrIiEEEESD_SD_SD_jNS0_19identity_decomposerENS1_16block_id_wrapperIjLb0EEEEE10hipError_tT1_PNSt15iterator_traitsISI_E10value_typeET2_T3_PNSJ_ISO_E10value_typeET4_T5_PST_SU_PNS1_23onesweep_lookback_stateEbbT6_jjT7_P12ihipStream_tbENKUlT_T0_SI_SN_E_clIPiSD_S15_SD_EEDaS11_S12_SI_SN_EUlS11_E_NS1_11comp_targetILNS1_3genE10ELNS1_11target_archE1201ELNS1_3gpuE5ELNS1_3repE0EEENS1_47radix_sort_onesweep_sort_config_static_selectorELNS0_4arch9wavefront6targetE0EEEvSI_.num_named_barrier, 0
	.set _ZN7rocprim17ROCPRIM_400000_NS6detail17trampoline_kernelINS0_14default_configENS1_35radix_sort_onesweep_config_selectorIiiEEZZNS1_29radix_sort_onesweep_iterationIS3_Lb1EN6thrust23THRUST_200600_302600_NS6detail15normal_iteratorINS8_10device_ptrIiEEEESD_SD_SD_jNS0_19identity_decomposerENS1_16block_id_wrapperIjLb0EEEEE10hipError_tT1_PNSt15iterator_traitsISI_E10value_typeET2_T3_PNSJ_ISO_E10value_typeET4_T5_PST_SU_PNS1_23onesweep_lookback_stateEbbT6_jjT7_P12ihipStream_tbENKUlT_T0_SI_SN_E_clIPiSD_S15_SD_EEDaS11_S12_SI_SN_EUlS11_E_NS1_11comp_targetILNS1_3genE10ELNS1_11target_archE1201ELNS1_3gpuE5ELNS1_3repE0EEENS1_47radix_sort_onesweep_sort_config_static_selectorELNS0_4arch9wavefront6targetE0EEEvSI_.private_seg_size, 0
	.set _ZN7rocprim17ROCPRIM_400000_NS6detail17trampoline_kernelINS0_14default_configENS1_35radix_sort_onesweep_config_selectorIiiEEZZNS1_29radix_sort_onesweep_iterationIS3_Lb1EN6thrust23THRUST_200600_302600_NS6detail15normal_iteratorINS8_10device_ptrIiEEEESD_SD_SD_jNS0_19identity_decomposerENS1_16block_id_wrapperIjLb0EEEEE10hipError_tT1_PNSt15iterator_traitsISI_E10value_typeET2_T3_PNSJ_ISO_E10value_typeET4_T5_PST_SU_PNS1_23onesweep_lookback_stateEbbT6_jjT7_P12ihipStream_tbENKUlT_T0_SI_SN_E_clIPiSD_S15_SD_EEDaS11_S12_SI_SN_EUlS11_E_NS1_11comp_targetILNS1_3genE10ELNS1_11target_archE1201ELNS1_3gpuE5ELNS1_3repE0EEENS1_47radix_sort_onesweep_sort_config_static_selectorELNS0_4arch9wavefront6targetE0EEEvSI_.uses_vcc, 0
	.set _ZN7rocprim17ROCPRIM_400000_NS6detail17trampoline_kernelINS0_14default_configENS1_35radix_sort_onesweep_config_selectorIiiEEZZNS1_29radix_sort_onesweep_iterationIS3_Lb1EN6thrust23THRUST_200600_302600_NS6detail15normal_iteratorINS8_10device_ptrIiEEEESD_SD_SD_jNS0_19identity_decomposerENS1_16block_id_wrapperIjLb0EEEEE10hipError_tT1_PNSt15iterator_traitsISI_E10value_typeET2_T3_PNSJ_ISO_E10value_typeET4_T5_PST_SU_PNS1_23onesweep_lookback_stateEbbT6_jjT7_P12ihipStream_tbENKUlT_T0_SI_SN_E_clIPiSD_S15_SD_EEDaS11_S12_SI_SN_EUlS11_E_NS1_11comp_targetILNS1_3genE10ELNS1_11target_archE1201ELNS1_3gpuE5ELNS1_3repE0EEENS1_47radix_sort_onesweep_sort_config_static_selectorELNS0_4arch9wavefront6targetE0EEEvSI_.uses_flat_scratch, 0
	.set _ZN7rocprim17ROCPRIM_400000_NS6detail17trampoline_kernelINS0_14default_configENS1_35radix_sort_onesweep_config_selectorIiiEEZZNS1_29radix_sort_onesweep_iterationIS3_Lb1EN6thrust23THRUST_200600_302600_NS6detail15normal_iteratorINS8_10device_ptrIiEEEESD_SD_SD_jNS0_19identity_decomposerENS1_16block_id_wrapperIjLb0EEEEE10hipError_tT1_PNSt15iterator_traitsISI_E10value_typeET2_T3_PNSJ_ISO_E10value_typeET4_T5_PST_SU_PNS1_23onesweep_lookback_stateEbbT6_jjT7_P12ihipStream_tbENKUlT_T0_SI_SN_E_clIPiSD_S15_SD_EEDaS11_S12_SI_SN_EUlS11_E_NS1_11comp_targetILNS1_3genE10ELNS1_11target_archE1201ELNS1_3gpuE5ELNS1_3repE0EEENS1_47radix_sort_onesweep_sort_config_static_selectorELNS0_4arch9wavefront6targetE0EEEvSI_.has_dyn_sized_stack, 0
	.set _ZN7rocprim17ROCPRIM_400000_NS6detail17trampoline_kernelINS0_14default_configENS1_35radix_sort_onesweep_config_selectorIiiEEZZNS1_29radix_sort_onesweep_iterationIS3_Lb1EN6thrust23THRUST_200600_302600_NS6detail15normal_iteratorINS8_10device_ptrIiEEEESD_SD_SD_jNS0_19identity_decomposerENS1_16block_id_wrapperIjLb0EEEEE10hipError_tT1_PNSt15iterator_traitsISI_E10value_typeET2_T3_PNSJ_ISO_E10value_typeET4_T5_PST_SU_PNS1_23onesweep_lookback_stateEbbT6_jjT7_P12ihipStream_tbENKUlT_T0_SI_SN_E_clIPiSD_S15_SD_EEDaS11_S12_SI_SN_EUlS11_E_NS1_11comp_targetILNS1_3genE10ELNS1_11target_archE1201ELNS1_3gpuE5ELNS1_3repE0EEENS1_47radix_sort_onesweep_sort_config_static_selectorELNS0_4arch9wavefront6targetE0EEEvSI_.has_recursion, 0
	.set _ZN7rocprim17ROCPRIM_400000_NS6detail17trampoline_kernelINS0_14default_configENS1_35radix_sort_onesweep_config_selectorIiiEEZZNS1_29radix_sort_onesweep_iterationIS3_Lb1EN6thrust23THRUST_200600_302600_NS6detail15normal_iteratorINS8_10device_ptrIiEEEESD_SD_SD_jNS0_19identity_decomposerENS1_16block_id_wrapperIjLb0EEEEE10hipError_tT1_PNSt15iterator_traitsISI_E10value_typeET2_T3_PNSJ_ISO_E10value_typeET4_T5_PST_SU_PNS1_23onesweep_lookback_stateEbbT6_jjT7_P12ihipStream_tbENKUlT_T0_SI_SN_E_clIPiSD_S15_SD_EEDaS11_S12_SI_SN_EUlS11_E_NS1_11comp_targetILNS1_3genE10ELNS1_11target_archE1201ELNS1_3gpuE5ELNS1_3repE0EEENS1_47radix_sort_onesweep_sort_config_static_selectorELNS0_4arch9wavefront6targetE0EEEvSI_.has_indirect_call, 0
	.section	.AMDGPU.csdata,"",@progbits
; Kernel info:
; codeLenInByte = 0
; TotalNumSgprs: 0
; NumVgprs: 0
; ScratchSize: 0
; MemoryBound: 0
; FloatMode: 240
; IeeeMode: 1
; LDSByteSize: 0 bytes/workgroup (compile time only)
; SGPRBlocks: 0
; VGPRBlocks: 0
; NumSGPRsForWavesPerEU: 1
; NumVGPRsForWavesPerEU: 1
; Occupancy: 16
; WaveLimiterHint : 0
; COMPUTE_PGM_RSRC2:SCRATCH_EN: 0
; COMPUTE_PGM_RSRC2:USER_SGPR: 6
; COMPUTE_PGM_RSRC2:TRAP_HANDLER: 0
; COMPUTE_PGM_RSRC2:TGID_X_EN: 1
; COMPUTE_PGM_RSRC2:TGID_Y_EN: 0
; COMPUTE_PGM_RSRC2:TGID_Z_EN: 0
; COMPUTE_PGM_RSRC2:TIDIG_COMP_CNT: 0
	.section	.text._ZN7rocprim17ROCPRIM_400000_NS6detail17trampoline_kernelINS0_14default_configENS1_35radix_sort_onesweep_config_selectorIiiEEZZNS1_29radix_sort_onesweep_iterationIS3_Lb1EN6thrust23THRUST_200600_302600_NS6detail15normal_iteratorINS8_10device_ptrIiEEEESD_SD_SD_jNS0_19identity_decomposerENS1_16block_id_wrapperIjLb0EEEEE10hipError_tT1_PNSt15iterator_traitsISI_E10value_typeET2_T3_PNSJ_ISO_E10value_typeET4_T5_PST_SU_PNS1_23onesweep_lookback_stateEbbT6_jjT7_P12ihipStream_tbENKUlT_T0_SI_SN_E_clIPiSD_S15_SD_EEDaS11_S12_SI_SN_EUlS11_E_NS1_11comp_targetILNS1_3genE9ELNS1_11target_archE1100ELNS1_3gpuE3ELNS1_3repE0EEENS1_47radix_sort_onesweep_sort_config_static_selectorELNS0_4arch9wavefront6targetE0EEEvSI_,"axG",@progbits,_ZN7rocprim17ROCPRIM_400000_NS6detail17trampoline_kernelINS0_14default_configENS1_35radix_sort_onesweep_config_selectorIiiEEZZNS1_29radix_sort_onesweep_iterationIS3_Lb1EN6thrust23THRUST_200600_302600_NS6detail15normal_iteratorINS8_10device_ptrIiEEEESD_SD_SD_jNS0_19identity_decomposerENS1_16block_id_wrapperIjLb0EEEEE10hipError_tT1_PNSt15iterator_traitsISI_E10value_typeET2_T3_PNSJ_ISO_E10value_typeET4_T5_PST_SU_PNS1_23onesweep_lookback_stateEbbT6_jjT7_P12ihipStream_tbENKUlT_T0_SI_SN_E_clIPiSD_S15_SD_EEDaS11_S12_SI_SN_EUlS11_E_NS1_11comp_targetILNS1_3genE9ELNS1_11target_archE1100ELNS1_3gpuE3ELNS1_3repE0EEENS1_47radix_sort_onesweep_sort_config_static_selectorELNS0_4arch9wavefront6targetE0EEEvSI_,comdat
	.protected	_ZN7rocprim17ROCPRIM_400000_NS6detail17trampoline_kernelINS0_14default_configENS1_35radix_sort_onesweep_config_selectorIiiEEZZNS1_29radix_sort_onesweep_iterationIS3_Lb1EN6thrust23THRUST_200600_302600_NS6detail15normal_iteratorINS8_10device_ptrIiEEEESD_SD_SD_jNS0_19identity_decomposerENS1_16block_id_wrapperIjLb0EEEEE10hipError_tT1_PNSt15iterator_traitsISI_E10value_typeET2_T3_PNSJ_ISO_E10value_typeET4_T5_PST_SU_PNS1_23onesweep_lookback_stateEbbT6_jjT7_P12ihipStream_tbENKUlT_T0_SI_SN_E_clIPiSD_S15_SD_EEDaS11_S12_SI_SN_EUlS11_E_NS1_11comp_targetILNS1_3genE9ELNS1_11target_archE1100ELNS1_3gpuE3ELNS1_3repE0EEENS1_47radix_sort_onesweep_sort_config_static_selectorELNS0_4arch9wavefront6targetE0EEEvSI_ ; -- Begin function _ZN7rocprim17ROCPRIM_400000_NS6detail17trampoline_kernelINS0_14default_configENS1_35radix_sort_onesweep_config_selectorIiiEEZZNS1_29radix_sort_onesweep_iterationIS3_Lb1EN6thrust23THRUST_200600_302600_NS6detail15normal_iteratorINS8_10device_ptrIiEEEESD_SD_SD_jNS0_19identity_decomposerENS1_16block_id_wrapperIjLb0EEEEE10hipError_tT1_PNSt15iterator_traitsISI_E10value_typeET2_T3_PNSJ_ISO_E10value_typeET4_T5_PST_SU_PNS1_23onesweep_lookback_stateEbbT6_jjT7_P12ihipStream_tbENKUlT_T0_SI_SN_E_clIPiSD_S15_SD_EEDaS11_S12_SI_SN_EUlS11_E_NS1_11comp_targetILNS1_3genE9ELNS1_11target_archE1100ELNS1_3gpuE3ELNS1_3repE0EEENS1_47radix_sort_onesweep_sort_config_static_selectorELNS0_4arch9wavefront6targetE0EEEvSI_
	.globl	_ZN7rocprim17ROCPRIM_400000_NS6detail17trampoline_kernelINS0_14default_configENS1_35radix_sort_onesweep_config_selectorIiiEEZZNS1_29radix_sort_onesweep_iterationIS3_Lb1EN6thrust23THRUST_200600_302600_NS6detail15normal_iteratorINS8_10device_ptrIiEEEESD_SD_SD_jNS0_19identity_decomposerENS1_16block_id_wrapperIjLb0EEEEE10hipError_tT1_PNSt15iterator_traitsISI_E10value_typeET2_T3_PNSJ_ISO_E10value_typeET4_T5_PST_SU_PNS1_23onesweep_lookback_stateEbbT6_jjT7_P12ihipStream_tbENKUlT_T0_SI_SN_E_clIPiSD_S15_SD_EEDaS11_S12_SI_SN_EUlS11_E_NS1_11comp_targetILNS1_3genE9ELNS1_11target_archE1100ELNS1_3gpuE3ELNS1_3repE0EEENS1_47radix_sort_onesweep_sort_config_static_selectorELNS0_4arch9wavefront6targetE0EEEvSI_
	.p2align	8
	.type	_ZN7rocprim17ROCPRIM_400000_NS6detail17trampoline_kernelINS0_14default_configENS1_35radix_sort_onesweep_config_selectorIiiEEZZNS1_29radix_sort_onesweep_iterationIS3_Lb1EN6thrust23THRUST_200600_302600_NS6detail15normal_iteratorINS8_10device_ptrIiEEEESD_SD_SD_jNS0_19identity_decomposerENS1_16block_id_wrapperIjLb0EEEEE10hipError_tT1_PNSt15iterator_traitsISI_E10value_typeET2_T3_PNSJ_ISO_E10value_typeET4_T5_PST_SU_PNS1_23onesweep_lookback_stateEbbT6_jjT7_P12ihipStream_tbENKUlT_T0_SI_SN_E_clIPiSD_S15_SD_EEDaS11_S12_SI_SN_EUlS11_E_NS1_11comp_targetILNS1_3genE9ELNS1_11target_archE1100ELNS1_3gpuE3ELNS1_3repE0EEENS1_47radix_sort_onesweep_sort_config_static_selectorELNS0_4arch9wavefront6targetE0EEEvSI_,@function
_ZN7rocprim17ROCPRIM_400000_NS6detail17trampoline_kernelINS0_14default_configENS1_35radix_sort_onesweep_config_selectorIiiEEZZNS1_29radix_sort_onesweep_iterationIS3_Lb1EN6thrust23THRUST_200600_302600_NS6detail15normal_iteratorINS8_10device_ptrIiEEEESD_SD_SD_jNS0_19identity_decomposerENS1_16block_id_wrapperIjLb0EEEEE10hipError_tT1_PNSt15iterator_traitsISI_E10value_typeET2_T3_PNSJ_ISO_E10value_typeET4_T5_PST_SU_PNS1_23onesweep_lookback_stateEbbT6_jjT7_P12ihipStream_tbENKUlT_T0_SI_SN_E_clIPiSD_S15_SD_EEDaS11_S12_SI_SN_EUlS11_E_NS1_11comp_targetILNS1_3genE9ELNS1_11target_archE1100ELNS1_3gpuE3ELNS1_3repE0EEENS1_47radix_sort_onesweep_sort_config_static_selectorELNS0_4arch9wavefront6targetE0EEEvSI_: ; @_ZN7rocprim17ROCPRIM_400000_NS6detail17trampoline_kernelINS0_14default_configENS1_35radix_sort_onesweep_config_selectorIiiEEZZNS1_29radix_sort_onesweep_iterationIS3_Lb1EN6thrust23THRUST_200600_302600_NS6detail15normal_iteratorINS8_10device_ptrIiEEEESD_SD_SD_jNS0_19identity_decomposerENS1_16block_id_wrapperIjLb0EEEEE10hipError_tT1_PNSt15iterator_traitsISI_E10value_typeET2_T3_PNSJ_ISO_E10value_typeET4_T5_PST_SU_PNS1_23onesweep_lookback_stateEbbT6_jjT7_P12ihipStream_tbENKUlT_T0_SI_SN_E_clIPiSD_S15_SD_EEDaS11_S12_SI_SN_EUlS11_E_NS1_11comp_targetILNS1_3genE9ELNS1_11target_archE1100ELNS1_3gpuE3ELNS1_3repE0EEENS1_47radix_sort_onesweep_sort_config_static_selectorELNS0_4arch9wavefront6targetE0EEEvSI_
; %bb.0:
	.section	.rodata,"a",@progbits
	.p2align	6, 0x0
	.amdhsa_kernel _ZN7rocprim17ROCPRIM_400000_NS6detail17trampoline_kernelINS0_14default_configENS1_35radix_sort_onesweep_config_selectorIiiEEZZNS1_29radix_sort_onesweep_iterationIS3_Lb1EN6thrust23THRUST_200600_302600_NS6detail15normal_iteratorINS8_10device_ptrIiEEEESD_SD_SD_jNS0_19identity_decomposerENS1_16block_id_wrapperIjLb0EEEEE10hipError_tT1_PNSt15iterator_traitsISI_E10value_typeET2_T3_PNSJ_ISO_E10value_typeET4_T5_PST_SU_PNS1_23onesweep_lookback_stateEbbT6_jjT7_P12ihipStream_tbENKUlT_T0_SI_SN_E_clIPiSD_S15_SD_EEDaS11_S12_SI_SN_EUlS11_E_NS1_11comp_targetILNS1_3genE9ELNS1_11target_archE1100ELNS1_3gpuE3ELNS1_3repE0EEENS1_47radix_sort_onesweep_sort_config_static_selectorELNS0_4arch9wavefront6targetE0EEEvSI_
		.amdhsa_group_segment_fixed_size 0
		.amdhsa_private_segment_fixed_size 0
		.amdhsa_kernarg_size 88
		.amdhsa_user_sgpr_count 6
		.amdhsa_user_sgpr_private_segment_buffer 1
		.amdhsa_user_sgpr_dispatch_ptr 0
		.amdhsa_user_sgpr_queue_ptr 0
		.amdhsa_user_sgpr_kernarg_segment_ptr 1
		.amdhsa_user_sgpr_dispatch_id 0
		.amdhsa_user_sgpr_flat_scratch_init 0
		.amdhsa_user_sgpr_private_segment_size 0
		.amdhsa_wavefront_size32 1
		.amdhsa_uses_dynamic_stack 0
		.amdhsa_system_sgpr_private_segment_wavefront_offset 0
		.amdhsa_system_sgpr_workgroup_id_x 1
		.amdhsa_system_sgpr_workgroup_id_y 0
		.amdhsa_system_sgpr_workgroup_id_z 0
		.amdhsa_system_sgpr_workgroup_info 0
		.amdhsa_system_vgpr_workitem_id 0
		.amdhsa_next_free_vgpr 1
		.amdhsa_next_free_sgpr 1
		.amdhsa_reserve_vcc 0
		.amdhsa_reserve_flat_scratch 0
		.amdhsa_float_round_mode_32 0
		.amdhsa_float_round_mode_16_64 0
		.amdhsa_float_denorm_mode_32 3
		.amdhsa_float_denorm_mode_16_64 3
		.amdhsa_dx10_clamp 1
		.amdhsa_ieee_mode 1
		.amdhsa_fp16_overflow 0
		.amdhsa_workgroup_processor_mode 1
		.amdhsa_memory_ordered 1
		.amdhsa_forward_progress 1
		.amdhsa_shared_vgpr_count 0
		.amdhsa_exception_fp_ieee_invalid_op 0
		.amdhsa_exception_fp_denorm_src 0
		.amdhsa_exception_fp_ieee_div_zero 0
		.amdhsa_exception_fp_ieee_overflow 0
		.amdhsa_exception_fp_ieee_underflow 0
		.amdhsa_exception_fp_ieee_inexact 0
		.amdhsa_exception_int_div_zero 0
	.end_amdhsa_kernel
	.section	.text._ZN7rocprim17ROCPRIM_400000_NS6detail17trampoline_kernelINS0_14default_configENS1_35radix_sort_onesweep_config_selectorIiiEEZZNS1_29radix_sort_onesweep_iterationIS3_Lb1EN6thrust23THRUST_200600_302600_NS6detail15normal_iteratorINS8_10device_ptrIiEEEESD_SD_SD_jNS0_19identity_decomposerENS1_16block_id_wrapperIjLb0EEEEE10hipError_tT1_PNSt15iterator_traitsISI_E10value_typeET2_T3_PNSJ_ISO_E10value_typeET4_T5_PST_SU_PNS1_23onesweep_lookback_stateEbbT6_jjT7_P12ihipStream_tbENKUlT_T0_SI_SN_E_clIPiSD_S15_SD_EEDaS11_S12_SI_SN_EUlS11_E_NS1_11comp_targetILNS1_3genE9ELNS1_11target_archE1100ELNS1_3gpuE3ELNS1_3repE0EEENS1_47radix_sort_onesweep_sort_config_static_selectorELNS0_4arch9wavefront6targetE0EEEvSI_,"axG",@progbits,_ZN7rocprim17ROCPRIM_400000_NS6detail17trampoline_kernelINS0_14default_configENS1_35radix_sort_onesweep_config_selectorIiiEEZZNS1_29radix_sort_onesweep_iterationIS3_Lb1EN6thrust23THRUST_200600_302600_NS6detail15normal_iteratorINS8_10device_ptrIiEEEESD_SD_SD_jNS0_19identity_decomposerENS1_16block_id_wrapperIjLb0EEEEE10hipError_tT1_PNSt15iterator_traitsISI_E10value_typeET2_T3_PNSJ_ISO_E10value_typeET4_T5_PST_SU_PNS1_23onesweep_lookback_stateEbbT6_jjT7_P12ihipStream_tbENKUlT_T0_SI_SN_E_clIPiSD_S15_SD_EEDaS11_S12_SI_SN_EUlS11_E_NS1_11comp_targetILNS1_3genE9ELNS1_11target_archE1100ELNS1_3gpuE3ELNS1_3repE0EEENS1_47radix_sort_onesweep_sort_config_static_selectorELNS0_4arch9wavefront6targetE0EEEvSI_,comdat
.Lfunc_end1051:
	.size	_ZN7rocprim17ROCPRIM_400000_NS6detail17trampoline_kernelINS0_14default_configENS1_35radix_sort_onesweep_config_selectorIiiEEZZNS1_29radix_sort_onesweep_iterationIS3_Lb1EN6thrust23THRUST_200600_302600_NS6detail15normal_iteratorINS8_10device_ptrIiEEEESD_SD_SD_jNS0_19identity_decomposerENS1_16block_id_wrapperIjLb0EEEEE10hipError_tT1_PNSt15iterator_traitsISI_E10value_typeET2_T3_PNSJ_ISO_E10value_typeET4_T5_PST_SU_PNS1_23onesweep_lookback_stateEbbT6_jjT7_P12ihipStream_tbENKUlT_T0_SI_SN_E_clIPiSD_S15_SD_EEDaS11_S12_SI_SN_EUlS11_E_NS1_11comp_targetILNS1_3genE9ELNS1_11target_archE1100ELNS1_3gpuE3ELNS1_3repE0EEENS1_47radix_sort_onesweep_sort_config_static_selectorELNS0_4arch9wavefront6targetE0EEEvSI_, .Lfunc_end1051-_ZN7rocprim17ROCPRIM_400000_NS6detail17trampoline_kernelINS0_14default_configENS1_35radix_sort_onesweep_config_selectorIiiEEZZNS1_29radix_sort_onesweep_iterationIS3_Lb1EN6thrust23THRUST_200600_302600_NS6detail15normal_iteratorINS8_10device_ptrIiEEEESD_SD_SD_jNS0_19identity_decomposerENS1_16block_id_wrapperIjLb0EEEEE10hipError_tT1_PNSt15iterator_traitsISI_E10value_typeET2_T3_PNSJ_ISO_E10value_typeET4_T5_PST_SU_PNS1_23onesweep_lookback_stateEbbT6_jjT7_P12ihipStream_tbENKUlT_T0_SI_SN_E_clIPiSD_S15_SD_EEDaS11_S12_SI_SN_EUlS11_E_NS1_11comp_targetILNS1_3genE9ELNS1_11target_archE1100ELNS1_3gpuE3ELNS1_3repE0EEENS1_47radix_sort_onesweep_sort_config_static_selectorELNS0_4arch9wavefront6targetE0EEEvSI_
                                        ; -- End function
	.set _ZN7rocprim17ROCPRIM_400000_NS6detail17trampoline_kernelINS0_14default_configENS1_35radix_sort_onesweep_config_selectorIiiEEZZNS1_29radix_sort_onesweep_iterationIS3_Lb1EN6thrust23THRUST_200600_302600_NS6detail15normal_iteratorINS8_10device_ptrIiEEEESD_SD_SD_jNS0_19identity_decomposerENS1_16block_id_wrapperIjLb0EEEEE10hipError_tT1_PNSt15iterator_traitsISI_E10value_typeET2_T3_PNSJ_ISO_E10value_typeET4_T5_PST_SU_PNS1_23onesweep_lookback_stateEbbT6_jjT7_P12ihipStream_tbENKUlT_T0_SI_SN_E_clIPiSD_S15_SD_EEDaS11_S12_SI_SN_EUlS11_E_NS1_11comp_targetILNS1_3genE9ELNS1_11target_archE1100ELNS1_3gpuE3ELNS1_3repE0EEENS1_47radix_sort_onesweep_sort_config_static_selectorELNS0_4arch9wavefront6targetE0EEEvSI_.num_vgpr, 0
	.set _ZN7rocprim17ROCPRIM_400000_NS6detail17trampoline_kernelINS0_14default_configENS1_35radix_sort_onesweep_config_selectorIiiEEZZNS1_29radix_sort_onesweep_iterationIS3_Lb1EN6thrust23THRUST_200600_302600_NS6detail15normal_iteratorINS8_10device_ptrIiEEEESD_SD_SD_jNS0_19identity_decomposerENS1_16block_id_wrapperIjLb0EEEEE10hipError_tT1_PNSt15iterator_traitsISI_E10value_typeET2_T3_PNSJ_ISO_E10value_typeET4_T5_PST_SU_PNS1_23onesweep_lookback_stateEbbT6_jjT7_P12ihipStream_tbENKUlT_T0_SI_SN_E_clIPiSD_S15_SD_EEDaS11_S12_SI_SN_EUlS11_E_NS1_11comp_targetILNS1_3genE9ELNS1_11target_archE1100ELNS1_3gpuE3ELNS1_3repE0EEENS1_47radix_sort_onesweep_sort_config_static_selectorELNS0_4arch9wavefront6targetE0EEEvSI_.num_agpr, 0
	.set _ZN7rocprim17ROCPRIM_400000_NS6detail17trampoline_kernelINS0_14default_configENS1_35radix_sort_onesweep_config_selectorIiiEEZZNS1_29radix_sort_onesweep_iterationIS3_Lb1EN6thrust23THRUST_200600_302600_NS6detail15normal_iteratorINS8_10device_ptrIiEEEESD_SD_SD_jNS0_19identity_decomposerENS1_16block_id_wrapperIjLb0EEEEE10hipError_tT1_PNSt15iterator_traitsISI_E10value_typeET2_T3_PNSJ_ISO_E10value_typeET4_T5_PST_SU_PNS1_23onesweep_lookback_stateEbbT6_jjT7_P12ihipStream_tbENKUlT_T0_SI_SN_E_clIPiSD_S15_SD_EEDaS11_S12_SI_SN_EUlS11_E_NS1_11comp_targetILNS1_3genE9ELNS1_11target_archE1100ELNS1_3gpuE3ELNS1_3repE0EEENS1_47radix_sort_onesweep_sort_config_static_selectorELNS0_4arch9wavefront6targetE0EEEvSI_.numbered_sgpr, 0
	.set _ZN7rocprim17ROCPRIM_400000_NS6detail17trampoline_kernelINS0_14default_configENS1_35radix_sort_onesweep_config_selectorIiiEEZZNS1_29radix_sort_onesweep_iterationIS3_Lb1EN6thrust23THRUST_200600_302600_NS6detail15normal_iteratorINS8_10device_ptrIiEEEESD_SD_SD_jNS0_19identity_decomposerENS1_16block_id_wrapperIjLb0EEEEE10hipError_tT1_PNSt15iterator_traitsISI_E10value_typeET2_T3_PNSJ_ISO_E10value_typeET4_T5_PST_SU_PNS1_23onesweep_lookback_stateEbbT6_jjT7_P12ihipStream_tbENKUlT_T0_SI_SN_E_clIPiSD_S15_SD_EEDaS11_S12_SI_SN_EUlS11_E_NS1_11comp_targetILNS1_3genE9ELNS1_11target_archE1100ELNS1_3gpuE3ELNS1_3repE0EEENS1_47radix_sort_onesweep_sort_config_static_selectorELNS0_4arch9wavefront6targetE0EEEvSI_.num_named_barrier, 0
	.set _ZN7rocprim17ROCPRIM_400000_NS6detail17trampoline_kernelINS0_14default_configENS1_35radix_sort_onesweep_config_selectorIiiEEZZNS1_29radix_sort_onesweep_iterationIS3_Lb1EN6thrust23THRUST_200600_302600_NS6detail15normal_iteratorINS8_10device_ptrIiEEEESD_SD_SD_jNS0_19identity_decomposerENS1_16block_id_wrapperIjLb0EEEEE10hipError_tT1_PNSt15iterator_traitsISI_E10value_typeET2_T3_PNSJ_ISO_E10value_typeET4_T5_PST_SU_PNS1_23onesweep_lookback_stateEbbT6_jjT7_P12ihipStream_tbENKUlT_T0_SI_SN_E_clIPiSD_S15_SD_EEDaS11_S12_SI_SN_EUlS11_E_NS1_11comp_targetILNS1_3genE9ELNS1_11target_archE1100ELNS1_3gpuE3ELNS1_3repE0EEENS1_47radix_sort_onesweep_sort_config_static_selectorELNS0_4arch9wavefront6targetE0EEEvSI_.private_seg_size, 0
	.set _ZN7rocprim17ROCPRIM_400000_NS6detail17trampoline_kernelINS0_14default_configENS1_35radix_sort_onesweep_config_selectorIiiEEZZNS1_29radix_sort_onesweep_iterationIS3_Lb1EN6thrust23THRUST_200600_302600_NS6detail15normal_iteratorINS8_10device_ptrIiEEEESD_SD_SD_jNS0_19identity_decomposerENS1_16block_id_wrapperIjLb0EEEEE10hipError_tT1_PNSt15iterator_traitsISI_E10value_typeET2_T3_PNSJ_ISO_E10value_typeET4_T5_PST_SU_PNS1_23onesweep_lookback_stateEbbT6_jjT7_P12ihipStream_tbENKUlT_T0_SI_SN_E_clIPiSD_S15_SD_EEDaS11_S12_SI_SN_EUlS11_E_NS1_11comp_targetILNS1_3genE9ELNS1_11target_archE1100ELNS1_3gpuE3ELNS1_3repE0EEENS1_47radix_sort_onesweep_sort_config_static_selectorELNS0_4arch9wavefront6targetE0EEEvSI_.uses_vcc, 0
	.set _ZN7rocprim17ROCPRIM_400000_NS6detail17trampoline_kernelINS0_14default_configENS1_35radix_sort_onesweep_config_selectorIiiEEZZNS1_29radix_sort_onesweep_iterationIS3_Lb1EN6thrust23THRUST_200600_302600_NS6detail15normal_iteratorINS8_10device_ptrIiEEEESD_SD_SD_jNS0_19identity_decomposerENS1_16block_id_wrapperIjLb0EEEEE10hipError_tT1_PNSt15iterator_traitsISI_E10value_typeET2_T3_PNSJ_ISO_E10value_typeET4_T5_PST_SU_PNS1_23onesweep_lookback_stateEbbT6_jjT7_P12ihipStream_tbENKUlT_T0_SI_SN_E_clIPiSD_S15_SD_EEDaS11_S12_SI_SN_EUlS11_E_NS1_11comp_targetILNS1_3genE9ELNS1_11target_archE1100ELNS1_3gpuE3ELNS1_3repE0EEENS1_47radix_sort_onesweep_sort_config_static_selectorELNS0_4arch9wavefront6targetE0EEEvSI_.uses_flat_scratch, 0
	.set _ZN7rocprim17ROCPRIM_400000_NS6detail17trampoline_kernelINS0_14default_configENS1_35radix_sort_onesweep_config_selectorIiiEEZZNS1_29radix_sort_onesweep_iterationIS3_Lb1EN6thrust23THRUST_200600_302600_NS6detail15normal_iteratorINS8_10device_ptrIiEEEESD_SD_SD_jNS0_19identity_decomposerENS1_16block_id_wrapperIjLb0EEEEE10hipError_tT1_PNSt15iterator_traitsISI_E10value_typeET2_T3_PNSJ_ISO_E10value_typeET4_T5_PST_SU_PNS1_23onesweep_lookback_stateEbbT6_jjT7_P12ihipStream_tbENKUlT_T0_SI_SN_E_clIPiSD_S15_SD_EEDaS11_S12_SI_SN_EUlS11_E_NS1_11comp_targetILNS1_3genE9ELNS1_11target_archE1100ELNS1_3gpuE3ELNS1_3repE0EEENS1_47radix_sort_onesweep_sort_config_static_selectorELNS0_4arch9wavefront6targetE0EEEvSI_.has_dyn_sized_stack, 0
	.set _ZN7rocprim17ROCPRIM_400000_NS6detail17trampoline_kernelINS0_14default_configENS1_35radix_sort_onesweep_config_selectorIiiEEZZNS1_29radix_sort_onesweep_iterationIS3_Lb1EN6thrust23THRUST_200600_302600_NS6detail15normal_iteratorINS8_10device_ptrIiEEEESD_SD_SD_jNS0_19identity_decomposerENS1_16block_id_wrapperIjLb0EEEEE10hipError_tT1_PNSt15iterator_traitsISI_E10value_typeET2_T3_PNSJ_ISO_E10value_typeET4_T5_PST_SU_PNS1_23onesweep_lookback_stateEbbT6_jjT7_P12ihipStream_tbENKUlT_T0_SI_SN_E_clIPiSD_S15_SD_EEDaS11_S12_SI_SN_EUlS11_E_NS1_11comp_targetILNS1_3genE9ELNS1_11target_archE1100ELNS1_3gpuE3ELNS1_3repE0EEENS1_47radix_sort_onesweep_sort_config_static_selectorELNS0_4arch9wavefront6targetE0EEEvSI_.has_recursion, 0
	.set _ZN7rocprim17ROCPRIM_400000_NS6detail17trampoline_kernelINS0_14default_configENS1_35radix_sort_onesweep_config_selectorIiiEEZZNS1_29radix_sort_onesweep_iterationIS3_Lb1EN6thrust23THRUST_200600_302600_NS6detail15normal_iteratorINS8_10device_ptrIiEEEESD_SD_SD_jNS0_19identity_decomposerENS1_16block_id_wrapperIjLb0EEEEE10hipError_tT1_PNSt15iterator_traitsISI_E10value_typeET2_T3_PNSJ_ISO_E10value_typeET4_T5_PST_SU_PNS1_23onesweep_lookback_stateEbbT6_jjT7_P12ihipStream_tbENKUlT_T0_SI_SN_E_clIPiSD_S15_SD_EEDaS11_S12_SI_SN_EUlS11_E_NS1_11comp_targetILNS1_3genE9ELNS1_11target_archE1100ELNS1_3gpuE3ELNS1_3repE0EEENS1_47radix_sort_onesweep_sort_config_static_selectorELNS0_4arch9wavefront6targetE0EEEvSI_.has_indirect_call, 0
	.section	.AMDGPU.csdata,"",@progbits
; Kernel info:
; codeLenInByte = 0
; TotalNumSgprs: 0
; NumVgprs: 0
; ScratchSize: 0
; MemoryBound: 0
; FloatMode: 240
; IeeeMode: 1
; LDSByteSize: 0 bytes/workgroup (compile time only)
; SGPRBlocks: 0
; VGPRBlocks: 0
; NumSGPRsForWavesPerEU: 1
; NumVGPRsForWavesPerEU: 1
; Occupancy: 16
; WaveLimiterHint : 0
; COMPUTE_PGM_RSRC2:SCRATCH_EN: 0
; COMPUTE_PGM_RSRC2:USER_SGPR: 6
; COMPUTE_PGM_RSRC2:TRAP_HANDLER: 0
; COMPUTE_PGM_RSRC2:TGID_X_EN: 1
; COMPUTE_PGM_RSRC2:TGID_Y_EN: 0
; COMPUTE_PGM_RSRC2:TGID_Z_EN: 0
; COMPUTE_PGM_RSRC2:TIDIG_COMP_CNT: 0
	.section	.text._ZN7rocprim17ROCPRIM_400000_NS6detail17trampoline_kernelINS0_14default_configENS1_35radix_sort_onesweep_config_selectorIiiEEZZNS1_29radix_sort_onesweep_iterationIS3_Lb1EN6thrust23THRUST_200600_302600_NS6detail15normal_iteratorINS8_10device_ptrIiEEEESD_SD_SD_jNS0_19identity_decomposerENS1_16block_id_wrapperIjLb0EEEEE10hipError_tT1_PNSt15iterator_traitsISI_E10value_typeET2_T3_PNSJ_ISO_E10value_typeET4_T5_PST_SU_PNS1_23onesweep_lookback_stateEbbT6_jjT7_P12ihipStream_tbENKUlT_T0_SI_SN_E_clIPiSD_S15_SD_EEDaS11_S12_SI_SN_EUlS11_E_NS1_11comp_targetILNS1_3genE8ELNS1_11target_archE1030ELNS1_3gpuE2ELNS1_3repE0EEENS1_47radix_sort_onesweep_sort_config_static_selectorELNS0_4arch9wavefront6targetE0EEEvSI_,"axG",@progbits,_ZN7rocprim17ROCPRIM_400000_NS6detail17trampoline_kernelINS0_14default_configENS1_35radix_sort_onesweep_config_selectorIiiEEZZNS1_29radix_sort_onesweep_iterationIS3_Lb1EN6thrust23THRUST_200600_302600_NS6detail15normal_iteratorINS8_10device_ptrIiEEEESD_SD_SD_jNS0_19identity_decomposerENS1_16block_id_wrapperIjLb0EEEEE10hipError_tT1_PNSt15iterator_traitsISI_E10value_typeET2_T3_PNSJ_ISO_E10value_typeET4_T5_PST_SU_PNS1_23onesweep_lookback_stateEbbT6_jjT7_P12ihipStream_tbENKUlT_T0_SI_SN_E_clIPiSD_S15_SD_EEDaS11_S12_SI_SN_EUlS11_E_NS1_11comp_targetILNS1_3genE8ELNS1_11target_archE1030ELNS1_3gpuE2ELNS1_3repE0EEENS1_47radix_sort_onesweep_sort_config_static_selectorELNS0_4arch9wavefront6targetE0EEEvSI_,comdat
	.protected	_ZN7rocprim17ROCPRIM_400000_NS6detail17trampoline_kernelINS0_14default_configENS1_35radix_sort_onesweep_config_selectorIiiEEZZNS1_29radix_sort_onesweep_iterationIS3_Lb1EN6thrust23THRUST_200600_302600_NS6detail15normal_iteratorINS8_10device_ptrIiEEEESD_SD_SD_jNS0_19identity_decomposerENS1_16block_id_wrapperIjLb0EEEEE10hipError_tT1_PNSt15iterator_traitsISI_E10value_typeET2_T3_PNSJ_ISO_E10value_typeET4_T5_PST_SU_PNS1_23onesweep_lookback_stateEbbT6_jjT7_P12ihipStream_tbENKUlT_T0_SI_SN_E_clIPiSD_S15_SD_EEDaS11_S12_SI_SN_EUlS11_E_NS1_11comp_targetILNS1_3genE8ELNS1_11target_archE1030ELNS1_3gpuE2ELNS1_3repE0EEENS1_47radix_sort_onesweep_sort_config_static_selectorELNS0_4arch9wavefront6targetE0EEEvSI_ ; -- Begin function _ZN7rocprim17ROCPRIM_400000_NS6detail17trampoline_kernelINS0_14default_configENS1_35radix_sort_onesweep_config_selectorIiiEEZZNS1_29radix_sort_onesweep_iterationIS3_Lb1EN6thrust23THRUST_200600_302600_NS6detail15normal_iteratorINS8_10device_ptrIiEEEESD_SD_SD_jNS0_19identity_decomposerENS1_16block_id_wrapperIjLb0EEEEE10hipError_tT1_PNSt15iterator_traitsISI_E10value_typeET2_T3_PNSJ_ISO_E10value_typeET4_T5_PST_SU_PNS1_23onesweep_lookback_stateEbbT6_jjT7_P12ihipStream_tbENKUlT_T0_SI_SN_E_clIPiSD_S15_SD_EEDaS11_S12_SI_SN_EUlS11_E_NS1_11comp_targetILNS1_3genE8ELNS1_11target_archE1030ELNS1_3gpuE2ELNS1_3repE0EEENS1_47radix_sort_onesweep_sort_config_static_selectorELNS0_4arch9wavefront6targetE0EEEvSI_
	.globl	_ZN7rocprim17ROCPRIM_400000_NS6detail17trampoline_kernelINS0_14default_configENS1_35radix_sort_onesweep_config_selectorIiiEEZZNS1_29radix_sort_onesweep_iterationIS3_Lb1EN6thrust23THRUST_200600_302600_NS6detail15normal_iteratorINS8_10device_ptrIiEEEESD_SD_SD_jNS0_19identity_decomposerENS1_16block_id_wrapperIjLb0EEEEE10hipError_tT1_PNSt15iterator_traitsISI_E10value_typeET2_T3_PNSJ_ISO_E10value_typeET4_T5_PST_SU_PNS1_23onesweep_lookback_stateEbbT6_jjT7_P12ihipStream_tbENKUlT_T0_SI_SN_E_clIPiSD_S15_SD_EEDaS11_S12_SI_SN_EUlS11_E_NS1_11comp_targetILNS1_3genE8ELNS1_11target_archE1030ELNS1_3gpuE2ELNS1_3repE0EEENS1_47radix_sort_onesweep_sort_config_static_selectorELNS0_4arch9wavefront6targetE0EEEvSI_
	.p2align	8
	.type	_ZN7rocprim17ROCPRIM_400000_NS6detail17trampoline_kernelINS0_14default_configENS1_35radix_sort_onesweep_config_selectorIiiEEZZNS1_29radix_sort_onesweep_iterationIS3_Lb1EN6thrust23THRUST_200600_302600_NS6detail15normal_iteratorINS8_10device_ptrIiEEEESD_SD_SD_jNS0_19identity_decomposerENS1_16block_id_wrapperIjLb0EEEEE10hipError_tT1_PNSt15iterator_traitsISI_E10value_typeET2_T3_PNSJ_ISO_E10value_typeET4_T5_PST_SU_PNS1_23onesweep_lookback_stateEbbT6_jjT7_P12ihipStream_tbENKUlT_T0_SI_SN_E_clIPiSD_S15_SD_EEDaS11_S12_SI_SN_EUlS11_E_NS1_11comp_targetILNS1_3genE8ELNS1_11target_archE1030ELNS1_3gpuE2ELNS1_3repE0EEENS1_47radix_sort_onesweep_sort_config_static_selectorELNS0_4arch9wavefront6targetE0EEEvSI_,@function
_ZN7rocprim17ROCPRIM_400000_NS6detail17trampoline_kernelINS0_14default_configENS1_35radix_sort_onesweep_config_selectorIiiEEZZNS1_29radix_sort_onesweep_iterationIS3_Lb1EN6thrust23THRUST_200600_302600_NS6detail15normal_iteratorINS8_10device_ptrIiEEEESD_SD_SD_jNS0_19identity_decomposerENS1_16block_id_wrapperIjLb0EEEEE10hipError_tT1_PNSt15iterator_traitsISI_E10value_typeET2_T3_PNSJ_ISO_E10value_typeET4_T5_PST_SU_PNS1_23onesweep_lookback_stateEbbT6_jjT7_P12ihipStream_tbENKUlT_T0_SI_SN_E_clIPiSD_S15_SD_EEDaS11_S12_SI_SN_EUlS11_E_NS1_11comp_targetILNS1_3genE8ELNS1_11target_archE1030ELNS1_3gpuE2ELNS1_3repE0EEENS1_47radix_sort_onesweep_sort_config_static_selectorELNS0_4arch9wavefront6targetE0EEEvSI_: ; @_ZN7rocprim17ROCPRIM_400000_NS6detail17trampoline_kernelINS0_14default_configENS1_35radix_sort_onesweep_config_selectorIiiEEZZNS1_29radix_sort_onesweep_iterationIS3_Lb1EN6thrust23THRUST_200600_302600_NS6detail15normal_iteratorINS8_10device_ptrIiEEEESD_SD_SD_jNS0_19identity_decomposerENS1_16block_id_wrapperIjLb0EEEEE10hipError_tT1_PNSt15iterator_traitsISI_E10value_typeET2_T3_PNSJ_ISO_E10value_typeET4_T5_PST_SU_PNS1_23onesweep_lookback_stateEbbT6_jjT7_P12ihipStream_tbENKUlT_T0_SI_SN_E_clIPiSD_S15_SD_EEDaS11_S12_SI_SN_EUlS11_E_NS1_11comp_targetILNS1_3genE8ELNS1_11target_archE1030ELNS1_3gpuE2ELNS1_3repE0EEENS1_47radix_sort_onesweep_sort_config_static_selectorELNS0_4arch9wavefront6targetE0EEEvSI_
; %bb.0:
	s_clause 0x3
	s_load_dwordx4 s[44:47], s[4:5], 0x44
	s_load_dwordx8 s[36:43], s[4:5], 0x0
	s_load_dwordx4 s[28:31], s[4:5], 0x28
	s_load_dwordx2 s[26:27], s[4:5], 0x38
	v_mbcnt_lo_u32_b32 v11, -1, 0
	v_and_b32_e32 v12, 0x3e0, v0
	s_add_u32 s0, s0, s7
	s_addc_u32 s1, s1, 0
	s_mov_b32 s7, -1
	s_mul_i32 s34, s6, 0x3000
	s_waitcnt lgkmcnt(0)
	s_cmp_ge_u32 s6, s46
	s_cbranch_scc0 .LBB1052_132
; %bb.1:
	s_load_dword s25, s[4:5], 0x20
	s_mov_b32 s35, 0
	s_mul_i32 s7, s46, 0xffffd000
	v_mul_u32_u24_e32 v3, 12, v12
	v_lshlrev_b32_e32 v13, 2, v11
	s_lshl_b64 s[46:47], s[34:35], 2
	v_mov_b32_e32 v15, -1
	v_mov_b32_e32 v16, -1
	v_lshlrev_b32_e32 v14, 2, v3
	v_or_b32_e32 v5, v11, v3
	s_waitcnt lgkmcnt(0)
	s_add_i32 s25, s25, s7
	s_add_u32 s7, s36, s46
	s_addc_u32 s8, s37, s47
	v_add_co_u32 v3, s7, s7, v13
	v_add_co_ci_u32_e64 v4, null, s8, 0, s7
	v_cmp_gt_u32_e64 s7, s25, v5
	v_add_co_u32 v3, vcc_lo, v3, v14
	v_add_co_ci_u32_e64 v4, null, 0, v4, vcc_lo
	s_and_saveexec_b32 s8, s7
	s_cbranch_execz .LBB1052_3
; %bb.2:
	global_load_dword v6, v[3:4], off
	s_waitcnt vmcnt(0)
	v_xor_b32_e32 v16, 0x7fffffff, v6
.LBB1052_3:
	s_or_b32 exec_lo, exec_lo, s8
	v_or_b32_e32 v6, 32, v5
	v_cmp_gt_u32_e64 s8, s25, v6
	s_and_saveexec_b32 s9, s8
	s_cbranch_execz .LBB1052_5
; %bb.4:
	global_load_dword v6, v[3:4], off offset:128
	s_waitcnt vmcnt(0)
	v_xor_b32_e32 v15, 0x7fffffff, v6
.LBB1052_5:
	s_or_b32 exec_lo, exec_lo, s9
	v_or_b32_e32 v6, 64, v5
	v_mov_b32_e32 v17, -1
	v_mov_b32_e32 v18, -1
	v_cmp_gt_u32_e64 s9, s25, v6
	s_and_saveexec_b32 s10, s9
	s_cbranch_execz .LBB1052_7
; %bb.6:
	global_load_dword v6, v[3:4], off offset:256
	s_waitcnt vmcnt(0)
	v_xor_b32_e32 v18, 0x7fffffff, v6
.LBB1052_7:
	s_or_b32 exec_lo, exec_lo, s10
	v_or_b32_e32 v6, 0x60, v5
	v_cmp_gt_u32_e64 s10, s25, v6
	s_and_saveexec_b32 s11, s10
	s_cbranch_execz .LBB1052_9
; %bb.8:
	global_load_dword v6, v[3:4], off offset:384
	s_waitcnt vmcnt(0)
	v_xor_b32_e32 v17, 0x7fffffff, v6
.LBB1052_9:
	s_or_b32 exec_lo, exec_lo, s11
	v_add_nc_u32_e32 v6, 0x80, v5
	v_mov_b32_e32 v19, -1
	v_mov_b32_e32 v20, -1
	v_cmp_gt_u32_e64 s11, s25, v6
	s_and_saveexec_b32 s12, s11
	s_cbranch_execz .LBB1052_11
; %bb.10:
	global_load_dword v6, v[3:4], off offset:512
	s_waitcnt vmcnt(0)
	v_xor_b32_e32 v20, 0x7fffffff, v6
.LBB1052_11:
	s_or_b32 exec_lo, exec_lo, s12
	v_add_nc_u32_e32 v6, 0xa0, v5
	v_cmp_gt_u32_e64 s12, s25, v6
	s_and_saveexec_b32 s13, s12
	s_cbranch_execz .LBB1052_13
; %bb.12:
	global_load_dword v6, v[3:4], off offset:640
	s_waitcnt vmcnt(0)
	v_xor_b32_e32 v19, 0x7fffffff, v6
.LBB1052_13:
	s_or_b32 exec_lo, exec_lo, s13
	v_add_nc_u32_e32 v6, 0xc0, v5
	v_mov_b32_e32 v21, -1
	v_mov_b32_e32 v22, -1
	v_cmp_gt_u32_e64 s13, s25, v6
	s_and_saveexec_b32 s14, s13
	s_cbranch_execz .LBB1052_15
; %bb.14:
	global_load_dword v6, v[3:4], off offset:768
	s_waitcnt vmcnt(0)
	v_xor_b32_e32 v22, 0x7fffffff, v6
.LBB1052_15:
	s_or_b32 exec_lo, exec_lo, s14
	v_add_nc_u32_e32 v6, 0xe0, v5
	;; [unrolled: 22-line block ×4, first 2 shown]
	v_cmp_gt_u32_e64 s18, s25, v5
	s_and_saveexec_b32 s19, s18
	s_cbranch_execz .LBB1052_25
; %bb.24:
	global_load_dword v3, v[3:4], off offset:1408
	s_waitcnt vmcnt(0)
	v_xor_b32_e32 v25, 0x7fffffff, v3
.LBB1052_25:
	s_or_b32 exec_lo, exec_lo, s19
	s_clause 0x1
	s_load_dword s19, s[4:5], 0x64
	s_load_dword s33, s[4:5], 0x58
	s_add_u32 s20, s4, 0x58
	s_addc_u32 s21, s5, 0
	v_mov_b32_e32 v5, 0
	v_lshrrev_b32_e32 v4, s44, v16
	s_waitcnt lgkmcnt(0)
	s_lshr_b32 s22, s19, 16
	s_cmp_lt_u32 s6, s33
	s_cselect_b32 s19, 12, 18
	s_add_u32 s20, s20, s19
	s_addc_u32 s21, s21, 0
	s_lshl_b32 s19, -1, s45
	global_load_ushort v3, v5, s[20:21]
	s_not_b32 s35, s19
	v_and_b32_e32 v6, s35, v4
	v_and_b32_e32 v4, 1, v6
	v_lshlrev_b32_e32 v7, 30, v6
	v_lshlrev_b32_e32 v8, 29, v6
	;; [unrolled: 1-line block ×4, first 2 shown]
	v_add_co_u32 v4, s19, v4, -1
	v_cndmask_b32_e64 v10, 0, 1, s19
	v_not_b32_e32 v30, v7
	v_cmp_gt_i32_e64 s19, 0, v7
	v_not_b32_e32 v7, v8
	v_lshlrev_b32_e32 v28, 26, v6
	v_cmp_ne_u32_e32 vcc_lo, 0, v10
	v_ashrrev_i32_e32 v30, 31, v30
	v_lshlrev_b32_e32 v29, 25, v6
	v_ashrrev_i32_e32 v7, 31, v7
	v_lshlrev_b32_e32 v10, 24, v6
	v_xor_b32_e32 v4, vcc_lo, v4
	v_cmp_gt_i32_e32 vcc_lo, 0, v8
	v_not_b32_e32 v8, v9
	v_xor_b32_e32 v30, s19, v30
	v_cmp_gt_i32_e64 s19, 0, v9
	v_and_b32_e32 v4, exec_lo, v4
	v_not_b32_e32 v9, v27
	v_ashrrev_i32_e32 v8, 31, v8
	v_xor_b32_e32 v7, vcc_lo, v7
	v_cmp_gt_i32_e32 vcc_lo, 0, v27
	v_and_b32_e32 v4, v4, v30
	v_not_b32_e32 v27, v28
	v_ashrrev_i32_e32 v9, 31, v9
	v_xor_b32_e32 v8, s19, v8
	v_cmp_gt_i32_e64 s19, 0, v28
	v_and_b32_e32 v4, v4, v7
	v_not_b32_e32 v7, v29
	v_ashrrev_i32_e32 v27, 31, v27
	v_xor_b32_e32 v9, vcc_lo, v9
	v_cmp_gt_i32_e32 vcc_lo, 0, v29
	v_and_b32_e32 v4, v4, v8
	v_not_b32_e32 v8, v10
	v_ashrrev_i32_e32 v7, 31, v7
	v_xor_b32_e32 v27, s19, v27
	v_cmp_gt_i32_e64 s19, 0, v10
	v_and_b32_e32 v4, v4, v9
	v_ashrrev_i32_e32 v8, 31, v8
	v_xor_b32_e32 v7, vcc_lo, v7
	v_mad_u32_u24 v9, v2, s22, v1
	v_mul_lo_u32 v6, 0x84, v6
	v_and_b32_e32 v4, v4, v27
	v_xor_b32_e32 v8, s19, v8
	v_mul_u32_u24_e32 v30, 36, v0
	ds_write2_b32 v30, v5, v5 offset0:32 offset1:33
	ds_write2_b32 v30, v5, v5 offset0:34 offset1:35
	;; [unrolled: 1-line block ×3, first 2 shown]
	v_and_b32_e32 v7, v4, v7
	ds_write2_b32 v30, v5, v5 offset0:38 offset1:39
	ds_write_b32 v30, v5 offset:160
	s_waitcnt vmcnt(0) lgkmcnt(0)
	s_barrier
	buffer_gl0_inv
	; wave barrier
	v_mad_u64_u32 v[3:4], null, v9, v3, v[0:1]
	v_and_b32_e32 v4, v7, v8
	v_mbcnt_lo_u32_b32 v27, v4, 0
	v_lshrrev_b32_e32 v3, 5, v3
	v_cmp_ne_u32_e64 s19, 0, v4
	v_cmp_eq_u32_e32 vcc_lo, 0, v27
	v_lshl_add_u32 v31, v3, 2, v6
	s_and_b32 s20, s19, vcc_lo
	s_and_saveexec_b32 s19, s20
; %bb.26:
	v_bcnt_u32_b32 v4, v4, 0
	ds_write_b32 v31, v4 offset:128
; %bb.27:
	s_or_b32 exec_lo, exec_lo, s19
	v_lshrrev_b32_e32 v4, s44, v15
	; wave barrier
	v_and_b32_e32 v4, s35, v4
	v_and_b32_e32 v6, 1, v4
	v_lshlrev_b32_e32 v7, 30, v4
	v_lshlrev_b32_e32 v8, 29, v4
	;; [unrolled: 1-line block ×4, first 2 shown]
	v_add_co_u32 v6, s19, v6, -1
	v_cndmask_b32_e64 v10, 0, 1, s19
	v_not_b32_e32 v33, v7
	v_cmp_gt_i32_e64 s19, 0, v7
	v_not_b32_e32 v7, v8
	v_lshlrev_b32_e32 v29, 26, v4
	v_cmp_ne_u32_e32 vcc_lo, 0, v10
	v_ashrrev_i32_e32 v10, 31, v33
	v_lshlrev_b32_e32 v32, 25, v4
	v_ashrrev_i32_e32 v7, 31, v7
	v_mul_lo_u32 v5, 0x84, v4
	v_xor_b32_e32 v6, vcc_lo, v6
	v_cmp_gt_i32_e32 vcc_lo, 0, v8
	v_not_b32_e32 v8, v9
	v_xor_b32_e32 v10, s19, v10
	v_cmp_gt_i32_e64 s19, 0, v9
	v_and_b32_e32 v6, exec_lo, v6
	v_not_b32_e32 v9, v28
	v_ashrrev_i32_e32 v8, 31, v8
	v_xor_b32_e32 v7, vcc_lo, v7
	v_cmp_gt_i32_e32 vcc_lo, 0, v28
	v_and_b32_e32 v6, v6, v10
	v_not_b32_e32 v10, v29
	v_ashrrev_i32_e32 v9, 31, v9
	v_xor_b32_e32 v8, s19, v8
	v_lshlrev_b32_e32 v4, 24, v4
	v_and_b32_e32 v6, v6, v7
	v_cmp_gt_i32_e64 s19, 0, v29
	v_not_b32_e32 v7, v32
	v_ashrrev_i32_e32 v10, 31, v10
	v_xor_b32_e32 v9, vcc_lo, v9
	v_and_b32_e32 v6, v6, v8
	v_cmp_gt_i32_e32 vcc_lo, 0, v32
	v_not_b32_e32 v8, v4
	v_ashrrev_i32_e32 v7, 31, v7
	v_xor_b32_e32 v10, s19, v10
	v_and_b32_e32 v6, v6, v9
	v_cmp_gt_i32_e64 s19, 0, v4
	v_ashrrev_i32_e32 v4, 31, v8
	v_xor_b32_e32 v7, vcc_lo, v7
	v_lshl_add_u32 v34, v3, 2, v5
	v_and_b32_e32 v6, v6, v10
	v_xor_b32_e32 v4, s19, v4
	ds_read_b32 v28, v34 offset:128
	v_and_b32_e32 v5, v6, v7
	; wave barrier
	v_and_b32_e32 v4, v5, v4
	v_mbcnt_lo_u32_b32 v29, v4, 0
	v_cmp_ne_u32_e64 s19, 0, v4
	v_cmp_eq_u32_e32 vcc_lo, 0, v29
	s_and_b32 s20, s19, vcc_lo
	s_and_saveexec_b32 s19, s20
	s_cbranch_execz .LBB1052_29
; %bb.28:
	s_waitcnt lgkmcnt(0)
	v_bcnt_u32_b32 v4, v4, v28
	ds_write_b32 v34, v4 offset:128
.LBB1052_29:
	s_or_b32 exec_lo, exec_lo, s19
	v_lshrrev_b32_e32 v4, s44, v18
	; wave barrier
	v_and_b32_e32 v4, s35, v4
	v_and_b32_e32 v6, 1, v4
	v_lshlrev_b32_e32 v7, 30, v4
	v_lshlrev_b32_e32 v8, 29, v4
	;; [unrolled: 1-line block ×4, first 2 shown]
	v_add_co_u32 v6, s19, v6, -1
	v_cndmask_b32_e64 v10, 0, 1, s19
	v_not_b32_e32 v36, v7
	v_cmp_gt_i32_e64 s19, 0, v7
	v_not_b32_e32 v7, v8
	v_lshlrev_b32_e32 v33, 26, v4
	v_cmp_ne_u32_e32 vcc_lo, 0, v10
	v_ashrrev_i32_e32 v10, 31, v36
	v_lshlrev_b32_e32 v35, 25, v4
	v_ashrrev_i32_e32 v7, 31, v7
	v_mul_lo_u32 v5, 0x84, v4
	v_xor_b32_e32 v6, vcc_lo, v6
	v_cmp_gt_i32_e32 vcc_lo, 0, v8
	v_not_b32_e32 v8, v9
	v_xor_b32_e32 v10, s19, v10
	v_cmp_gt_i32_e64 s19, 0, v9
	v_and_b32_e32 v6, exec_lo, v6
	v_not_b32_e32 v9, v32
	v_ashrrev_i32_e32 v8, 31, v8
	v_xor_b32_e32 v7, vcc_lo, v7
	v_cmp_gt_i32_e32 vcc_lo, 0, v32
	v_and_b32_e32 v6, v6, v10
	v_not_b32_e32 v10, v33
	v_ashrrev_i32_e32 v9, 31, v9
	v_xor_b32_e32 v8, s19, v8
	v_lshlrev_b32_e32 v4, 24, v4
	v_and_b32_e32 v6, v6, v7
	v_cmp_gt_i32_e64 s19, 0, v33
	v_not_b32_e32 v7, v35
	v_ashrrev_i32_e32 v10, 31, v10
	v_xor_b32_e32 v9, vcc_lo, v9
	v_and_b32_e32 v6, v6, v8
	v_cmp_gt_i32_e32 vcc_lo, 0, v35
	v_not_b32_e32 v8, v4
	v_ashrrev_i32_e32 v7, 31, v7
	v_xor_b32_e32 v10, s19, v10
	v_and_b32_e32 v6, v6, v9
	v_cmp_gt_i32_e64 s19, 0, v4
	v_ashrrev_i32_e32 v4, 31, v8
	v_xor_b32_e32 v7, vcc_lo, v7
	v_lshl_add_u32 v37, v3, 2, v5
	v_and_b32_e32 v6, v6, v10
	v_xor_b32_e32 v4, s19, v4
	ds_read_b32 v32, v37 offset:128
	v_and_b32_e32 v5, v6, v7
	; wave barrier
	v_and_b32_e32 v4, v5, v4
	v_mbcnt_lo_u32_b32 v33, v4, 0
	v_cmp_ne_u32_e64 s19, 0, v4
	v_cmp_eq_u32_e32 vcc_lo, 0, v33
	s_and_b32 s20, s19, vcc_lo
	s_and_saveexec_b32 s19, s20
	s_cbranch_execz .LBB1052_31
; %bb.30:
	s_waitcnt lgkmcnt(0)
	v_bcnt_u32_b32 v4, v4, v32
	ds_write_b32 v37, v4 offset:128
.LBB1052_31:
	s_or_b32 exec_lo, exec_lo, s19
	v_lshrrev_b32_e32 v4, s44, v17
	; wave barrier
	v_and_b32_e32 v4, s35, v4
	v_and_b32_e32 v6, 1, v4
	v_lshlrev_b32_e32 v7, 30, v4
	v_lshlrev_b32_e32 v8, 29, v4
	;; [unrolled: 1-line block ×4, first 2 shown]
	v_add_co_u32 v6, s19, v6, -1
	v_cndmask_b32_e64 v10, 0, 1, s19
	v_not_b32_e32 v39, v7
	v_cmp_gt_i32_e64 s19, 0, v7
	v_not_b32_e32 v7, v8
	v_lshlrev_b32_e32 v36, 26, v4
	v_cmp_ne_u32_e32 vcc_lo, 0, v10
	v_ashrrev_i32_e32 v10, 31, v39
	v_lshlrev_b32_e32 v38, 25, v4
	v_ashrrev_i32_e32 v7, 31, v7
	v_mul_lo_u32 v5, 0x84, v4
	v_xor_b32_e32 v6, vcc_lo, v6
	v_cmp_gt_i32_e32 vcc_lo, 0, v8
	v_not_b32_e32 v8, v9
	v_xor_b32_e32 v10, s19, v10
	v_cmp_gt_i32_e64 s19, 0, v9
	v_and_b32_e32 v6, exec_lo, v6
	v_not_b32_e32 v9, v35
	v_ashrrev_i32_e32 v8, 31, v8
	v_xor_b32_e32 v7, vcc_lo, v7
	v_cmp_gt_i32_e32 vcc_lo, 0, v35
	v_and_b32_e32 v6, v6, v10
	v_not_b32_e32 v10, v36
	v_ashrrev_i32_e32 v9, 31, v9
	v_xor_b32_e32 v8, s19, v8
	v_lshlrev_b32_e32 v4, 24, v4
	v_and_b32_e32 v6, v6, v7
	v_cmp_gt_i32_e64 s19, 0, v36
	v_not_b32_e32 v7, v38
	v_ashrrev_i32_e32 v10, 31, v10
	v_xor_b32_e32 v9, vcc_lo, v9
	v_and_b32_e32 v6, v6, v8
	v_cmp_gt_i32_e32 vcc_lo, 0, v38
	v_not_b32_e32 v8, v4
	v_ashrrev_i32_e32 v7, 31, v7
	v_xor_b32_e32 v10, s19, v10
	v_and_b32_e32 v6, v6, v9
	v_cmp_gt_i32_e64 s19, 0, v4
	v_ashrrev_i32_e32 v4, 31, v8
	v_xor_b32_e32 v7, vcc_lo, v7
	v_lshl_add_u32 v40, v3, 2, v5
	v_and_b32_e32 v6, v6, v10
	v_xor_b32_e32 v4, s19, v4
	ds_read_b32 v35, v40 offset:128
	v_and_b32_e32 v5, v6, v7
	; wave barrier
	v_and_b32_e32 v4, v5, v4
	v_mbcnt_lo_u32_b32 v36, v4, 0
	v_cmp_ne_u32_e64 s19, 0, v4
	v_cmp_eq_u32_e32 vcc_lo, 0, v36
	s_and_b32 s20, s19, vcc_lo
	s_and_saveexec_b32 s19, s20
	s_cbranch_execz .LBB1052_33
; %bb.32:
	s_waitcnt lgkmcnt(0)
	v_bcnt_u32_b32 v4, v4, v35
	ds_write_b32 v40, v4 offset:128
.LBB1052_33:
	s_or_b32 exec_lo, exec_lo, s19
	v_lshrrev_b32_e32 v4, s44, v20
	; wave barrier
	v_and_b32_e32 v4, s35, v4
	v_and_b32_e32 v6, 1, v4
	v_lshlrev_b32_e32 v7, 30, v4
	v_lshlrev_b32_e32 v8, 29, v4
	;; [unrolled: 1-line block ×4, first 2 shown]
	v_add_co_u32 v6, s19, v6, -1
	v_cndmask_b32_e64 v10, 0, 1, s19
	v_not_b32_e32 v42, v7
	v_cmp_gt_i32_e64 s19, 0, v7
	v_not_b32_e32 v7, v8
	v_lshlrev_b32_e32 v39, 26, v4
	v_cmp_ne_u32_e32 vcc_lo, 0, v10
	v_ashrrev_i32_e32 v10, 31, v42
	v_lshlrev_b32_e32 v41, 25, v4
	v_ashrrev_i32_e32 v7, 31, v7
	v_mul_lo_u32 v5, 0x84, v4
	v_xor_b32_e32 v6, vcc_lo, v6
	v_cmp_gt_i32_e32 vcc_lo, 0, v8
	v_not_b32_e32 v8, v9
	v_xor_b32_e32 v10, s19, v10
	v_cmp_gt_i32_e64 s19, 0, v9
	v_and_b32_e32 v6, exec_lo, v6
	v_not_b32_e32 v9, v38
	v_ashrrev_i32_e32 v8, 31, v8
	v_xor_b32_e32 v7, vcc_lo, v7
	v_cmp_gt_i32_e32 vcc_lo, 0, v38
	v_and_b32_e32 v6, v6, v10
	v_not_b32_e32 v10, v39
	v_ashrrev_i32_e32 v9, 31, v9
	v_xor_b32_e32 v8, s19, v8
	v_lshlrev_b32_e32 v4, 24, v4
	v_and_b32_e32 v6, v6, v7
	v_cmp_gt_i32_e64 s19, 0, v39
	v_not_b32_e32 v7, v41
	v_ashrrev_i32_e32 v10, 31, v10
	v_xor_b32_e32 v9, vcc_lo, v9
	v_and_b32_e32 v6, v6, v8
	v_cmp_gt_i32_e32 vcc_lo, 0, v41
	v_not_b32_e32 v8, v4
	v_ashrrev_i32_e32 v7, 31, v7
	v_xor_b32_e32 v10, s19, v10
	v_and_b32_e32 v6, v6, v9
	v_cmp_gt_i32_e64 s19, 0, v4
	v_ashrrev_i32_e32 v4, 31, v8
	v_xor_b32_e32 v7, vcc_lo, v7
	v_lshl_add_u32 v43, v3, 2, v5
	v_and_b32_e32 v6, v6, v10
	v_xor_b32_e32 v4, s19, v4
	ds_read_b32 v38, v43 offset:128
	v_and_b32_e32 v5, v6, v7
	; wave barrier
	v_and_b32_e32 v4, v5, v4
	v_mbcnt_lo_u32_b32 v39, v4, 0
	v_cmp_ne_u32_e64 s19, 0, v4
	v_cmp_eq_u32_e32 vcc_lo, 0, v39
	s_and_b32 s20, s19, vcc_lo
	s_and_saveexec_b32 s19, s20
	s_cbranch_execz .LBB1052_35
; %bb.34:
	s_waitcnt lgkmcnt(0)
	v_bcnt_u32_b32 v4, v4, v38
	ds_write_b32 v43, v4 offset:128
.LBB1052_35:
	s_or_b32 exec_lo, exec_lo, s19
	v_lshrrev_b32_e32 v4, s44, v19
	; wave barrier
	v_and_b32_e32 v4, s35, v4
	v_and_b32_e32 v6, 1, v4
	v_lshlrev_b32_e32 v7, 30, v4
	v_lshlrev_b32_e32 v8, 29, v4
	;; [unrolled: 1-line block ×4, first 2 shown]
	v_add_co_u32 v6, s19, v6, -1
	v_cndmask_b32_e64 v10, 0, 1, s19
	v_not_b32_e32 v45, v7
	v_cmp_gt_i32_e64 s19, 0, v7
	v_not_b32_e32 v7, v8
	v_lshlrev_b32_e32 v42, 26, v4
	v_cmp_ne_u32_e32 vcc_lo, 0, v10
	v_ashrrev_i32_e32 v10, 31, v45
	v_lshlrev_b32_e32 v44, 25, v4
	v_ashrrev_i32_e32 v7, 31, v7
	v_mul_lo_u32 v5, 0x84, v4
	v_xor_b32_e32 v6, vcc_lo, v6
	v_cmp_gt_i32_e32 vcc_lo, 0, v8
	v_not_b32_e32 v8, v9
	v_xor_b32_e32 v10, s19, v10
	v_cmp_gt_i32_e64 s19, 0, v9
	v_and_b32_e32 v6, exec_lo, v6
	v_not_b32_e32 v9, v41
	v_ashrrev_i32_e32 v8, 31, v8
	v_xor_b32_e32 v7, vcc_lo, v7
	v_cmp_gt_i32_e32 vcc_lo, 0, v41
	v_and_b32_e32 v6, v6, v10
	v_not_b32_e32 v10, v42
	v_ashrrev_i32_e32 v9, 31, v9
	v_xor_b32_e32 v8, s19, v8
	v_lshlrev_b32_e32 v4, 24, v4
	v_and_b32_e32 v6, v6, v7
	v_cmp_gt_i32_e64 s19, 0, v42
	v_not_b32_e32 v7, v44
	v_ashrrev_i32_e32 v10, 31, v10
	v_xor_b32_e32 v9, vcc_lo, v9
	v_and_b32_e32 v6, v6, v8
	v_cmp_gt_i32_e32 vcc_lo, 0, v44
	v_not_b32_e32 v8, v4
	v_ashrrev_i32_e32 v7, 31, v7
	v_xor_b32_e32 v10, s19, v10
	v_and_b32_e32 v6, v6, v9
	v_cmp_gt_i32_e64 s19, 0, v4
	v_ashrrev_i32_e32 v4, 31, v8
	v_xor_b32_e32 v7, vcc_lo, v7
	v_lshl_add_u32 v46, v3, 2, v5
	v_and_b32_e32 v6, v6, v10
	v_xor_b32_e32 v4, s19, v4
	ds_read_b32 v41, v46 offset:128
	v_and_b32_e32 v5, v6, v7
	; wave barrier
	v_and_b32_e32 v4, v5, v4
	v_mbcnt_lo_u32_b32 v42, v4, 0
	v_cmp_ne_u32_e64 s19, 0, v4
	v_cmp_eq_u32_e32 vcc_lo, 0, v42
	s_and_b32 s20, s19, vcc_lo
	s_and_saveexec_b32 s19, s20
	s_cbranch_execz .LBB1052_37
; %bb.36:
	s_waitcnt lgkmcnt(0)
	v_bcnt_u32_b32 v4, v4, v41
	ds_write_b32 v46, v4 offset:128
.LBB1052_37:
	s_or_b32 exec_lo, exec_lo, s19
	v_lshrrev_b32_e32 v4, s44, v22
	; wave barrier
	v_and_b32_e32 v4, s35, v4
	v_and_b32_e32 v6, 1, v4
	v_lshlrev_b32_e32 v7, 30, v4
	v_lshlrev_b32_e32 v8, 29, v4
	;; [unrolled: 1-line block ×4, first 2 shown]
	v_add_co_u32 v6, s19, v6, -1
	v_cndmask_b32_e64 v10, 0, 1, s19
	v_not_b32_e32 v48, v7
	v_cmp_gt_i32_e64 s19, 0, v7
	v_not_b32_e32 v7, v8
	v_lshlrev_b32_e32 v45, 26, v4
	v_cmp_ne_u32_e32 vcc_lo, 0, v10
	v_ashrrev_i32_e32 v10, 31, v48
	v_lshlrev_b32_e32 v47, 25, v4
	v_ashrrev_i32_e32 v7, 31, v7
	v_mul_lo_u32 v5, 0x84, v4
	v_xor_b32_e32 v6, vcc_lo, v6
	v_cmp_gt_i32_e32 vcc_lo, 0, v8
	v_not_b32_e32 v8, v9
	v_xor_b32_e32 v10, s19, v10
	v_cmp_gt_i32_e64 s19, 0, v9
	v_and_b32_e32 v6, exec_lo, v6
	v_not_b32_e32 v9, v44
	v_ashrrev_i32_e32 v8, 31, v8
	v_xor_b32_e32 v7, vcc_lo, v7
	v_cmp_gt_i32_e32 vcc_lo, 0, v44
	v_and_b32_e32 v6, v6, v10
	v_not_b32_e32 v10, v45
	v_ashrrev_i32_e32 v9, 31, v9
	v_xor_b32_e32 v8, s19, v8
	v_lshlrev_b32_e32 v4, 24, v4
	v_and_b32_e32 v6, v6, v7
	v_cmp_gt_i32_e64 s19, 0, v45
	v_not_b32_e32 v7, v47
	v_ashrrev_i32_e32 v10, 31, v10
	v_xor_b32_e32 v9, vcc_lo, v9
	v_and_b32_e32 v6, v6, v8
	v_cmp_gt_i32_e32 vcc_lo, 0, v47
	v_not_b32_e32 v8, v4
	v_ashrrev_i32_e32 v7, 31, v7
	v_xor_b32_e32 v10, s19, v10
	v_and_b32_e32 v6, v6, v9
	v_cmp_gt_i32_e64 s19, 0, v4
	v_ashrrev_i32_e32 v4, 31, v8
	v_xor_b32_e32 v7, vcc_lo, v7
	v_lshl_add_u32 v49, v3, 2, v5
	v_and_b32_e32 v6, v6, v10
	v_xor_b32_e32 v4, s19, v4
	ds_read_b32 v44, v49 offset:128
	v_and_b32_e32 v5, v6, v7
	; wave barrier
	v_and_b32_e32 v4, v5, v4
	v_mbcnt_lo_u32_b32 v45, v4, 0
	v_cmp_ne_u32_e64 s19, 0, v4
	v_cmp_eq_u32_e32 vcc_lo, 0, v45
	s_and_b32 s20, s19, vcc_lo
	s_and_saveexec_b32 s19, s20
	s_cbranch_execz .LBB1052_39
; %bb.38:
	s_waitcnt lgkmcnt(0)
	v_bcnt_u32_b32 v4, v4, v44
	ds_write_b32 v49, v4 offset:128
.LBB1052_39:
	s_or_b32 exec_lo, exec_lo, s19
	v_lshrrev_b32_e32 v4, s44, v21
	; wave barrier
	v_and_b32_e32 v4, s35, v4
	v_and_b32_e32 v6, 1, v4
	v_lshlrev_b32_e32 v7, 30, v4
	v_lshlrev_b32_e32 v8, 29, v4
	v_lshlrev_b32_e32 v9, 28, v4
	v_lshlrev_b32_e32 v47, 27, v4
	v_add_co_u32 v6, s19, v6, -1
	v_cndmask_b32_e64 v10, 0, 1, s19
	v_not_b32_e32 v51, v7
	v_cmp_gt_i32_e64 s19, 0, v7
	v_not_b32_e32 v7, v8
	v_lshlrev_b32_e32 v48, 26, v4
	v_cmp_ne_u32_e32 vcc_lo, 0, v10
	v_ashrrev_i32_e32 v10, 31, v51
	v_lshlrev_b32_e32 v50, 25, v4
	v_ashrrev_i32_e32 v7, 31, v7
	v_mul_lo_u32 v5, 0x84, v4
	v_xor_b32_e32 v6, vcc_lo, v6
	v_cmp_gt_i32_e32 vcc_lo, 0, v8
	v_not_b32_e32 v8, v9
	v_xor_b32_e32 v10, s19, v10
	v_cmp_gt_i32_e64 s19, 0, v9
	v_and_b32_e32 v6, exec_lo, v6
	v_not_b32_e32 v9, v47
	v_ashrrev_i32_e32 v8, 31, v8
	v_xor_b32_e32 v7, vcc_lo, v7
	v_cmp_gt_i32_e32 vcc_lo, 0, v47
	v_and_b32_e32 v6, v6, v10
	v_not_b32_e32 v10, v48
	v_ashrrev_i32_e32 v9, 31, v9
	v_xor_b32_e32 v8, s19, v8
	v_lshlrev_b32_e32 v4, 24, v4
	v_and_b32_e32 v6, v6, v7
	v_cmp_gt_i32_e64 s19, 0, v48
	v_not_b32_e32 v7, v50
	v_ashrrev_i32_e32 v10, 31, v10
	v_xor_b32_e32 v9, vcc_lo, v9
	v_and_b32_e32 v6, v6, v8
	v_cmp_gt_i32_e32 vcc_lo, 0, v50
	v_not_b32_e32 v8, v4
	v_ashrrev_i32_e32 v7, 31, v7
	v_xor_b32_e32 v10, s19, v10
	v_and_b32_e32 v6, v6, v9
	v_cmp_gt_i32_e64 s19, 0, v4
	v_ashrrev_i32_e32 v4, 31, v8
	v_xor_b32_e32 v7, vcc_lo, v7
	v_lshl_add_u32 v52, v3, 2, v5
	v_and_b32_e32 v6, v6, v10
	v_xor_b32_e32 v4, s19, v4
	ds_read_b32 v47, v52 offset:128
	v_and_b32_e32 v5, v6, v7
	; wave barrier
	v_and_b32_e32 v4, v5, v4
	v_mbcnt_lo_u32_b32 v48, v4, 0
	v_cmp_ne_u32_e64 s19, 0, v4
	v_cmp_eq_u32_e32 vcc_lo, 0, v48
	s_and_b32 s20, s19, vcc_lo
	s_and_saveexec_b32 s19, s20
	s_cbranch_execz .LBB1052_41
; %bb.40:
	s_waitcnt lgkmcnt(0)
	v_bcnt_u32_b32 v4, v4, v47
	ds_write_b32 v52, v4 offset:128
.LBB1052_41:
	s_or_b32 exec_lo, exec_lo, s19
	v_lshrrev_b32_e32 v4, s44, v24
	; wave barrier
	v_and_b32_e32 v4, s35, v4
	v_and_b32_e32 v6, 1, v4
	v_lshlrev_b32_e32 v7, 30, v4
	v_lshlrev_b32_e32 v8, 29, v4
	;; [unrolled: 1-line block ×4, first 2 shown]
	v_add_co_u32 v6, s19, v6, -1
	v_cndmask_b32_e64 v10, 0, 1, s19
	v_not_b32_e32 v54, v7
	v_cmp_gt_i32_e64 s19, 0, v7
	v_not_b32_e32 v7, v8
	v_lshlrev_b32_e32 v51, 26, v4
	v_cmp_ne_u32_e32 vcc_lo, 0, v10
	v_ashrrev_i32_e32 v10, 31, v54
	v_lshlrev_b32_e32 v53, 25, v4
	v_ashrrev_i32_e32 v7, 31, v7
	v_mul_lo_u32 v5, 0x84, v4
	v_xor_b32_e32 v6, vcc_lo, v6
	v_cmp_gt_i32_e32 vcc_lo, 0, v8
	v_not_b32_e32 v8, v9
	v_xor_b32_e32 v10, s19, v10
	v_cmp_gt_i32_e64 s19, 0, v9
	v_and_b32_e32 v6, exec_lo, v6
	v_not_b32_e32 v9, v50
	v_ashrrev_i32_e32 v8, 31, v8
	v_xor_b32_e32 v7, vcc_lo, v7
	v_cmp_gt_i32_e32 vcc_lo, 0, v50
	v_and_b32_e32 v6, v6, v10
	v_not_b32_e32 v10, v51
	v_ashrrev_i32_e32 v9, 31, v9
	v_xor_b32_e32 v8, s19, v8
	v_lshlrev_b32_e32 v4, 24, v4
	v_and_b32_e32 v6, v6, v7
	v_cmp_gt_i32_e64 s19, 0, v51
	v_not_b32_e32 v7, v53
	v_ashrrev_i32_e32 v10, 31, v10
	v_xor_b32_e32 v9, vcc_lo, v9
	v_and_b32_e32 v6, v6, v8
	v_cmp_gt_i32_e32 vcc_lo, 0, v53
	v_not_b32_e32 v8, v4
	v_ashrrev_i32_e32 v7, 31, v7
	v_xor_b32_e32 v10, s19, v10
	v_and_b32_e32 v6, v6, v9
	v_cmp_gt_i32_e64 s19, 0, v4
	v_ashrrev_i32_e32 v4, 31, v8
	v_xor_b32_e32 v7, vcc_lo, v7
	v_lshl_add_u32 v55, v3, 2, v5
	v_and_b32_e32 v6, v6, v10
	v_xor_b32_e32 v4, s19, v4
	ds_read_b32 v50, v55 offset:128
	v_and_b32_e32 v5, v6, v7
	; wave barrier
	v_and_b32_e32 v4, v5, v4
	v_mbcnt_lo_u32_b32 v51, v4, 0
	v_cmp_ne_u32_e64 s19, 0, v4
	v_cmp_eq_u32_e32 vcc_lo, 0, v51
	s_and_b32 s20, s19, vcc_lo
	s_and_saveexec_b32 s19, s20
	s_cbranch_execz .LBB1052_43
; %bb.42:
	s_waitcnt lgkmcnt(0)
	v_bcnt_u32_b32 v4, v4, v50
	ds_write_b32 v55, v4 offset:128
.LBB1052_43:
	s_or_b32 exec_lo, exec_lo, s19
	v_lshrrev_b32_e32 v4, s44, v23
	; wave barrier
	v_and_b32_e32 v4, s35, v4
	v_and_b32_e32 v6, 1, v4
	v_lshlrev_b32_e32 v7, 30, v4
	v_lshlrev_b32_e32 v8, 29, v4
	;; [unrolled: 1-line block ×4, first 2 shown]
	v_add_co_u32 v6, s19, v6, -1
	v_cndmask_b32_e64 v10, 0, 1, s19
	v_not_b32_e32 v57, v7
	v_cmp_gt_i32_e64 s19, 0, v7
	v_not_b32_e32 v7, v8
	v_lshlrev_b32_e32 v54, 26, v4
	v_cmp_ne_u32_e32 vcc_lo, 0, v10
	v_ashrrev_i32_e32 v10, 31, v57
	v_lshlrev_b32_e32 v56, 25, v4
	v_ashrrev_i32_e32 v7, 31, v7
	v_mul_lo_u32 v5, 0x84, v4
	v_xor_b32_e32 v6, vcc_lo, v6
	v_cmp_gt_i32_e32 vcc_lo, 0, v8
	v_not_b32_e32 v8, v9
	v_xor_b32_e32 v10, s19, v10
	v_cmp_gt_i32_e64 s19, 0, v9
	v_and_b32_e32 v6, exec_lo, v6
	v_not_b32_e32 v9, v53
	v_ashrrev_i32_e32 v8, 31, v8
	v_xor_b32_e32 v7, vcc_lo, v7
	v_cmp_gt_i32_e32 vcc_lo, 0, v53
	v_and_b32_e32 v6, v6, v10
	v_not_b32_e32 v10, v54
	v_ashrrev_i32_e32 v9, 31, v9
	v_xor_b32_e32 v8, s19, v8
	v_lshlrev_b32_e32 v4, 24, v4
	v_and_b32_e32 v6, v6, v7
	v_cmp_gt_i32_e64 s19, 0, v54
	v_not_b32_e32 v7, v56
	v_ashrrev_i32_e32 v10, 31, v10
	v_xor_b32_e32 v9, vcc_lo, v9
	v_and_b32_e32 v6, v6, v8
	v_cmp_gt_i32_e32 vcc_lo, 0, v56
	v_not_b32_e32 v8, v4
	v_ashrrev_i32_e32 v7, 31, v7
	v_xor_b32_e32 v10, s19, v10
	v_and_b32_e32 v6, v6, v9
	v_cmp_gt_i32_e64 s19, 0, v4
	v_ashrrev_i32_e32 v4, 31, v8
	v_xor_b32_e32 v7, vcc_lo, v7
	v_lshl_add_u32 v58, v3, 2, v5
	v_and_b32_e32 v6, v6, v10
	v_xor_b32_e32 v4, s19, v4
	ds_read_b32 v53, v58 offset:128
	v_and_b32_e32 v5, v6, v7
	; wave barrier
	v_and_b32_e32 v4, v5, v4
	v_mbcnt_lo_u32_b32 v54, v4, 0
	v_cmp_ne_u32_e64 s19, 0, v4
	v_cmp_eq_u32_e32 vcc_lo, 0, v54
	s_and_b32 s20, s19, vcc_lo
	s_and_saveexec_b32 s19, s20
	s_cbranch_execz .LBB1052_45
; %bb.44:
	s_waitcnt lgkmcnt(0)
	v_bcnt_u32_b32 v4, v4, v53
	ds_write_b32 v58, v4 offset:128
.LBB1052_45:
	s_or_b32 exec_lo, exec_lo, s19
	v_lshrrev_b32_e32 v4, s44, v26
	; wave barrier
	v_and_b32_e32 v4, s35, v4
	v_and_b32_e32 v6, 1, v4
	v_lshlrev_b32_e32 v7, 30, v4
	v_lshlrev_b32_e32 v8, 29, v4
	;; [unrolled: 1-line block ×4, first 2 shown]
	v_add_co_u32 v6, s19, v6, -1
	v_cndmask_b32_e64 v10, 0, 1, s19
	v_not_b32_e32 v60, v7
	v_cmp_gt_i32_e64 s19, 0, v7
	v_not_b32_e32 v7, v8
	v_lshlrev_b32_e32 v57, 26, v4
	v_cmp_ne_u32_e32 vcc_lo, 0, v10
	v_ashrrev_i32_e32 v10, 31, v60
	v_lshlrev_b32_e32 v59, 25, v4
	v_ashrrev_i32_e32 v7, 31, v7
	v_mul_lo_u32 v5, 0x84, v4
	v_xor_b32_e32 v6, vcc_lo, v6
	v_cmp_gt_i32_e32 vcc_lo, 0, v8
	v_not_b32_e32 v8, v9
	v_xor_b32_e32 v10, s19, v10
	v_cmp_gt_i32_e64 s19, 0, v9
	v_and_b32_e32 v6, exec_lo, v6
	v_not_b32_e32 v9, v56
	v_ashrrev_i32_e32 v8, 31, v8
	v_xor_b32_e32 v7, vcc_lo, v7
	v_cmp_gt_i32_e32 vcc_lo, 0, v56
	v_and_b32_e32 v6, v6, v10
	v_not_b32_e32 v10, v57
	v_ashrrev_i32_e32 v9, 31, v9
	v_xor_b32_e32 v8, s19, v8
	v_lshlrev_b32_e32 v4, 24, v4
	v_and_b32_e32 v6, v6, v7
	v_cmp_gt_i32_e64 s19, 0, v57
	v_not_b32_e32 v7, v59
	v_ashrrev_i32_e32 v10, 31, v10
	v_xor_b32_e32 v9, vcc_lo, v9
	v_and_b32_e32 v6, v6, v8
	v_cmp_gt_i32_e32 vcc_lo, 0, v59
	v_not_b32_e32 v8, v4
	v_ashrrev_i32_e32 v7, 31, v7
	v_xor_b32_e32 v10, s19, v10
	v_and_b32_e32 v6, v6, v9
	v_cmp_gt_i32_e64 s19, 0, v4
	v_ashrrev_i32_e32 v4, 31, v8
	v_xor_b32_e32 v7, vcc_lo, v7
	v_lshl_add_u32 v61, v3, 2, v5
	v_and_b32_e32 v6, v6, v10
	v_xor_b32_e32 v4, s19, v4
	ds_read_b32 v56, v61 offset:128
	v_and_b32_e32 v5, v6, v7
	; wave barrier
	v_and_b32_e32 v4, v5, v4
	v_mbcnt_lo_u32_b32 v57, v4, 0
	v_cmp_ne_u32_e64 s19, 0, v4
	v_cmp_eq_u32_e32 vcc_lo, 0, v57
	s_and_b32 s20, s19, vcc_lo
	s_and_saveexec_b32 s19, s20
	s_cbranch_execz .LBB1052_47
; %bb.46:
	s_waitcnt lgkmcnt(0)
	v_bcnt_u32_b32 v4, v4, v56
	ds_write_b32 v61, v4 offset:128
.LBB1052_47:
	s_or_b32 exec_lo, exec_lo, s19
	v_lshrrev_b32_e32 v4, s44, v25
	; wave barrier
	v_and_b32_e32 v4, s35, v4
	v_and_b32_e32 v6, 1, v4
	v_lshlrev_b32_e32 v7, 30, v4
	v_lshlrev_b32_e32 v8, 29, v4
	;; [unrolled: 1-line block ×4, first 2 shown]
	v_add_co_u32 v6, s19, v6, -1
	v_cndmask_b32_e64 v10, 0, 1, s19
	v_not_b32_e32 v63, v7
	v_cmp_gt_i32_e64 s19, 0, v7
	v_not_b32_e32 v7, v8
	v_lshlrev_b32_e32 v60, 26, v4
	v_cmp_ne_u32_e32 vcc_lo, 0, v10
	v_ashrrev_i32_e32 v10, 31, v63
	v_lshlrev_b32_e32 v62, 25, v4
	v_ashrrev_i32_e32 v7, 31, v7
	v_mul_lo_u32 v5, 0x84, v4
	v_xor_b32_e32 v6, vcc_lo, v6
	v_cmp_gt_i32_e32 vcc_lo, 0, v8
	v_not_b32_e32 v8, v9
	v_xor_b32_e32 v10, s19, v10
	v_cmp_gt_i32_e64 s19, 0, v9
	v_and_b32_e32 v6, exec_lo, v6
	v_not_b32_e32 v9, v59
	v_ashrrev_i32_e32 v8, 31, v8
	v_xor_b32_e32 v7, vcc_lo, v7
	v_cmp_gt_i32_e32 vcc_lo, 0, v59
	v_and_b32_e32 v6, v6, v10
	v_not_b32_e32 v10, v60
	v_ashrrev_i32_e32 v9, 31, v9
	v_xor_b32_e32 v8, s19, v8
	v_lshlrev_b32_e32 v4, 24, v4
	v_and_b32_e32 v6, v6, v7
	v_cmp_gt_i32_e64 s19, 0, v60
	v_not_b32_e32 v7, v62
	v_ashrrev_i32_e32 v10, 31, v10
	v_xor_b32_e32 v9, vcc_lo, v9
	v_and_b32_e32 v6, v6, v8
	v_cmp_gt_i32_e32 vcc_lo, 0, v62
	v_not_b32_e32 v8, v4
	v_ashrrev_i32_e32 v7, 31, v7
	v_xor_b32_e32 v10, s19, v10
	v_and_b32_e32 v6, v6, v9
	v_cmp_gt_i32_e64 s19, 0, v4
	v_ashrrev_i32_e32 v4, 31, v8
	v_xor_b32_e32 v7, vcc_lo, v7
	v_lshl_add_u32 v62, v3, 2, v5
	v_and_b32_e32 v6, v6, v10
	v_xor_b32_e32 v3, s19, v4
	ds_read_b32 v59, v62 offset:128
	v_and_b32_e32 v4, v6, v7
	; wave barrier
	v_and_b32_e32 v3, v4, v3
	v_mbcnt_lo_u32_b32 v60, v3, 0
	v_cmp_ne_u32_e64 s19, 0, v3
	v_cmp_eq_u32_e32 vcc_lo, 0, v60
	s_and_b32 s20, s19, vcc_lo
	s_and_saveexec_b32 s19, s20
	s_cbranch_execz .LBB1052_49
; %bb.48:
	s_waitcnt lgkmcnt(0)
	v_bcnt_u32_b32 v3, v3, v59
	ds_write_b32 v62, v3 offset:128
.LBB1052_49:
	s_or_b32 exec_lo, exec_lo, s19
	; wave barrier
	s_waitcnt lgkmcnt(0)
	s_barrier
	buffer_gl0_inv
	ds_read2_b32 v[9:10], v30 offset0:32 offset1:33
	ds_read2_b32 v[7:8], v30 offset0:34 offset1:35
	;; [unrolled: 1-line block ×4, first 2 shown]
	ds_read_b32 v63, v30 offset:160
	v_and_b32_e32 v66, 16, v11
	v_and_b32_e32 v67, 31, v0
	s_mov_b32 s24, exec_lo
	v_cmp_eq_u32_e64 s22, 0, v66
	s_waitcnt lgkmcnt(3)
	v_add3_u32 v64, v10, v9, v7
	s_waitcnt lgkmcnt(2)
	v_add3_u32 v64, v64, v8, v5
	;; [unrolled: 2-line block ×4, first 2 shown]
	v_and_b32_e32 v64, 15, v11
	v_mov_b32_dpp v65, v63 row_shr:1 row_mask:0xf bank_mask:0xf
	v_cmp_eq_u32_e32 vcc_lo, 0, v64
	v_cmp_lt_u32_e64 s19, 1, v64
	v_cmp_lt_u32_e64 s20, 3, v64
	;; [unrolled: 1-line block ×3, first 2 shown]
	v_cndmask_b32_e64 v65, v65, 0, vcc_lo
	v_add_nc_u32_e32 v63, v65, v63
	v_mov_b32_dpp v65, v63 row_shr:2 row_mask:0xf bank_mask:0xf
	v_cndmask_b32_e64 v65, 0, v65, s19
	v_add_nc_u32_e32 v63, v63, v65
	v_mov_b32_dpp v65, v63 row_shr:4 row_mask:0xf bank_mask:0xf
	v_cndmask_b32_e64 v65, 0, v65, s20
	;; [unrolled: 3-line block ×3, first 2 shown]
	v_bfe_i32 v65, v11, 4, 1
	v_add_nc_u32_e32 v63, v63, v64
	ds_swizzle_b32 v64, v63 offset:swizzle(BROADCAST,32,15)
	s_waitcnt lgkmcnt(0)
	v_and_b32_e32 v65, v65, v64
	v_lshrrev_b32_e32 v64, 5, v0
	v_add_nc_u32_e32 v63, v63, v65
	v_cmpx_eq_u32_e32 31, v67
; %bb.50:
	v_lshlrev_b32_e32 v65, 2, v64
	ds_write_b32 v65, v63
; %bb.51:
	s_or_b32 exec_lo, exec_lo, s24
	v_cmp_lt_u32_e64 s23, 31, v0
	s_mov_b32 s48, exec_lo
	s_waitcnt lgkmcnt(0)
	s_barrier
	buffer_gl0_inv
	v_cmpx_gt_u32_e32 32, v0
	s_cbranch_execz .LBB1052_53
; %bb.52:
	v_lshlrev_b32_e32 v65, 2, v0
	ds_read_b32 v66, v65
	s_waitcnt lgkmcnt(0)
	v_mov_b32_dpp v67, v66 row_shr:1 row_mask:0xf bank_mask:0xf
	v_cndmask_b32_e64 v67, v67, 0, vcc_lo
	v_add_nc_u32_e32 v66, v67, v66
	v_mov_b32_dpp v67, v66 row_shr:2 row_mask:0xf bank_mask:0xf
	v_cndmask_b32_e64 v67, 0, v67, s19
	v_add_nc_u32_e32 v66, v66, v67
	v_mov_b32_dpp v67, v66 row_shr:4 row_mask:0xf bank_mask:0xf
	v_cndmask_b32_e64 v67, 0, v67, s20
	;; [unrolled: 3-line block ×3, first 2 shown]
	v_add_nc_u32_e32 v66, v66, v67
	ds_swizzle_b32 v67, v66 offset:swizzle(BROADCAST,32,15)
	s_waitcnt lgkmcnt(0)
	v_cndmask_b32_e64 v67, v67, 0, s22
	v_add_nc_u32_e32 v66, v66, v67
	ds_write_b32 v65, v66
.LBB1052_53:
	s_or_b32 exec_lo, exec_lo, s48
	v_mov_b32_e32 v65, 0
	s_waitcnt lgkmcnt(0)
	s_barrier
	buffer_gl0_inv
	s_and_saveexec_b32 s19, s23
; %bb.54:
	v_lshl_add_u32 v64, v64, 2, -4
	ds_read_b32 v65, v64
; %bb.55:
	s_or_b32 exec_lo, exec_lo, s19
	v_sub_co_u32 v64, vcc_lo, v11, 1
	s_waitcnt lgkmcnt(0)
	v_add_nc_u32_e32 v63, v65, v63
	v_cmp_gt_i32_e64 s19, 0, v64
	v_cndmask_b32_e64 v64, v64, v11, s19
	v_cmp_lt_u32_e64 s19, 0xff, v0
	v_lshlrev_b32_e32 v64, 2, v64
	ds_bpermute_b32 v63, v64, v63
	s_waitcnt lgkmcnt(0)
	v_cndmask_b32_e32 v63, v63, v65, vcc_lo
	v_cmp_ne_u32_e32 vcc_lo, 0, v0
	v_cndmask_b32_e32 v63, 0, v63, vcc_lo
	v_cmp_gt_u32_e32 vcc_lo, 0x100, v0
	v_add_nc_u32_e32 v9, v63, v9
	v_add_nc_u32_e32 v10, v9, v10
	;; [unrolled: 1-line block ×8, first 2 shown]
	ds_write2_b32 v30, v63, v9 offset0:32 offset1:33
	ds_write2_b32 v30, v10, v7 offset0:34 offset1:35
	;; [unrolled: 1-line block ×4, first 2 shown]
	ds_write_b32 v30, v4 offset:160
	s_waitcnt lgkmcnt(0)
	s_barrier
	buffer_gl0_inv
	ds_read_b32 v31, v31 offset:128
	ds_read_b32 v34, v34 offset:128
	;; [unrolled: 1-line block ×12, first 2 shown]
                                        ; implicit-def: $vgpr9
                                        ; implicit-def: $vgpr10
	s_and_saveexec_b32 s21, vcc_lo
	s_cbranch_execz .LBB1052_59
; %bb.56:
	v_mul_u32_u24_e32 v3, 0x84, v0
	v_add_nc_u32_e32 v4, 1, v0
	s_mov_b32 s22, exec_lo
	ds_read_b32 v9, v3 offset:128
	v_mov_b32_e32 v3, 0x3000
	v_cmpx_ne_u32_e32 0x100, v4
; %bb.57:
	v_mul_u32_u24_e32 v3, 0x84, v4
	ds_read_b32 v3, v3 offset:128
; %bb.58:
	s_or_b32 exec_lo, exec_lo, s22
	s_waitcnt lgkmcnt(0)
	v_sub_nc_u32_e32 v10, v3, v9
.LBB1052_59:
	s_or_b32 exec_lo, exec_lo, s21
	v_mov_b32_e32 v4, 0
	v_lshlrev_b32_e32 v30, 2, v0
	s_waitcnt lgkmcnt(0)
	s_barrier
	buffer_gl0_inv
	s_and_saveexec_b32 s20, vcc_lo
	s_cbranch_execz .LBB1052_69
; %bb.60:
	v_lshl_add_u32 v3, s6, 8, v0
	v_mov_b32_e32 v63, 0
	s_mov_b32 s21, 0
	s_mov_b32 s22, s6
                                        ; implicit-def: $sgpr23
	v_lshlrev_b64 v[5:6], 2, v[3:4]
	v_or_b32_e32 v3, 2.0, v10
	v_add_co_u32 v5, vcc_lo, s26, v5
	v_add_co_ci_u32_e64 v6, null, s27, v6, vcc_lo
	global_store_dword v[5:6], v3, off
	s_branch .LBB1052_63
	.p2align	6
.LBB1052_61:                            ;   in Loop: Header=BB1052_63 Depth=1
	s_or_b32 exec_lo, exec_lo, s24
.LBB1052_62:                            ;   in Loop: Header=BB1052_63 Depth=1
	s_or_b32 exec_lo, exec_lo, s23
	v_and_b32_e32 v7, 0x3fffffff, v3
	v_cmp_gt_i32_e64 s23, -2.0, v3
	v_add_nc_u32_e32 v63, v7, v63
	s_and_b32 s24, exec_lo, s23
	s_or_b32 s21, s24, s21
	s_andn2_b32 exec_lo, exec_lo, s21
	s_cbranch_execz .LBB1052_68
.LBB1052_63:                            ; =>This Loop Header: Depth=1
                                        ;     Child Loop BB1052_66 Depth 2
	s_or_b32 s23, s23, exec_lo
	s_cmp_eq_u32 s22, 0
	s_cbranch_scc1 .LBB1052_67
; %bb.64:                               ;   in Loop: Header=BB1052_63 Depth=1
	s_add_i32 s22, s22, -1
	s_mov_b32 s23, exec_lo
	v_lshl_or_b32 v3, s22, 8, v0
	v_lshlrev_b64 v[7:8], 2, v[3:4]
	v_add_co_u32 v7, vcc_lo, s26, v7
	v_add_co_ci_u32_e64 v8, null, s27, v8, vcc_lo
	global_load_dword v3, v[7:8], off glc dlc
	s_waitcnt vmcnt(0)
	v_cmpx_gt_u32_e32 2.0, v3
	s_cbranch_execz .LBB1052_62
; %bb.65:                               ;   in Loop: Header=BB1052_63 Depth=1
	s_mov_b32 s24, 0
.LBB1052_66:                            ;   Parent Loop BB1052_63 Depth=1
                                        ; =>  This Inner Loop Header: Depth=2
	global_load_dword v3, v[7:8], off glc dlc
	s_waitcnt vmcnt(0)
	v_cmp_lt_u32_e32 vcc_lo, 0x3fffffff, v3
	s_or_b32 s24, vcc_lo, s24
	s_andn2_b32 exec_lo, exec_lo, s24
	s_cbranch_execnz .LBB1052_66
	s_branch .LBB1052_61
.LBB1052_67:                            ;   in Loop: Header=BB1052_63 Depth=1
                                        ; implicit-def: $sgpr22
	s_and_b32 s24, exec_lo, s23
	s_or_b32 s21, s24, s21
	s_andn2_b32 exec_lo, exec_lo, s21
	s_cbranch_execnz .LBB1052_63
.LBB1052_68:
	s_or_b32 exec_lo, exec_lo, s21
	v_add_nc_u32_e32 v3, v63, v10
	v_sub_nc_u32_e32 v4, v63, v9
	v_or_b32_e32 v3, 0x80000000, v3
	global_store_dword v[5:6], v3, off
	global_load_dword v3, v30, s[28:29]
	s_waitcnt vmcnt(0)
	v_add_nc_u32_e32 v3, v4, v3
	ds_write_b32 v30, v3
.LBB1052_69:
	s_or_b32 exec_lo, exec_lo, s20
	v_add_nc_u32_e32 v5, v31, v27
	v_add3_u32 v6, v29, v28, v34
	v_add3_u32 v7, v33, v32, v37
	;; [unrolled: 1-line block ×11, first 2 shown]
	v_mov_b32_e32 v4, 0
	v_mov_b32_e32 v36, v5
	;; [unrolled: 1-line block ×14, first 2 shown]
	s_mov_b32 s20, 32
	s_mov_b32 s22, 0
	s_mov_b32 s21, -1
	s_branch .LBB1052_71
.LBB1052_70:                            ;   in Loop: Header=BB1052_71 Depth=1
	s_or_b32 exec_lo, exec_lo, s23
	v_add_nc_u32_e32 v48, 0x2000, v48
	v_add_nc_u32_e32 v47, 0xffffe000, v47
	;; [unrolled: 1-line block ×13, first 2 shown]
	s_xor_b32 s22, s21, -1
	s_mov_b32 s21, 0
	s_and_b32 vcc_lo, exec_lo, s22
	s_mov_b32 s22, s20
	s_waitcnt_vscnt null, 0x0
	s_barrier
	buffer_gl0_inv
	s_cbranch_vccnz .LBB1052_87
.LBB1052_71:                            ; =>This Inner Loop Header: Depth=1
	v_min_u32_e32 v3, 0x2000, v36
	v_min_u32_e32 v49, 0x2000, v37
	;; [unrolled: 1-line block ×5, first 2 shown]
	v_lshlrev_b32_e32 v3, 2, v3
	v_lshlrev_b32_e32 v49, 2, v49
	v_min_u32_e32 v53, 0x2000, v41
	v_lshlrev_b32_e32 v50, 2, v50
	s_mov_b32 s23, exec_lo
	ds_write_b32 v3, v16 offset:1024
	ds_write_b32 v49, v15 offset:1024
	v_min_u32_e32 v3, 0x2000, v42
	v_lshlrev_b32_e32 v49, 2, v51
	v_lshlrev_b32_e32 v51, 2, v52
	;; [unrolled: 1-line block ×3, first 2 shown]
	ds_write_b32 v50, v18 offset:1024
	v_lshlrev_b32_e32 v3, 2, v3
	ds_write_b32 v49, v17 offset:1024
	ds_write_b32 v51, v20 offset:1024
	;; [unrolled: 1-line block ×3, first 2 shown]
	v_min_u32_e32 v49, 0x2000, v43
	v_min_u32_e32 v50, 0x2000, v45
	;; [unrolled: 1-line block ×3, first 2 shown]
	ds_write_b32 v3, v22 offset:1024
	v_min_u32_e32 v3, 0x2000, v44
	v_lshlrev_b32_e32 v49, 2, v49
	v_min_u32_e32 v52, 0x2000, v47
	v_lshlrev_b32_e32 v50, 2, v50
	v_lshlrev_b32_e32 v51, 2, v51
	;; [unrolled: 1-line block ×3, first 2 shown]
	ds_write_b32 v49, v21 offset:1024
	v_lshlrev_b32_e32 v49, 2, v52
	ds_write_b32 v3, v24 offset:1024
	ds_write_b32 v50, v23 offset:1024
	;; [unrolled: 1-line block ×4, first 2 shown]
	s_waitcnt lgkmcnt(0)
	s_waitcnt_vscnt null, 0x0
	s_barrier
	buffer_gl0_inv
	v_cmpx_gt_u32_e64 s25, v48
	s_cbranch_execz .LBB1052_73
; %bb.72:                               ;   in Loop: Header=BB1052_71 Depth=1
	ds_read_b32 v51, v30 offset:1024
	s_waitcnt lgkmcnt(0)
	v_lshrrev_b32_e32 v3, s44, v51
	v_and_b32_e32 v52, s35, v3
	v_lshlrev_b32_e32 v3, 2, v52
	ds_read_b32 v3, v3
	s_waitcnt lgkmcnt(0)
	v_add_nc_u32_e32 v3, v48, v3
	v_lshlrev_b64 v[49:50], 2, v[3:4]
	v_xor_b32_e32 v3, 0x7fffffff, v51
	v_mov_b32_e32 v51, s22
	v_add_co_u32 v49, vcc_lo, s38, v49
	v_add_co_ci_u32_e64 v50, null, s39, v50, vcc_lo
	buffer_store_dword v52, v51, s[0:3], 0 offen
	global_store_dword v[49:50], v3, off
.LBB1052_73:                            ;   in Loop: Header=BB1052_71 Depth=1
	s_or_b32 exec_lo, exec_lo, s23
	v_add_nc_u32_e32 v3, 0x400, v48
	s_mov_b32 s23, exec_lo
	v_cmpx_gt_u32_e64 s25, v3
	s_cbranch_execz .LBB1052_75
; %bb.74:                               ;   in Loop: Header=BB1052_71 Depth=1
	ds_read_b32 v51, v30 offset:5120
	s_waitcnt lgkmcnt(0)
	v_lshrrev_b32_e32 v3, s44, v51
	v_and_b32_e32 v52, s35, v3
	v_lshlrev_b32_e32 v3, 2, v52
	ds_read_b32 v3, v3
	s_waitcnt lgkmcnt(0)
	v_add3_u32 v3, v48, v3, 0x400
	v_lshlrev_b64 v[49:50], 2, v[3:4]
	v_xor_b32_e32 v3, 0x7fffffff, v51
	v_mov_b32_e32 v51, s22
	v_add_co_u32 v49, vcc_lo, s38, v49
	v_add_co_ci_u32_e64 v50, null, s39, v50, vcc_lo
	buffer_store_dword v52, v51, s[0:3], 0 offen offset:4
	global_store_dword v[49:50], v3, off
.LBB1052_75:                            ;   in Loop: Header=BB1052_71 Depth=1
	s_or_b32 exec_lo, exec_lo, s23
	v_add_nc_u32_e32 v3, 0x800, v48
	s_mov_b32 s23, exec_lo
	v_cmpx_gt_u32_e64 s25, v3
	s_cbranch_execz .LBB1052_77
; %bb.76:                               ;   in Loop: Header=BB1052_71 Depth=1
	ds_read_b32 v51, v30 offset:9216
	s_waitcnt lgkmcnt(0)
	v_lshrrev_b32_e32 v3, s44, v51
	v_and_b32_e32 v52, s35, v3
	v_lshlrev_b32_e32 v3, 2, v52
	ds_read_b32 v3, v3
	s_waitcnt lgkmcnt(0)
	v_add3_u32 v3, v48, v3, 0x800
	v_lshlrev_b64 v[49:50], 2, v[3:4]
	v_xor_b32_e32 v3, 0x7fffffff, v51
	v_mov_b32_e32 v51, s22
	v_add_co_u32 v49, vcc_lo, s38, v49
	v_add_co_ci_u32_e64 v50, null, s39, v50, vcc_lo
	buffer_store_dword v52, v51, s[0:3], 0 offen offset:8
	global_store_dword v[49:50], v3, off
.LBB1052_77:                            ;   in Loop: Header=BB1052_71 Depth=1
	;; [unrolled: 22-line block ×6, first 2 shown]
	s_or_b32 exec_lo, exec_lo, s23
	v_add_nc_u32_e32 v3, 0x1c00, v48
	s_mov_b32 s23, exec_lo
	v_cmpx_gt_u32_e64 s25, v3
	s_cbranch_execz .LBB1052_70
; %bb.86:                               ;   in Loop: Header=BB1052_71 Depth=1
	ds_read_b32 v51, v30 offset:29696
	s_waitcnt lgkmcnt(0)
	v_lshrrev_b32_e32 v3, s44, v51
	v_and_b32_e32 v52, s35, v3
	v_lshlrev_b32_e32 v3, 2, v52
	ds_read_b32 v3, v3
	s_waitcnt lgkmcnt(0)
	v_add3_u32 v3, v48, v3, 0x1c00
	v_lshlrev_b64 v[49:50], 2, v[3:4]
	v_xor_b32_e32 v3, 0x7fffffff, v51
	v_mov_b32_e32 v51, s22
	v_add_co_u32 v49, vcc_lo, s38, v49
	v_add_co_ci_u32_e64 v50, null, s39, v50, vcc_lo
	buffer_store_dword v52, v51, s[0:3], 0 offen offset:28
	global_store_dword v[49:50], v3, off
	s_branch .LBB1052_70
.LBB1052_87:
	s_add_u32 s21, s40, s46
	s_addc_u32 s22, s41, s47
	v_add_co_u32 v3, s21, s21, v13
	v_add_co_ci_u32_e64 v4, null, s22, 0, s21
                                        ; implicit-def: $vgpr13
	v_add_co_u32 v3, vcc_lo, v3, v14
	v_add_co_ci_u32_e64 v4, null, 0, v4, vcc_lo
	s_and_saveexec_b32 s21, s7
	s_cbranch_execz .LBB1052_99
; %bb.88:
	global_load_dword v13, v[3:4], off
	s_or_b32 exec_lo, exec_lo, s21
                                        ; implicit-def: $vgpr14
	s_and_saveexec_b32 s7, s8
	s_cbranch_execnz .LBB1052_100
.LBB1052_89:
	s_or_b32 exec_lo, exec_lo, s7
                                        ; implicit-def: $vgpr15
	s_and_saveexec_b32 s7, s9
	s_cbranch_execz .LBB1052_101
.LBB1052_90:
	global_load_dword v15, v[3:4], off offset:256
	s_or_b32 exec_lo, exec_lo, s7
                                        ; implicit-def: $vgpr16
	s_and_saveexec_b32 s7, s10
	s_cbranch_execnz .LBB1052_102
.LBB1052_91:
	s_or_b32 exec_lo, exec_lo, s7
                                        ; implicit-def: $vgpr17
	s_and_saveexec_b32 s7, s11
	s_cbranch_execz .LBB1052_103
.LBB1052_92:
	global_load_dword v17, v[3:4], off offset:512
	s_or_b32 exec_lo, exec_lo, s7
                                        ; implicit-def: $vgpr18
	s_and_saveexec_b32 s7, s12
	s_cbranch_execnz .LBB1052_104
.LBB1052_93:
	s_or_b32 exec_lo, exec_lo, s7
                                        ; implicit-def: $vgpr19
	s_and_saveexec_b32 s7, s13
	s_cbranch_execz .LBB1052_105
.LBB1052_94:
	global_load_dword v19, v[3:4], off offset:768
	s_or_b32 exec_lo, exec_lo, s7
                                        ; implicit-def: $vgpr20
	s_and_saveexec_b32 s7, s14
	s_cbranch_execnz .LBB1052_106
.LBB1052_95:
	s_or_b32 exec_lo, exec_lo, s7
                                        ; implicit-def: $vgpr21
	s_and_saveexec_b32 s7, s15
	s_cbranch_execz .LBB1052_107
.LBB1052_96:
	global_load_dword v21, v[3:4], off offset:1024
	s_or_b32 exec_lo, exec_lo, s7
                                        ; implicit-def: $vgpr22
	s_and_saveexec_b32 s7, s16
	s_cbranch_execnz .LBB1052_108
.LBB1052_97:
	s_or_b32 exec_lo, exec_lo, s7
                                        ; implicit-def: $vgpr23
	s_and_saveexec_b32 s7, s17
	s_cbranch_execz .LBB1052_109
.LBB1052_98:
	global_load_dword v23, v[3:4], off offset:1280
	s_or_b32 exec_lo, exec_lo, s7
                                        ; implicit-def: $vgpr24
	s_and_saveexec_b32 s7, s18
	s_cbranch_execnz .LBB1052_110
	s_branch .LBB1052_111
.LBB1052_99:
	s_or_b32 exec_lo, exec_lo, s21
                                        ; implicit-def: $vgpr14
	s_and_saveexec_b32 s7, s8
	s_cbranch_execz .LBB1052_89
.LBB1052_100:
	global_load_dword v14, v[3:4], off offset:128
	s_or_b32 exec_lo, exec_lo, s7
                                        ; implicit-def: $vgpr15
	s_and_saveexec_b32 s7, s9
	s_cbranch_execnz .LBB1052_90
.LBB1052_101:
	s_or_b32 exec_lo, exec_lo, s7
                                        ; implicit-def: $vgpr16
	s_and_saveexec_b32 s7, s10
	s_cbranch_execz .LBB1052_91
.LBB1052_102:
	global_load_dword v16, v[3:4], off offset:384
	s_or_b32 exec_lo, exec_lo, s7
                                        ; implicit-def: $vgpr17
	s_and_saveexec_b32 s7, s11
	s_cbranch_execnz .LBB1052_92
.LBB1052_103:
	s_or_b32 exec_lo, exec_lo, s7
                                        ; implicit-def: $vgpr18
	s_and_saveexec_b32 s7, s12
	s_cbranch_execz .LBB1052_93
.LBB1052_104:
	global_load_dword v18, v[3:4], off offset:640
	s_or_b32 exec_lo, exec_lo, s7
                                        ; implicit-def: $vgpr19
	s_and_saveexec_b32 s7, s13
	s_cbranch_execnz .LBB1052_94
.LBB1052_105:
	s_or_b32 exec_lo, exec_lo, s7
                                        ; implicit-def: $vgpr20
	s_and_saveexec_b32 s7, s14
	s_cbranch_execz .LBB1052_95
.LBB1052_106:
	global_load_dword v20, v[3:4], off offset:896
	s_or_b32 exec_lo, exec_lo, s7
                                        ; implicit-def: $vgpr21
	s_and_saveexec_b32 s7, s15
	s_cbranch_execnz .LBB1052_96
.LBB1052_107:
	s_or_b32 exec_lo, exec_lo, s7
                                        ; implicit-def: $vgpr22
	s_and_saveexec_b32 s7, s16
	s_cbranch_execz .LBB1052_97
.LBB1052_108:
	global_load_dword v22, v[3:4], off offset:1152
	s_or_b32 exec_lo, exec_lo, s7
                                        ; implicit-def: $vgpr23
	s_and_saveexec_b32 s7, s17
	s_cbranch_execnz .LBB1052_98
.LBB1052_109:
	s_or_b32 exec_lo, exec_lo, s7
                                        ; implicit-def: $vgpr24
	s_and_saveexec_b32 s7, s18
	s_cbranch_execz .LBB1052_111
.LBB1052_110:
	global_load_dword v24, v[3:4], off offset:1408
.LBB1052_111:
	s_or_b32 exec_lo, exec_lo, s7
	v_mov_b32_e32 v4, 0
	v_mov_b32_e32 v25, v0
	s_mov_b32 s8, 0
	s_mov_b32 s7, -1
	s_branch .LBB1052_113
.LBB1052_112:                           ;   in Loop: Header=BB1052_113 Depth=1
	s_or_b32 exec_lo, exec_lo, s9
	v_add_nc_u32_e32 v25, 0x2000, v25
	v_add_nc_u32_e32 v35, 0xffffe000, v35
	v_add_nc_u32_e32 v34, 0xffffe000, v34
	v_add_nc_u32_e32 v33, 0xffffe000, v33
	v_add_nc_u32_e32 v32, 0xffffe000, v32
	v_add_nc_u32_e32 v31, 0xffffe000, v31
	v_add_nc_u32_e32 v29, 0xffffe000, v29
	v_add_nc_u32_e32 v28, 0xffffe000, v28
	v_add_nc_u32_e32 v27, 0xffffe000, v27
	v_add_nc_u32_e32 v8, 0xffffe000, v8
	v_add_nc_u32_e32 v7, 0xffffe000, v7
	v_add_nc_u32_e32 v6, 0xffffe000, v6
	v_add_nc_u32_e32 v5, 0xffffe000, v5
	s_xor_b32 s8, s7, -1
	s_mov_b32 s7, 0
	s_and_b32 vcc_lo, exec_lo, s8
	s_mov_b32 s8, s20
	s_waitcnt_vscnt null, 0x0
	s_barrier
	buffer_gl0_inv
	s_cbranch_vccnz .LBB1052_129
.LBB1052_113:                           ; =>This Inner Loop Header: Depth=1
	v_min_u32_e32 v3, 0x2000, v5
	v_min_u32_e32 v26, 0x2000, v6
	;; [unrolled: 1-line block ×5, first 2 shown]
	v_lshlrev_b32_e32 v3, 2, v3
	v_lshlrev_b32_e32 v26, 2, v26
	v_min_u32_e32 v39, 0x2000, v28
	v_lshlrev_b32_e32 v36, 2, v36
	s_mov_b32 s9, exec_lo
	s_waitcnt vmcnt(0)
	ds_write_b32 v3, v13 offset:1024
	ds_write_b32 v26, v14 offset:1024
	v_min_u32_e32 v3, 0x2000, v29
	v_lshlrev_b32_e32 v26, 2, v37
	v_lshlrev_b32_e32 v37, 2, v38
	;; [unrolled: 1-line block ×3, first 2 shown]
	ds_write_b32 v36, v15 offset:1024
	v_lshlrev_b32_e32 v3, 2, v3
	ds_write_b32 v26, v16 offset:1024
	ds_write_b32 v37, v17 offset:1024
	;; [unrolled: 1-line block ×3, first 2 shown]
	v_min_u32_e32 v26, 0x2000, v31
	v_min_u32_e32 v36, 0x2000, v33
	;; [unrolled: 1-line block ×3, first 2 shown]
	ds_write_b32 v3, v19 offset:1024
	v_min_u32_e32 v3, 0x2000, v32
	v_lshlrev_b32_e32 v26, 2, v26
	v_min_u32_e32 v38, 0x2000, v35
	v_lshlrev_b32_e32 v36, 2, v36
	v_lshlrev_b32_e32 v37, 2, v37
	;; [unrolled: 1-line block ×3, first 2 shown]
	ds_write_b32 v26, v20 offset:1024
	v_lshlrev_b32_e32 v26, 2, v38
	ds_write_b32 v3, v21 offset:1024
	ds_write_b32 v36, v22 offset:1024
	;; [unrolled: 1-line block ×4, first 2 shown]
	s_waitcnt lgkmcnt(0)
	s_barrier
	buffer_gl0_inv
	v_cmpx_gt_u32_e64 s25, v25
	s_cbranch_execz .LBB1052_115
; %bb.114:                              ;   in Loop: Header=BB1052_113 Depth=1
	v_mov_b32_e32 v3, s8
	buffer_load_dword v3, v3, s[0:3], 0 offen
	s_waitcnt vmcnt(0)
	v_lshlrev_b32_e32 v3, 2, v3
	ds_read_b32 v3, v3
	ds_read_b32 v26, v30 offset:1024
	s_waitcnt lgkmcnt(1)
	v_add_nc_u32_e32 v3, v25, v3
	v_lshlrev_b64 v[36:37], 2, v[3:4]
	v_add_co_u32 v36, vcc_lo, s42, v36
	v_add_co_ci_u32_e64 v37, null, s43, v37, vcc_lo
	s_waitcnt lgkmcnt(0)
	global_store_dword v[36:37], v26, off
.LBB1052_115:                           ;   in Loop: Header=BB1052_113 Depth=1
	s_or_b32 exec_lo, exec_lo, s9
	v_add_nc_u32_e32 v3, 0x400, v25
	s_mov_b32 s9, exec_lo
	v_cmpx_gt_u32_e64 s25, v3
	s_cbranch_execz .LBB1052_117
; %bb.116:                              ;   in Loop: Header=BB1052_113 Depth=1
	v_mov_b32_e32 v3, s8
	buffer_load_dword v3, v3, s[0:3], 0 offen offset:4
	s_waitcnt vmcnt(0)
	v_lshlrev_b32_e32 v3, 2, v3
	ds_read_b32 v3, v3
	ds_read_b32 v26, v30 offset:5120
	s_waitcnt lgkmcnt(1)
	v_add3_u32 v3, v25, v3, 0x400
	v_lshlrev_b64 v[36:37], 2, v[3:4]
	v_add_co_u32 v36, vcc_lo, s42, v36
	v_add_co_ci_u32_e64 v37, null, s43, v37, vcc_lo
	s_waitcnt lgkmcnt(0)
	global_store_dword v[36:37], v26, off
.LBB1052_117:                           ;   in Loop: Header=BB1052_113 Depth=1
	s_or_b32 exec_lo, exec_lo, s9
	v_add_nc_u32_e32 v3, 0x800, v25
	s_mov_b32 s9, exec_lo
	v_cmpx_gt_u32_e64 s25, v3
	s_cbranch_execz .LBB1052_119
; %bb.118:                              ;   in Loop: Header=BB1052_113 Depth=1
	v_mov_b32_e32 v3, s8
	buffer_load_dword v3, v3, s[0:3], 0 offen offset:8
	s_waitcnt vmcnt(0)
	v_lshlrev_b32_e32 v3, 2, v3
	ds_read_b32 v3, v3
	ds_read_b32 v26, v30 offset:9216
	s_waitcnt lgkmcnt(1)
	v_add3_u32 v3, v25, v3, 0x800
	v_lshlrev_b64 v[36:37], 2, v[3:4]
	v_add_co_u32 v36, vcc_lo, s42, v36
	v_add_co_ci_u32_e64 v37, null, s43, v37, vcc_lo
	s_waitcnt lgkmcnt(0)
	global_store_dword v[36:37], v26, off
.LBB1052_119:                           ;   in Loop: Header=BB1052_113 Depth=1
	s_or_b32 exec_lo, exec_lo, s9
	v_add_nc_u32_e32 v3, 0xc00, v25
	s_mov_b32 s9, exec_lo
	v_cmpx_gt_u32_e64 s25, v3
	s_cbranch_execz .LBB1052_121
; %bb.120:                              ;   in Loop: Header=BB1052_113 Depth=1
	v_mov_b32_e32 v3, s8
	buffer_load_dword v3, v3, s[0:3], 0 offen offset:12
	s_waitcnt vmcnt(0)
	v_lshlrev_b32_e32 v3, 2, v3
	ds_read_b32 v3, v3
	ds_read_b32 v26, v30 offset:13312
	s_waitcnt lgkmcnt(1)
	v_add3_u32 v3, v25, v3, 0xc00
	v_lshlrev_b64 v[36:37], 2, v[3:4]
	v_add_co_u32 v36, vcc_lo, s42, v36
	v_add_co_ci_u32_e64 v37, null, s43, v37, vcc_lo
	s_waitcnt lgkmcnt(0)
	global_store_dword v[36:37], v26, off
.LBB1052_121:                           ;   in Loop: Header=BB1052_113 Depth=1
	s_or_b32 exec_lo, exec_lo, s9
	v_add_nc_u32_e32 v3, 0x1000, v25
	s_mov_b32 s9, exec_lo
	v_cmpx_gt_u32_e64 s25, v3
	s_cbranch_execz .LBB1052_123
; %bb.122:                              ;   in Loop: Header=BB1052_113 Depth=1
	v_mov_b32_e32 v3, s8
	buffer_load_dword v3, v3, s[0:3], 0 offen offset:16
	s_waitcnt vmcnt(0)
	v_lshlrev_b32_e32 v3, 2, v3
	ds_read_b32 v3, v3
	ds_read_b32 v26, v30 offset:17408
	s_waitcnt lgkmcnt(1)
	v_add3_u32 v3, v25, v3, 0x1000
	v_lshlrev_b64 v[36:37], 2, v[3:4]
	v_add_co_u32 v36, vcc_lo, s42, v36
	v_add_co_ci_u32_e64 v37, null, s43, v37, vcc_lo
	s_waitcnt lgkmcnt(0)
	global_store_dword v[36:37], v26, off
.LBB1052_123:                           ;   in Loop: Header=BB1052_113 Depth=1
	s_or_b32 exec_lo, exec_lo, s9
	v_add_nc_u32_e32 v3, 0x1400, v25
	s_mov_b32 s9, exec_lo
	v_cmpx_gt_u32_e64 s25, v3
	s_cbranch_execz .LBB1052_125
; %bb.124:                              ;   in Loop: Header=BB1052_113 Depth=1
	v_mov_b32_e32 v3, s8
	buffer_load_dword v3, v3, s[0:3], 0 offen offset:20
	s_waitcnt vmcnt(0)
	v_lshlrev_b32_e32 v3, 2, v3
	ds_read_b32 v3, v3
	ds_read_b32 v26, v30 offset:21504
	s_waitcnt lgkmcnt(1)
	v_add3_u32 v3, v25, v3, 0x1400
	v_lshlrev_b64 v[36:37], 2, v[3:4]
	v_add_co_u32 v36, vcc_lo, s42, v36
	v_add_co_ci_u32_e64 v37, null, s43, v37, vcc_lo
	s_waitcnt lgkmcnt(0)
	global_store_dword v[36:37], v26, off
.LBB1052_125:                           ;   in Loop: Header=BB1052_113 Depth=1
	s_or_b32 exec_lo, exec_lo, s9
	v_add_nc_u32_e32 v3, 0x1800, v25
	s_mov_b32 s9, exec_lo
	v_cmpx_gt_u32_e64 s25, v3
	s_cbranch_execz .LBB1052_127
; %bb.126:                              ;   in Loop: Header=BB1052_113 Depth=1
	v_mov_b32_e32 v3, s8
	buffer_load_dword v3, v3, s[0:3], 0 offen offset:24
	s_waitcnt vmcnt(0)
	v_lshlrev_b32_e32 v3, 2, v3
	ds_read_b32 v3, v3
	ds_read_b32 v26, v30 offset:25600
	s_waitcnt lgkmcnt(1)
	v_add3_u32 v3, v25, v3, 0x1800
	v_lshlrev_b64 v[36:37], 2, v[3:4]
	v_add_co_u32 v36, vcc_lo, s42, v36
	v_add_co_ci_u32_e64 v37, null, s43, v37, vcc_lo
	s_waitcnt lgkmcnt(0)
	global_store_dword v[36:37], v26, off
.LBB1052_127:                           ;   in Loop: Header=BB1052_113 Depth=1
	s_or_b32 exec_lo, exec_lo, s9
	v_add_nc_u32_e32 v3, 0x1c00, v25
	s_mov_b32 s9, exec_lo
	v_cmpx_gt_u32_e64 s25, v3
	s_cbranch_execz .LBB1052_112
; %bb.128:                              ;   in Loop: Header=BB1052_113 Depth=1
	v_mov_b32_e32 v3, s8
	buffer_load_dword v3, v3, s[0:3], 0 offen offset:28
	s_waitcnt vmcnt(0)
	v_lshlrev_b32_e32 v3, 2, v3
	ds_read_b32 v3, v3
	ds_read_b32 v26, v30 offset:29696
	s_waitcnt lgkmcnt(1)
	v_add3_u32 v3, v25, v3, 0x1c00
	v_lshlrev_b64 v[36:37], 2, v[3:4]
	v_add_co_u32 v36, vcc_lo, s42, v36
	v_add_co_ci_u32_e64 v37, null, s43, v37, vcc_lo
	s_waitcnt lgkmcnt(0)
	global_store_dword v[36:37], v26, off
	s_branch .LBB1052_112
.LBB1052_129:
	s_add_i32 s33, s33, -1
	s_cmp_eq_u32 s6, s33
	s_cselect_b32 s7, -1, 0
	s_xor_b32 s8, s19, -1
	s_and_b32 s8, s8, s7
	s_and_saveexec_b32 s7, s8
	s_cbranch_execz .LBB1052_131
; %bb.130:
	ds_read_b32 v3, v30
	s_waitcnt lgkmcnt(0)
	v_add3_u32 v3, v9, v10, v3
	global_store_dword v30, v3, s[30:31]
.LBB1052_131:
	s_or_b32 exec_lo, exec_lo, s7
	s_mov_b32 s7, 0
.LBB1052_132:
	s_and_b32 vcc_lo, exec_lo, s7
	s_cbranch_vccz .LBB1052_199
; %bb.133:
	s_mov_b32 s35, 0
	v_mul_u32_u24_e32 v3, 12, v12
	v_lshlrev_b32_e32 v9, 2, v11
	s_lshl_b64 s[12:13], s[34:35], 2
	v_mov_b32_e32 v22, 0
	s_add_u32 s7, s36, s12
	s_addc_u32 s8, s37, s13
	v_lshlrev_b32_e32 v10, 2, v3
	v_add_co_u32 v3, s7, s7, v9
	v_add_co_ci_u32_e64 v4, null, s8, 0, s7
	v_add_co_u32 v18, vcc_lo, v3, v10
	v_add_co_ci_u32_e64 v19, null, 0, v4, vcc_lo
	global_load_dword v12, v[18:19], off
	s_clause 0x1
	s_load_dword s7, s[4:5], 0x64
	s_load_dword s11, s[4:5], 0x58
	s_add_u32 s4, s4, 0x58
	s_addc_u32 s5, s5, 0
	s_waitcnt lgkmcnt(0)
	s_lshr_b32 s7, s7, 16
	s_cmp_lt_u32 s6, s11
	v_mad_u32_u24 v1, v2, s7, v1
	s_cselect_b32 s8, 12, 18
	s_add_u32 s4, s4, s8
	s_addc_u32 s5, s5, 0
	global_load_ushort v16, v22, s[4:5]
	s_clause 0xa
	global_load_dword v13, v[18:19], off offset:128
	global_load_dword v14, v[18:19], off offset:256
	global_load_dword v15, v[18:19], off offset:384
	global_load_dword v17, v[18:19], off offset:512
	global_load_dword v20, v[18:19], off offset:640
	global_load_dword v8, v[18:19], off offset:768
	global_load_dword v7, v[18:19], off offset:896
	global_load_dword v6, v[18:19], off offset:1024
	global_load_dword v5, v[18:19], off offset:1152
	global_load_dword v4, v[18:19], off offset:1280
	global_load_dword v3, v[18:19], off offset:1408
	s_lshl_b32 s4, -1, s45
	s_not_b32 s14, s4
	s_waitcnt vmcnt(12)
	v_xor_b32_e32 v12, 0x7fffffff, v12
	v_lshrrev_b32_e32 v18, s44, v12
	v_and_b32_e32 v18, s14, v18
	v_and_b32_e32 v19, 1, v18
	v_lshlrev_b32_e32 v21, 30, v18
	v_lshlrev_b32_e32 v23, 29, v18
	;; [unrolled: 1-line block ×4, first 2 shown]
	v_add_co_u32 v19, s4, v19, -1
	v_cndmask_b32_e64 v25, 0, 1, s4
	v_not_b32_e32 v29, v21
	v_cmp_gt_i32_e64 s4, 0, v21
	v_not_b32_e32 v21, v23
	v_lshlrev_b32_e32 v27, 26, v18
	v_cmp_ne_u32_e32 vcc_lo, 0, v25
	v_ashrrev_i32_e32 v29, 31, v29
	v_lshlrev_b32_e32 v28, 25, v18
	v_ashrrev_i32_e32 v21, 31, v21
	v_lshlrev_b32_e32 v25, 24, v18
	v_xor_b32_e32 v19, vcc_lo, v19
	v_cmp_gt_i32_e32 vcc_lo, 0, v23
	v_not_b32_e32 v23, v24
	v_xor_b32_e32 v29, s4, v29
	v_cmp_gt_i32_e64 s4, 0, v24
	v_and_b32_e32 v19, exec_lo, v19
	v_not_b32_e32 v24, v26
	v_ashrrev_i32_e32 v23, 31, v23
	v_xor_b32_e32 v21, vcc_lo, v21
	v_cmp_gt_i32_e32 vcc_lo, 0, v26
	v_and_b32_e32 v19, v19, v29
	v_not_b32_e32 v26, v27
	v_ashrrev_i32_e32 v24, 31, v24
	v_xor_b32_e32 v23, s4, v23
	v_cmp_gt_i32_e64 s4, 0, v27
	v_and_b32_e32 v19, v19, v21
	v_not_b32_e32 v21, v28
	v_ashrrev_i32_e32 v26, 31, v26
	v_xor_b32_e32 v24, vcc_lo, v24
	v_cmp_gt_i32_e32 vcc_lo, 0, v28
	v_and_b32_e32 v19, v19, v23
	v_not_b32_e32 v23, v25
	v_ashrrev_i32_e32 v21, 31, v21
	v_xor_b32_e32 v26, s4, v26
	v_cmp_gt_i32_e64 s4, 0, v25
	v_and_b32_e32 v19, v19, v24
	v_ashrrev_i32_e32 v23, 31, v23
	v_xor_b32_e32 v21, vcc_lo, v21
	s_waitcnt vmcnt(11)
	v_mad_u64_u32 v[1:2], null, v1, v16, v[0:1]
	v_and_b32_e32 v19, v19, v26
	v_xor_b32_e32 v23, s4, v23
	v_mul_lo_u32 v18, 0x84, v18
	v_and_b32_e32 v19, v19, v21
	v_mul_u32_u24_e32 v21, 36, v0
	v_lshrrev_b32_e32 v1, 5, v1
	ds_write2_b32 v21, v22, v22 offset0:32 offset1:33
	ds_write2_b32 v21, v22, v22 offset0:34 offset1:35
	;; [unrolled: 1-line block ×3, first 2 shown]
	v_and_b32_e32 v2, v19, v23
	ds_write2_b32 v21, v22, v22 offset0:38 offset1:39
	ds_write_b32 v21, v22 offset:160
	v_lshl_add_u32 v22, v1, 2, v18
	s_waitcnt vmcnt(0) lgkmcnt(0)
	s_waitcnt_vscnt null, 0x0
	s_barrier
	v_mbcnt_lo_u32_b32 v16, v2, 0
	v_cmp_ne_u32_e64 s4, 0, v2
	buffer_gl0_inv
	; wave barrier
	v_cmp_eq_u32_e32 vcc_lo, 0, v16
	s_and_b32 s5, s4, vcc_lo
	s_and_saveexec_b32 s4, s5
; %bb.134:
	v_bcnt_u32_b32 v2, v2, 0
	ds_write_b32 v22, v2 offset:128
; %bb.135:
	s_or_b32 exec_lo, exec_lo, s4
	v_xor_b32_e32 v13, 0x7fffffff, v13
	; wave barrier
	v_lshrrev_b32_e32 v2, s44, v13
	v_and_b32_e32 v2, s14, v2
	v_and_b32_e32 v19, 1, v2
	v_lshlrev_b32_e32 v23, 30, v2
	v_lshlrev_b32_e32 v24, 29, v2
	;; [unrolled: 1-line block ×4, first 2 shown]
	v_add_co_u32 v19, s4, v19, -1
	v_cndmask_b32_e64 v26, 0, 1, s4
	v_not_b32_e32 v30, v23
	v_cmp_gt_i32_e64 s4, 0, v23
	v_not_b32_e32 v23, v24
	v_lshlrev_b32_e32 v28, 26, v2
	v_cmp_ne_u32_e32 vcc_lo, 0, v26
	v_ashrrev_i32_e32 v26, 31, v30
	v_lshlrev_b32_e32 v29, 25, v2
	v_ashrrev_i32_e32 v23, 31, v23
	v_mul_lo_u32 v18, 0x84, v2
	v_xor_b32_e32 v19, vcc_lo, v19
	v_cmp_gt_i32_e32 vcc_lo, 0, v24
	v_not_b32_e32 v24, v25
	v_xor_b32_e32 v26, s4, v26
	v_cmp_gt_i32_e64 s4, 0, v25
	v_and_b32_e32 v19, exec_lo, v19
	v_not_b32_e32 v25, v27
	v_ashrrev_i32_e32 v24, 31, v24
	v_xor_b32_e32 v23, vcc_lo, v23
	v_cmp_gt_i32_e32 vcc_lo, 0, v27
	v_and_b32_e32 v19, v19, v26
	v_not_b32_e32 v26, v28
	v_ashrrev_i32_e32 v25, 31, v25
	v_xor_b32_e32 v24, s4, v24
	v_lshlrev_b32_e32 v2, 24, v2
	v_and_b32_e32 v19, v19, v23
	v_cmp_gt_i32_e64 s4, 0, v28
	v_not_b32_e32 v23, v29
	v_ashrrev_i32_e32 v26, 31, v26
	v_xor_b32_e32 v25, vcc_lo, v25
	v_and_b32_e32 v19, v19, v24
	v_cmp_gt_i32_e32 vcc_lo, 0, v29
	v_not_b32_e32 v24, v2
	v_ashrrev_i32_e32 v23, 31, v23
	v_xor_b32_e32 v26, s4, v26
	v_and_b32_e32 v19, v19, v25
	v_cmp_gt_i32_e64 s4, 0, v2
	v_ashrrev_i32_e32 v2, 31, v24
	v_xor_b32_e32 v23, vcc_lo, v23
	v_and_b32_e32 v19, v19, v26
	v_lshl_add_u32 v26, v1, 2, v18
	v_xor_b32_e32 v2, s4, v2
	v_and_b32_e32 v19, v19, v23
	ds_read_b32 v18, v26 offset:128
	; wave barrier
	v_and_b32_e32 v2, v19, v2
	v_mbcnt_lo_u32_b32 v19, v2, 0
	v_cmp_ne_u32_e64 s4, 0, v2
	v_cmp_eq_u32_e32 vcc_lo, 0, v19
	s_and_b32 s5, s4, vcc_lo
	s_and_saveexec_b32 s4, s5
	s_cbranch_execz .LBB1052_137
; %bb.136:
	s_waitcnt lgkmcnt(0)
	v_bcnt_u32_b32 v2, v2, v18
	ds_write_b32 v26, v2 offset:128
.LBB1052_137:
	s_or_b32 exec_lo, exec_lo, s4
	v_xor_b32_e32 v14, 0x7fffffff, v14
	; wave barrier
	v_lshrrev_b32_e32 v2, s44, v14
	v_and_b32_e32 v2, s14, v2
	v_and_b32_e32 v24, 1, v2
	v_lshlrev_b32_e32 v25, 30, v2
	v_lshlrev_b32_e32 v27, 29, v2
	;; [unrolled: 1-line block ×4, first 2 shown]
	v_add_co_u32 v24, s4, v24, -1
	v_cndmask_b32_e64 v29, 0, 1, s4
	v_not_b32_e32 v33, v25
	v_cmp_gt_i32_e64 s4, 0, v25
	v_not_b32_e32 v25, v27
	v_lshlrev_b32_e32 v31, 26, v2
	v_cmp_ne_u32_e32 vcc_lo, 0, v29
	v_ashrrev_i32_e32 v29, 31, v33
	v_lshlrev_b32_e32 v32, 25, v2
	v_ashrrev_i32_e32 v25, 31, v25
	v_mul_lo_u32 v23, 0x84, v2
	v_xor_b32_e32 v24, vcc_lo, v24
	v_cmp_gt_i32_e32 vcc_lo, 0, v27
	v_not_b32_e32 v27, v28
	v_xor_b32_e32 v29, s4, v29
	v_cmp_gt_i32_e64 s4, 0, v28
	v_and_b32_e32 v24, exec_lo, v24
	v_not_b32_e32 v28, v30
	v_ashrrev_i32_e32 v27, 31, v27
	v_xor_b32_e32 v25, vcc_lo, v25
	v_cmp_gt_i32_e32 vcc_lo, 0, v30
	v_and_b32_e32 v24, v24, v29
	v_not_b32_e32 v29, v31
	v_ashrrev_i32_e32 v28, 31, v28
	v_xor_b32_e32 v27, s4, v27
	v_lshlrev_b32_e32 v2, 24, v2
	v_and_b32_e32 v24, v24, v25
	v_cmp_gt_i32_e64 s4, 0, v31
	v_not_b32_e32 v25, v32
	v_ashrrev_i32_e32 v29, 31, v29
	v_xor_b32_e32 v28, vcc_lo, v28
	v_and_b32_e32 v24, v24, v27
	v_cmp_gt_i32_e32 vcc_lo, 0, v32
	v_not_b32_e32 v27, v2
	v_ashrrev_i32_e32 v25, 31, v25
	v_xor_b32_e32 v29, s4, v29
	v_and_b32_e32 v24, v24, v28
	v_cmp_gt_i32_e64 s4, 0, v2
	v_ashrrev_i32_e32 v2, 31, v27
	v_xor_b32_e32 v25, vcc_lo, v25
	v_lshl_add_u32 v30, v1, 2, v23
	v_and_b32_e32 v24, v24, v29
	v_xor_b32_e32 v2, s4, v2
	ds_read_b32 v23, v30 offset:128
	v_and_b32_e32 v24, v24, v25
	; wave barrier
	v_and_b32_e32 v2, v24, v2
	v_mbcnt_lo_u32_b32 v24, v2, 0
	v_cmp_ne_u32_e64 s4, 0, v2
	v_cmp_eq_u32_e32 vcc_lo, 0, v24
	s_and_b32 s5, s4, vcc_lo
	s_and_saveexec_b32 s4, s5
	s_cbranch_execz .LBB1052_139
; %bb.138:
	s_waitcnt lgkmcnt(0)
	v_bcnt_u32_b32 v2, v2, v23
	ds_write_b32 v30, v2 offset:128
.LBB1052_139:
	s_or_b32 exec_lo, exec_lo, s4
	v_xor_b32_e32 v15, 0x7fffffff, v15
	; wave barrier
	v_lshrrev_b32_e32 v2, s44, v15
	v_and_b32_e32 v2, s14, v2
	v_and_b32_e32 v27, 1, v2
	v_lshlrev_b32_e32 v28, 30, v2
	v_lshlrev_b32_e32 v29, 29, v2
	;; [unrolled: 1-line block ×4, first 2 shown]
	v_add_co_u32 v27, s4, v27, -1
	v_cndmask_b32_e64 v32, 0, 1, s4
	v_not_b32_e32 v36, v28
	v_cmp_gt_i32_e64 s4, 0, v28
	v_not_b32_e32 v28, v29
	v_lshlrev_b32_e32 v34, 26, v2
	v_cmp_ne_u32_e32 vcc_lo, 0, v32
	v_ashrrev_i32_e32 v32, 31, v36
	v_lshlrev_b32_e32 v35, 25, v2
	v_ashrrev_i32_e32 v28, 31, v28
	v_mul_lo_u32 v25, 0x84, v2
	v_xor_b32_e32 v27, vcc_lo, v27
	v_cmp_gt_i32_e32 vcc_lo, 0, v29
	v_not_b32_e32 v29, v31
	v_xor_b32_e32 v32, s4, v32
	v_cmp_gt_i32_e64 s4, 0, v31
	v_and_b32_e32 v27, exec_lo, v27
	v_not_b32_e32 v31, v33
	v_ashrrev_i32_e32 v29, 31, v29
	v_xor_b32_e32 v28, vcc_lo, v28
	v_cmp_gt_i32_e32 vcc_lo, 0, v33
	v_and_b32_e32 v27, v27, v32
	v_not_b32_e32 v32, v34
	v_ashrrev_i32_e32 v31, 31, v31
	v_xor_b32_e32 v29, s4, v29
	v_lshlrev_b32_e32 v2, 24, v2
	v_and_b32_e32 v27, v27, v28
	v_cmp_gt_i32_e64 s4, 0, v34
	v_not_b32_e32 v28, v35
	v_ashrrev_i32_e32 v32, 31, v32
	v_xor_b32_e32 v31, vcc_lo, v31
	v_and_b32_e32 v27, v27, v29
	v_cmp_gt_i32_e32 vcc_lo, 0, v35
	v_not_b32_e32 v29, v2
	v_ashrrev_i32_e32 v28, 31, v28
	v_xor_b32_e32 v32, s4, v32
	v_and_b32_e32 v27, v27, v31
	v_cmp_gt_i32_e64 s4, 0, v2
	v_ashrrev_i32_e32 v2, 31, v29
	v_xor_b32_e32 v28, vcc_lo, v28
	v_lshl_add_u32 v34, v1, 2, v25
	v_and_b32_e32 v27, v27, v32
	v_xor_b32_e32 v2, s4, v2
	v_and_b32_e32 v25, v27, v28
	ds_read_b32 v27, v34 offset:128
	; wave barrier
	v_and_b32_e32 v2, v25, v2
	v_mbcnt_lo_u32_b32 v28, v2, 0
	v_cmp_ne_u32_e64 s4, 0, v2
	v_cmp_eq_u32_e32 vcc_lo, 0, v28
	s_and_b32 s5, s4, vcc_lo
	s_and_saveexec_b32 s4, s5
	s_cbranch_execz .LBB1052_141
; %bb.140:
	s_waitcnt lgkmcnt(0)
	v_bcnt_u32_b32 v2, v2, v27
	ds_write_b32 v34, v2 offset:128
.LBB1052_141:
	s_or_b32 exec_lo, exec_lo, s4
	v_xor_b32_e32 v17, 0x7fffffff, v17
	; wave barrier
	v_lshrrev_b32_e32 v2, s44, v17
	v_and_b32_e32 v2, s14, v2
	v_and_b32_e32 v29, 1, v2
	v_lshlrev_b32_e32 v31, 30, v2
	v_lshlrev_b32_e32 v32, 29, v2
	v_lshlrev_b32_e32 v33, 28, v2
	v_lshlrev_b32_e32 v36, 27, v2
	v_add_co_u32 v29, s4, v29, -1
	v_cndmask_b32_e64 v35, 0, 1, s4
	v_not_b32_e32 v39, v31
	v_cmp_gt_i32_e64 s4, 0, v31
	v_not_b32_e32 v31, v32
	v_lshlrev_b32_e32 v37, 26, v2
	v_cmp_ne_u32_e32 vcc_lo, 0, v35
	v_ashrrev_i32_e32 v35, 31, v39
	v_lshlrev_b32_e32 v38, 25, v2
	v_ashrrev_i32_e32 v31, 31, v31
	v_mul_lo_u32 v25, 0x84, v2
	v_xor_b32_e32 v29, vcc_lo, v29
	v_cmp_gt_i32_e32 vcc_lo, 0, v32
	v_not_b32_e32 v32, v33
	v_xor_b32_e32 v35, s4, v35
	v_cmp_gt_i32_e64 s4, 0, v33
	v_and_b32_e32 v29, exec_lo, v29
	v_not_b32_e32 v33, v36
	v_ashrrev_i32_e32 v32, 31, v32
	v_xor_b32_e32 v31, vcc_lo, v31
	v_cmp_gt_i32_e32 vcc_lo, 0, v36
	v_and_b32_e32 v29, v29, v35
	v_not_b32_e32 v35, v37
	v_ashrrev_i32_e32 v33, 31, v33
	v_xor_b32_e32 v32, s4, v32
	v_lshlrev_b32_e32 v2, 24, v2
	v_and_b32_e32 v29, v29, v31
	v_cmp_gt_i32_e64 s4, 0, v37
	v_not_b32_e32 v31, v38
	v_ashrrev_i32_e32 v35, 31, v35
	v_xor_b32_e32 v33, vcc_lo, v33
	v_and_b32_e32 v29, v29, v32
	v_cmp_gt_i32_e32 vcc_lo, 0, v38
	v_not_b32_e32 v32, v2
	v_ashrrev_i32_e32 v31, 31, v31
	v_xor_b32_e32 v35, s4, v35
	v_and_b32_e32 v29, v29, v33
	v_cmp_gt_i32_e64 s4, 0, v2
	v_ashrrev_i32_e32 v2, 31, v32
	v_xor_b32_e32 v31, vcc_lo, v31
	v_lshl_add_u32 v38, v1, 2, v25
	v_and_b32_e32 v29, v29, v35
	v_xor_b32_e32 v2, s4, v2
	v_and_b32_e32 v25, v29, v31
	ds_read_b32 v31, v38 offset:128
	; wave barrier
	v_and_b32_e32 v2, v25, v2
	v_mbcnt_lo_u32_b32 v32, v2, 0
	v_cmp_ne_u32_e64 s4, 0, v2
	v_cmp_eq_u32_e32 vcc_lo, 0, v32
	s_and_b32 s5, s4, vcc_lo
	s_and_saveexec_b32 s4, s5
	s_cbranch_execz .LBB1052_143
; %bb.142:
	s_waitcnt lgkmcnt(0)
	v_bcnt_u32_b32 v2, v2, v31
	ds_write_b32 v38, v2 offset:128
.LBB1052_143:
	s_or_b32 exec_lo, exec_lo, s4
	v_xor_b32_e32 v20, 0x7fffffff, v20
	; wave barrier
	v_lshrrev_b32_e32 v2, s44, v20
	v_and_b32_e32 v2, s14, v2
	v_and_b32_e32 v29, 1, v2
	v_lshlrev_b32_e32 v33, 30, v2
	v_lshlrev_b32_e32 v35, 29, v2
	;; [unrolled: 1-line block ×4, first 2 shown]
	v_add_co_u32 v29, s4, v29, -1
	v_cndmask_b32_e64 v37, 0, 1, s4
	v_not_b32_e32 v42, v33
	v_cmp_gt_i32_e64 s4, 0, v33
	v_not_b32_e32 v33, v35
	v_lshlrev_b32_e32 v40, 26, v2
	v_cmp_ne_u32_e32 vcc_lo, 0, v37
	v_ashrrev_i32_e32 v37, 31, v42
	v_lshlrev_b32_e32 v41, 25, v2
	v_ashrrev_i32_e32 v33, 31, v33
	v_mul_lo_u32 v25, 0x84, v2
	v_xor_b32_e32 v29, vcc_lo, v29
	v_cmp_gt_i32_e32 vcc_lo, 0, v35
	v_not_b32_e32 v35, v36
	v_xor_b32_e32 v37, s4, v37
	v_cmp_gt_i32_e64 s4, 0, v36
	v_and_b32_e32 v29, exec_lo, v29
	v_not_b32_e32 v36, v39
	v_ashrrev_i32_e32 v35, 31, v35
	v_xor_b32_e32 v33, vcc_lo, v33
	v_cmp_gt_i32_e32 vcc_lo, 0, v39
	v_and_b32_e32 v29, v29, v37
	v_not_b32_e32 v37, v40
	v_ashrrev_i32_e32 v36, 31, v36
	v_xor_b32_e32 v35, s4, v35
	v_lshlrev_b32_e32 v2, 24, v2
	v_and_b32_e32 v29, v29, v33
	v_cmp_gt_i32_e64 s4, 0, v40
	v_not_b32_e32 v33, v41
	v_ashrrev_i32_e32 v37, 31, v37
	v_xor_b32_e32 v36, vcc_lo, v36
	v_and_b32_e32 v29, v29, v35
	v_cmp_gt_i32_e32 vcc_lo, 0, v41
	v_not_b32_e32 v35, v2
	v_ashrrev_i32_e32 v33, 31, v33
	v_xor_b32_e32 v37, s4, v37
	v_and_b32_e32 v29, v29, v36
	v_cmp_gt_i32_e64 s4, 0, v2
	v_ashrrev_i32_e32 v2, 31, v35
	v_xor_b32_e32 v33, vcc_lo, v33
	v_lshl_add_u32 v43, v1, 2, v25
	v_and_b32_e32 v29, v29, v37
	v_xor_b32_e32 v2, s4, v2
	ds_read_b32 v35, v43 offset:128
	v_and_b32_e32 v25, v29, v33
	; wave barrier
	v_and_b32_e32 v2, v25, v2
	v_mbcnt_lo_u32_b32 v36, v2, 0
	v_cmp_ne_u32_e64 s4, 0, v2
	v_cmp_eq_u32_e32 vcc_lo, 0, v36
	s_and_b32 s5, s4, vcc_lo
	s_and_saveexec_b32 s4, s5
	s_cbranch_execz .LBB1052_145
; %bb.144:
	s_waitcnt lgkmcnt(0)
	v_bcnt_u32_b32 v2, v2, v35
	ds_write_b32 v43, v2 offset:128
.LBB1052_145:
	s_or_b32 exec_lo, exec_lo, s4
	v_xor_b32_e32 v25, 0x7fffffff, v8
	; wave barrier
	v_lshrrev_b32_e32 v2, s44, v25
	v_and_b32_e32 v2, s14, v2
	v_and_b32_e32 v29, 1, v2
	v_lshlrev_b32_e32 v33, 30, v2
	v_lshlrev_b32_e32 v37, 29, v2
	;; [unrolled: 1-line block ×4, first 2 shown]
	v_add_co_u32 v29, s4, v29, -1
	v_cndmask_b32_e64 v40, 0, 1, s4
	v_not_b32_e32 v45, v33
	v_cmp_gt_i32_e64 s4, 0, v33
	v_not_b32_e32 v33, v37
	v_lshlrev_b32_e32 v42, 26, v2
	v_cmp_ne_u32_e32 vcc_lo, 0, v40
	v_ashrrev_i32_e32 v40, 31, v45
	v_lshlrev_b32_e32 v44, 25, v2
	v_ashrrev_i32_e32 v33, 31, v33
	v_mul_lo_u32 v8, 0x84, v2
	v_xor_b32_e32 v29, vcc_lo, v29
	v_cmp_gt_i32_e32 vcc_lo, 0, v37
	v_not_b32_e32 v37, v39
	v_xor_b32_e32 v40, s4, v40
	v_cmp_gt_i32_e64 s4, 0, v39
	v_and_b32_e32 v29, exec_lo, v29
	v_not_b32_e32 v39, v41
	v_ashrrev_i32_e32 v37, 31, v37
	v_xor_b32_e32 v33, vcc_lo, v33
	v_cmp_gt_i32_e32 vcc_lo, 0, v41
	v_and_b32_e32 v29, v29, v40
	v_not_b32_e32 v40, v42
	v_ashrrev_i32_e32 v39, 31, v39
	v_xor_b32_e32 v37, s4, v37
	v_lshlrev_b32_e32 v2, 24, v2
	v_and_b32_e32 v29, v29, v33
	v_cmp_gt_i32_e64 s4, 0, v42
	v_not_b32_e32 v33, v44
	v_ashrrev_i32_e32 v40, 31, v40
	v_xor_b32_e32 v39, vcc_lo, v39
	v_and_b32_e32 v29, v29, v37
	v_cmp_gt_i32_e32 vcc_lo, 0, v44
	v_not_b32_e32 v37, v2
	v_ashrrev_i32_e32 v33, 31, v33
	v_xor_b32_e32 v40, s4, v40
	v_and_b32_e32 v29, v29, v39
	v_cmp_gt_i32_e64 s4, 0, v2
	v_ashrrev_i32_e32 v2, 31, v37
	v_xor_b32_e32 v33, vcc_lo, v33
	v_lshl_add_u32 v47, v1, 2, v8
	v_and_b32_e32 v29, v29, v40
	v_xor_b32_e32 v2, s4, v2
	ds_read_b32 v39, v47 offset:128
	v_and_b32_e32 v8, v29, v33
	; wave barrier
	v_and_b32_e32 v2, v8, v2
	v_mbcnt_lo_u32_b32 v41, v2, 0
	v_cmp_ne_u32_e64 s4, 0, v2
	v_cmp_eq_u32_e32 vcc_lo, 0, v41
	s_and_b32 s5, s4, vcc_lo
	s_and_saveexec_b32 s4, s5
	s_cbranch_execz .LBB1052_147
; %bb.146:
	s_waitcnt lgkmcnt(0)
	v_bcnt_u32_b32 v2, v2, v39
	ds_write_b32 v47, v2 offset:128
.LBB1052_147:
	s_or_b32 exec_lo, exec_lo, s4
	v_xor_b32_e32 v29, 0x7fffffff, v7
	; wave barrier
	v_lshrrev_b32_e32 v2, s44, v29
	v_and_b32_e32 v2, s14, v2
	v_and_b32_e32 v8, 1, v2
	v_lshlrev_b32_e32 v33, 30, v2
	v_lshlrev_b32_e32 v37, 29, v2
	;; [unrolled: 1-line block ×4, first 2 shown]
	v_add_co_u32 v8, s4, v8, -1
	v_cndmask_b32_e64 v42, 0, 1, s4
	v_not_b32_e32 v48, v33
	v_cmp_gt_i32_e64 s4, 0, v33
	v_not_b32_e32 v33, v37
	v_lshlrev_b32_e32 v45, 26, v2
	v_cmp_ne_u32_e32 vcc_lo, 0, v42
	v_ashrrev_i32_e32 v42, 31, v48
	v_lshlrev_b32_e32 v46, 25, v2
	v_ashrrev_i32_e32 v33, 31, v33
	v_mul_lo_u32 v7, 0x84, v2
	v_xor_b32_e32 v8, vcc_lo, v8
	v_cmp_gt_i32_e32 vcc_lo, 0, v37
	v_not_b32_e32 v37, v40
	v_xor_b32_e32 v42, s4, v42
	v_cmp_gt_i32_e64 s4, 0, v40
	v_and_b32_e32 v8, exec_lo, v8
	v_not_b32_e32 v40, v44
	v_ashrrev_i32_e32 v37, 31, v37
	v_xor_b32_e32 v33, vcc_lo, v33
	v_cmp_gt_i32_e32 vcc_lo, 0, v44
	v_and_b32_e32 v8, v8, v42
	v_not_b32_e32 v42, v45
	v_ashrrev_i32_e32 v40, 31, v40
	v_xor_b32_e32 v37, s4, v37
	v_lshlrev_b32_e32 v2, 24, v2
	v_and_b32_e32 v8, v8, v33
	v_cmp_gt_i32_e64 s4, 0, v45
	v_not_b32_e32 v33, v46
	v_ashrrev_i32_e32 v42, 31, v42
	v_xor_b32_e32 v40, vcc_lo, v40
	v_and_b32_e32 v8, v8, v37
	v_cmp_gt_i32_e32 vcc_lo, 0, v46
	v_not_b32_e32 v37, v2
	v_ashrrev_i32_e32 v33, 31, v33
	v_xor_b32_e32 v42, s4, v42
	v_and_b32_e32 v8, v8, v40
	v_cmp_gt_i32_e64 s4, 0, v2
	v_ashrrev_i32_e32 v2, 31, v37
	v_xor_b32_e32 v33, vcc_lo, v33
	v_lshl_add_u32 v50, v1, 2, v7
	v_and_b32_e32 v8, v8, v42
	v_xor_b32_e32 v2, s4, v2
	ds_read_b32 v44, v50 offset:128
	v_and_b32_e32 v7, v8, v33
	; wave barrier
	v_and_b32_e32 v2, v7, v2
	v_mbcnt_lo_u32_b32 v45, v2, 0
	v_cmp_ne_u32_e64 s4, 0, v2
	v_cmp_eq_u32_e32 vcc_lo, 0, v45
	s_and_b32 s5, s4, vcc_lo
	s_and_saveexec_b32 s4, s5
	s_cbranch_execz .LBB1052_149
; %bb.148:
	s_waitcnt lgkmcnt(0)
	v_bcnt_u32_b32 v2, v2, v44
	ds_write_b32 v50, v2 offset:128
.LBB1052_149:
	s_or_b32 exec_lo, exec_lo, s4
	v_xor_b32_e32 v33, 0x7fffffff, v6
	; wave barrier
	v_lshrrev_b32_e32 v2, s44, v33
	v_and_b32_e32 v2, s14, v2
	v_and_b32_e32 v7, 1, v2
	v_lshlrev_b32_e32 v8, 30, v2
	v_lshlrev_b32_e32 v37, 29, v2
	;; [unrolled: 1-line block ×4, first 2 shown]
	v_add_co_u32 v7, s4, v7, -1
	v_cndmask_b32_e64 v42, 0, 1, s4
	v_not_b32_e32 v51, v8
	v_cmp_gt_i32_e64 s4, 0, v8
	v_not_b32_e32 v8, v37
	v_lshlrev_b32_e32 v48, 26, v2
	v_cmp_ne_u32_e32 vcc_lo, 0, v42
	v_ashrrev_i32_e32 v42, 31, v51
	v_lshlrev_b32_e32 v49, 25, v2
	v_ashrrev_i32_e32 v8, 31, v8
	v_mul_lo_u32 v6, 0x84, v2
	v_xor_b32_e32 v7, vcc_lo, v7
	v_cmp_gt_i32_e32 vcc_lo, 0, v37
	v_not_b32_e32 v37, v40
	v_xor_b32_e32 v42, s4, v42
	v_cmp_gt_i32_e64 s4, 0, v40
	v_and_b32_e32 v7, exec_lo, v7
	v_not_b32_e32 v40, v46
	v_ashrrev_i32_e32 v37, 31, v37
	v_xor_b32_e32 v8, vcc_lo, v8
	v_cmp_gt_i32_e32 vcc_lo, 0, v46
	v_and_b32_e32 v7, v7, v42
	v_not_b32_e32 v42, v48
	v_ashrrev_i32_e32 v40, 31, v40
	v_xor_b32_e32 v37, s4, v37
	v_lshlrev_b32_e32 v2, 24, v2
	v_and_b32_e32 v7, v7, v8
	v_cmp_gt_i32_e64 s4, 0, v48
	v_not_b32_e32 v8, v49
	v_ashrrev_i32_e32 v42, 31, v42
	v_xor_b32_e32 v40, vcc_lo, v40
	v_and_b32_e32 v7, v7, v37
	v_cmp_gt_i32_e32 vcc_lo, 0, v49
	v_not_b32_e32 v37, v2
	v_ashrrev_i32_e32 v8, 31, v8
	v_xor_b32_e32 v42, s4, v42
	v_and_b32_e32 v7, v7, v40
	v_cmp_gt_i32_e64 s4, 0, v2
	v_ashrrev_i32_e32 v2, 31, v37
	v_xor_b32_e32 v8, vcc_lo, v8
	v_lshl_add_u32 v53, v1, 2, v6
	v_and_b32_e32 v7, v7, v42
	v_xor_b32_e32 v2, s4, v2
	ds_read_b32 v48, v53 offset:128
	v_and_b32_e32 v6, v7, v8
	; wave barrier
	v_and_b32_e32 v2, v6, v2
	v_mbcnt_lo_u32_b32 v49, v2, 0
	v_cmp_ne_u32_e64 s4, 0, v2
	v_cmp_eq_u32_e32 vcc_lo, 0, v49
	s_and_b32 s5, s4, vcc_lo
	s_and_saveexec_b32 s4, s5
	s_cbranch_execz .LBB1052_151
; %bb.150:
	s_waitcnt lgkmcnt(0)
	v_bcnt_u32_b32 v2, v2, v48
	ds_write_b32 v53, v2 offset:128
.LBB1052_151:
	s_or_b32 exec_lo, exec_lo, s4
	v_xor_b32_e32 v37, 0x7fffffff, v5
	; wave barrier
	v_lshrrev_b32_e32 v2, s44, v37
	v_and_b32_e32 v2, s14, v2
	v_and_b32_e32 v6, 1, v2
	v_lshlrev_b32_e32 v7, 30, v2
	v_lshlrev_b32_e32 v8, 29, v2
	;; [unrolled: 1-line block ×4, first 2 shown]
	v_add_co_u32 v6, s4, v6, -1
	v_cndmask_b32_e64 v42, 0, 1, s4
	v_not_b32_e32 v54, v7
	v_cmp_gt_i32_e64 s4, 0, v7
	v_not_b32_e32 v7, v8
	v_lshlrev_b32_e32 v51, 26, v2
	v_cmp_ne_u32_e32 vcc_lo, 0, v42
	v_ashrrev_i32_e32 v42, 31, v54
	v_lshlrev_b32_e32 v52, 25, v2
	v_ashrrev_i32_e32 v7, 31, v7
	v_mul_lo_u32 v5, 0x84, v2
	v_xor_b32_e32 v6, vcc_lo, v6
	v_cmp_gt_i32_e32 vcc_lo, 0, v8
	v_not_b32_e32 v8, v40
	v_xor_b32_e32 v42, s4, v42
	v_cmp_gt_i32_e64 s4, 0, v40
	v_and_b32_e32 v6, exec_lo, v6
	v_not_b32_e32 v40, v46
	v_ashrrev_i32_e32 v8, 31, v8
	v_xor_b32_e32 v7, vcc_lo, v7
	v_cmp_gt_i32_e32 vcc_lo, 0, v46
	v_and_b32_e32 v6, v6, v42
	v_not_b32_e32 v42, v51
	v_ashrrev_i32_e32 v40, 31, v40
	v_xor_b32_e32 v8, s4, v8
	v_lshlrev_b32_e32 v2, 24, v2
	v_and_b32_e32 v6, v6, v7
	v_cmp_gt_i32_e64 s4, 0, v51
	v_not_b32_e32 v7, v52
	v_ashrrev_i32_e32 v42, 31, v42
	v_xor_b32_e32 v40, vcc_lo, v40
	v_and_b32_e32 v6, v6, v8
	v_cmp_gt_i32_e32 vcc_lo, 0, v52
	v_not_b32_e32 v8, v2
	v_ashrrev_i32_e32 v7, 31, v7
	v_xor_b32_e32 v42, s4, v42
	v_and_b32_e32 v6, v6, v40
	v_cmp_gt_i32_e64 s4, 0, v2
	v_ashrrev_i32_e32 v2, 31, v8
	v_xor_b32_e32 v7, vcc_lo, v7
	v_lshl_add_u32 v56, v1, 2, v5
	v_and_b32_e32 v6, v6, v42
	v_xor_b32_e32 v2, s4, v2
	ds_read_b32 v51, v56 offset:128
	v_and_b32_e32 v5, v6, v7
	; wave barrier
	v_and_b32_e32 v2, v5, v2
	v_mbcnt_lo_u32_b32 v52, v2, 0
	v_cmp_ne_u32_e64 s4, 0, v2
	v_cmp_eq_u32_e32 vcc_lo, 0, v52
	s_and_b32 s5, s4, vcc_lo
	s_and_saveexec_b32 s4, s5
	s_cbranch_execz .LBB1052_153
; %bb.152:
	s_waitcnt lgkmcnt(0)
	v_bcnt_u32_b32 v2, v2, v51
	ds_write_b32 v56, v2 offset:128
.LBB1052_153:
	s_or_b32 exec_lo, exec_lo, s4
	v_xor_b32_e32 v42, 0x7fffffff, v4
	; wave barrier
	v_lshrrev_b32_e32 v2, s44, v42
	v_and_b32_e32 v2, s14, v2
	v_and_b32_e32 v5, 1, v2
	v_lshlrev_b32_e32 v6, 30, v2
	v_lshlrev_b32_e32 v7, 29, v2
	;; [unrolled: 1-line block ×4, first 2 shown]
	v_add_co_u32 v5, s4, v5, -1
	v_cndmask_b32_e64 v40, 0, 1, s4
	v_not_b32_e32 v57, v6
	v_cmp_gt_i32_e64 s4, 0, v6
	v_not_b32_e32 v6, v7
	v_lshlrev_b32_e32 v54, 26, v2
	v_cmp_ne_u32_e32 vcc_lo, 0, v40
	v_ashrrev_i32_e32 v40, 31, v57
	v_lshlrev_b32_e32 v55, 25, v2
	v_ashrrev_i32_e32 v6, 31, v6
	v_mul_lo_u32 v4, 0x84, v2
	v_xor_b32_e32 v5, vcc_lo, v5
	v_cmp_gt_i32_e32 vcc_lo, 0, v7
	v_not_b32_e32 v7, v8
	v_xor_b32_e32 v40, s4, v40
	v_cmp_gt_i32_e64 s4, 0, v8
	v_and_b32_e32 v5, exec_lo, v5
	v_not_b32_e32 v8, v46
	v_ashrrev_i32_e32 v7, 31, v7
	v_xor_b32_e32 v6, vcc_lo, v6
	v_cmp_gt_i32_e32 vcc_lo, 0, v46
	v_and_b32_e32 v5, v5, v40
	v_not_b32_e32 v40, v54
	v_ashrrev_i32_e32 v8, 31, v8
	v_xor_b32_e32 v7, s4, v7
	v_lshlrev_b32_e32 v2, 24, v2
	v_and_b32_e32 v5, v5, v6
	v_cmp_gt_i32_e64 s4, 0, v54
	v_not_b32_e32 v6, v55
	v_ashrrev_i32_e32 v40, 31, v40
	v_xor_b32_e32 v8, vcc_lo, v8
	v_and_b32_e32 v5, v5, v7
	v_cmp_gt_i32_e32 vcc_lo, 0, v55
	v_not_b32_e32 v7, v2
	v_ashrrev_i32_e32 v6, 31, v6
	v_xor_b32_e32 v40, s4, v40
	v_and_b32_e32 v5, v5, v8
	v_cmp_gt_i32_e64 s4, 0, v2
	v_ashrrev_i32_e32 v2, 31, v7
	v_xor_b32_e32 v6, vcc_lo, v6
	v_lshl_add_u32 v59, v1, 2, v4
	v_and_b32_e32 v5, v5, v40
	v_xor_b32_e32 v2, s4, v2
	ds_read_b32 v54, v59 offset:128
	v_and_b32_e32 v4, v5, v6
	; wave barrier
	v_and_b32_e32 v2, v4, v2
	v_mbcnt_lo_u32_b32 v55, v2, 0
	v_cmp_ne_u32_e64 s4, 0, v2
	v_cmp_eq_u32_e32 vcc_lo, 0, v55
	s_and_b32 s5, s4, vcc_lo
	s_and_saveexec_b32 s4, s5
	s_cbranch_execz .LBB1052_155
; %bb.154:
	s_waitcnt lgkmcnt(0)
	v_bcnt_u32_b32 v2, v2, v54
	ds_write_b32 v59, v2 offset:128
.LBB1052_155:
	s_or_b32 exec_lo, exec_lo, s4
	v_xor_b32_e32 v46, 0x7fffffff, v3
	; wave barrier
	v_lshrrev_b32_e32 v2, s44, v46
	v_and_b32_e32 v2, s14, v2
	v_and_b32_e32 v4, 1, v2
	v_lshlrev_b32_e32 v5, 30, v2
	v_lshlrev_b32_e32 v6, 29, v2
	;; [unrolled: 1-line block ×4, first 2 shown]
	v_add_co_u32 v4, s4, v4, -1
	v_cndmask_b32_e64 v8, 0, 1, s4
	v_not_b32_e32 v60, v5
	v_cmp_gt_i32_e64 s4, 0, v5
	v_not_b32_e32 v5, v6
	v_lshlrev_b32_e32 v57, 26, v2
	v_cmp_ne_u32_e32 vcc_lo, 0, v8
	v_ashrrev_i32_e32 v8, 31, v60
	v_lshlrev_b32_e32 v58, 25, v2
	v_ashrrev_i32_e32 v5, 31, v5
	v_mul_lo_u32 v3, 0x84, v2
	v_xor_b32_e32 v4, vcc_lo, v4
	v_cmp_gt_i32_e32 vcc_lo, 0, v6
	v_not_b32_e32 v6, v7
	v_xor_b32_e32 v8, s4, v8
	v_cmp_gt_i32_e64 s4, 0, v7
	v_and_b32_e32 v4, exec_lo, v4
	v_not_b32_e32 v7, v40
	v_ashrrev_i32_e32 v6, 31, v6
	v_xor_b32_e32 v5, vcc_lo, v5
	v_cmp_gt_i32_e32 vcc_lo, 0, v40
	v_and_b32_e32 v4, v4, v8
	v_not_b32_e32 v8, v57
	v_ashrrev_i32_e32 v7, 31, v7
	v_xor_b32_e32 v6, s4, v6
	v_lshlrev_b32_e32 v2, 24, v2
	v_and_b32_e32 v4, v4, v5
	v_cmp_gt_i32_e64 s4, 0, v57
	v_not_b32_e32 v5, v58
	v_ashrrev_i32_e32 v8, 31, v8
	v_xor_b32_e32 v7, vcc_lo, v7
	v_and_b32_e32 v4, v4, v6
	v_cmp_gt_i32_e32 vcc_lo, 0, v58
	v_not_b32_e32 v6, v2
	v_ashrrev_i32_e32 v5, 31, v5
	v_xor_b32_e32 v8, s4, v8
	v_and_b32_e32 v4, v4, v7
	v_cmp_gt_i32_e64 s4, 0, v2
	v_ashrrev_i32_e32 v2, 31, v6
	v_xor_b32_e32 v5, vcc_lo, v5
	v_lshl_add_u32 v60, v1, 2, v3
	v_and_b32_e32 v4, v4, v8
	v_xor_b32_e32 v1, s4, v2
	ds_read_b32 v57, v60 offset:128
	v_and_b32_e32 v2, v4, v5
	; wave barrier
	v_and_b32_e32 v1, v2, v1
	v_mbcnt_lo_u32_b32 v58, v1, 0
	v_cmp_ne_u32_e64 s4, 0, v1
	v_cmp_eq_u32_e32 vcc_lo, 0, v58
	s_and_b32 s5, s4, vcc_lo
	s_and_saveexec_b32 s4, s5
	s_cbranch_execz .LBB1052_157
; %bb.156:
	s_waitcnt lgkmcnt(0)
	v_bcnt_u32_b32 v1, v1, v57
	ds_write_b32 v60, v1 offset:128
.LBB1052_157:
	s_or_b32 exec_lo, exec_lo, s4
	; wave barrier
	s_waitcnt lgkmcnt(0)
	s_barrier
	buffer_gl0_inv
	ds_read2_b32 v[7:8], v21 offset0:32 offset1:33
	ds_read2_b32 v[5:6], v21 offset0:34 offset1:35
	;; [unrolled: 1-line block ×4, first 2 shown]
	ds_read_b32 v40, v21 offset:160
	v_and_b32_e32 v63, 16, v11
	v_and_b32_e32 v64, 31, v0
	s_mov_b32 s10, exec_lo
	v_cmp_eq_u32_e64 s8, 0, v63
	s_waitcnt lgkmcnt(3)
	v_add3_u32 v61, v8, v7, v5
	s_waitcnt lgkmcnt(2)
	v_add3_u32 v61, v61, v6, v3
	;; [unrolled: 2-line block ×4, first 2 shown]
	v_and_b32_e32 v61, 15, v11
	v_mov_b32_dpp v62, v40 row_shr:1 row_mask:0xf bank_mask:0xf
	v_cmp_eq_u32_e32 vcc_lo, 0, v61
	v_cmp_lt_u32_e64 s4, 1, v61
	v_cmp_lt_u32_e64 s5, 3, v61
	;; [unrolled: 1-line block ×3, first 2 shown]
	v_cndmask_b32_e64 v62, v62, 0, vcc_lo
	v_add_nc_u32_e32 v40, v62, v40
	v_mov_b32_dpp v62, v40 row_shr:2 row_mask:0xf bank_mask:0xf
	v_cndmask_b32_e64 v62, 0, v62, s4
	v_add_nc_u32_e32 v40, v40, v62
	v_mov_b32_dpp v62, v40 row_shr:4 row_mask:0xf bank_mask:0xf
	v_cndmask_b32_e64 v62, 0, v62, s5
	v_add_nc_u32_e32 v40, v40, v62
	v_mov_b32_dpp v62, v40 row_shr:8 row_mask:0xf bank_mask:0xf
	v_cndmask_b32_e64 v61, 0, v62, s7
	v_bfe_i32 v62, v11, 4, 1
	v_add_nc_u32_e32 v40, v40, v61
	ds_swizzle_b32 v61, v40 offset:swizzle(BROADCAST,32,15)
	s_waitcnt lgkmcnt(0)
	v_and_b32_e32 v61, v62, v61
	v_lshrrev_b32_e32 v62, 5, v0
	v_add_nc_u32_e32 v61, v40, v61
	v_cmpx_eq_u32_e32 31, v64
; %bb.158:
	v_lshlrev_b32_e32 v40, 2, v62
	ds_write_b32 v40, v61
; %bb.159:
	s_or_b32 exec_lo, exec_lo, s10
	v_cmp_lt_u32_e64 s9, 31, v0
	v_lshlrev_b32_e32 v40, 2, v0
	s_mov_b32 s15, exec_lo
	s_waitcnt lgkmcnt(0)
	s_barrier
	buffer_gl0_inv
	v_cmpx_gt_u32_e32 32, v0
	s_cbranch_execz .LBB1052_161
; %bb.160:
	ds_read_b32 v63, v40
	s_waitcnt lgkmcnt(0)
	v_mov_b32_dpp v64, v63 row_shr:1 row_mask:0xf bank_mask:0xf
	v_cndmask_b32_e64 v64, v64, 0, vcc_lo
	v_add_nc_u32_e32 v63, v64, v63
	v_mov_b32_dpp v64, v63 row_shr:2 row_mask:0xf bank_mask:0xf
	v_cndmask_b32_e64 v64, 0, v64, s4
	v_add_nc_u32_e32 v63, v63, v64
	v_mov_b32_dpp v64, v63 row_shr:4 row_mask:0xf bank_mask:0xf
	v_cndmask_b32_e64 v64, 0, v64, s5
	;; [unrolled: 3-line block ×3, first 2 shown]
	v_add_nc_u32_e32 v63, v63, v64
	ds_swizzle_b32 v64, v63 offset:swizzle(BROADCAST,32,15)
	s_waitcnt lgkmcnt(0)
	v_cndmask_b32_e64 v64, v64, 0, s8
	v_add_nc_u32_e32 v63, v63, v64
	ds_write_b32 v40, v63
.LBB1052_161:
	s_or_b32 exec_lo, exec_lo, s15
	v_mov_b32_e32 v63, 0
	s_waitcnt lgkmcnt(0)
	s_barrier
	buffer_gl0_inv
	s_and_saveexec_b32 s4, s9
; %bb.162:
	v_lshl_add_u32 v62, v62, 2, -4
	ds_read_b32 v63, v62
; %bb.163:
	s_or_b32 exec_lo, exec_lo, s4
	v_sub_co_u32 v62, vcc_lo, v11, 1
	s_waitcnt lgkmcnt(0)
	v_add_nc_u32_e32 v61, v63, v61
	v_cmp_gt_i32_e64 s4, 0, v62
	v_cndmask_b32_e64 v11, v62, v11, s4
	v_cmp_lt_u32_e64 s4, 0xff, v0
	v_lshlrev_b32_e32 v11, 2, v11
	ds_bpermute_b32 v11, v11, v61
	s_waitcnt lgkmcnt(0)
	v_cndmask_b32_e32 v11, v11, v63, vcc_lo
	v_cmp_ne_u32_e32 vcc_lo, 0, v0
	v_cndmask_b32_e32 v11, 0, v11, vcc_lo
	v_cmp_gt_u32_e32 vcc_lo, 0x100, v0
	v_add_nc_u32_e32 v7, v11, v7
	v_add_nc_u32_e32 v8, v7, v8
	v_add_nc_u32_e32 v5, v8, v5
	v_add_nc_u32_e32 v6, v5, v6
	v_add_nc_u32_e32 v3, v6, v3
	v_add_nc_u32_e32 v4, v3, v4
	v_add_nc_u32_e32 v1, v4, v1
	v_add_nc_u32_e32 v2, v1, v2
	ds_write2_b32 v21, v11, v7 offset0:32 offset1:33
	ds_write2_b32 v21, v8, v5 offset0:34 offset1:35
	;; [unrolled: 1-line block ×4, first 2 shown]
	ds_write_b32 v21, v2 offset:160
	s_waitcnt lgkmcnt(0)
	s_barrier
	buffer_gl0_inv
	ds_read_b32 v11, v22 offset:128
	ds_read_b32 v21, v26 offset:128
	ds_read_b32 v22, v30 offset:128
	ds_read_b32 v26, v34 offset:128
	ds_read_b32 v30, v38 offset:128
	ds_read_b32 v34, v43 offset:128
	ds_read_b32 v38, v47 offset:128
	ds_read_b32 v43, v50 offset:128
	ds_read_b32 v47, v53 offset:128
	ds_read_b32 v50, v56 offset:128
	ds_read_b32 v53, v59 offset:128
	ds_read_b32 v56, v60 offset:128
                                        ; implicit-def: $vgpr7
                                        ; implicit-def: $vgpr8
	s_and_saveexec_b32 s7, vcc_lo
	s_cbranch_execz .LBB1052_167
; %bb.164:
	v_mul_u32_u24_e32 v1, 0x84, v0
	v_add_nc_u32_e32 v2, 1, v0
	s_mov_b32 s8, exec_lo
	ds_read_b32 v7, v1 offset:128
	v_mov_b32_e32 v1, 0x3000
	v_cmpx_ne_u32_e32 0x100, v2
; %bb.165:
	v_mul_u32_u24_e32 v1, 0x84, v2
	ds_read_b32 v1, v1 offset:128
; %bb.166:
	s_or_b32 exec_lo, exec_lo, s8
	s_waitcnt lgkmcnt(0)
	v_sub_nc_u32_e32 v8, v1, v7
.LBB1052_167:
	s_or_b32 exec_lo, exec_lo, s7
	v_mov_b32_e32 v2, 0
	s_waitcnt lgkmcnt(0)
	s_barrier
	buffer_gl0_inv
	s_and_saveexec_b32 s5, vcc_lo
	s_cbranch_execz .LBB1052_177
; %bb.168:
	v_lshl_add_u32 v1, s6, 8, v0
	v_mov_b32_e32 v59, 0
	s_mov_b32 s7, 0
	s_mov_b32 s8, s6
                                        ; implicit-def: $sgpr9
	v_lshlrev_b64 v[3:4], 2, v[1:2]
	v_or_b32_e32 v1, 2.0, v8
	v_add_co_u32 v3, vcc_lo, s26, v3
	v_add_co_ci_u32_e64 v4, null, s27, v4, vcc_lo
	global_store_dword v[3:4], v1, off
	s_branch .LBB1052_171
	.p2align	6
.LBB1052_169:                           ;   in Loop: Header=BB1052_171 Depth=1
	s_or_b32 exec_lo, exec_lo, s10
.LBB1052_170:                           ;   in Loop: Header=BB1052_171 Depth=1
	s_or_b32 exec_lo, exec_lo, s9
	v_and_b32_e32 v5, 0x3fffffff, v1
	v_cmp_gt_i32_e64 s9, -2.0, v1
	v_add_nc_u32_e32 v59, v5, v59
	s_and_b32 s10, exec_lo, s9
	s_or_b32 s7, s10, s7
	s_andn2_b32 exec_lo, exec_lo, s7
	s_cbranch_execz .LBB1052_176
.LBB1052_171:                           ; =>This Loop Header: Depth=1
                                        ;     Child Loop BB1052_174 Depth 2
	s_or_b32 s9, s9, exec_lo
	s_cmp_eq_u32 s8, 0
	s_cbranch_scc1 .LBB1052_175
; %bb.172:                              ;   in Loop: Header=BB1052_171 Depth=1
	s_add_i32 s8, s8, -1
	s_mov_b32 s9, exec_lo
	v_lshl_or_b32 v1, s8, 8, v0
	v_lshlrev_b64 v[5:6], 2, v[1:2]
	v_add_co_u32 v5, vcc_lo, s26, v5
	v_add_co_ci_u32_e64 v6, null, s27, v6, vcc_lo
	global_load_dword v1, v[5:6], off glc dlc
	s_waitcnt vmcnt(0)
	v_cmpx_gt_u32_e32 2.0, v1
	s_cbranch_execz .LBB1052_170
; %bb.173:                              ;   in Loop: Header=BB1052_171 Depth=1
	s_mov_b32 s10, 0
.LBB1052_174:                           ;   Parent Loop BB1052_171 Depth=1
                                        ; =>  This Inner Loop Header: Depth=2
	global_load_dword v1, v[5:6], off glc dlc
	s_waitcnt vmcnt(0)
	v_cmp_lt_u32_e32 vcc_lo, 0x3fffffff, v1
	s_or_b32 s10, vcc_lo, s10
	s_andn2_b32 exec_lo, exec_lo, s10
	s_cbranch_execnz .LBB1052_174
	s_branch .LBB1052_169
.LBB1052_175:                           ;   in Loop: Header=BB1052_171 Depth=1
                                        ; implicit-def: $sgpr8
	s_and_b32 s10, exec_lo, s9
	s_or_b32 s7, s10, s7
	s_andn2_b32 exec_lo, exec_lo, s7
	s_cbranch_execnz .LBB1052_171
.LBB1052_176:
	s_or_b32 exec_lo, exec_lo, s7
	v_add_nc_u32_e32 v1, v59, v8
	v_sub_nc_u32_e32 v2, v59, v7
	v_or_b32_e32 v1, 0x80000000, v1
	global_store_dword v[3:4], v1, off
	global_load_dword v1, v40, s[28:29]
	s_waitcnt vmcnt(0)
	v_add_nc_u32_e32 v1, v2, v1
	ds_write_b32 v40, v1
.LBB1052_177:
	s_or_b32 exec_lo, exec_lo, s5
	v_add_nc_u32_e32 v3, v11, v16
	v_add3_u32 v4, v19, v18, v21
	v_add3_u32 v5, v24, v23, v22
	;; [unrolled: 1-line block ×11, first 2 shown]
	v_mov_b32_e32 v2, 0
	v_mov_b32_e32 v26, v3
	;; [unrolled: 1-line block ×13, first 2 shown]
	s_mov_b32 s5, 32
	s_mov_b32 s9, 0
	;; [unrolled: 1-line block ×3, first 2 shown]
	s_mov_b32 s8, -1
	s_branch .LBB1052_179
.LBB1052_178:                           ;   in Loop: Header=BB1052_179 Depth=1
	v_add_nc_u32_e32 v41, 0xffffe000, v41
	v_add_nc_u32_e32 v39, 0xffffe000, v39
	;; [unrolled: 1-line block ×12, first 2 shown]
	s_xor_b32 s9, s8, -1
	s_addk_i32 s7, 0x2000
	s_mov_b32 s8, 0
	s_and_b32 vcc_lo, exec_lo, s9
	s_mov_b32 s9, s5
	s_waitcnt_vscnt null, 0x0
	s_barrier
	buffer_gl0_inv
	s_cbranch_vccnz .LBB1052_187
.LBB1052_179:                           ; =>This Inner Loop Header: Depth=1
	v_min_u32_e32 v1, 0x2000, v26
	v_min_u32_e32 v43, 0x2000, v27
	;; [unrolled: 1-line block ×5, first 2 shown]
	v_lshlrev_b32_e32 v1, 2, v1
	v_lshlrev_b32_e32 v43, 2, v43
	v_min_u32_e32 v48, 0x2000, v32
	v_min_u32_e32 v49, 0x2000, v34
	v_mov_b32_e32 v57, s9
	ds_write_b32 v1, v12 offset:1024
	ds_write_b32 v43, v13 offset:1024
	v_lshlrev_b32_e32 v1, 2, v44
	v_lshlrev_b32_e32 v43, 2, v45
	;; [unrolled: 1-line block ×5, first 2 shown]
	ds_write_b32 v1, v14 offset:1024
	ds_write_b32 v43, v15 offset:1024
	;; [unrolled: 1-line block ×5, first 2 shown]
	v_min_u32_e32 v1, 0x2000, v35
	v_min_u32_e32 v43, 0x2000, v36
	v_min_u32_e32 v44, 0x2000, v38
	v_min_u32_e32 v45, 0x2000, v39
	v_min_u32_e32 v47, 0x2000, v41
	v_lshlrev_b32_e32 v1, 2, v1
	v_lshlrev_b32_e32 v43, 2, v43
	;; [unrolled: 1-line block ×5, first 2 shown]
	ds_write_b32 v1, v29 offset:1024
	ds_write_b32 v43, v33 offset:1024
	;; [unrolled: 1-line block ×5, first 2 shown]
	s_waitcnt lgkmcnt(0)
	s_waitcnt_vscnt null, 0x0
	s_barrier
	buffer_gl0_inv
	ds_read2st64_b32 v[44:45], v40 offset0:4 offset1:20
	ds_read2st64_b32 v[47:48], v40 offset0:36 offset1:52
	s_add_i32 s10, s7, 0x1000
	s_cmpk_lt_u32 s10, 0x3000
	s_waitcnt lgkmcnt(1)
	v_lshrrev_b32_e32 v1, s44, v44
	v_xor_b32_e32 v58, 0x7fffffff, v44
	v_xor_b32_e32 v59, 0x7fffffff, v45
	s_waitcnt lgkmcnt(0)
	v_xor_b32_e32 v60, 0x7fffffff, v47
	v_xor_b32_e32 v61, 0x7fffffff, v48
	v_and_b32_e32 v49, s14, v1
	v_lshrrev_b32_e32 v1, s44, v45
	v_lshlrev_b32_e32 v43, 2, v49
	v_and_b32_e32 v50, s14, v1
	v_lshrrev_b32_e32 v1, s44, v47
	ds_read_b32 v51, v43
	v_and_b32_e32 v53, s14, v1
	v_lshrrev_b32_e32 v1, s44, v48
	v_and_b32_e32 v54, s14, v1
	v_lshlrev_b32_e32 v1, 2, v54
	ds_read_b32 v56, v1
	v_lshlrev_b32_e32 v43, 2, v50
	ds_read_b32 v52, v43
	;; [unrolled: 2-line block ×3, first 2 shown]
	v_add_nc_u32_e32 v43, s7, v0
	buffer_store_dword v49, v57, s[0:3], 0 offen
	buffer_store_dword v50, v57, s[0:3], 0 offen offset:4
	buffer_store_dword v53, v57, s[0:3], 0 offen offset:8
	s_waitcnt lgkmcnt(3)
	v_add_nc_u32_e32 v1, v43, v51
	v_lshlrev_b64 v[44:45], 2, v[1:2]
	s_waitcnt lgkmcnt(1)
	v_add3_u32 v1, v43, v52, 0x400
	v_add_co_u32 v44, vcc_lo, s38, v44
	v_lshlrev_b64 v[47:48], 2, v[1:2]
	s_waitcnt lgkmcnt(0)
	v_add3_u32 v1, v43, v55, 0x800
	v_add_co_ci_u32_e64 v45, null, s39, v45, vcc_lo
	v_lshlrev_b64 v[49:50], 2, v[1:2]
	v_add3_u32 v1, v43, v56, 0xc00
	v_add_co_u32 v47, vcc_lo, s38, v47
	v_add_co_ci_u32_e64 v48, null, s39, v48, vcc_lo
	v_lshlrev_b64 v[51:52], 2, v[1:2]
	v_add_co_u32 v49, vcc_lo, s38, v49
	v_add_co_ci_u32_e64 v50, null, s39, v50, vcc_lo
	v_add_co_u32 v51, vcc_lo, s38, v51
	v_add_co_ci_u32_e64 v52, null, s39, v52, vcc_lo
	global_store_dword v[44:45], v58, off
	global_store_dword v[47:48], v59, off
	;; [unrolled: 1-line block ×4, first 2 shown]
	buffer_store_dword v54, v57, s[0:3], 0 offen offset:12
	s_cbranch_scc0 .LBB1052_183
; %bb.180:                              ;   in Loop: Header=BB1052_179 Depth=1
	ds_read_b32 v47, v40 offset:17408
	s_waitcnt lgkmcnt(0)
	v_lshrrev_b32_e32 v1, s44, v47
	v_and_b32_e32 v48, s14, v1
	v_lshlrev_b32_e32 v1, 2, v48
	ds_read_b32 v1, v1
	s_waitcnt lgkmcnt(0)
	v_add3_u32 v1, v43, v1, 0x1000
	v_lshlrev_b64 v[44:45], 2, v[1:2]
	v_xor_b32_e32 v1, 0x7fffffff, v47
	v_mov_b32_e32 v47, s9
	v_add_co_u32 v44, vcc_lo, s38, v44
	v_add_co_ci_u32_e64 v45, null, s39, v45, vcc_lo
	buffer_store_dword v48, v47, s[0:3], 0 offen offset:16
	global_store_dword v[44:45], v1, off
	s_add_i32 s10, s7, 0x1400
	s_cmpk_gt_u32 s10, 0x2fff
	s_cbranch_scc0 .LBB1052_184
.LBB1052_181:                           ;   in Loop: Header=BB1052_179 Depth=1
	s_add_i32 s10, s7, 0x1800
	s_cmpk_gt_u32 s10, 0x2fff
	s_cbranch_scc1 .LBB1052_185
.LBB1052_182:                           ;   in Loop: Header=BB1052_179 Depth=1
	ds_read_b32 v47, v40 offset:25600
	s_waitcnt lgkmcnt(0)
	v_lshrrev_b32_e32 v1, s44, v47
	v_and_b32_e32 v48, s14, v1
	v_lshlrev_b32_e32 v1, 2, v48
	ds_read_b32 v1, v1
	s_waitcnt lgkmcnt(0)
	v_add3_u32 v1, v43, v1, 0x1800
	v_lshlrev_b64 v[44:45], 2, v[1:2]
	v_xor_b32_e32 v1, 0x7fffffff, v47
	v_mov_b32_e32 v47, s9
	v_add_co_u32 v44, vcc_lo, s38, v44
	v_add_co_ci_u32_e64 v45, null, s39, v45, vcc_lo
	buffer_store_dword v48, v47, s[0:3], 0 offen offset:24
	global_store_dword v[44:45], v1, off
	s_add_i32 s10, s7, 0x1c00
	s_cmpk_gt_u32 s10, 0x2fff
	s_cbranch_scc1 .LBB1052_178
	s_branch .LBB1052_186
.LBB1052_183:                           ;   in Loop: Header=BB1052_179 Depth=1
	s_add_i32 s10, s7, 0x1400
	s_cmpk_gt_u32 s10, 0x2fff
	s_cbranch_scc1 .LBB1052_181
.LBB1052_184:                           ;   in Loop: Header=BB1052_179 Depth=1
	ds_read_b32 v47, v40 offset:21504
	s_waitcnt lgkmcnt(0)
	v_lshrrev_b32_e32 v1, s44, v47
	v_and_b32_e32 v48, s14, v1
	v_lshlrev_b32_e32 v1, 2, v48
	ds_read_b32 v1, v1
	s_waitcnt lgkmcnt(0)
	v_add3_u32 v1, v43, v1, 0x1400
	v_lshlrev_b64 v[44:45], 2, v[1:2]
	v_xor_b32_e32 v1, 0x7fffffff, v47
	v_mov_b32_e32 v47, s9
	v_add_co_u32 v44, vcc_lo, s38, v44
	v_add_co_ci_u32_e64 v45, null, s39, v45, vcc_lo
	buffer_store_dword v48, v47, s[0:3], 0 offen offset:20
	global_store_dword v[44:45], v1, off
	s_add_i32 s10, s7, 0x1800
	s_cmpk_gt_u32 s10, 0x2fff
	s_cbranch_scc0 .LBB1052_182
.LBB1052_185:                           ;   in Loop: Header=BB1052_179 Depth=1
	s_add_i32 s10, s7, 0x1c00
	s_cmpk_gt_u32 s10, 0x2fff
	s_cbranch_scc1 .LBB1052_178
.LBB1052_186:                           ;   in Loop: Header=BB1052_179 Depth=1
	ds_read_b32 v45, v40 offset:29696
	s_waitcnt lgkmcnt(0)
	v_lshrrev_b32_e32 v1, s44, v45
	v_and_b32_e32 v47, s14, v1
	v_lshlrev_b32_e32 v1, 2, v47
	ds_read_b32 v1, v1
	s_waitcnt lgkmcnt(0)
	v_add3_u32 v1, v43, v1, 0x1c00
	v_lshlrev_b64 v[43:44], 2, v[1:2]
	v_xor_b32_e32 v1, 0x7fffffff, v45
	v_mov_b32_e32 v45, s9
	v_add_co_u32 v43, vcc_lo, s38, v43
	v_add_co_ci_u32_e64 v44, null, s39, v44, vcc_lo
	buffer_store_dword v47, v45, s[0:3], 0 offen offset:28
	global_store_dword v[43:44], v1, off
	s_branch .LBB1052_178
.LBB1052_187:
	s_add_u32 s7, s40, s12
	s_addc_u32 s8, s41, s13
	v_add_co_u32 v1, s7, s7, v9
	v_add_co_ci_u32_e64 v2, null, s8, 0, s7
	s_mov_b32 s9, 0
	v_add_co_u32 v1, vcc_lo, v1, v10
	v_add_co_ci_u32_e64 v2, null, 0, v2, vcc_lo
	s_mov_b32 s8, -1
	s_mov_b32 s7, 0
	s_clause 0xb
	global_load_dword v9, v[1:2], off
	global_load_dword v10, v[1:2], off offset:128
	global_load_dword v12, v[1:2], off offset:256
	;; [unrolled: 1-line block ×11, first 2 shown]
	v_mov_b32_e32 v2, 0
	s_branch .LBB1052_189
.LBB1052_188:                           ;   in Loop: Header=BB1052_189 Depth=1
	v_add_nc_u32_e32 v24, 0xffffe000, v24
	v_add_nc_u32_e32 v23, 0xffffe000, v23
	;; [unrolled: 1-line block ×12, first 2 shown]
	s_xor_b32 s9, s8, -1
	s_addk_i32 s7, 0x2000
	s_mov_b32 s8, 0
	s_and_b32 vcc_lo, exec_lo, s9
	s_mov_b32 s9, s5
	s_waitcnt_vscnt null, 0x0
	s_barrier
	buffer_gl0_inv
	s_cbranch_vccnz .LBB1052_197
.LBB1052_189:                           ; =>This Inner Loop Header: Depth=1
	v_min_u32_e32 v1, 0x2000, v3
	v_min_u32_e32 v29, 0x2000, v4
	;; [unrolled: 1-line block ×5, first 2 shown]
	v_lshlrev_b32_e32 v1, 2, v1
	v_lshlrev_b32_e32 v29, 2, v29
	v_min_u32_e32 v33, 0x2000, v16
	v_lshlrev_b32_e32 v30, 2, v30
	s_add_i32 s10, s7, 0x1000
	s_waitcnt vmcnt(11)
	ds_write_b32 v1, v9 offset:1024
	s_waitcnt vmcnt(10)
	ds_write_b32 v29, v10 offset:1024
	v_min_u32_e32 v1, 0x2000, v18
	v_lshlrev_b32_e32 v29, 2, v31
	v_lshlrev_b32_e32 v31, 2, v32
	;; [unrolled: 1-line block ×3, first 2 shown]
	s_waitcnt vmcnt(9)
	ds_write_b32 v30, v12 offset:1024
	v_lshlrev_b32_e32 v1, 2, v1
	s_waitcnt vmcnt(8)
	ds_write_b32 v29, v13 offset:1024
	s_waitcnt vmcnt(7)
	ds_write_b32 v31, v14 offset:1024
	s_waitcnt vmcnt(6)
	ds_write_b32 v32, v15 offset:1024
	v_min_u32_e32 v29, 0x2000, v19
	v_min_u32_e32 v30, 0x2000, v22
	;; [unrolled: 1-line block ×3, first 2 shown]
	s_waitcnt vmcnt(5)
	ds_write_b32 v1, v17 offset:1024
	v_min_u32_e32 v1, 0x2000, v21
	v_lshlrev_b32_e32 v29, 2, v29
	v_min_u32_e32 v32, 0x2000, v24
	v_lshlrev_b32_e32 v30, 2, v30
	v_lshlrev_b32_e32 v31, 2, v31
	v_lshlrev_b32_e32 v1, 2, v1
	s_waitcnt vmcnt(4)
	ds_write_b32 v29, v20 offset:1024
	v_lshlrev_b32_e32 v29, 2, v32
	s_waitcnt vmcnt(3)
	ds_write_b32 v1, v25 offset:1024
	s_waitcnt vmcnt(2)
	ds_write_b32 v30, v26 offset:1024
	s_waitcnt vmcnt(1)
	ds_write_b32 v31, v27 offset:1024
	v_mov_b32_e32 v1, s9
	s_waitcnt vmcnt(0)
	ds_write_b32 v29, v28 offset:1024
	s_waitcnt lgkmcnt(0)
	s_barrier
	buffer_gl0_inv
	s_clause 0x3
	buffer_load_dword v29, v1, s[0:3], 0 offen
	buffer_load_dword v30, v1, s[0:3], 0 offen offset:4
	buffer_load_dword v31, v1, s[0:3], 0 offen offset:8
	;; [unrolled: 1-line block ×3, first 2 shown]
	s_cmpk_lt_u32 s10, 0x3000
	s_waitcnt vmcnt(3)
	v_lshlrev_b32_e32 v29, 2, v29
	s_waitcnt vmcnt(0)
	v_lshlrev_b32_e32 v1, 2, v1
	ds_read_b32 v32, v29
	ds_read_b32 v41, v1
	v_lshlrev_b32_e32 v29, 2, v30
	ds_read_b32 v34, v29
	v_lshlrev_b32_e32 v29, 2, v31
	ds_read2st64_b32 v[30:31], v40 offset0:4 offset1:20
	ds_read_b32 v36, v29
	v_add_nc_u32_e32 v29, s7, v0
	s_waitcnt lgkmcnt(4)
	v_add_nc_u32_e32 v1, v29, v32
	v_lshlrev_b64 v[32:33], 2, v[1:2]
	s_waitcnt lgkmcnt(2)
	v_add3_u32 v1, v29, v34, 0x400
	v_add_co_u32 v32, vcc_lo, s42, v32
	v_lshlrev_b64 v[34:35], 2, v[1:2]
	s_waitcnt lgkmcnt(0)
	v_add3_u32 v1, v29, v36, 0x800
	ds_read2st64_b32 v[36:37], v40 offset0:36 offset1:52
	v_add_co_ci_u32_e64 v33, null, s43, v33, vcc_lo
	v_lshlrev_b64 v[38:39], 2, v[1:2]
	v_add3_u32 v1, v29, v41, 0xc00
	global_store_dword v[32:33], v30, off
	v_add_co_u32 v32, vcc_lo, s42, v34
	v_add_co_ci_u32_e64 v33, null, s43, v35, vcc_lo
	v_lshlrev_b64 v[34:35], 2, v[1:2]
	v_add_co_u32 v38, vcc_lo, s42, v38
	v_add_co_ci_u32_e64 v39, null, s43, v39, vcc_lo
	global_store_dword v[32:33], v31, off
	v_add_co_u32 v34, vcc_lo, s42, v34
	v_add_co_ci_u32_e64 v35, null, s43, v35, vcc_lo
	s_waitcnt lgkmcnt(0)
	global_store_dword v[38:39], v36, off
	global_store_dword v[34:35], v37, off
	s_cbranch_scc0 .LBB1052_193
; %bb.190:                              ;   in Loop: Header=BB1052_189 Depth=1
	v_mov_b32_e32 v1, s9
	buffer_load_dword v1, v1, s[0:3], 0 offen offset:16
	s_waitcnt vmcnt(0)
	v_lshlrev_b32_e32 v1, 2, v1
	ds_read_b32 v1, v1
	ds_read_b32 v32, v40 offset:17408
	s_waitcnt lgkmcnt(1)
	v_add3_u32 v1, v29, v1, 0x1000
	v_lshlrev_b64 v[30:31], 2, v[1:2]
	v_add_co_u32 v30, vcc_lo, s42, v30
	v_add_co_ci_u32_e64 v31, null, s43, v31, vcc_lo
	s_waitcnt lgkmcnt(0)
	global_store_dword v[30:31], v32, off
	s_add_i32 s10, s7, 0x1400
	s_cmpk_gt_u32 s10, 0x2fff
	s_cbranch_scc0 .LBB1052_194
.LBB1052_191:                           ;   in Loop: Header=BB1052_189 Depth=1
	s_add_i32 s10, s7, 0x1800
	s_cmpk_gt_u32 s10, 0x2fff
	s_cbranch_scc1 .LBB1052_195
.LBB1052_192:                           ;   in Loop: Header=BB1052_189 Depth=1
	v_mov_b32_e32 v1, s9
	buffer_load_dword v1, v1, s[0:3], 0 offen offset:24
	s_waitcnt vmcnt(0)
	v_lshlrev_b32_e32 v1, 2, v1
	ds_read_b32 v1, v1
	ds_read_b32 v32, v40 offset:25600
	s_waitcnt lgkmcnt(1)
	v_add3_u32 v1, v29, v1, 0x1800
	v_lshlrev_b64 v[30:31], 2, v[1:2]
	v_add_co_u32 v30, vcc_lo, s42, v30
	v_add_co_ci_u32_e64 v31, null, s43, v31, vcc_lo
	s_waitcnt lgkmcnt(0)
	global_store_dword v[30:31], v32, off
	s_add_i32 s10, s7, 0x1c00
	s_cmpk_gt_u32 s10, 0x2fff
	s_cbranch_scc1 .LBB1052_188
	s_branch .LBB1052_196
.LBB1052_193:                           ;   in Loop: Header=BB1052_189 Depth=1
	s_add_i32 s10, s7, 0x1400
	s_cmpk_gt_u32 s10, 0x2fff
	s_cbranch_scc1 .LBB1052_191
.LBB1052_194:                           ;   in Loop: Header=BB1052_189 Depth=1
	v_mov_b32_e32 v1, s9
	buffer_load_dword v1, v1, s[0:3], 0 offen offset:20
	s_waitcnt vmcnt(0)
	v_lshlrev_b32_e32 v1, 2, v1
	ds_read_b32 v1, v1
	ds_read_b32 v32, v40 offset:21504
	s_waitcnt lgkmcnt(1)
	v_add3_u32 v1, v29, v1, 0x1400
	v_lshlrev_b64 v[30:31], 2, v[1:2]
	v_add_co_u32 v30, vcc_lo, s42, v30
	v_add_co_ci_u32_e64 v31, null, s43, v31, vcc_lo
	s_waitcnt lgkmcnt(0)
	global_store_dword v[30:31], v32, off
	s_add_i32 s10, s7, 0x1800
	s_cmpk_gt_u32 s10, 0x2fff
	s_cbranch_scc0 .LBB1052_192
.LBB1052_195:                           ;   in Loop: Header=BB1052_189 Depth=1
	s_add_i32 s10, s7, 0x1c00
	s_cmpk_gt_u32 s10, 0x2fff
	s_cbranch_scc1 .LBB1052_188
.LBB1052_196:                           ;   in Loop: Header=BB1052_189 Depth=1
	v_mov_b32_e32 v1, s9
	buffer_load_dword v1, v1, s[0:3], 0 offen offset:28
	s_waitcnt vmcnt(0)
	v_lshlrev_b32_e32 v1, 2, v1
	ds_read_b32 v1, v1
	ds_read_b32 v31, v40 offset:29696
	s_waitcnt lgkmcnt(1)
	v_add3_u32 v1, v29, v1, 0x1c00
	v_lshlrev_b64 v[29:30], 2, v[1:2]
	v_add_co_u32 v29, vcc_lo, s42, v29
	v_add_co_ci_u32_e64 v30, null, s43, v30, vcc_lo
	s_waitcnt lgkmcnt(0)
	global_store_dword v[29:30], v31, off
	s_branch .LBB1052_188
.LBB1052_197:
	s_add_i32 s11, s11, -1
	s_cmp_eq_u32 s6, s11
	s_cselect_b32 s5, -1, 0
	s_xor_b32 s4, s4, -1
	s_and_b32 s4, s4, s5
	s_and_saveexec_b32 s5, s4
	s_cbranch_execz .LBB1052_199
; %bb.198:
	ds_read_b32 v0, v40
	s_waitcnt lgkmcnt(0)
	v_add3_u32 v0, v7, v8, v0
	global_store_dword v40, v0, s[30:31]
.LBB1052_199:
	s_endpgm
	.section	.rodata,"a",@progbits
	.p2align	6, 0x0
	.amdhsa_kernel _ZN7rocprim17ROCPRIM_400000_NS6detail17trampoline_kernelINS0_14default_configENS1_35radix_sort_onesweep_config_selectorIiiEEZZNS1_29radix_sort_onesweep_iterationIS3_Lb1EN6thrust23THRUST_200600_302600_NS6detail15normal_iteratorINS8_10device_ptrIiEEEESD_SD_SD_jNS0_19identity_decomposerENS1_16block_id_wrapperIjLb0EEEEE10hipError_tT1_PNSt15iterator_traitsISI_E10value_typeET2_T3_PNSJ_ISO_E10value_typeET4_T5_PST_SU_PNS1_23onesweep_lookback_stateEbbT6_jjT7_P12ihipStream_tbENKUlT_T0_SI_SN_E_clIPiSD_S15_SD_EEDaS11_S12_SI_SN_EUlS11_E_NS1_11comp_targetILNS1_3genE8ELNS1_11target_archE1030ELNS1_3gpuE2ELNS1_3repE0EEENS1_47radix_sort_onesweep_sort_config_static_selectorELNS0_4arch9wavefront6targetE0EEEvSI_
		.amdhsa_group_segment_fixed_size 37000
		.amdhsa_private_segment_fixed_size 64
		.amdhsa_kernarg_size 344
		.amdhsa_user_sgpr_count 6
		.amdhsa_user_sgpr_private_segment_buffer 1
		.amdhsa_user_sgpr_dispatch_ptr 0
		.amdhsa_user_sgpr_queue_ptr 0
		.amdhsa_user_sgpr_kernarg_segment_ptr 1
		.amdhsa_user_sgpr_dispatch_id 0
		.amdhsa_user_sgpr_flat_scratch_init 0
		.amdhsa_user_sgpr_private_segment_size 0
		.amdhsa_wavefront_size32 1
		.amdhsa_uses_dynamic_stack 0
		.amdhsa_system_sgpr_private_segment_wavefront_offset 1
		.amdhsa_system_sgpr_workgroup_id_x 1
		.amdhsa_system_sgpr_workgroup_id_y 0
		.amdhsa_system_sgpr_workgroup_id_z 0
		.amdhsa_system_sgpr_workgroup_info 0
		.amdhsa_system_vgpr_workitem_id 2
		.amdhsa_next_free_vgpr 68
		.amdhsa_next_free_sgpr 49
		.amdhsa_reserve_vcc 1
		.amdhsa_reserve_flat_scratch 0
		.amdhsa_float_round_mode_32 0
		.amdhsa_float_round_mode_16_64 0
		.amdhsa_float_denorm_mode_32 3
		.amdhsa_float_denorm_mode_16_64 3
		.amdhsa_dx10_clamp 1
		.amdhsa_ieee_mode 1
		.amdhsa_fp16_overflow 0
		.amdhsa_workgroup_processor_mode 1
		.amdhsa_memory_ordered 1
		.amdhsa_forward_progress 1
		.amdhsa_shared_vgpr_count 0
		.amdhsa_exception_fp_ieee_invalid_op 0
		.amdhsa_exception_fp_denorm_src 0
		.amdhsa_exception_fp_ieee_div_zero 0
		.amdhsa_exception_fp_ieee_overflow 0
		.amdhsa_exception_fp_ieee_underflow 0
		.amdhsa_exception_fp_ieee_inexact 0
		.amdhsa_exception_int_div_zero 0
	.end_amdhsa_kernel
	.section	.text._ZN7rocprim17ROCPRIM_400000_NS6detail17trampoline_kernelINS0_14default_configENS1_35radix_sort_onesweep_config_selectorIiiEEZZNS1_29radix_sort_onesweep_iterationIS3_Lb1EN6thrust23THRUST_200600_302600_NS6detail15normal_iteratorINS8_10device_ptrIiEEEESD_SD_SD_jNS0_19identity_decomposerENS1_16block_id_wrapperIjLb0EEEEE10hipError_tT1_PNSt15iterator_traitsISI_E10value_typeET2_T3_PNSJ_ISO_E10value_typeET4_T5_PST_SU_PNS1_23onesweep_lookback_stateEbbT6_jjT7_P12ihipStream_tbENKUlT_T0_SI_SN_E_clIPiSD_S15_SD_EEDaS11_S12_SI_SN_EUlS11_E_NS1_11comp_targetILNS1_3genE8ELNS1_11target_archE1030ELNS1_3gpuE2ELNS1_3repE0EEENS1_47radix_sort_onesweep_sort_config_static_selectorELNS0_4arch9wavefront6targetE0EEEvSI_,"axG",@progbits,_ZN7rocprim17ROCPRIM_400000_NS6detail17trampoline_kernelINS0_14default_configENS1_35radix_sort_onesweep_config_selectorIiiEEZZNS1_29radix_sort_onesweep_iterationIS3_Lb1EN6thrust23THRUST_200600_302600_NS6detail15normal_iteratorINS8_10device_ptrIiEEEESD_SD_SD_jNS0_19identity_decomposerENS1_16block_id_wrapperIjLb0EEEEE10hipError_tT1_PNSt15iterator_traitsISI_E10value_typeET2_T3_PNSJ_ISO_E10value_typeET4_T5_PST_SU_PNS1_23onesweep_lookback_stateEbbT6_jjT7_P12ihipStream_tbENKUlT_T0_SI_SN_E_clIPiSD_S15_SD_EEDaS11_S12_SI_SN_EUlS11_E_NS1_11comp_targetILNS1_3genE8ELNS1_11target_archE1030ELNS1_3gpuE2ELNS1_3repE0EEENS1_47radix_sort_onesweep_sort_config_static_selectorELNS0_4arch9wavefront6targetE0EEEvSI_,comdat
.Lfunc_end1052:
	.size	_ZN7rocprim17ROCPRIM_400000_NS6detail17trampoline_kernelINS0_14default_configENS1_35radix_sort_onesweep_config_selectorIiiEEZZNS1_29radix_sort_onesweep_iterationIS3_Lb1EN6thrust23THRUST_200600_302600_NS6detail15normal_iteratorINS8_10device_ptrIiEEEESD_SD_SD_jNS0_19identity_decomposerENS1_16block_id_wrapperIjLb0EEEEE10hipError_tT1_PNSt15iterator_traitsISI_E10value_typeET2_T3_PNSJ_ISO_E10value_typeET4_T5_PST_SU_PNS1_23onesweep_lookback_stateEbbT6_jjT7_P12ihipStream_tbENKUlT_T0_SI_SN_E_clIPiSD_S15_SD_EEDaS11_S12_SI_SN_EUlS11_E_NS1_11comp_targetILNS1_3genE8ELNS1_11target_archE1030ELNS1_3gpuE2ELNS1_3repE0EEENS1_47radix_sort_onesweep_sort_config_static_selectorELNS0_4arch9wavefront6targetE0EEEvSI_, .Lfunc_end1052-_ZN7rocprim17ROCPRIM_400000_NS6detail17trampoline_kernelINS0_14default_configENS1_35radix_sort_onesweep_config_selectorIiiEEZZNS1_29radix_sort_onesweep_iterationIS3_Lb1EN6thrust23THRUST_200600_302600_NS6detail15normal_iteratorINS8_10device_ptrIiEEEESD_SD_SD_jNS0_19identity_decomposerENS1_16block_id_wrapperIjLb0EEEEE10hipError_tT1_PNSt15iterator_traitsISI_E10value_typeET2_T3_PNSJ_ISO_E10value_typeET4_T5_PST_SU_PNS1_23onesweep_lookback_stateEbbT6_jjT7_P12ihipStream_tbENKUlT_T0_SI_SN_E_clIPiSD_S15_SD_EEDaS11_S12_SI_SN_EUlS11_E_NS1_11comp_targetILNS1_3genE8ELNS1_11target_archE1030ELNS1_3gpuE2ELNS1_3repE0EEENS1_47radix_sort_onesweep_sort_config_static_selectorELNS0_4arch9wavefront6targetE0EEEvSI_
                                        ; -- End function
	.set _ZN7rocprim17ROCPRIM_400000_NS6detail17trampoline_kernelINS0_14default_configENS1_35radix_sort_onesweep_config_selectorIiiEEZZNS1_29radix_sort_onesweep_iterationIS3_Lb1EN6thrust23THRUST_200600_302600_NS6detail15normal_iteratorINS8_10device_ptrIiEEEESD_SD_SD_jNS0_19identity_decomposerENS1_16block_id_wrapperIjLb0EEEEE10hipError_tT1_PNSt15iterator_traitsISI_E10value_typeET2_T3_PNSJ_ISO_E10value_typeET4_T5_PST_SU_PNS1_23onesweep_lookback_stateEbbT6_jjT7_P12ihipStream_tbENKUlT_T0_SI_SN_E_clIPiSD_S15_SD_EEDaS11_S12_SI_SN_EUlS11_E_NS1_11comp_targetILNS1_3genE8ELNS1_11target_archE1030ELNS1_3gpuE2ELNS1_3repE0EEENS1_47radix_sort_onesweep_sort_config_static_selectorELNS0_4arch9wavefront6targetE0EEEvSI_.num_vgpr, 68
	.set _ZN7rocprim17ROCPRIM_400000_NS6detail17trampoline_kernelINS0_14default_configENS1_35radix_sort_onesweep_config_selectorIiiEEZZNS1_29radix_sort_onesweep_iterationIS3_Lb1EN6thrust23THRUST_200600_302600_NS6detail15normal_iteratorINS8_10device_ptrIiEEEESD_SD_SD_jNS0_19identity_decomposerENS1_16block_id_wrapperIjLb0EEEEE10hipError_tT1_PNSt15iterator_traitsISI_E10value_typeET2_T3_PNSJ_ISO_E10value_typeET4_T5_PST_SU_PNS1_23onesweep_lookback_stateEbbT6_jjT7_P12ihipStream_tbENKUlT_T0_SI_SN_E_clIPiSD_S15_SD_EEDaS11_S12_SI_SN_EUlS11_E_NS1_11comp_targetILNS1_3genE8ELNS1_11target_archE1030ELNS1_3gpuE2ELNS1_3repE0EEENS1_47radix_sort_onesweep_sort_config_static_selectorELNS0_4arch9wavefront6targetE0EEEvSI_.num_agpr, 0
	.set _ZN7rocprim17ROCPRIM_400000_NS6detail17trampoline_kernelINS0_14default_configENS1_35radix_sort_onesweep_config_selectorIiiEEZZNS1_29radix_sort_onesweep_iterationIS3_Lb1EN6thrust23THRUST_200600_302600_NS6detail15normal_iteratorINS8_10device_ptrIiEEEESD_SD_SD_jNS0_19identity_decomposerENS1_16block_id_wrapperIjLb0EEEEE10hipError_tT1_PNSt15iterator_traitsISI_E10value_typeET2_T3_PNSJ_ISO_E10value_typeET4_T5_PST_SU_PNS1_23onesweep_lookback_stateEbbT6_jjT7_P12ihipStream_tbENKUlT_T0_SI_SN_E_clIPiSD_S15_SD_EEDaS11_S12_SI_SN_EUlS11_E_NS1_11comp_targetILNS1_3genE8ELNS1_11target_archE1030ELNS1_3gpuE2ELNS1_3repE0EEENS1_47radix_sort_onesweep_sort_config_static_selectorELNS0_4arch9wavefront6targetE0EEEvSI_.numbered_sgpr, 49
	.set _ZN7rocprim17ROCPRIM_400000_NS6detail17trampoline_kernelINS0_14default_configENS1_35radix_sort_onesweep_config_selectorIiiEEZZNS1_29radix_sort_onesweep_iterationIS3_Lb1EN6thrust23THRUST_200600_302600_NS6detail15normal_iteratorINS8_10device_ptrIiEEEESD_SD_SD_jNS0_19identity_decomposerENS1_16block_id_wrapperIjLb0EEEEE10hipError_tT1_PNSt15iterator_traitsISI_E10value_typeET2_T3_PNSJ_ISO_E10value_typeET4_T5_PST_SU_PNS1_23onesweep_lookback_stateEbbT6_jjT7_P12ihipStream_tbENKUlT_T0_SI_SN_E_clIPiSD_S15_SD_EEDaS11_S12_SI_SN_EUlS11_E_NS1_11comp_targetILNS1_3genE8ELNS1_11target_archE1030ELNS1_3gpuE2ELNS1_3repE0EEENS1_47radix_sort_onesweep_sort_config_static_selectorELNS0_4arch9wavefront6targetE0EEEvSI_.num_named_barrier, 0
	.set _ZN7rocprim17ROCPRIM_400000_NS6detail17trampoline_kernelINS0_14default_configENS1_35radix_sort_onesweep_config_selectorIiiEEZZNS1_29radix_sort_onesweep_iterationIS3_Lb1EN6thrust23THRUST_200600_302600_NS6detail15normal_iteratorINS8_10device_ptrIiEEEESD_SD_SD_jNS0_19identity_decomposerENS1_16block_id_wrapperIjLb0EEEEE10hipError_tT1_PNSt15iterator_traitsISI_E10value_typeET2_T3_PNSJ_ISO_E10value_typeET4_T5_PST_SU_PNS1_23onesweep_lookback_stateEbbT6_jjT7_P12ihipStream_tbENKUlT_T0_SI_SN_E_clIPiSD_S15_SD_EEDaS11_S12_SI_SN_EUlS11_E_NS1_11comp_targetILNS1_3genE8ELNS1_11target_archE1030ELNS1_3gpuE2ELNS1_3repE0EEENS1_47radix_sort_onesweep_sort_config_static_selectorELNS0_4arch9wavefront6targetE0EEEvSI_.private_seg_size, 64
	.set _ZN7rocprim17ROCPRIM_400000_NS6detail17trampoline_kernelINS0_14default_configENS1_35radix_sort_onesweep_config_selectorIiiEEZZNS1_29radix_sort_onesweep_iterationIS3_Lb1EN6thrust23THRUST_200600_302600_NS6detail15normal_iteratorINS8_10device_ptrIiEEEESD_SD_SD_jNS0_19identity_decomposerENS1_16block_id_wrapperIjLb0EEEEE10hipError_tT1_PNSt15iterator_traitsISI_E10value_typeET2_T3_PNSJ_ISO_E10value_typeET4_T5_PST_SU_PNS1_23onesweep_lookback_stateEbbT6_jjT7_P12ihipStream_tbENKUlT_T0_SI_SN_E_clIPiSD_S15_SD_EEDaS11_S12_SI_SN_EUlS11_E_NS1_11comp_targetILNS1_3genE8ELNS1_11target_archE1030ELNS1_3gpuE2ELNS1_3repE0EEENS1_47radix_sort_onesweep_sort_config_static_selectorELNS0_4arch9wavefront6targetE0EEEvSI_.uses_vcc, 1
	.set _ZN7rocprim17ROCPRIM_400000_NS6detail17trampoline_kernelINS0_14default_configENS1_35radix_sort_onesweep_config_selectorIiiEEZZNS1_29radix_sort_onesweep_iterationIS3_Lb1EN6thrust23THRUST_200600_302600_NS6detail15normal_iteratorINS8_10device_ptrIiEEEESD_SD_SD_jNS0_19identity_decomposerENS1_16block_id_wrapperIjLb0EEEEE10hipError_tT1_PNSt15iterator_traitsISI_E10value_typeET2_T3_PNSJ_ISO_E10value_typeET4_T5_PST_SU_PNS1_23onesweep_lookback_stateEbbT6_jjT7_P12ihipStream_tbENKUlT_T0_SI_SN_E_clIPiSD_S15_SD_EEDaS11_S12_SI_SN_EUlS11_E_NS1_11comp_targetILNS1_3genE8ELNS1_11target_archE1030ELNS1_3gpuE2ELNS1_3repE0EEENS1_47radix_sort_onesweep_sort_config_static_selectorELNS0_4arch9wavefront6targetE0EEEvSI_.uses_flat_scratch, 0
	.set _ZN7rocprim17ROCPRIM_400000_NS6detail17trampoline_kernelINS0_14default_configENS1_35radix_sort_onesweep_config_selectorIiiEEZZNS1_29radix_sort_onesweep_iterationIS3_Lb1EN6thrust23THRUST_200600_302600_NS6detail15normal_iteratorINS8_10device_ptrIiEEEESD_SD_SD_jNS0_19identity_decomposerENS1_16block_id_wrapperIjLb0EEEEE10hipError_tT1_PNSt15iterator_traitsISI_E10value_typeET2_T3_PNSJ_ISO_E10value_typeET4_T5_PST_SU_PNS1_23onesweep_lookback_stateEbbT6_jjT7_P12ihipStream_tbENKUlT_T0_SI_SN_E_clIPiSD_S15_SD_EEDaS11_S12_SI_SN_EUlS11_E_NS1_11comp_targetILNS1_3genE8ELNS1_11target_archE1030ELNS1_3gpuE2ELNS1_3repE0EEENS1_47radix_sort_onesweep_sort_config_static_selectorELNS0_4arch9wavefront6targetE0EEEvSI_.has_dyn_sized_stack, 0
	.set _ZN7rocprim17ROCPRIM_400000_NS6detail17trampoline_kernelINS0_14default_configENS1_35radix_sort_onesweep_config_selectorIiiEEZZNS1_29radix_sort_onesweep_iterationIS3_Lb1EN6thrust23THRUST_200600_302600_NS6detail15normal_iteratorINS8_10device_ptrIiEEEESD_SD_SD_jNS0_19identity_decomposerENS1_16block_id_wrapperIjLb0EEEEE10hipError_tT1_PNSt15iterator_traitsISI_E10value_typeET2_T3_PNSJ_ISO_E10value_typeET4_T5_PST_SU_PNS1_23onesweep_lookback_stateEbbT6_jjT7_P12ihipStream_tbENKUlT_T0_SI_SN_E_clIPiSD_S15_SD_EEDaS11_S12_SI_SN_EUlS11_E_NS1_11comp_targetILNS1_3genE8ELNS1_11target_archE1030ELNS1_3gpuE2ELNS1_3repE0EEENS1_47radix_sort_onesweep_sort_config_static_selectorELNS0_4arch9wavefront6targetE0EEEvSI_.has_recursion, 0
	.set _ZN7rocprim17ROCPRIM_400000_NS6detail17trampoline_kernelINS0_14default_configENS1_35radix_sort_onesweep_config_selectorIiiEEZZNS1_29radix_sort_onesweep_iterationIS3_Lb1EN6thrust23THRUST_200600_302600_NS6detail15normal_iteratorINS8_10device_ptrIiEEEESD_SD_SD_jNS0_19identity_decomposerENS1_16block_id_wrapperIjLb0EEEEE10hipError_tT1_PNSt15iterator_traitsISI_E10value_typeET2_T3_PNSJ_ISO_E10value_typeET4_T5_PST_SU_PNS1_23onesweep_lookback_stateEbbT6_jjT7_P12ihipStream_tbENKUlT_T0_SI_SN_E_clIPiSD_S15_SD_EEDaS11_S12_SI_SN_EUlS11_E_NS1_11comp_targetILNS1_3genE8ELNS1_11target_archE1030ELNS1_3gpuE2ELNS1_3repE0EEENS1_47radix_sort_onesweep_sort_config_static_selectorELNS0_4arch9wavefront6targetE0EEEvSI_.has_indirect_call, 0
	.section	.AMDGPU.csdata,"",@progbits
; Kernel info:
; codeLenInByte = 17368
; TotalNumSgprs: 51
; NumVgprs: 68
; ScratchSize: 64
; MemoryBound: 0
; FloatMode: 240
; IeeeMode: 1
; LDSByteSize: 37000 bytes/workgroup (compile time only)
; SGPRBlocks: 0
; VGPRBlocks: 8
; NumSGPRsForWavesPerEU: 51
; NumVGPRsForWavesPerEU: 68
; Occupancy: 12
; WaveLimiterHint : 1
; COMPUTE_PGM_RSRC2:SCRATCH_EN: 1
; COMPUTE_PGM_RSRC2:USER_SGPR: 6
; COMPUTE_PGM_RSRC2:TRAP_HANDLER: 0
; COMPUTE_PGM_RSRC2:TGID_X_EN: 1
; COMPUTE_PGM_RSRC2:TGID_Y_EN: 0
; COMPUTE_PGM_RSRC2:TGID_Z_EN: 0
; COMPUTE_PGM_RSRC2:TIDIG_COMP_CNT: 2
	.section	.AMDGPU.gpr_maximums,"",@progbits
	.set amdgpu.max_num_vgpr, 0
	.set amdgpu.max_num_agpr, 0
	.set amdgpu.max_num_sgpr, 0
	.section	.AMDGPU.csdata,"",@progbits
	.protected	_ZN7rocprim17ROCPRIM_400000_NS16block_radix_sortIiLj256ELj4ENS0_10empty_typeELj1ELj1ELj0ELNS0_26block_radix_rank_algorithmE1ELNS0_18block_padding_hintE2ELNS0_4arch9wavefront6targetE0EE19radix_bits_per_passE ; @_ZN7rocprim17ROCPRIM_400000_NS16block_radix_sortIiLj256ELj4ENS0_10empty_typeELj1ELj1ELj0ELNS0_26block_radix_rank_algorithmE1ELNS0_18block_padding_hintE2ELNS0_4arch9wavefront6targetE0EE19radix_bits_per_passE
	.type	_ZN7rocprim17ROCPRIM_400000_NS16block_radix_sortIiLj256ELj4ENS0_10empty_typeELj1ELj1ELj0ELNS0_26block_radix_rank_algorithmE1ELNS0_18block_padding_hintE2ELNS0_4arch9wavefront6targetE0EE19radix_bits_per_passE,@object
	.section	.rodata._ZN7rocprim17ROCPRIM_400000_NS16block_radix_sortIiLj256ELj4ENS0_10empty_typeELj1ELj1ELj0ELNS0_26block_radix_rank_algorithmE1ELNS0_18block_padding_hintE2ELNS0_4arch9wavefront6targetE0EE19radix_bits_per_passE,"aG",@progbits,_ZN7rocprim17ROCPRIM_400000_NS16block_radix_sortIiLj256ELj4ENS0_10empty_typeELj1ELj1ELj0ELNS0_26block_radix_rank_algorithmE1ELNS0_18block_padding_hintE2ELNS0_4arch9wavefront6targetE0EE19radix_bits_per_passE,comdat
	.weak	_ZN7rocprim17ROCPRIM_400000_NS16block_radix_sortIiLj256ELj4ENS0_10empty_typeELj1ELj1ELj0ELNS0_26block_radix_rank_algorithmE1ELNS0_18block_padding_hintE2ELNS0_4arch9wavefront6targetE0EE19radix_bits_per_passE
	.p2align	2, 0x0
_ZN7rocprim17ROCPRIM_400000_NS16block_radix_sortIiLj256ELj4ENS0_10empty_typeELj1ELj1ELj0ELNS0_26block_radix_rank_algorithmE1ELNS0_18block_padding_hintE2ELNS0_4arch9wavefront6targetE0EE19radix_bits_per_passE:
	.long	8                               ; 0x8
	.size	_ZN7rocprim17ROCPRIM_400000_NS16block_radix_sortIiLj256ELj4ENS0_10empty_typeELj1ELj1ELj0ELNS0_26block_radix_rank_algorithmE1ELNS0_18block_padding_hintE2ELNS0_4arch9wavefront6targetE0EE19radix_bits_per_passE, 4

	.protected	_ZN7rocprim17ROCPRIM_400000_NS16block_radix_sortIfLj256ELj4ENS0_10empty_typeELj1ELj1ELj0ELNS0_26block_radix_rank_algorithmE1ELNS0_18block_padding_hintE2ELNS0_4arch9wavefront6targetE0EE19radix_bits_per_passE ; @_ZN7rocprim17ROCPRIM_400000_NS16block_radix_sortIfLj256ELj4ENS0_10empty_typeELj1ELj1ELj0ELNS0_26block_radix_rank_algorithmE1ELNS0_18block_padding_hintE2ELNS0_4arch9wavefront6targetE0EE19radix_bits_per_passE
	.type	_ZN7rocprim17ROCPRIM_400000_NS16block_radix_sortIfLj256ELj4ENS0_10empty_typeELj1ELj1ELj0ELNS0_26block_radix_rank_algorithmE1ELNS0_18block_padding_hintE2ELNS0_4arch9wavefront6targetE0EE19radix_bits_per_passE,@object
	.section	.rodata._ZN7rocprim17ROCPRIM_400000_NS16block_radix_sortIfLj256ELj4ENS0_10empty_typeELj1ELj1ELj0ELNS0_26block_radix_rank_algorithmE1ELNS0_18block_padding_hintE2ELNS0_4arch9wavefront6targetE0EE19radix_bits_per_passE,"aG",@progbits,_ZN7rocprim17ROCPRIM_400000_NS16block_radix_sortIfLj256ELj4ENS0_10empty_typeELj1ELj1ELj0ELNS0_26block_radix_rank_algorithmE1ELNS0_18block_padding_hintE2ELNS0_4arch9wavefront6targetE0EE19radix_bits_per_passE,comdat
	.weak	_ZN7rocprim17ROCPRIM_400000_NS16block_radix_sortIfLj256ELj4ENS0_10empty_typeELj1ELj1ELj0ELNS0_26block_radix_rank_algorithmE1ELNS0_18block_padding_hintE2ELNS0_4arch9wavefront6targetE0EE19radix_bits_per_passE
	.p2align	2, 0x0
_ZN7rocprim17ROCPRIM_400000_NS16block_radix_sortIfLj256ELj4ENS0_10empty_typeELj1ELj1ELj0ELNS0_26block_radix_rank_algorithmE1ELNS0_18block_padding_hintE2ELNS0_4arch9wavefront6targetE0EE19radix_bits_per_passE:
	.long	8                               ; 0x8
	.size	_ZN7rocprim17ROCPRIM_400000_NS16block_radix_sortIfLj256ELj4ENS0_10empty_typeELj1ELj1ELj0ELNS0_26block_radix_rank_algorithmE1ELNS0_18block_padding_hintE2ELNS0_4arch9wavefront6targetE0EE19radix_bits_per_passE, 4

	.protected	_ZN7rocprim17ROCPRIM_400000_NS16block_radix_sortIiLj256ELj4EiLj1ELj1ELj0ELNS0_26block_radix_rank_algorithmE1ELNS0_18block_padding_hintE2ELNS0_4arch9wavefront6targetE0EE19radix_bits_per_passE ; @_ZN7rocprim17ROCPRIM_400000_NS16block_radix_sortIiLj256ELj4EiLj1ELj1ELj0ELNS0_26block_radix_rank_algorithmE1ELNS0_18block_padding_hintE2ELNS0_4arch9wavefront6targetE0EE19radix_bits_per_passE
	.type	_ZN7rocprim17ROCPRIM_400000_NS16block_radix_sortIiLj256ELj4EiLj1ELj1ELj0ELNS0_26block_radix_rank_algorithmE1ELNS0_18block_padding_hintE2ELNS0_4arch9wavefront6targetE0EE19radix_bits_per_passE,@object
	.section	.rodata._ZN7rocprim17ROCPRIM_400000_NS16block_radix_sortIiLj256ELj4EiLj1ELj1ELj0ELNS0_26block_radix_rank_algorithmE1ELNS0_18block_padding_hintE2ELNS0_4arch9wavefront6targetE0EE19radix_bits_per_passE,"aG",@progbits,_ZN7rocprim17ROCPRIM_400000_NS16block_radix_sortIiLj256ELj4EiLj1ELj1ELj0ELNS0_26block_radix_rank_algorithmE1ELNS0_18block_padding_hintE2ELNS0_4arch9wavefront6targetE0EE19radix_bits_per_passE,comdat
	.weak	_ZN7rocprim17ROCPRIM_400000_NS16block_radix_sortIiLj256ELj4EiLj1ELj1ELj0ELNS0_26block_radix_rank_algorithmE1ELNS0_18block_padding_hintE2ELNS0_4arch9wavefront6targetE0EE19radix_bits_per_passE
	.p2align	2, 0x0
_ZN7rocprim17ROCPRIM_400000_NS16block_radix_sortIiLj256ELj4EiLj1ELj1ELj0ELNS0_26block_radix_rank_algorithmE1ELNS0_18block_padding_hintE2ELNS0_4arch9wavefront6targetE0EE19radix_bits_per_passE:
	.long	8                               ; 0x8
	.size	_ZN7rocprim17ROCPRIM_400000_NS16block_radix_sortIiLj256ELj4EiLj1ELj1ELj0ELNS0_26block_radix_rank_algorithmE1ELNS0_18block_padding_hintE2ELNS0_4arch9wavefront6targetE0EE19radix_bits_per_passE, 4

	.type	__hip_cuid_51b9a2e4a41d7e03,@object ; @__hip_cuid_51b9a2e4a41d7e03
	.section	.bss,"aw",@nobits
	.globl	__hip_cuid_51b9a2e4a41d7e03
__hip_cuid_51b9a2e4a41d7e03:
	.byte	0                               ; 0x0
	.size	__hip_cuid_51b9a2e4a41d7e03, 1

	.ident	"AMD clang version 22.0.0git (https://github.com/RadeonOpenCompute/llvm-project roc-7.2.4 26084 f58b06dce1f9c15707c5f808fd002e18c2accf7e)"
	.section	".note.GNU-stack","",@progbits
	.addrsig
	.addrsig_sym __hip_cuid_51b9a2e4a41d7e03
	.amdgpu_metadata
---
amdhsa.kernels:
  - .args:
      - .offset:         0
        .size:           16
        .value_kind:     by_value
      - .offset:         16
        .size:           8
        .value_kind:     by_value
      - .offset:         24
        .size:           8
        .value_kind:     by_value
    .group_segment_fixed_size: 0
    .kernarg_segment_align: 8
    .kernarg_segment_size: 32
    .language:       OpenCL C
    .language_version:
      - 2
      - 0
    .max_flat_workgroup_size: 256
    .name:           _ZN6thrust23THRUST_200600_302600_NS11hip_rocprim14__parallel_for6kernelILj256ENS1_20__uninitialized_fill7functorINS0_10device_ptrIiEEiEEmLj1EEEvT0_T1_SA_
    .private_segment_fixed_size: 0
    .sgpr_count:     14
    .sgpr_spill_count: 0
    .symbol:         _ZN6thrust23THRUST_200600_302600_NS11hip_rocprim14__parallel_for6kernelILj256ENS1_20__uninitialized_fill7functorINS0_10device_ptrIiEEiEEmLj1EEEvT0_T1_SA_.kd
    .uniform_work_group_size: 1
    .uses_dynamic_stack: false
    .vgpr_count:     4
    .vgpr_spill_count: 0
    .wavefront_size: 32
    .workgroup_processor_mode: 1
  - .args:
      - .offset:         0
        .size:           48
        .value_kind:     by_value
    .group_segment_fixed_size: 0
    .kernarg_segment_align: 8
    .kernarg_segment_size: 48
    .language:       OpenCL C
    .language_version:
      - 2
      - 0
    .max_flat_workgroup_size: 256
    .name:           _ZN7rocprim17ROCPRIM_400000_NS6detail17trampoline_kernelINS0_13kernel_configILj256ELj4ELj4294967295EEENS1_37radix_sort_block_sort_config_selectorIiNS0_10empty_typeEEEZNS1_21radix_sort_block_sortIS4_Lb0EN6thrust23THRUST_200600_302600_NS6detail15normal_iteratorINSA_10device_ptrIiEEEESF_PS6_SG_NS0_19identity_decomposerEEE10hipError_tT1_T2_T3_T4_jRjT5_jjP12ihipStream_tbEUlT_E_NS1_11comp_targetILNS1_3genE0ELNS1_11target_archE4294967295ELNS1_3gpuE0ELNS1_3repE0EEENS1_44radix_sort_block_sort_config_static_selectorELNS0_4arch9wavefront6targetE0EEEvSJ_
    .private_segment_fixed_size: 0
    .sgpr_count:     0
    .sgpr_spill_count: 0
    .symbol:         _ZN7rocprim17ROCPRIM_400000_NS6detail17trampoline_kernelINS0_13kernel_configILj256ELj4ELj4294967295EEENS1_37radix_sort_block_sort_config_selectorIiNS0_10empty_typeEEEZNS1_21radix_sort_block_sortIS4_Lb0EN6thrust23THRUST_200600_302600_NS6detail15normal_iteratorINSA_10device_ptrIiEEEESF_PS6_SG_NS0_19identity_decomposerEEE10hipError_tT1_T2_T3_T4_jRjT5_jjP12ihipStream_tbEUlT_E_NS1_11comp_targetILNS1_3genE0ELNS1_11target_archE4294967295ELNS1_3gpuE0ELNS1_3repE0EEENS1_44radix_sort_block_sort_config_static_selectorELNS0_4arch9wavefront6targetE0EEEvSJ_.kd
    .uniform_work_group_size: 1
    .uses_dynamic_stack: false
    .vgpr_count:     0
    .vgpr_spill_count: 0
    .wavefront_size: 32
    .workgroup_processor_mode: 1
  - .args:
      - .offset:         0
        .size:           48
        .value_kind:     by_value
    .group_segment_fixed_size: 0
    .kernarg_segment_align: 8
    .kernarg_segment_size: 48
    .language:       OpenCL C
    .language_version:
      - 2
      - 0
    .max_flat_workgroup_size: 256
    .name:           _ZN7rocprim17ROCPRIM_400000_NS6detail17trampoline_kernelINS0_13kernel_configILj256ELj4ELj4294967295EEENS1_37radix_sort_block_sort_config_selectorIiNS0_10empty_typeEEEZNS1_21radix_sort_block_sortIS4_Lb0EN6thrust23THRUST_200600_302600_NS6detail15normal_iteratorINSA_10device_ptrIiEEEESF_PS6_SG_NS0_19identity_decomposerEEE10hipError_tT1_T2_T3_T4_jRjT5_jjP12ihipStream_tbEUlT_E_NS1_11comp_targetILNS1_3genE5ELNS1_11target_archE942ELNS1_3gpuE9ELNS1_3repE0EEENS1_44radix_sort_block_sort_config_static_selectorELNS0_4arch9wavefront6targetE0EEEvSJ_
    .private_segment_fixed_size: 0
    .sgpr_count:     0
    .sgpr_spill_count: 0
    .symbol:         _ZN7rocprim17ROCPRIM_400000_NS6detail17trampoline_kernelINS0_13kernel_configILj256ELj4ELj4294967295EEENS1_37radix_sort_block_sort_config_selectorIiNS0_10empty_typeEEEZNS1_21radix_sort_block_sortIS4_Lb0EN6thrust23THRUST_200600_302600_NS6detail15normal_iteratorINSA_10device_ptrIiEEEESF_PS6_SG_NS0_19identity_decomposerEEE10hipError_tT1_T2_T3_T4_jRjT5_jjP12ihipStream_tbEUlT_E_NS1_11comp_targetILNS1_3genE5ELNS1_11target_archE942ELNS1_3gpuE9ELNS1_3repE0EEENS1_44radix_sort_block_sort_config_static_selectorELNS0_4arch9wavefront6targetE0EEEvSJ_.kd
    .uniform_work_group_size: 1
    .uses_dynamic_stack: false
    .vgpr_count:     0
    .vgpr_spill_count: 0
    .wavefront_size: 32
    .workgroup_processor_mode: 1
  - .args:
      - .offset:         0
        .size:           48
        .value_kind:     by_value
    .group_segment_fixed_size: 0
    .kernarg_segment_align: 8
    .kernarg_segment_size: 48
    .language:       OpenCL C
    .language_version:
      - 2
      - 0
    .max_flat_workgroup_size: 256
    .name:           _ZN7rocprim17ROCPRIM_400000_NS6detail17trampoline_kernelINS0_13kernel_configILj256ELj4ELj4294967295EEENS1_37radix_sort_block_sort_config_selectorIiNS0_10empty_typeEEEZNS1_21radix_sort_block_sortIS4_Lb0EN6thrust23THRUST_200600_302600_NS6detail15normal_iteratorINSA_10device_ptrIiEEEESF_PS6_SG_NS0_19identity_decomposerEEE10hipError_tT1_T2_T3_T4_jRjT5_jjP12ihipStream_tbEUlT_E_NS1_11comp_targetILNS1_3genE4ELNS1_11target_archE910ELNS1_3gpuE8ELNS1_3repE0EEENS1_44radix_sort_block_sort_config_static_selectorELNS0_4arch9wavefront6targetE0EEEvSJ_
    .private_segment_fixed_size: 0
    .sgpr_count:     0
    .sgpr_spill_count: 0
    .symbol:         _ZN7rocprim17ROCPRIM_400000_NS6detail17trampoline_kernelINS0_13kernel_configILj256ELj4ELj4294967295EEENS1_37radix_sort_block_sort_config_selectorIiNS0_10empty_typeEEEZNS1_21radix_sort_block_sortIS4_Lb0EN6thrust23THRUST_200600_302600_NS6detail15normal_iteratorINSA_10device_ptrIiEEEESF_PS6_SG_NS0_19identity_decomposerEEE10hipError_tT1_T2_T3_T4_jRjT5_jjP12ihipStream_tbEUlT_E_NS1_11comp_targetILNS1_3genE4ELNS1_11target_archE910ELNS1_3gpuE8ELNS1_3repE0EEENS1_44radix_sort_block_sort_config_static_selectorELNS0_4arch9wavefront6targetE0EEEvSJ_.kd
    .uniform_work_group_size: 1
    .uses_dynamic_stack: false
    .vgpr_count:     0
    .vgpr_spill_count: 0
    .wavefront_size: 32
    .workgroup_processor_mode: 1
  - .args:
      - .offset:         0
        .size:           48
        .value_kind:     by_value
    .group_segment_fixed_size: 0
    .kernarg_segment_align: 8
    .kernarg_segment_size: 48
    .language:       OpenCL C
    .language_version:
      - 2
      - 0
    .max_flat_workgroup_size: 256
    .name:           _ZN7rocprim17ROCPRIM_400000_NS6detail17trampoline_kernelINS0_13kernel_configILj256ELj4ELj4294967295EEENS1_37radix_sort_block_sort_config_selectorIiNS0_10empty_typeEEEZNS1_21radix_sort_block_sortIS4_Lb0EN6thrust23THRUST_200600_302600_NS6detail15normal_iteratorINSA_10device_ptrIiEEEESF_PS6_SG_NS0_19identity_decomposerEEE10hipError_tT1_T2_T3_T4_jRjT5_jjP12ihipStream_tbEUlT_E_NS1_11comp_targetILNS1_3genE3ELNS1_11target_archE908ELNS1_3gpuE7ELNS1_3repE0EEENS1_44radix_sort_block_sort_config_static_selectorELNS0_4arch9wavefront6targetE0EEEvSJ_
    .private_segment_fixed_size: 0
    .sgpr_count:     0
    .sgpr_spill_count: 0
    .symbol:         _ZN7rocprim17ROCPRIM_400000_NS6detail17trampoline_kernelINS0_13kernel_configILj256ELj4ELj4294967295EEENS1_37radix_sort_block_sort_config_selectorIiNS0_10empty_typeEEEZNS1_21radix_sort_block_sortIS4_Lb0EN6thrust23THRUST_200600_302600_NS6detail15normal_iteratorINSA_10device_ptrIiEEEESF_PS6_SG_NS0_19identity_decomposerEEE10hipError_tT1_T2_T3_T4_jRjT5_jjP12ihipStream_tbEUlT_E_NS1_11comp_targetILNS1_3genE3ELNS1_11target_archE908ELNS1_3gpuE7ELNS1_3repE0EEENS1_44radix_sort_block_sort_config_static_selectorELNS0_4arch9wavefront6targetE0EEEvSJ_.kd
    .uniform_work_group_size: 1
    .uses_dynamic_stack: false
    .vgpr_count:     0
    .vgpr_spill_count: 0
    .wavefront_size: 32
    .workgroup_processor_mode: 1
  - .args:
      - .offset:         0
        .size:           48
        .value_kind:     by_value
    .group_segment_fixed_size: 0
    .kernarg_segment_align: 8
    .kernarg_segment_size: 48
    .language:       OpenCL C
    .language_version:
      - 2
      - 0
    .max_flat_workgroup_size: 256
    .name:           _ZN7rocprim17ROCPRIM_400000_NS6detail17trampoline_kernelINS0_13kernel_configILj256ELj4ELj4294967295EEENS1_37radix_sort_block_sort_config_selectorIiNS0_10empty_typeEEEZNS1_21radix_sort_block_sortIS4_Lb0EN6thrust23THRUST_200600_302600_NS6detail15normal_iteratorINSA_10device_ptrIiEEEESF_PS6_SG_NS0_19identity_decomposerEEE10hipError_tT1_T2_T3_T4_jRjT5_jjP12ihipStream_tbEUlT_E_NS1_11comp_targetILNS1_3genE2ELNS1_11target_archE906ELNS1_3gpuE6ELNS1_3repE0EEENS1_44radix_sort_block_sort_config_static_selectorELNS0_4arch9wavefront6targetE0EEEvSJ_
    .private_segment_fixed_size: 0
    .sgpr_count:     0
    .sgpr_spill_count: 0
    .symbol:         _ZN7rocprim17ROCPRIM_400000_NS6detail17trampoline_kernelINS0_13kernel_configILj256ELj4ELj4294967295EEENS1_37radix_sort_block_sort_config_selectorIiNS0_10empty_typeEEEZNS1_21radix_sort_block_sortIS4_Lb0EN6thrust23THRUST_200600_302600_NS6detail15normal_iteratorINSA_10device_ptrIiEEEESF_PS6_SG_NS0_19identity_decomposerEEE10hipError_tT1_T2_T3_T4_jRjT5_jjP12ihipStream_tbEUlT_E_NS1_11comp_targetILNS1_3genE2ELNS1_11target_archE906ELNS1_3gpuE6ELNS1_3repE0EEENS1_44radix_sort_block_sort_config_static_selectorELNS0_4arch9wavefront6targetE0EEEvSJ_.kd
    .uniform_work_group_size: 1
    .uses_dynamic_stack: false
    .vgpr_count:     0
    .vgpr_spill_count: 0
    .wavefront_size: 32
    .workgroup_processor_mode: 1
  - .args:
      - .offset:         0
        .size:           48
        .value_kind:     by_value
    .group_segment_fixed_size: 0
    .kernarg_segment_align: 8
    .kernarg_segment_size: 48
    .language:       OpenCL C
    .language_version:
      - 2
      - 0
    .max_flat_workgroup_size: 256
    .name:           _ZN7rocprim17ROCPRIM_400000_NS6detail17trampoline_kernelINS0_13kernel_configILj256ELj4ELj4294967295EEENS1_37radix_sort_block_sort_config_selectorIiNS0_10empty_typeEEEZNS1_21radix_sort_block_sortIS4_Lb0EN6thrust23THRUST_200600_302600_NS6detail15normal_iteratorINSA_10device_ptrIiEEEESF_PS6_SG_NS0_19identity_decomposerEEE10hipError_tT1_T2_T3_T4_jRjT5_jjP12ihipStream_tbEUlT_E_NS1_11comp_targetILNS1_3genE10ELNS1_11target_archE1201ELNS1_3gpuE5ELNS1_3repE0EEENS1_44radix_sort_block_sort_config_static_selectorELNS0_4arch9wavefront6targetE0EEEvSJ_
    .private_segment_fixed_size: 0
    .sgpr_count:     0
    .sgpr_spill_count: 0
    .symbol:         _ZN7rocprim17ROCPRIM_400000_NS6detail17trampoline_kernelINS0_13kernel_configILj256ELj4ELj4294967295EEENS1_37radix_sort_block_sort_config_selectorIiNS0_10empty_typeEEEZNS1_21radix_sort_block_sortIS4_Lb0EN6thrust23THRUST_200600_302600_NS6detail15normal_iteratorINSA_10device_ptrIiEEEESF_PS6_SG_NS0_19identity_decomposerEEE10hipError_tT1_T2_T3_T4_jRjT5_jjP12ihipStream_tbEUlT_E_NS1_11comp_targetILNS1_3genE10ELNS1_11target_archE1201ELNS1_3gpuE5ELNS1_3repE0EEENS1_44radix_sort_block_sort_config_static_selectorELNS0_4arch9wavefront6targetE0EEEvSJ_.kd
    .uniform_work_group_size: 1
    .uses_dynamic_stack: false
    .vgpr_count:     0
    .vgpr_spill_count: 0
    .wavefront_size: 32
    .workgroup_processor_mode: 1
  - .args:
      - .offset:         0
        .size:           48
        .value_kind:     by_value
    .group_segment_fixed_size: 0
    .kernarg_segment_align: 8
    .kernarg_segment_size: 48
    .language:       OpenCL C
    .language_version:
      - 2
      - 0
    .max_flat_workgroup_size: 256
    .name:           _ZN7rocprim17ROCPRIM_400000_NS6detail17trampoline_kernelINS0_13kernel_configILj256ELj4ELj4294967295EEENS1_37radix_sort_block_sort_config_selectorIiNS0_10empty_typeEEEZNS1_21radix_sort_block_sortIS4_Lb0EN6thrust23THRUST_200600_302600_NS6detail15normal_iteratorINSA_10device_ptrIiEEEESF_PS6_SG_NS0_19identity_decomposerEEE10hipError_tT1_T2_T3_T4_jRjT5_jjP12ihipStream_tbEUlT_E_NS1_11comp_targetILNS1_3genE10ELNS1_11target_archE1200ELNS1_3gpuE4ELNS1_3repE0EEENS1_44radix_sort_block_sort_config_static_selectorELNS0_4arch9wavefront6targetE0EEEvSJ_
    .private_segment_fixed_size: 0
    .sgpr_count:     0
    .sgpr_spill_count: 0
    .symbol:         _ZN7rocprim17ROCPRIM_400000_NS6detail17trampoline_kernelINS0_13kernel_configILj256ELj4ELj4294967295EEENS1_37radix_sort_block_sort_config_selectorIiNS0_10empty_typeEEEZNS1_21radix_sort_block_sortIS4_Lb0EN6thrust23THRUST_200600_302600_NS6detail15normal_iteratorINSA_10device_ptrIiEEEESF_PS6_SG_NS0_19identity_decomposerEEE10hipError_tT1_T2_T3_T4_jRjT5_jjP12ihipStream_tbEUlT_E_NS1_11comp_targetILNS1_3genE10ELNS1_11target_archE1200ELNS1_3gpuE4ELNS1_3repE0EEENS1_44radix_sort_block_sort_config_static_selectorELNS0_4arch9wavefront6targetE0EEEvSJ_.kd
    .uniform_work_group_size: 1
    .uses_dynamic_stack: false
    .vgpr_count:     0
    .vgpr_spill_count: 0
    .wavefront_size: 32
    .workgroup_processor_mode: 1
  - .args:
      - .offset:         0
        .size:           48
        .value_kind:     by_value
    .group_segment_fixed_size: 0
    .kernarg_segment_align: 8
    .kernarg_segment_size: 48
    .language:       OpenCL C
    .language_version:
      - 2
      - 0
    .max_flat_workgroup_size: 256
    .name:           _ZN7rocprim17ROCPRIM_400000_NS6detail17trampoline_kernelINS0_13kernel_configILj256ELj4ELj4294967295EEENS1_37radix_sort_block_sort_config_selectorIiNS0_10empty_typeEEEZNS1_21radix_sort_block_sortIS4_Lb0EN6thrust23THRUST_200600_302600_NS6detail15normal_iteratorINSA_10device_ptrIiEEEESF_PS6_SG_NS0_19identity_decomposerEEE10hipError_tT1_T2_T3_T4_jRjT5_jjP12ihipStream_tbEUlT_E_NS1_11comp_targetILNS1_3genE9ELNS1_11target_archE1100ELNS1_3gpuE3ELNS1_3repE0EEENS1_44radix_sort_block_sort_config_static_selectorELNS0_4arch9wavefront6targetE0EEEvSJ_
    .private_segment_fixed_size: 0
    .sgpr_count:     0
    .sgpr_spill_count: 0
    .symbol:         _ZN7rocprim17ROCPRIM_400000_NS6detail17trampoline_kernelINS0_13kernel_configILj256ELj4ELj4294967295EEENS1_37radix_sort_block_sort_config_selectorIiNS0_10empty_typeEEEZNS1_21radix_sort_block_sortIS4_Lb0EN6thrust23THRUST_200600_302600_NS6detail15normal_iteratorINSA_10device_ptrIiEEEESF_PS6_SG_NS0_19identity_decomposerEEE10hipError_tT1_T2_T3_T4_jRjT5_jjP12ihipStream_tbEUlT_E_NS1_11comp_targetILNS1_3genE9ELNS1_11target_archE1100ELNS1_3gpuE3ELNS1_3repE0EEENS1_44radix_sort_block_sort_config_static_selectorELNS0_4arch9wavefront6targetE0EEEvSJ_.kd
    .uniform_work_group_size: 1
    .uses_dynamic_stack: false
    .vgpr_count:     0
    .vgpr_spill_count: 0
    .wavefront_size: 32
    .workgroup_processor_mode: 1
  - .args:
      - .offset:         0
        .size:           48
        .value_kind:     by_value
      - .offset:         48
        .size:           4
        .value_kind:     hidden_block_count_x
      - .offset:         52
        .size:           4
        .value_kind:     hidden_block_count_y
      - .offset:         56
        .size:           4
        .value_kind:     hidden_block_count_z
      - .offset:         60
        .size:           2
        .value_kind:     hidden_group_size_x
      - .offset:         62
        .size:           2
        .value_kind:     hidden_group_size_y
      - .offset:         64
        .size:           2
        .value_kind:     hidden_group_size_z
      - .offset:         66
        .size:           2
        .value_kind:     hidden_remainder_x
      - .offset:         68
        .size:           2
        .value_kind:     hidden_remainder_y
      - .offset:         70
        .size:           2
        .value_kind:     hidden_remainder_z
      - .offset:         88
        .size:           8
        .value_kind:     hidden_global_offset_x
      - .offset:         96
        .size:           8
        .value_kind:     hidden_global_offset_y
      - .offset:         104
        .size:           8
        .value_kind:     hidden_global_offset_z
      - .offset:         112
        .size:           2
        .value_kind:     hidden_grid_dims
    .group_segment_fixed_size: 8224
    .kernarg_segment_align: 8
    .kernarg_segment_size: 304
    .language:       OpenCL C
    .language_version:
      - 2
      - 0
    .max_flat_workgroup_size: 256
    .name:           _ZN7rocprim17ROCPRIM_400000_NS6detail17trampoline_kernelINS0_13kernel_configILj256ELj4ELj4294967295EEENS1_37radix_sort_block_sort_config_selectorIiNS0_10empty_typeEEEZNS1_21radix_sort_block_sortIS4_Lb0EN6thrust23THRUST_200600_302600_NS6detail15normal_iteratorINSA_10device_ptrIiEEEESF_PS6_SG_NS0_19identity_decomposerEEE10hipError_tT1_T2_T3_T4_jRjT5_jjP12ihipStream_tbEUlT_E_NS1_11comp_targetILNS1_3genE8ELNS1_11target_archE1030ELNS1_3gpuE2ELNS1_3repE0EEENS1_44radix_sort_block_sort_config_static_selectorELNS0_4arch9wavefront6targetE0EEEvSJ_
    .private_segment_fixed_size: 0
    .sgpr_count:     30
    .sgpr_spill_count: 0
    .symbol:         _ZN7rocprim17ROCPRIM_400000_NS6detail17trampoline_kernelINS0_13kernel_configILj256ELj4ELj4294967295EEENS1_37radix_sort_block_sort_config_selectorIiNS0_10empty_typeEEEZNS1_21radix_sort_block_sortIS4_Lb0EN6thrust23THRUST_200600_302600_NS6detail15normal_iteratorINSA_10device_ptrIiEEEESF_PS6_SG_NS0_19identity_decomposerEEE10hipError_tT1_T2_T3_T4_jRjT5_jjP12ihipStream_tbEUlT_E_NS1_11comp_targetILNS1_3genE8ELNS1_11target_archE1030ELNS1_3gpuE2ELNS1_3repE0EEENS1_44radix_sort_block_sort_config_static_selectorELNS0_4arch9wavefront6targetE0EEEvSJ_.kd
    .uniform_work_group_size: 1
    .uses_dynamic_stack: false
    .vgpr_count:     38
    .vgpr_spill_count: 0
    .wavefront_size: 32
    .workgroup_processor_mode: 1
  - .args:           []
    .group_segment_fixed_size: 0
    .kernarg_segment_align: 4
    .kernarg_segment_size: 0
    .language:       OpenCL C
    .language_version:
      - 2
      - 0
    .max_flat_workgroup_size: 1024
    .name:           _ZN7rocprim17ROCPRIM_400000_NS6detail44device_merge_sort_compile_time_verifier_archINS1_11comp_targetILNS1_3genE0ELNS1_11target_archE4294967295ELNS1_3gpuE0ELNS1_3repE0EEES8_NS1_28merge_sort_block_sort_configILj256ELj4ELNS0_20block_sort_algorithmE0EEENS0_14default_configENS1_37merge_sort_block_sort_config_selectorIiNS0_10empty_typeEEENS1_38merge_sort_block_merge_config_selectorIiSE_EEEEvv
    .private_segment_fixed_size: 0
    .sgpr_count:     0
    .sgpr_spill_count: 0
    .symbol:         _ZN7rocprim17ROCPRIM_400000_NS6detail44device_merge_sort_compile_time_verifier_archINS1_11comp_targetILNS1_3genE0ELNS1_11target_archE4294967295ELNS1_3gpuE0ELNS1_3repE0EEES8_NS1_28merge_sort_block_sort_configILj256ELj4ELNS0_20block_sort_algorithmE0EEENS0_14default_configENS1_37merge_sort_block_sort_config_selectorIiNS0_10empty_typeEEENS1_38merge_sort_block_merge_config_selectorIiSE_EEEEvv.kd
    .uniform_work_group_size: 1
    .uses_dynamic_stack: false
    .vgpr_count:     0
    .vgpr_spill_count: 0
    .wavefront_size: 32
    .workgroup_processor_mode: 1
  - .args:           []
    .group_segment_fixed_size: 0
    .kernarg_segment_align: 4
    .kernarg_segment_size: 0
    .language:       OpenCL C
    .language_version:
      - 2
      - 0
    .max_flat_workgroup_size: 1024
    .name:           _ZN7rocprim17ROCPRIM_400000_NS6detail44device_merge_sort_compile_time_verifier_archINS1_11comp_targetILNS1_3genE5ELNS1_11target_archE942ELNS1_3gpuE9ELNS1_3repE0EEES8_NS1_28merge_sort_block_sort_configILj256ELj4ELNS0_20block_sort_algorithmE0EEENS0_14default_configENS1_37merge_sort_block_sort_config_selectorIiNS0_10empty_typeEEENS1_38merge_sort_block_merge_config_selectorIiSE_EEEEvv
    .private_segment_fixed_size: 0
    .sgpr_count:     0
    .sgpr_spill_count: 0
    .symbol:         _ZN7rocprim17ROCPRIM_400000_NS6detail44device_merge_sort_compile_time_verifier_archINS1_11comp_targetILNS1_3genE5ELNS1_11target_archE942ELNS1_3gpuE9ELNS1_3repE0EEES8_NS1_28merge_sort_block_sort_configILj256ELj4ELNS0_20block_sort_algorithmE0EEENS0_14default_configENS1_37merge_sort_block_sort_config_selectorIiNS0_10empty_typeEEENS1_38merge_sort_block_merge_config_selectorIiSE_EEEEvv.kd
    .uniform_work_group_size: 1
    .uses_dynamic_stack: false
    .vgpr_count:     0
    .vgpr_spill_count: 0
    .wavefront_size: 32
    .workgroup_processor_mode: 1
  - .args:           []
    .group_segment_fixed_size: 0
    .kernarg_segment_align: 4
    .kernarg_segment_size: 0
    .language:       OpenCL C
    .language_version:
      - 2
      - 0
    .max_flat_workgroup_size: 1024
    .name:           _ZN7rocprim17ROCPRIM_400000_NS6detail44device_merge_sort_compile_time_verifier_archINS1_11comp_targetILNS1_3genE4ELNS1_11target_archE910ELNS1_3gpuE8ELNS1_3repE0EEES8_NS1_28merge_sort_block_sort_configILj256ELj4ELNS0_20block_sort_algorithmE0EEENS0_14default_configENS1_37merge_sort_block_sort_config_selectorIiNS0_10empty_typeEEENS1_38merge_sort_block_merge_config_selectorIiSE_EEEEvv
    .private_segment_fixed_size: 0
    .sgpr_count:     0
    .sgpr_spill_count: 0
    .symbol:         _ZN7rocprim17ROCPRIM_400000_NS6detail44device_merge_sort_compile_time_verifier_archINS1_11comp_targetILNS1_3genE4ELNS1_11target_archE910ELNS1_3gpuE8ELNS1_3repE0EEES8_NS1_28merge_sort_block_sort_configILj256ELj4ELNS0_20block_sort_algorithmE0EEENS0_14default_configENS1_37merge_sort_block_sort_config_selectorIiNS0_10empty_typeEEENS1_38merge_sort_block_merge_config_selectorIiSE_EEEEvv.kd
    .uniform_work_group_size: 1
    .uses_dynamic_stack: false
    .vgpr_count:     0
    .vgpr_spill_count: 0
    .wavefront_size: 32
    .workgroup_processor_mode: 1
  - .args:           []
    .group_segment_fixed_size: 0
    .kernarg_segment_align: 4
    .kernarg_segment_size: 0
    .language:       OpenCL C
    .language_version:
      - 2
      - 0
    .max_flat_workgroup_size: 1024
    .name:           _ZN7rocprim17ROCPRIM_400000_NS6detail44device_merge_sort_compile_time_verifier_archINS1_11comp_targetILNS1_3genE3ELNS1_11target_archE908ELNS1_3gpuE7ELNS1_3repE0EEES8_NS1_28merge_sort_block_sort_configILj256ELj4ELNS0_20block_sort_algorithmE0EEENS0_14default_configENS1_37merge_sort_block_sort_config_selectorIiNS0_10empty_typeEEENS1_38merge_sort_block_merge_config_selectorIiSE_EEEEvv
    .private_segment_fixed_size: 0
    .sgpr_count:     0
    .sgpr_spill_count: 0
    .symbol:         _ZN7rocprim17ROCPRIM_400000_NS6detail44device_merge_sort_compile_time_verifier_archINS1_11comp_targetILNS1_3genE3ELNS1_11target_archE908ELNS1_3gpuE7ELNS1_3repE0EEES8_NS1_28merge_sort_block_sort_configILj256ELj4ELNS0_20block_sort_algorithmE0EEENS0_14default_configENS1_37merge_sort_block_sort_config_selectorIiNS0_10empty_typeEEENS1_38merge_sort_block_merge_config_selectorIiSE_EEEEvv.kd
    .uniform_work_group_size: 1
    .uses_dynamic_stack: false
    .vgpr_count:     0
    .vgpr_spill_count: 0
    .wavefront_size: 32
    .workgroup_processor_mode: 1
  - .args:           []
    .group_segment_fixed_size: 0
    .kernarg_segment_align: 4
    .kernarg_segment_size: 0
    .language:       OpenCL C
    .language_version:
      - 2
      - 0
    .max_flat_workgroup_size: 1024
    .name:           _ZN7rocprim17ROCPRIM_400000_NS6detail44device_merge_sort_compile_time_verifier_archINS1_11comp_targetILNS1_3genE2ELNS1_11target_archE906ELNS1_3gpuE6ELNS1_3repE0EEES8_NS1_28merge_sort_block_sort_configILj256ELj4ELNS0_20block_sort_algorithmE0EEENS0_14default_configENS1_37merge_sort_block_sort_config_selectorIiNS0_10empty_typeEEENS1_38merge_sort_block_merge_config_selectorIiSE_EEEEvv
    .private_segment_fixed_size: 0
    .sgpr_count:     0
    .sgpr_spill_count: 0
    .symbol:         _ZN7rocprim17ROCPRIM_400000_NS6detail44device_merge_sort_compile_time_verifier_archINS1_11comp_targetILNS1_3genE2ELNS1_11target_archE906ELNS1_3gpuE6ELNS1_3repE0EEES8_NS1_28merge_sort_block_sort_configILj256ELj4ELNS0_20block_sort_algorithmE0EEENS0_14default_configENS1_37merge_sort_block_sort_config_selectorIiNS0_10empty_typeEEENS1_38merge_sort_block_merge_config_selectorIiSE_EEEEvv.kd
    .uniform_work_group_size: 1
    .uses_dynamic_stack: false
    .vgpr_count:     0
    .vgpr_spill_count: 0
    .wavefront_size: 32
    .workgroup_processor_mode: 1
  - .args:           []
    .group_segment_fixed_size: 0
    .kernarg_segment_align: 4
    .kernarg_segment_size: 0
    .language:       OpenCL C
    .language_version:
      - 2
      - 0
    .max_flat_workgroup_size: 1024
    .name:           _ZN7rocprim17ROCPRIM_400000_NS6detail44device_merge_sort_compile_time_verifier_archINS1_11comp_targetILNS1_3genE10ELNS1_11target_archE1201ELNS1_3gpuE5ELNS1_3repE0EEES8_NS1_28merge_sort_block_sort_configILj256ELj4ELNS0_20block_sort_algorithmE0EEENS0_14default_configENS1_37merge_sort_block_sort_config_selectorIiNS0_10empty_typeEEENS1_38merge_sort_block_merge_config_selectorIiSE_EEEEvv
    .private_segment_fixed_size: 0
    .sgpr_count:     0
    .sgpr_spill_count: 0
    .symbol:         _ZN7rocprim17ROCPRIM_400000_NS6detail44device_merge_sort_compile_time_verifier_archINS1_11comp_targetILNS1_3genE10ELNS1_11target_archE1201ELNS1_3gpuE5ELNS1_3repE0EEES8_NS1_28merge_sort_block_sort_configILj256ELj4ELNS0_20block_sort_algorithmE0EEENS0_14default_configENS1_37merge_sort_block_sort_config_selectorIiNS0_10empty_typeEEENS1_38merge_sort_block_merge_config_selectorIiSE_EEEEvv.kd
    .uniform_work_group_size: 1
    .uses_dynamic_stack: false
    .vgpr_count:     0
    .vgpr_spill_count: 0
    .wavefront_size: 32
    .workgroup_processor_mode: 1
  - .args:           []
    .group_segment_fixed_size: 0
    .kernarg_segment_align: 4
    .kernarg_segment_size: 0
    .language:       OpenCL C
    .language_version:
      - 2
      - 0
    .max_flat_workgroup_size: 1024
    .name:           _ZN7rocprim17ROCPRIM_400000_NS6detail44device_merge_sort_compile_time_verifier_archINS1_11comp_targetILNS1_3genE10ELNS1_11target_archE1200ELNS1_3gpuE4ELNS1_3repE0EEENS3_ILS4_10ELS5_1201ELS6_5ELS7_0EEENS1_28merge_sort_block_sort_configILj256ELj4ELNS0_20block_sort_algorithmE0EEENS0_14default_configENS1_37merge_sort_block_sort_config_selectorIiNS0_10empty_typeEEENS1_38merge_sort_block_merge_config_selectorIiSF_EEEEvv
    .private_segment_fixed_size: 0
    .sgpr_count:     0
    .sgpr_spill_count: 0
    .symbol:         _ZN7rocprim17ROCPRIM_400000_NS6detail44device_merge_sort_compile_time_verifier_archINS1_11comp_targetILNS1_3genE10ELNS1_11target_archE1200ELNS1_3gpuE4ELNS1_3repE0EEENS3_ILS4_10ELS5_1201ELS6_5ELS7_0EEENS1_28merge_sort_block_sort_configILj256ELj4ELNS0_20block_sort_algorithmE0EEENS0_14default_configENS1_37merge_sort_block_sort_config_selectorIiNS0_10empty_typeEEENS1_38merge_sort_block_merge_config_selectorIiSF_EEEEvv.kd
    .uniform_work_group_size: 1
    .uses_dynamic_stack: false
    .vgpr_count:     0
    .vgpr_spill_count: 0
    .wavefront_size: 32
    .workgroup_processor_mode: 1
  - .args:           []
    .group_segment_fixed_size: 0
    .kernarg_segment_align: 4
    .kernarg_segment_size: 0
    .language:       OpenCL C
    .language_version:
      - 2
      - 0
    .max_flat_workgroup_size: 1024
    .name:           _ZN7rocprim17ROCPRIM_400000_NS6detail44device_merge_sort_compile_time_verifier_archINS1_11comp_targetILNS1_3genE9ELNS1_11target_archE1100ELNS1_3gpuE3ELNS1_3repE0EEES8_NS1_28merge_sort_block_sort_configILj256ELj4ELNS0_20block_sort_algorithmE0EEENS0_14default_configENS1_37merge_sort_block_sort_config_selectorIiNS0_10empty_typeEEENS1_38merge_sort_block_merge_config_selectorIiSE_EEEEvv
    .private_segment_fixed_size: 0
    .sgpr_count:     0
    .sgpr_spill_count: 0
    .symbol:         _ZN7rocprim17ROCPRIM_400000_NS6detail44device_merge_sort_compile_time_verifier_archINS1_11comp_targetILNS1_3genE9ELNS1_11target_archE1100ELNS1_3gpuE3ELNS1_3repE0EEES8_NS1_28merge_sort_block_sort_configILj256ELj4ELNS0_20block_sort_algorithmE0EEENS0_14default_configENS1_37merge_sort_block_sort_config_selectorIiNS0_10empty_typeEEENS1_38merge_sort_block_merge_config_selectorIiSE_EEEEvv.kd
    .uniform_work_group_size: 1
    .uses_dynamic_stack: false
    .vgpr_count:     0
    .vgpr_spill_count: 0
    .wavefront_size: 32
    .workgroup_processor_mode: 1
  - .args:           []
    .group_segment_fixed_size: 0
    .kernarg_segment_align: 4
    .kernarg_segment_size: 0
    .language:       OpenCL C
    .language_version:
      - 2
      - 0
    .max_flat_workgroup_size: 1024
    .name:           _ZN7rocprim17ROCPRIM_400000_NS6detail44device_merge_sort_compile_time_verifier_archINS1_11comp_targetILNS1_3genE8ELNS1_11target_archE1030ELNS1_3gpuE2ELNS1_3repE0EEES8_NS1_28merge_sort_block_sort_configILj256ELj4ELNS0_20block_sort_algorithmE0EEENS0_14default_configENS1_37merge_sort_block_sort_config_selectorIiNS0_10empty_typeEEENS1_38merge_sort_block_merge_config_selectorIiSE_EEEEvv
    .private_segment_fixed_size: 0
    .sgpr_count:     0
    .sgpr_spill_count: 0
    .symbol:         _ZN7rocprim17ROCPRIM_400000_NS6detail44device_merge_sort_compile_time_verifier_archINS1_11comp_targetILNS1_3genE8ELNS1_11target_archE1030ELNS1_3gpuE2ELNS1_3repE0EEES8_NS1_28merge_sort_block_sort_configILj256ELj4ELNS0_20block_sort_algorithmE0EEENS0_14default_configENS1_37merge_sort_block_sort_config_selectorIiNS0_10empty_typeEEENS1_38merge_sort_block_merge_config_selectorIiSE_EEEEvv.kd
    .uniform_work_group_size: 1
    .uses_dynamic_stack: false
    .vgpr_count:     0
    .vgpr_spill_count: 0
    .wavefront_size: 32
    .workgroup_processor_mode: 1
  - .args:
      - .offset:         0
        .size:           40
        .value_kind:     by_value
    .group_segment_fixed_size: 0
    .kernarg_segment_align: 8
    .kernarg_segment_size: 40
    .language:       OpenCL C
    .language_version:
      - 2
      - 0
    .max_flat_workgroup_size: 128
    .name:           _ZN7rocprim17ROCPRIM_400000_NS6detail17trampoline_kernelINS0_14default_configENS1_38merge_sort_block_merge_config_selectorIiNS0_10empty_typeEEEZZNS1_27merge_sort_block_merge_implIS3_N6thrust23THRUST_200600_302600_NS6detail15normal_iteratorINS9_10device_ptrIiEEEEPS5_jNS1_19radix_merge_compareILb0ELb0EiNS0_19identity_decomposerEEEEE10hipError_tT0_T1_T2_jT3_P12ihipStream_tbPNSt15iterator_traitsISK_E10value_typeEPNSQ_ISL_E10value_typeEPSM_NS1_7vsmem_tEENKUlT_SK_SL_SM_E_clIPiSE_SF_SF_EESJ_SZ_SK_SL_SM_EUlSZ_E_NS1_11comp_targetILNS1_3genE0ELNS1_11target_archE4294967295ELNS1_3gpuE0ELNS1_3repE0EEENS1_48merge_mergepath_partition_config_static_selectorELNS0_4arch9wavefront6targetE0EEEvSL_
    .private_segment_fixed_size: 0
    .sgpr_count:     0
    .sgpr_spill_count: 0
    .symbol:         _ZN7rocprim17ROCPRIM_400000_NS6detail17trampoline_kernelINS0_14default_configENS1_38merge_sort_block_merge_config_selectorIiNS0_10empty_typeEEEZZNS1_27merge_sort_block_merge_implIS3_N6thrust23THRUST_200600_302600_NS6detail15normal_iteratorINS9_10device_ptrIiEEEEPS5_jNS1_19radix_merge_compareILb0ELb0EiNS0_19identity_decomposerEEEEE10hipError_tT0_T1_T2_jT3_P12ihipStream_tbPNSt15iterator_traitsISK_E10value_typeEPNSQ_ISL_E10value_typeEPSM_NS1_7vsmem_tEENKUlT_SK_SL_SM_E_clIPiSE_SF_SF_EESJ_SZ_SK_SL_SM_EUlSZ_E_NS1_11comp_targetILNS1_3genE0ELNS1_11target_archE4294967295ELNS1_3gpuE0ELNS1_3repE0EEENS1_48merge_mergepath_partition_config_static_selectorELNS0_4arch9wavefront6targetE0EEEvSL_.kd
    .uniform_work_group_size: 1
    .uses_dynamic_stack: false
    .vgpr_count:     0
    .vgpr_spill_count: 0
    .wavefront_size: 32
    .workgroup_processor_mode: 1
  - .args:
      - .offset:         0
        .size:           40
        .value_kind:     by_value
    .group_segment_fixed_size: 0
    .kernarg_segment_align: 8
    .kernarg_segment_size: 40
    .language:       OpenCL C
    .language_version:
      - 2
      - 0
    .max_flat_workgroup_size: 128
    .name:           _ZN7rocprim17ROCPRIM_400000_NS6detail17trampoline_kernelINS0_14default_configENS1_38merge_sort_block_merge_config_selectorIiNS0_10empty_typeEEEZZNS1_27merge_sort_block_merge_implIS3_N6thrust23THRUST_200600_302600_NS6detail15normal_iteratorINS9_10device_ptrIiEEEEPS5_jNS1_19radix_merge_compareILb0ELb0EiNS0_19identity_decomposerEEEEE10hipError_tT0_T1_T2_jT3_P12ihipStream_tbPNSt15iterator_traitsISK_E10value_typeEPNSQ_ISL_E10value_typeEPSM_NS1_7vsmem_tEENKUlT_SK_SL_SM_E_clIPiSE_SF_SF_EESJ_SZ_SK_SL_SM_EUlSZ_E_NS1_11comp_targetILNS1_3genE10ELNS1_11target_archE1201ELNS1_3gpuE5ELNS1_3repE0EEENS1_48merge_mergepath_partition_config_static_selectorELNS0_4arch9wavefront6targetE0EEEvSL_
    .private_segment_fixed_size: 0
    .sgpr_count:     0
    .sgpr_spill_count: 0
    .symbol:         _ZN7rocprim17ROCPRIM_400000_NS6detail17trampoline_kernelINS0_14default_configENS1_38merge_sort_block_merge_config_selectorIiNS0_10empty_typeEEEZZNS1_27merge_sort_block_merge_implIS3_N6thrust23THRUST_200600_302600_NS6detail15normal_iteratorINS9_10device_ptrIiEEEEPS5_jNS1_19radix_merge_compareILb0ELb0EiNS0_19identity_decomposerEEEEE10hipError_tT0_T1_T2_jT3_P12ihipStream_tbPNSt15iterator_traitsISK_E10value_typeEPNSQ_ISL_E10value_typeEPSM_NS1_7vsmem_tEENKUlT_SK_SL_SM_E_clIPiSE_SF_SF_EESJ_SZ_SK_SL_SM_EUlSZ_E_NS1_11comp_targetILNS1_3genE10ELNS1_11target_archE1201ELNS1_3gpuE5ELNS1_3repE0EEENS1_48merge_mergepath_partition_config_static_selectorELNS0_4arch9wavefront6targetE0EEEvSL_.kd
    .uniform_work_group_size: 1
    .uses_dynamic_stack: false
    .vgpr_count:     0
    .vgpr_spill_count: 0
    .wavefront_size: 32
    .workgroup_processor_mode: 1
  - .args:
      - .offset:         0
        .size:           40
        .value_kind:     by_value
    .group_segment_fixed_size: 0
    .kernarg_segment_align: 8
    .kernarg_segment_size: 40
    .language:       OpenCL C
    .language_version:
      - 2
      - 0
    .max_flat_workgroup_size: 128
    .name:           _ZN7rocprim17ROCPRIM_400000_NS6detail17trampoline_kernelINS0_14default_configENS1_38merge_sort_block_merge_config_selectorIiNS0_10empty_typeEEEZZNS1_27merge_sort_block_merge_implIS3_N6thrust23THRUST_200600_302600_NS6detail15normal_iteratorINS9_10device_ptrIiEEEEPS5_jNS1_19radix_merge_compareILb0ELb0EiNS0_19identity_decomposerEEEEE10hipError_tT0_T1_T2_jT3_P12ihipStream_tbPNSt15iterator_traitsISK_E10value_typeEPNSQ_ISL_E10value_typeEPSM_NS1_7vsmem_tEENKUlT_SK_SL_SM_E_clIPiSE_SF_SF_EESJ_SZ_SK_SL_SM_EUlSZ_E_NS1_11comp_targetILNS1_3genE5ELNS1_11target_archE942ELNS1_3gpuE9ELNS1_3repE0EEENS1_48merge_mergepath_partition_config_static_selectorELNS0_4arch9wavefront6targetE0EEEvSL_
    .private_segment_fixed_size: 0
    .sgpr_count:     0
    .sgpr_spill_count: 0
    .symbol:         _ZN7rocprim17ROCPRIM_400000_NS6detail17trampoline_kernelINS0_14default_configENS1_38merge_sort_block_merge_config_selectorIiNS0_10empty_typeEEEZZNS1_27merge_sort_block_merge_implIS3_N6thrust23THRUST_200600_302600_NS6detail15normal_iteratorINS9_10device_ptrIiEEEEPS5_jNS1_19radix_merge_compareILb0ELb0EiNS0_19identity_decomposerEEEEE10hipError_tT0_T1_T2_jT3_P12ihipStream_tbPNSt15iterator_traitsISK_E10value_typeEPNSQ_ISL_E10value_typeEPSM_NS1_7vsmem_tEENKUlT_SK_SL_SM_E_clIPiSE_SF_SF_EESJ_SZ_SK_SL_SM_EUlSZ_E_NS1_11comp_targetILNS1_3genE5ELNS1_11target_archE942ELNS1_3gpuE9ELNS1_3repE0EEENS1_48merge_mergepath_partition_config_static_selectorELNS0_4arch9wavefront6targetE0EEEvSL_.kd
    .uniform_work_group_size: 1
    .uses_dynamic_stack: false
    .vgpr_count:     0
    .vgpr_spill_count: 0
    .wavefront_size: 32
    .workgroup_processor_mode: 1
  - .args:
      - .offset:         0
        .size:           40
        .value_kind:     by_value
    .group_segment_fixed_size: 0
    .kernarg_segment_align: 8
    .kernarg_segment_size: 40
    .language:       OpenCL C
    .language_version:
      - 2
      - 0
    .max_flat_workgroup_size: 128
    .name:           _ZN7rocprim17ROCPRIM_400000_NS6detail17trampoline_kernelINS0_14default_configENS1_38merge_sort_block_merge_config_selectorIiNS0_10empty_typeEEEZZNS1_27merge_sort_block_merge_implIS3_N6thrust23THRUST_200600_302600_NS6detail15normal_iteratorINS9_10device_ptrIiEEEEPS5_jNS1_19radix_merge_compareILb0ELb0EiNS0_19identity_decomposerEEEEE10hipError_tT0_T1_T2_jT3_P12ihipStream_tbPNSt15iterator_traitsISK_E10value_typeEPNSQ_ISL_E10value_typeEPSM_NS1_7vsmem_tEENKUlT_SK_SL_SM_E_clIPiSE_SF_SF_EESJ_SZ_SK_SL_SM_EUlSZ_E_NS1_11comp_targetILNS1_3genE4ELNS1_11target_archE910ELNS1_3gpuE8ELNS1_3repE0EEENS1_48merge_mergepath_partition_config_static_selectorELNS0_4arch9wavefront6targetE0EEEvSL_
    .private_segment_fixed_size: 0
    .sgpr_count:     0
    .sgpr_spill_count: 0
    .symbol:         _ZN7rocprim17ROCPRIM_400000_NS6detail17trampoline_kernelINS0_14default_configENS1_38merge_sort_block_merge_config_selectorIiNS0_10empty_typeEEEZZNS1_27merge_sort_block_merge_implIS3_N6thrust23THRUST_200600_302600_NS6detail15normal_iteratorINS9_10device_ptrIiEEEEPS5_jNS1_19radix_merge_compareILb0ELb0EiNS0_19identity_decomposerEEEEE10hipError_tT0_T1_T2_jT3_P12ihipStream_tbPNSt15iterator_traitsISK_E10value_typeEPNSQ_ISL_E10value_typeEPSM_NS1_7vsmem_tEENKUlT_SK_SL_SM_E_clIPiSE_SF_SF_EESJ_SZ_SK_SL_SM_EUlSZ_E_NS1_11comp_targetILNS1_3genE4ELNS1_11target_archE910ELNS1_3gpuE8ELNS1_3repE0EEENS1_48merge_mergepath_partition_config_static_selectorELNS0_4arch9wavefront6targetE0EEEvSL_.kd
    .uniform_work_group_size: 1
    .uses_dynamic_stack: false
    .vgpr_count:     0
    .vgpr_spill_count: 0
    .wavefront_size: 32
    .workgroup_processor_mode: 1
  - .args:
      - .offset:         0
        .size:           40
        .value_kind:     by_value
    .group_segment_fixed_size: 0
    .kernarg_segment_align: 8
    .kernarg_segment_size: 40
    .language:       OpenCL C
    .language_version:
      - 2
      - 0
    .max_flat_workgroup_size: 128
    .name:           _ZN7rocprim17ROCPRIM_400000_NS6detail17trampoline_kernelINS0_14default_configENS1_38merge_sort_block_merge_config_selectorIiNS0_10empty_typeEEEZZNS1_27merge_sort_block_merge_implIS3_N6thrust23THRUST_200600_302600_NS6detail15normal_iteratorINS9_10device_ptrIiEEEEPS5_jNS1_19radix_merge_compareILb0ELb0EiNS0_19identity_decomposerEEEEE10hipError_tT0_T1_T2_jT3_P12ihipStream_tbPNSt15iterator_traitsISK_E10value_typeEPNSQ_ISL_E10value_typeEPSM_NS1_7vsmem_tEENKUlT_SK_SL_SM_E_clIPiSE_SF_SF_EESJ_SZ_SK_SL_SM_EUlSZ_E_NS1_11comp_targetILNS1_3genE3ELNS1_11target_archE908ELNS1_3gpuE7ELNS1_3repE0EEENS1_48merge_mergepath_partition_config_static_selectorELNS0_4arch9wavefront6targetE0EEEvSL_
    .private_segment_fixed_size: 0
    .sgpr_count:     0
    .sgpr_spill_count: 0
    .symbol:         _ZN7rocprim17ROCPRIM_400000_NS6detail17trampoline_kernelINS0_14default_configENS1_38merge_sort_block_merge_config_selectorIiNS0_10empty_typeEEEZZNS1_27merge_sort_block_merge_implIS3_N6thrust23THRUST_200600_302600_NS6detail15normal_iteratorINS9_10device_ptrIiEEEEPS5_jNS1_19radix_merge_compareILb0ELb0EiNS0_19identity_decomposerEEEEE10hipError_tT0_T1_T2_jT3_P12ihipStream_tbPNSt15iterator_traitsISK_E10value_typeEPNSQ_ISL_E10value_typeEPSM_NS1_7vsmem_tEENKUlT_SK_SL_SM_E_clIPiSE_SF_SF_EESJ_SZ_SK_SL_SM_EUlSZ_E_NS1_11comp_targetILNS1_3genE3ELNS1_11target_archE908ELNS1_3gpuE7ELNS1_3repE0EEENS1_48merge_mergepath_partition_config_static_selectorELNS0_4arch9wavefront6targetE0EEEvSL_.kd
    .uniform_work_group_size: 1
    .uses_dynamic_stack: false
    .vgpr_count:     0
    .vgpr_spill_count: 0
    .wavefront_size: 32
    .workgroup_processor_mode: 1
  - .args:
      - .offset:         0
        .size:           40
        .value_kind:     by_value
    .group_segment_fixed_size: 0
    .kernarg_segment_align: 8
    .kernarg_segment_size: 40
    .language:       OpenCL C
    .language_version:
      - 2
      - 0
    .max_flat_workgroup_size: 128
    .name:           _ZN7rocprim17ROCPRIM_400000_NS6detail17trampoline_kernelINS0_14default_configENS1_38merge_sort_block_merge_config_selectorIiNS0_10empty_typeEEEZZNS1_27merge_sort_block_merge_implIS3_N6thrust23THRUST_200600_302600_NS6detail15normal_iteratorINS9_10device_ptrIiEEEEPS5_jNS1_19radix_merge_compareILb0ELb0EiNS0_19identity_decomposerEEEEE10hipError_tT0_T1_T2_jT3_P12ihipStream_tbPNSt15iterator_traitsISK_E10value_typeEPNSQ_ISL_E10value_typeEPSM_NS1_7vsmem_tEENKUlT_SK_SL_SM_E_clIPiSE_SF_SF_EESJ_SZ_SK_SL_SM_EUlSZ_E_NS1_11comp_targetILNS1_3genE2ELNS1_11target_archE906ELNS1_3gpuE6ELNS1_3repE0EEENS1_48merge_mergepath_partition_config_static_selectorELNS0_4arch9wavefront6targetE0EEEvSL_
    .private_segment_fixed_size: 0
    .sgpr_count:     0
    .sgpr_spill_count: 0
    .symbol:         _ZN7rocprim17ROCPRIM_400000_NS6detail17trampoline_kernelINS0_14default_configENS1_38merge_sort_block_merge_config_selectorIiNS0_10empty_typeEEEZZNS1_27merge_sort_block_merge_implIS3_N6thrust23THRUST_200600_302600_NS6detail15normal_iteratorINS9_10device_ptrIiEEEEPS5_jNS1_19radix_merge_compareILb0ELb0EiNS0_19identity_decomposerEEEEE10hipError_tT0_T1_T2_jT3_P12ihipStream_tbPNSt15iterator_traitsISK_E10value_typeEPNSQ_ISL_E10value_typeEPSM_NS1_7vsmem_tEENKUlT_SK_SL_SM_E_clIPiSE_SF_SF_EESJ_SZ_SK_SL_SM_EUlSZ_E_NS1_11comp_targetILNS1_3genE2ELNS1_11target_archE906ELNS1_3gpuE6ELNS1_3repE0EEENS1_48merge_mergepath_partition_config_static_selectorELNS0_4arch9wavefront6targetE0EEEvSL_.kd
    .uniform_work_group_size: 1
    .uses_dynamic_stack: false
    .vgpr_count:     0
    .vgpr_spill_count: 0
    .wavefront_size: 32
    .workgroup_processor_mode: 1
  - .args:
      - .offset:         0
        .size:           40
        .value_kind:     by_value
    .group_segment_fixed_size: 0
    .kernarg_segment_align: 8
    .kernarg_segment_size: 40
    .language:       OpenCL C
    .language_version:
      - 2
      - 0
    .max_flat_workgroup_size: 128
    .name:           _ZN7rocprim17ROCPRIM_400000_NS6detail17trampoline_kernelINS0_14default_configENS1_38merge_sort_block_merge_config_selectorIiNS0_10empty_typeEEEZZNS1_27merge_sort_block_merge_implIS3_N6thrust23THRUST_200600_302600_NS6detail15normal_iteratorINS9_10device_ptrIiEEEEPS5_jNS1_19radix_merge_compareILb0ELb0EiNS0_19identity_decomposerEEEEE10hipError_tT0_T1_T2_jT3_P12ihipStream_tbPNSt15iterator_traitsISK_E10value_typeEPNSQ_ISL_E10value_typeEPSM_NS1_7vsmem_tEENKUlT_SK_SL_SM_E_clIPiSE_SF_SF_EESJ_SZ_SK_SL_SM_EUlSZ_E_NS1_11comp_targetILNS1_3genE9ELNS1_11target_archE1100ELNS1_3gpuE3ELNS1_3repE0EEENS1_48merge_mergepath_partition_config_static_selectorELNS0_4arch9wavefront6targetE0EEEvSL_
    .private_segment_fixed_size: 0
    .sgpr_count:     0
    .sgpr_spill_count: 0
    .symbol:         _ZN7rocprim17ROCPRIM_400000_NS6detail17trampoline_kernelINS0_14default_configENS1_38merge_sort_block_merge_config_selectorIiNS0_10empty_typeEEEZZNS1_27merge_sort_block_merge_implIS3_N6thrust23THRUST_200600_302600_NS6detail15normal_iteratorINS9_10device_ptrIiEEEEPS5_jNS1_19radix_merge_compareILb0ELb0EiNS0_19identity_decomposerEEEEE10hipError_tT0_T1_T2_jT3_P12ihipStream_tbPNSt15iterator_traitsISK_E10value_typeEPNSQ_ISL_E10value_typeEPSM_NS1_7vsmem_tEENKUlT_SK_SL_SM_E_clIPiSE_SF_SF_EESJ_SZ_SK_SL_SM_EUlSZ_E_NS1_11comp_targetILNS1_3genE9ELNS1_11target_archE1100ELNS1_3gpuE3ELNS1_3repE0EEENS1_48merge_mergepath_partition_config_static_selectorELNS0_4arch9wavefront6targetE0EEEvSL_.kd
    .uniform_work_group_size: 1
    .uses_dynamic_stack: false
    .vgpr_count:     0
    .vgpr_spill_count: 0
    .wavefront_size: 32
    .workgroup_processor_mode: 1
  - .args:
      - .offset:         0
        .size:           40
        .value_kind:     by_value
    .group_segment_fixed_size: 0
    .kernarg_segment_align: 8
    .kernarg_segment_size: 40
    .language:       OpenCL C
    .language_version:
      - 2
      - 0
    .max_flat_workgroup_size: 128
    .name:           _ZN7rocprim17ROCPRIM_400000_NS6detail17trampoline_kernelINS0_14default_configENS1_38merge_sort_block_merge_config_selectorIiNS0_10empty_typeEEEZZNS1_27merge_sort_block_merge_implIS3_N6thrust23THRUST_200600_302600_NS6detail15normal_iteratorINS9_10device_ptrIiEEEEPS5_jNS1_19radix_merge_compareILb0ELb0EiNS0_19identity_decomposerEEEEE10hipError_tT0_T1_T2_jT3_P12ihipStream_tbPNSt15iterator_traitsISK_E10value_typeEPNSQ_ISL_E10value_typeEPSM_NS1_7vsmem_tEENKUlT_SK_SL_SM_E_clIPiSE_SF_SF_EESJ_SZ_SK_SL_SM_EUlSZ_E_NS1_11comp_targetILNS1_3genE8ELNS1_11target_archE1030ELNS1_3gpuE2ELNS1_3repE0EEENS1_48merge_mergepath_partition_config_static_selectorELNS0_4arch9wavefront6targetE0EEEvSL_
    .private_segment_fixed_size: 0
    .sgpr_count:     9
    .sgpr_spill_count: 0
    .symbol:         _ZN7rocprim17ROCPRIM_400000_NS6detail17trampoline_kernelINS0_14default_configENS1_38merge_sort_block_merge_config_selectorIiNS0_10empty_typeEEEZZNS1_27merge_sort_block_merge_implIS3_N6thrust23THRUST_200600_302600_NS6detail15normal_iteratorINS9_10device_ptrIiEEEEPS5_jNS1_19radix_merge_compareILb0ELb0EiNS0_19identity_decomposerEEEEE10hipError_tT0_T1_T2_jT3_P12ihipStream_tbPNSt15iterator_traitsISK_E10value_typeEPNSQ_ISL_E10value_typeEPSM_NS1_7vsmem_tEENKUlT_SK_SL_SM_E_clIPiSE_SF_SF_EESJ_SZ_SK_SL_SM_EUlSZ_E_NS1_11comp_targetILNS1_3genE8ELNS1_11target_archE1030ELNS1_3gpuE2ELNS1_3repE0EEENS1_48merge_mergepath_partition_config_static_selectorELNS0_4arch9wavefront6targetE0EEEvSL_.kd
    .uniform_work_group_size: 1
    .uses_dynamic_stack: false
    .vgpr_count:     15
    .vgpr_spill_count: 0
    .wavefront_size: 32
    .workgroup_processor_mode: 1
  - .args:
      - .offset:         0
        .size:           64
        .value_kind:     by_value
    .group_segment_fixed_size: 0
    .kernarg_segment_align: 8
    .kernarg_segment_size: 64
    .language:       OpenCL C
    .language_version:
      - 2
      - 0
    .max_flat_workgroup_size: 128
    .name:           _ZN7rocprim17ROCPRIM_400000_NS6detail17trampoline_kernelINS0_14default_configENS1_38merge_sort_block_merge_config_selectorIiNS0_10empty_typeEEEZZNS1_27merge_sort_block_merge_implIS3_N6thrust23THRUST_200600_302600_NS6detail15normal_iteratorINS9_10device_ptrIiEEEEPS5_jNS1_19radix_merge_compareILb0ELb0EiNS0_19identity_decomposerEEEEE10hipError_tT0_T1_T2_jT3_P12ihipStream_tbPNSt15iterator_traitsISK_E10value_typeEPNSQ_ISL_E10value_typeEPSM_NS1_7vsmem_tEENKUlT_SK_SL_SM_E_clIPiSE_SF_SF_EESJ_SZ_SK_SL_SM_EUlSZ_E0_NS1_11comp_targetILNS1_3genE0ELNS1_11target_archE4294967295ELNS1_3gpuE0ELNS1_3repE0EEENS1_38merge_mergepath_config_static_selectorELNS0_4arch9wavefront6targetE0EEEvSL_
    .private_segment_fixed_size: 0
    .sgpr_count:     0
    .sgpr_spill_count: 0
    .symbol:         _ZN7rocprim17ROCPRIM_400000_NS6detail17trampoline_kernelINS0_14default_configENS1_38merge_sort_block_merge_config_selectorIiNS0_10empty_typeEEEZZNS1_27merge_sort_block_merge_implIS3_N6thrust23THRUST_200600_302600_NS6detail15normal_iteratorINS9_10device_ptrIiEEEEPS5_jNS1_19radix_merge_compareILb0ELb0EiNS0_19identity_decomposerEEEEE10hipError_tT0_T1_T2_jT3_P12ihipStream_tbPNSt15iterator_traitsISK_E10value_typeEPNSQ_ISL_E10value_typeEPSM_NS1_7vsmem_tEENKUlT_SK_SL_SM_E_clIPiSE_SF_SF_EESJ_SZ_SK_SL_SM_EUlSZ_E0_NS1_11comp_targetILNS1_3genE0ELNS1_11target_archE4294967295ELNS1_3gpuE0ELNS1_3repE0EEENS1_38merge_mergepath_config_static_selectorELNS0_4arch9wavefront6targetE0EEEvSL_.kd
    .uniform_work_group_size: 1
    .uses_dynamic_stack: false
    .vgpr_count:     0
    .vgpr_spill_count: 0
    .wavefront_size: 32
    .workgroup_processor_mode: 1
  - .args:
      - .offset:         0
        .size:           64
        .value_kind:     by_value
    .group_segment_fixed_size: 0
    .kernarg_segment_align: 8
    .kernarg_segment_size: 64
    .language:       OpenCL C
    .language_version:
      - 2
      - 0
    .max_flat_workgroup_size: 256
    .name:           _ZN7rocprim17ROCPRIM_400000_NS6detail17trampoline_kernelINS0_14default_configENS1_38merge_sort_block_merge_config_selectorIiNS0_10empty_typeEEEZZNS1_27merge_sort_block_merge_implIS3_N6thrust23THRUST_200600_302600_NS6detail15normal_iteratorINS9_10device_ptrIiEEEEPS5_jNS1_19radix_merge_compareILb0ELb0EiNS0_19identity_decomposerEEEEE10hipError_tT0_T1_T2_jT3_P12ihipStream_tbPNSt15iterator_traitsISK_E10value_typeEPNSQ_ISL_E10value_typeEPSM_NS1_7vsmem_tEENKUlT_SK_SL_SM_E_clIPiSE_SF_SF_EESJ_SZ_SK_SL_SM_EUlSZ_E0_NS1_11comp_targetILNS1_3genE10ELNS1_11target_archE1201ELNS1_3gpuE5ELNS1_3repE0EEENS1_38merge_mergepath_config_static_selectorELNS0_4arch9wavefront6targetE0EEEvSL_
    .private_segment_fixed_size: 0
    .sgpr_count:     0
    .sgpr_spill_count: 0
    .symbol:         _ZN7rocprim17ROCPRIM_400000_NS6detail17trampoline_kernelINS0_14default_configENS1_38merge_sort_block_merge_config_selectorIiNS0_10empty_typeEEEZZNS1_27merge_sort_block_merge_implIS3_N6thrust23THRUST_200600_302600_NS6detail15normal_iteratorINS9_10device_ptrIiEEEEPS5_jNS1_19radix_merge_compareILb0ELb0EiNS0_19identity_decomposerEEEEE10hipError_tT0_T1_T2_jT3_P12ihipStream_tbPNSt15iterator_traitsISK_E10value_typeEPNSQ_ISL_E10value_typeEPSM_NS1_7vsmem_tEENKUlT_SK_SL_SM_E_clIPiSE_SF_SF_EESJ_SZ_SK_SL_SM_EUlSZ_E0_NS1_11comp_targetILNS1_3genE10ELNS1_11target_archE1201ELNS1_3gpuE5ELNS1_3repE0EEENS1_38merge_mergepath_config_static_selectorELNS0_4arch9wavefront6targetE0EEEvSL_.kd
    .uniform_work_group_size: 1
    .uses_dynamic_stack: false
    .vgpr_count:     0
    .vgpr_spill_count: 0
    .wavefront_size: 32
    .workgroup_processor_mode: 1
  - .args:
      - .offset:         0
        .size:           64
        .value_kind:     by_value
    .group_segment_fixed_size: 0
    .kernarg_segment_align: 8
    .kernarg_segment_size: 64
    .language:       OpenCL C
    .language_version:
      - 2
      - 0
    .max_flat_workgroup_size: 128
    .name:           _ZN7rocprim17ROCPRIM_400000_NS6detail17trampoline_kernelINS0_14default_configENS1_38merge_sort_block_merge_config_selectorIiNS0_10empty_typeEEEZZNS1_27merge_sort_block_merge_implIS3_N6thrust23THRUST_200600_302600_NS6detail15normal_iteratorINS9_10device_ptrIiEEEEPS5_jNS1_19radix_merge_compareILb0ELb0EiNS0_19identity_decomposerEEEEE10hipError_tT0_T1_T2_jT3_P12ihipStream_tbPNSt15iterator_traitsISK_E10value_typeEPNSQ_ISL_E10value_typeEPSM_NS1_7vsmem_tEENKUlT_SK_SL_SM_E_clIPiSE_SF_SF_EESJ_SZ_SK_SL_SM_EUlSZ_E0_NS1_11comp_targetILNS1_3genE5ELNS1_11target_archE942ELNS1_3gpuE9ELNS1_3repE0EEENS1_38merge_mergepath_config_static_selectorELNS0_4arch9wavefront6targetE0EEEvSL_
    .private_segment_fixed_size: 0
    .sgpr_count:     0
    .sgpr_spill_count: 0
    .symbol:         _ZN7rocprim17ROCPRIM_400000_NS6detail17trampoline_kernelINS0_14default_configENS1_38merge_sort_block_merge_config_selectorIiNS0_10empty_typeEEEZZNS1_27merge_sort_block_merge_implIS3_N6thrust23THRUST_200600_302600_NS6detail15normal_iteratorINS9_10device_ptrIiEEEEPS5_jNS1_19radix_merge_compareILb0ELb0EiNS0_19identity_decomposerEEEEE10hipError_tT0_T1_T2_jT3_P12ihipStream_tbPNSt15iterator_traitsISK_E10value_typeEPNSQ_ISL_E10value_typeEPSM_NS1_7vsmem_tEENKUlT_SK_SL_SM_E_clIPiSE_SF_SF_EESJ_SZ_SK_SL_SM_EUlSZ_E0_NS1_11comp_targetILNS1_3genE5ELNS1_11target_archE942ELNS1_3gpuE9ELNS1_3repE0EEENS1_38merge_mergepath_config_static_selectorELNS0_4arch9wavefront6targetE0EEEvSL_.kd
    .uniform_work_group_size: 1
    .uses_dynamic_stack: false
    .vgpr_count:     0
    .vgpr_spill_count: 0
    .wavefront_size: 32
    .workgroup_processor_mode: 1
  - .args:
      - .offset:         0
        .size:           64
        .value_kind:     by_value
    .group_segment_fixed_size: 0
    .kernarg_segment_align: 8
    .kernarg_segment_size: 64
    .language:       OpenCL C
    .language_version:
      - 2
      - 0
    .max_flat_workgroup_size: 128
    .name:           _ZN7rocprim17ROCPRIM_400000_NS6detail17trampoline_kernelINS0_14default_configENS1_38merge_sort_block_merge_config_selectorIiNS0_10empty_typeEEEZZNS1_27merge_sort_block_merge_implIS3_N6thrust23THRUST_200600_302600_NS6detail15normal_iteratorINS9_10device_ptrIiEEEEPS5_jNS1_19radix_merge_compareILb0ELb0EiNS0_19identity_decomposerEEEEE10hipError_tT0_T1_T2_jT3_P12ihipStream_tbPNSt15iterator_traitsISK_E10value_typeEPNSQ_ISL_E10value_typeEPSM_NS1_7vsmem_tEENKUlT_SK_SL_SM_E_clIPiSE_SF_SF_EESJ_SZ_SK_SL_SM_EUlSZ_E0_NS1_11comp_targetILNS1_3genE4ELNS1_11target_archE910ELNS1_3gpuE8ELNS1_3repE0EEENS1_38merge_mergepath_config_static_selectorELNS0_4arch9wavefront6targetE0EEEvSL_
    .private_segment_fixed_size: 0
    .sgpr_count:     0
    .sgpr_spill_count: 0
    .symbol:         _ZN7rocprim17ROCPRIM_400000_NS6detail17trampoline_kernelINS0_14default_configENS1_38merge_sort_block_merge_config_selectorIiNS0_10empty_typeEEEZZNS1_27merge_sort_block_merge_implIS3_N6thrust23THRUST_200600_302600_NS6detail15normal_iteratorINS9_10device_ptrIiEEEEPS5_jNS1_19radix_merge_compareILb0ELb0EiNS0_19identity_decomposerEEEEE10hipError_tT0_T1_T2_jT3_P12ihipStream_tbPNSt15iterator_traitsISK_E10value_typeEPNSQ_ISL_E10value_typeEPSM_NS1_7vsmem_tEENKUlT_SK_SL_SM_E_clIPiSE_SF_SF_EESJ_SZ_SK_SL_SM_EUlSZ_E0_NS1_11comp_targetILNS1_3genE4ELNS1_11target_archE910ELNS1_3gpuE8ELNS1_3repE0EEENS1_38merge_mergepath_config_static_selectorELNS0_4arch9wavefront6targetE0EEEvSL_.kd
    .uniform_work_group_size: 1
    .uses_dynamic_stack: false
    .vgpr_count:     0
    .vgpr_spill_count: 0
    .wavefront_size: 32
    .workgroup_processor_mode: 1
  - .args:
      - .offset:         0
        .size:           64
        .value_kind:     by_value
    .group_segment_fixed_size: 0
    .kernarg_segment_align: 8
    .kernarg_segment_size: 64
    .language:       OpenCL C
    .language_version:
      - 2
      - 0
    .max_flat_workgroup_size: 128
    .name:           _ZN7rocprim17ROCPRIM_400000_NS6detail17trampoline_kernelINS0_14default_configENS1_38merge_sort_block_merge_config_selectorIiNS0_10empty_typeEEEZZNS1_27merge_sort_block_merge_implIS3_N6thrust23THRUST_200600_302600_NS6detail15normal_iteratorINS9_10device_ptrIiEEEEPS5_jNS1_19radix_merge_compareILb0ELb0EiNS0_19identity_decomposerEEEEE10hipError_tT0_T1_T2_jT3_P12ihipStream_tbPNSt15iterator_traitsISK_E10value_typeEPNSQ_ISL_E10value_typeEPSM_NS1_7vsmem_tEENKUlT_SK_SL_SM_E_clIPiSE_SF_SF_EESJ_SZ_SK_SL_SM_EUlSZ_E0_NS1_11comp_targetILNS1_3genE3ELNS1_11target_archE908ELNS1_3gpuE7ELNS1_3repE0EEENS1_38merge_mergepath_config_static_selectorELNS0_4arch9wavefront6targetE0EEEvSL_
    .private_segment_fixed_size: 0
    .sgpr_count:     0
    .sgpr_spill_count: 0
    .symbol:         _ZN7rocprim17ROCPRIM_400000_NS6detail17trampoline_kernelINS0_14default_configENS1_38merge_sort_block_merge_config_selectorIiNS0_10empty_typeEEEZZNS1_27merge_sort_block_merge_implIS3_N6thrust23THRUST_200600_302600_NS6detail15normal_iteratorINS9_10device_ptrIiEEEEPS5_jNS1_19radix_merge_compareILb0ELb0EiNS0_19identity_decomposerEEEEE10hipError_tT0_T1_T2_jT3_P12ihipStream_tbPNSt15iterator_traitsISK_E10value_typeEPNSQ_ISL_E10value_typeEPSM_NS1_7vsmem_tEENKUlT_SK_SL_SM_E_clIPiSE_SF_SF_EESJ_SZ_SK_SL_SM_EUlSZ_E0_NS1_11comp_targetILNS1_3genE3ELNS1_11target_archE908ELNS1_3gpuE7ELNS1_3repE0EEENS1_38merge_mergepath_config_static_selectorELNS0_4arch9wavefront6targetE0EEEvSL_.kd
    .uniform_work_group_size: 1
    .uses_dynamic_stack: false
    .vgpr_count:     0
    .vgpr_spill_count: 0
    .wavefront_size: 32
    .workgroup_processor_mode: 1
  - .args:
      - .offset:         0
        .size:           64
        .value_kind:     by_value
    .group_segment_fixed_size: 0
    .kernarg_segment_align: 8
    .kernarg_segment_size: 64
    .language:       OpenCL C
    .language_version:
      - 2
      - 0
    .max_flat_workgroup_size: 128
    .name:           _ZN7rocprim17ROCPRIM_400000_NS6detail17trampoline_kernelINS0_14default_configENS1_38merge_sort_block_merge_config_selectorIiNS0_10empty_typeEEEZZNS1_27merge_sort_block_merge_implIS3_N6thrust23THRUST_200600_302600_NS6detail15normal_iteratorINS9_10device_ptrIiEEEEPS5_jNS1_19radix_merge_compareILb0ELb0EiNS0_19identity_decomposerEEEEE10hipError_tT0_T1_T2_jT3_P12ihipStream_tbPNSt15iterator_traitsISK_E10value_typeEPNSQ_ISL_E10value_typeEPSM_NS1_7vsmem_tEENKUlT_SK_SL_SM_E_clIPiSE_SF_SF_EESJ_SZ_SK_SL_SM_EUlSZ_E0_NS1_11comp_targetILNS1_3genE2ELNS1_11target_archE906ELNS1_3gpuE6ELNS1_3repE0EEENS1_38merge_mergepath_config_static_selectorELNS0_4arch9wavefront6targetE0EEEvSL_
    .private_segment_fixed_size: 0
    .sgpr_count:     0
    .sgpr_spill_count: 0
    .symbol:         _ZN7rocprim17ROCPRIM_400000_NS6detail17trampoline_kernelINS0_14default_configENS1_38merge_sort_block_merge_config_selectorIiNS0_10empty_typeEEEZZNS1_27merge_sort_block_merge_implIS3_N6thrust23THRUST_200600_302600_NS6detail15normal_iteratorINS9_10device_ptrIiEEEEPS5_jNS1_19radix_merge_compareILb0ELb0EiNS0_19identity_decomposerEEEEE10hipError_tT0_T1_T2_jT3_P12ihipStream_tbPNSt15iterator_traitsISK_E10value_typeEPNSQ_ISL_E10value_typeEPSM_NS1_7vsmem_tEENKUlT_SK_SL_SM_E_clIPiSE_SF_SF_EESJ_SZ_SK_SL_SM_EUlSZ_E0_NS1_11comp_targetILNS1_3genE2ELNS1_11target_archE906ELNS1_3gpuE6ELNS1_3repE0EEENS1_38merge_mergepath_config_static_selectorELNS0_4arch9wavefront6targetE0EEEvSL_.kd
    .uniform_work_group_size: 1
    .uses_dynamic_stack: false
    .vgpr_count:     0
    .vgpr_spill_count: 0
    .wavefront_size: 32
    .workgroup_processor_mode: 1
  - .args:
      - .offset:         0
        .size:           64
        .value_kind:     by_value
    .group_segment_fixed_size: 0
    .kernarg_segment_align: 8
    .kernarg_segment_size: 64
    .language:       OpenCL C
    .language_version:
      - 2
      - 0
    .max_flat_workgroup_size: 256
    .name:           _ZN7rocprim17ROCPRIM_400000_NS6detail17trampoline_kernelINS0_14default_configENS1_38merge_sort_block_merge_config_selectorIiNS0_10empty_typeEEEZZNS1_27merge_sort_block_merge_implIS3_N6thrust23THRUST_200600_302600_NS6detail15normal_iteratorINS9_10device_ptrIiEEEEPS5_jNS1_19radix_merge_compareILb0ELb0EiNS0_19identity_decomposerEEEEE10hipError_tT0_T1_T2_jT3_P12ihipStream_tbPNSt15iterator_traitsISK_E10value_typeEPNSQ_ISL_E10value_typeEPSM_NS1_7vsmem_tEENKUlT_SK_SL_SM_E_clIPiSE_SF_SF_EESJ_SZ_SK_SL_SM_EUlSZ_E0_NS1_11comp_targetILNS1_3genE9ELNS1_11target_archE1100ELNS1_3gpuE3ELNS1_3repE0EEENS1_38merge_mergepath_config_static_selectorELNS0_4arch9wavefront6targetE0EEEvSL_
    .private_segment_fixed_size: 0
    .sgpr_count:     0
    .sgpr_spill_count: 0
    .symbol:         _ZN7rocprim17ROCPRIM_400000_NS6detail17trampoline_kernelINS0_14default_configENS1_38merge_sort_block_merge_config_selectorIiNS0_10empty_typeEEEZZNS1_27merge_sort_block_merge_implIS3_N6thrust23THRUST_200600_302600_NS6detail15normal_iteratorINS9_10device_ptrIiEEEEPS5_jNS1_19radix_merge_compareILb0ELb0EiNS0_19identity_decomposerEEEEE10hipError_tT0_T1_T2_jT3_P12ihipStream_tbPNSt15iterator_traitsISK_E10value_typeEPNSQ_ISL_E10value_typeEPSM_NS1_7vsmem_tEENKUlT_SK_SL_SM_E_clIPiSE_SF_SF_EESJ_SZ_SK_SL_SM_EUlSZ_E0_NS1_11comp_targetILNS1_3genE9ELNS1_11target_archE1100ELNS1_3gpuE3ELNS1_3repE0EEENS1_38merge_mergepath_config_static_selectorELNS0_4arch9wavefront6targetE0EEEvSL_.kd
    .uniform_work_group_size: 1
    .uses_dynamic_stack: false
    .vgpr_count:     0
    .vgpr_spill_count: 0
    .wavefront_size: 32
    .workgroup_processor_mode: 1
  - .args:
      - .offset:         0
        .size:           64
        .value_kind:     by_value
      - .offset:         64
        .size:           4
        .value_kind:     hidden_block_count_x
      - .offset:         68
        .size:           4
        .value_kind:     hidden_block_count_y
      - .offset:         72
        .size:           4
        .value_kind:     hidden_block_count_z
      - .offset:         76
        .size:           2
        .value_kind:     hidden_group_size_x
      - .offset:         78
        .size:           2
        .value_kind:     hidden_group_size_y
      - .offset:         80
        .size:           2
        .value_kind:     hidden_group_size_z
      - .offset:         82
        .size:           2
        .value_kind:     hidden_remainder_x
      - .offset:         84
        .size:           2
        .value_kind:     hidden_remainder_y
      - .offset:         86
        .size:           2
        .value_kind:     hidden_remainder_z
      - .offset:         104
        .size:           8
        .value_kind:     hidden_global_offset_x
      - .offset:         112
        .size:           8
        .value_kind:     hidden_global_offset_y
      - .offset:         120
        .size:           8
        .value_kind:     hidden_global_offset_z
      - .offset:         128
        .size:           2
        .value_kind:     hidden_grid_dims
    .group_segment_fixed_size: 4224
    .kernarg_segment_align: 8
    .kernarg_segment_size: 320
    .language:       OpenCL C
    .language_version:
      - 2
      - 0
    .max_flat_workgroup_size: 512
    .name:           _ZN7rocprim17ROCPRIM_400000_NS6detail17trampoline_kernelINS0_14default_configENS1_38merge_sort_block_merge_config_selectorIiNS0_10empty_typeEEEZZNS1_27merge_sort_block_merge_implIS3_N6thrust23THRUST_200600_302600_NS6detail15normal_iteratorINS9_10device_ptrIiEEEEPS5_jNS1_19radix_merge_compareILb0ELb0EiNS0_19identity_decomposerEEEEE10hipError_tT0_T1_T2_jT3_P12ihipStream_tbPNSt15iterator_traitsISK_E10value_typeEPNSQ_ISL_E10value_typeEPSM_NS1_7vsmem_tEENKUlT_SK_SL_SM_E_clIPiSE_SF_SF_EESJ_SZ_SK_SL_SM_EUlSZ_E0_NS1_11comp_targetILNS1_3genE8ELNS1_11target_archE1030ELNS1_3gpuE2ELNS1_3repE0EEENS1_38merge_mergepath_config_static_selectorELNS0_4arch9wavefront6targetE0EEEvSL_
    .private_segment_fixed_size: 0
    .sgpr_count:     25
    .sgpr_spill_count: 0
    .symbol:         _ZN7rocprim17ROCPRIM_400000_NS6detail17trampoline_kernelINS0_14default_configENS1_38merge_sort_block_merge_config_selectorIiNS0_10empty_typeEEEZZNS1_27merge_sort_block_merge_implIS3_N6thrust23THRUST_200600_302600_NS6detail15normal_iteratorINS9_10device_ptrIiEEEEPS5_jNS1_19radix_merge_compareILb0ELb0EiNS0_19identity_decomposerEEEEE10hipError_tT0_T1_T2_jT3_P12ihipStream_tbPNSt15iterator_traitsISK_E10value_typeEPNSQ_ISL_E10value_typeEPSM_NS1_7vsmem_tEENKUlT_SK_SL_SM_E_clIPiSE_SF_SF_EESJ_SZ_SK_SL_SM_EUlSZ_E0_NS1_11comp_targetILNS1_3genE8ELNS1_11target_archE1030ELNS1_3gpuE2ELNS1_3repE0EEENS1_38merge_mergepath_config_static_selectorELNS0_4arch9wavefront6targetE0EEEvSL_.kd
    .uniform_work_group_size: 1
    .uses_dynamic_stack: false
    .vgpr_count:     14
    .vgpr_spill_count: 0
    .wavefront_size: 32
    .workgroup_processor_mode: 1
  - .args:
      - .offset:         0
        .size:           48
        .value_kind:     by_value
    .group_segment_fixed_size: 0
    .kernarg_segment_align: 8
    .kernarg_segment_size: 48
    .language:       OpenCL C
    .language_version:
      - 2
      - 0
    .max_flat_workgroup_size: 256
    .name:           _ZN7rocprim17ROCPRIM_400000_NS6detail17trampoline_kernelINS0_14default_configENS1_38merge_sort_block_merge_config_selectorIiNS0_10empty_typeEEEZZNS1_27merge_sort_block_merge_implIS3_N6thrust23THRUST_200600_302600_NS6detail15normal_iteratorINS9_10device_ptrIiEEEEPS5_jNS1_19radix_merge_compareILb0ELb0EiNS0_19identity_decomposerEEEEE10hipError_tT0_T1_T2_jT3_P12ihipStream_tbPNSt15iterator_traitsISK_E10value_typeEPNSQ_ISL_E10value_typeEPSM_NS1_7vsmem_tEENKUlT_SK_SL_SM_E_clIPiSE_SF_SF_EESJ_SZ_SK_SL_SM_EUlSZ_E1_NS1_11comp_targetILNS1_3genE0ELNS1_11target_archE4294967295ELNS1_3gpuE0ELNS1_3repE0EEENS1_36merge_oddeven_config_static_selectorELNS0_4arch9wavefront6targetE0EEEvSL_
    .private_segment_fixed_size: 0
    .sgpr_count:     0
    .sgpr_spill_count: 0
    .symbol:         _ZN7rocprim17ROCPRIM_400000_NS6detail17trampoline_kernelINS0_14default_configENS1_38merge_sort_block_merge_config_selectorIiNS0_10empty_typeEEEZZNS1_27merge_sort_block_merge_implIS3_N6thrust23THRUST_200600_302600_NS6detail15normal_iteratorINS9_10device_ptrIiEEEEPS5_jNS1_19radix_merge_compareILb0ELb0EiNS0_19identity_decomposerEEEEE10hipError_tT0_T1_T2_jT3_P12ihipStream_tbPNSt15iterator_traitsISK_E10value_typeEPNSQ_ISL_E10value_typeEPSM_NS1_7vsmem_tEENKUlT_SK_SL_SM_E_clIPiSE_SF_SF_EESJ_SZ_SK_SL_SM_EUlSZ_E1_NS1_11comp_targetILNS1_3genE0ELNS1_11target_archE4294967295ELNS1_3gpuE0ELNS1_3repE0EEENS1_36merge_oddeven_config_static_selectorELNS0_4arch9wavefront6targetE0EEEvSL_.kd
    .uniform_work_group_size: 1
    .uses_dynamic_stack: false
    .vgpr_count:     0
    .vgpr_spill_count: 0
    .wavefront_size: 32
    .workgroup_processor_mode: 1
  - .args:
      - .offset:         0
        .size:           48
        .value_kind:     by_value
    .group_segment_fixed_size: 0
    .kernarg_segment_align: 8
    .kernarg_segment_size: 48
    .language:       OpenCL C
    .language_version:
      - 2
      - 0
    .max_flat_workgroup_size: 256
    .name:           _ZN7rocprim17ROCPRIM_400000_NS6detail17trampoline_kernelINS0_14default_configENS1_38merge_sort_block_merge_config_selectorIiNS0_10empty_typeEEEZZNS1_27merge_sort_block_merge_implIS3_N6thrust23THRUST_200600_302600_NS6detail15normal_iteratorINS9_10device_ptrIiEEEEPS5_jNS1_19radix_merge_compareILb0ELb0EiNS0_19identity_decomposerEEEEE10hipError_tT0_T1_T2_jT3_P12ihipStream_tbPNSt15iterator_traitsISK_E10value_typeEPNSQ_ISL_E10value_typeEPSM_NS1_7vsmem_tEENKUlT_SK_SL_SM_E_clIPiSE_SF_SF_EESJ_SZ_SK_SL_SM_EUlSZ_E1_NS1_11comp_targetILNS1_3genE10ELNS1_11target_archE1201ELNS1_3gpuE5ELNS1_3repE0EEENS1_36merge_oddeven_config_static_selectorELNS0_4arch9wavefront6targetE0EEEvSL_
    .private_segment_fixed_size: 0
    .sgpr_count:     0
    .sgpr_spill_count: 0
    .symbol:         _ZN7rocprim17ROCPRIM_400000_NS6detail17trampoline_kernelINS0_14default_configENS1_38merge_sort_block_merge_config_selectorIiNS0_10empty_typeEEEZZNS1_27merge_sort_block_merge_implIS3_N6thrust23THRUST_200600_302600_NS6detail15normal_iteratorINS9_10device_ptrIiEEEEPS5_jNS1_19radix_merge_compareILb0ELb0EiNS0_19identity_decomposerEEEEE10hipError_tT0_T1_T2_jT3_P12ihipStream_tbPNSt15iterator_traitsISK_E10value_typeEPNSQ_ISL_E10value_typeEPSM_NS1_7vsmem_tEENKUlT_SK_SL_SM_E_clIPiSE_SF_SF_EESJ_SZ_SK_SL_SM_EUlSZ_E1_NS1_11comp_targetILNS1_3genE10ELNS1_11target_archE1201ELNS1_3gpuE5ELNS1_3repE0EEENS1_36merge_oddeven_config_static_selectorELNS0_4arch9wavefront6targetE0EEEvSL_.kd
    .uniform_work_group_size: 1
    .uses_dynamic_stack: false
    .vgpr_count:     0
    .vgpr_spill_count: 0
    .wavefront_size: 32
    .workgroup_processor_mode: 1
  - .args:
      - .offset:         0
        .size:           48
        .value_kind:     by_value
    .group_segment_fixed_size: 0
    .kernarg_segment_align: 8
    .kernarg_segment_size: 48
    .language:       OpenCL C
    .language_version:
      - 2
      - 0
    .max_flat_workgroup_size: 256
    .name:           _ZN7rocprim17ROCPRIM_400000_NS6detail17trampoline_kernelINS0_14default_configENS1_38merge_sort_block_merge_config_selectorIiNS0_10empty_typeEEEZZNS1_27merge_sort_block_merge_implIS3_N6thrust23THRUST_200600_302600_NS6detail15normal_iteratorINS9_10device_ptrIiEEEEPS5_jNS1_19radix_merge_compareILb0ELb0EiNS0_19identity_decomposerEEEEE10hipError_tT0_T1_T2_jT3_P12ihipStream_tbPNSt15iterator_traitsISK_E10value_typeEPNSQ_ISL_E10value_typeEPSM_NS1_7vsmem_tEENKUlT_SK_SL_SM_E_clIPiSE_SF_SF_EESJ_SZ_SK_SL_SM_EUlSZ_E1_NS1_11comp_targetILNS1_3genE5ELNS1_11target_archE942ELNS1_3gpuE9ELNS1_3repE0EEENS1_36merge_oddeven_config_static_selectorELNS0_4arch9wavefront6targetE0EEEvSL_
    .private_segment_fixed_size: 0
    .sgpr_count:     0
    .sgpr_spill_count: 0
    .symbol:         _ZN7rocprim17ROCPRIM_400000_NS6detail17trampoline_kernelINS0_14default_configENS1_38merge_sort_block_merge_config_selectorIiNS0_10empty_typeEEEZZNS1_27merge_sort_block_merge_implIS3_N6thrust23THRUST_200600_302600_NS6detail15normal_iteratorINS9_10device_ptrIiEEEEPS5_jNS1_19radix_merge_compareILb0ELb0EiNS0_19identity_decomposerEEEEE10hipError_tT0_T1_T2_jT3_P12ihipStream_tbPNSt15iterator_traitsISK_E10value_typeEPNSQ_ISL_E10value_typeEPSM_NS1_7vsmem_tEENKUlT_SK_SL_SM_E_clIPiSE_SF_SF_EESJ_SZ_SK_SL_SM_EUlSZ_E1_NS1_11comp_targetILNS1_3genE5ELNS1_11target_archE942ELNS1_3gpuE9ELNS1_3repE0EEENS1_36merge_oddeven_config_static_selectorELNS0_4arch9wavefront6targetE0EEEvSL_.kd
    .uniform_work_group_size: 1
    .uses_dynamic_stack: false
    .vgpr_count:     0
    .vgpr_spill_count: 0
    .wavefront_size: 32
    .workgroup_processor_mode: 1
  - .args:
      - .offset:         0
        .size:           48
        .value_kind:     by_value
    .group_segment_fixed_size: 0
    .kernarg_segment_align: 8
    .kernarg_segment_size: 48
    .language:       OpenCL C
    .language_version:
      - 2
      - 0
    .max_flat_workgroup_size: 256
    .name:           _ZN7rocprim17ROCPRIM_400000_NS6detail17trampoline_kernelINS0_14default_configENS1_38merge_sort_block_merge_config_selectorIiNS0_10empty_typeEEEZZNS1_27merge_sort_block_merge_implIS3_N6thrust23THRUST_200600_302600_NS6detail15normal_iteratorINS9_10device_ptrIiEEEEPS5_jNS1_19radix_merge_compareILb0ELb0EiNS0_19identity_decomposerEEEEE10hipError_tT0_T1_T2_jT3_P12ihipStream_tbPNSt15iterator_traitsISK_E10value_typeEPNSQ_ISL_E10value_typeEPSM_NS1_7vsmem_tEENKUlT_SK_SL_SM_E_clIPiSE_SF_SF_EESJ_SZ_SK_SL_SM_EUlSZ_E1_NS1_11comp_targetILNS1_3genE4ELNS1_11target_archE910ELNS1_3gpuE8ELNS1_3repE0EEENS1_36merge_oddeven_config_static_selectorELNS0_4arch9wavefront6targetE0EEEvSL_
    .private_segment_fixed_size: 0
    .sgpr_count:     0
    .sgpr_spill_count: 0
    .symbol:         _ZN7rocprim17ROCPRIM_400000_NS6detail17trampoline_kernelINS0_14default_configENS1_38merge_sort_block_merge_config_selectorIiNS0_10empty_typeEEEZZNS1_27merge_sort_block_merge_implIS3_N6thrust23THRUST_200600_302600_NS6detail15normal_iteratorINS9_10device_ptrIiEEEEPS5_jNS1_19radix_merge_compareILb0ELb0EiNS0_19identity_decomposerEEEEE10hipError_tT0_T1_T2_jT3_P12ihipStream_tbPNSt15iterator_traitsISK_E10value_typeEPNSQ_ISL_E10value_typeEPSM_NS1_7vsmem_tEENKUlT_SK_SL_SM_E_clIPiSE_SF_SF_EESJ_SZ_SK_SL_SM_EUlSZ_E1_NS1_11comp_targetILNS1_3genE4ELNS1_11target_archE910ELNS1_3gpuE8ELNS1_3repE0EEENS1_36merge_oddeven_config_static_selectorELNS0_4arch9wavefront6targetE0EEEvSL_.kd
    .uniform_work_group_size: 1
    .uses_dynamic_stack: false
    .vgpr_count:     0
    .vgpr_spill_count: 0
    .wavefront_size: 32
    .workgroup_processor_mode: 1
  - .args:
      - .offset:         0
        .size:           48
        .value_kind:     by_value
    .group_segment_fixed_size: 0
    .kernarg_segment_align: 8
    .kernarg_segment_size: 48
    .language:       OpenCL C
    .language_version:
      - 2
      - 0
    .max_flat_workgroup_size: 256
    .name:           _ZN7rocprim17ROCPRIM_400000_NS6detail17trampoline_kernelINS0_14default_configENS1_38merge_sort_block_merge_config_selectorIiNS0_10empty_typeEEEZZNS1_27merge_sort_block_merge_implIS3_N6thrust23THRUST_200600_302600_NS6detail15normal_iteratorINS9_10device_ptrIiEEEEPS5_jNS1_19radix_merge_compareILb0ELb0EiNS0_19identity_decomposerEEEEE10hipError_tT0_T1_T2_jT3_P12ihipStream_tbPNSt15iterator_traitsISK_E10value_typeEPNSQ_ISL_E10value_typeEPSM_NS1_7vsmem_tEENKUlT_SK_SL_SM_E_clIPiSE_SF_SF_EESJ_SZ_SK_SL_SM_EUlSZ_E1_NS1_11comp_targetILNS1_3genE3ELNS1_11target_archE908ELNS1_3gpuE7ELNS1_3repE0EEENS1_36merge_oddeven_config_static_selectorELNS0_4arch9wavefront6targetE0EEEvSL_
    .private_segment_fixed_size: 0
    .sgpr_count:     0
    .sgpr_spill_count: 0
    .symbol:         _ZN7rocprim17ROCPRIM_400000_NS6detail17trampoline_kernelINS0_14default_configENS1_38merge_sort_block_merge_config_selectorIiNS0_10empty_typeEEEZZNS1_27merge_sort_block_merge_implIS3_N6thrust23THRUST_200600_302600_NS6detail15normal_iteratorINS9_10device_ptrIiEEEEPS5_jNS1_19radix_merge_compareILb0ELb0EiNS0_19identity_decomposerEEEEE10hipError_tT0_T1_T2_jT3_P12ihipStream_tbPNSt15iterator_traitsISK_E10value_typeEPNSQ_ISL_E10value_typeEPSM_NS1_7vsmem_tEENKUlT_SK_SL_SM_E_clIPiSE_SF_SF_EESJ_SZ_SK_SL_SM_EUlSZ_E1_NS1_11comp_targetILNS1_3genE3ELNS1_11target_archE908ELNS1_3gpuE7ELNS1_3repE0EEENS1_36merge_oddeven_config_static_selectorELNS0_4arch9wavefront6targetE0EEEvSL_.kd
    .uniform_work_group_size: 1
    .uses_dynamic_stack: false
    .vgpr_count:     0
    .vgpr_spill_count: 0
    .wavefront_size: 32
    .workgroup_processor_mode: 1
  - .args:
      - .offset:         0
        .size:           48
        .value_kind:     by_value
    .group_segment_fixed_size: 0
    .kernarg_segment_align: 8
    .kernarg_segment_size: 48
    .language:       OpenCL C
    .language_version:
      - 2
      - 0
    .max_flat_workgroup_size: 256
    .name:           _ZN7rocprim17ROCPRIM_400000_NS6detail17trampoline_kernelINS0_14default_configENS1_38merge_sort_block_merge_config_selectorIiNS0_10empty_typeEEEZZNS1_27merge_sort_block_merge_implIS3_N6thrust23THRUST_200600_302600_NS6detail15normal_iteratorINS9_10device_ptrIiEEEEPS5_jNS1_19radix_merge_compareILb0ELb0EiNS0_19identity_decomposerEEEEE10hipError_tT0_T1_T2_jT3_P12ihipStream_tbPNSt15iterator_traitsISK_E10value_typeEPNSQ_ISL_E10value_typeEPSM_NS1_7vsmem_tEENKUlT_SK_SL_SM_E_clIPiSE_SF_SF_EESJ_SZ_SK_SL_SM_EUlSZ_E1_NS1_11comp_targetILNS1_3genE2ELNS1_11target_archE906ELNS1_3gpuE6ELNS1_3repE0EEENS1_36merge_oddeven_config_static_selectorELNS0_4arch9wavefront6targetE0EEEvSL_
    .private_segment_fixed_size: 0
    .sgpr_count:     0
    .sgpr_spill_count: 0
    .symbol:         _ZN7rocprim17ROCPRIM_400000_NS6detail17trampoline_kernelINS0_14default_configENS1_38merge_sort_block_merge_config_selectorIiNS0_10empty_typeEEEZZNS1_27merge_sort_block_merge_implIS3_N6thrust23THRUST_200600_302600_NS6detail15normal_iteratorINS9_10device_ptrIiEEEEPS5_jNS1_19radix_merge_compareILb0ELb0EiNS0_19identity_decomposerEEEEE10hipError_tT0_T1_T2_jT3_P12ihipStream_tbPNSt15iterator_traitsISK_E10value_typeEPNSQ_ISL_E10value_typeEPSM_NS1_7vsmem_tEENKUlT_SK_SL_SM_E_clIPiSE_SF_SF_EESJ_SZ_SK_SL_SM_EUlSZ_E1_NS1_11comp_targetILNS1_3genE2ELNS1_11target_archE906ELNS1_3gpuE6ELNS1_3repE0EEENS1_36merge_oddeven_config_static_selectorELNS0_4arch9wavefront6targetE0EEEvSL_.kd
    .uniform_work_group_size: 1
    .uses_dynamic_stack: false
    .vgpr_count:     0
    .vgpr_spill_count: 0
    .wavefront_size: 32
    .workgroup_processor_mode: 1
  - .args:
      - .offset:         0
        .size:           48
        .value_kind:     by_value
    .group_segment_fixed_size: 0
    .kernarg_segment_align: 8
    .kernarg_segment_size: 48
    .language:       OpenCL C
    .language_version:
      - 2
      - 0
    .max_flat_workgroup_size: 256
    .name:           _ZN7rocprim17ROCPRIM_400000_NS6detail17trampoline_kernelINS0_14default_configENS1_38merge_sort_block_merge_config_selectorIiNS0_10empty_typeEEEZZNS1_27merge_sort_block_merge_implIS3_N6thrust23THRUST_200600_302600_NS6detail15normal_iteratorINS9_10device_ptrIiEEEEPS5_jNS1_19radix_merge_compareILb0ELb0EiNS0_19identity_decomposerEEEEE10hipError_tT0_T1_T2_jT3_P12ihipStream_tbPNSt15iterator_traitsISK_E10value_typeEPNSQ_ISL_E10value_typeEPSM_NS1_7vsmem_tEENKUlT_SK_SL_SM_E_clIPiSE_SF_SF_EESJ_SZ_SK_SL_SM_EUlSZ_E1_NS1_11comp_targetILNS1_3genE9ELNS1_11target_archE1100ELNS1_3gpuE3ELNS1_3repE0EEENS1_36merge_oddeven_config_static_selectorELNS0_4arch9wavefront6targetE0EEEvSL_
    .private_segment_fixed_size: 0
    .sgpr_count:     0
    .sgpr_spill_count: 0
    .symbol:         _ZN7rocprim17ROCPRIM_400000_NS6detail17trampoline_kernelINS0_14default_configENS1_38merge_sort_block_merge_config_selectorIiNS0_10empty_typeEEEZZNS1_27merge_sort_block_merge_implIS3_N6thrust23THRUST_200600_302600_NS6detail15normal_iteratorINS9_10device_ptrIiEEEEPS5_jNS1_19radix_merge_compareILb0ELb0EiNS0_19identity_decomposerEEEEE10hipError_tT0_T1_T2_jT3_P12ihipStream_tbPNSt15iterator_traitsISK_E10value_typeEPNSQ_ISL_E10value_typeEPSM_NS1_7vsmem_tEENKUlT_SK_SL_SM_E_clIPiSE_SF_SF_EESJ_SZ_SK_SL_SM_EUlSZ_E1_NS1_11comp_targetILNS1_3genE9ELNS1_11target_archE1100ELNS1_3gpuE3ELNS1_3repE0EEENS1_36merge_oddeven_config_static_selectorELNS0_4arch9wavefront6targetE0EEEvSL_.kd
    .uniform_work_group_size: 1
    .uses_dynamic_stack: false
    .vgpr_count:     0
    .vgpr_spill_count: 0
    .wavefront_size: 32
    .workgroup_processor_mode: 1
  - .args:
      - .offset:         0
        .size:           48
        .value_kind:     by_value
    .group_segment_fixed_size: 0
    .kernarg_segment_align: 8
    .kernarg_segment_size: 48
    .language:       OpenCL C
    .language_version:
      - 2
      - 0
    .max_flat_workgroup_size: 256
    .name:           _ZN7rocprim17ROCPRIM_400000_NS6detail17trampoline_kernelINS0_14default_configENS1_38merge_sort_block_merge_config_selectorIiNS0_10empty_typeEEEZZNS1_27merge_sort_block_merge_implIS3_N6thrust23THRUST_200600_302600_NS6detail15normal_iteratorINS9_10device_ptrIiEEEEPS5_jNS1_19radix_merge_compareILb0ELb0EiNS0_19identity_decomposerEEEEE10hipError_tT0_T1_T2_jT3_P12ihipStream_tbPNSt15iterator_traitsISK_E10value_typeEPNSQ_ISL_E10value_typeEPSM_NS1_7vsmem_tEENKUlT_SK_SL_SM_E_clIPiSE_SF_SF_EESJ_SZ_SK_SL_SM_EUlSZ_E1_NS1_11comp_targetILNS1_3genE8ELNS1_11target_archE1030ELNS1_3gpuE2ELNS1_3repE0EEENS1_36merge_oddeven_config_static_selectorELNS0_4arch9wavefront6targetE0EEEvSL_
    .private_segment_fixed_size: 0
    .sgpr_count:     18
    .sgpr_spill_count: 0
    .symbol:         _ZN7rocprim17ROCPRIM_400000_NS6detail17trampoline_kernelINS0_14default_configENS1_38merge_sort_block_merge_config_selectorIiNS0_10empty_typeEEEZZNS1_27merge_sort_block_merge_implIS3_N6thrust23THRUST_200600_302600_NS6detail15normal_iteratorINS9_10device_ptrIiEEEEPS5_jNS1_19radix_merge_compareILb0ELb0EiNS0_19identity_decomposerEEEEE10hipError_tT0_T1_T2_jT3_P12ihipStream_tbPNSt15iterator_traitsISK_E10value_typeEPNSQ_ISL_E10value_typeEPSM_NS1_7vsmem_tEENKUlT_SK_SL_SM_E_clIPiSE_SF_SF_EESJ_SZ_SK_SL_SM_EUlSZ_E1_NS1_11comp_targetILNS1_3genE8ELNS1_11target_archE1030ELNS1_3gpuE2ELNS1_3repE0EEENS1_36merge_oddeven_config_static_selectorELNS0_4arch9wavefront6targetE0EEEvSL_.kd
    .uniform_work_group_size: 1
    .uses_dynamic_stack: false
    .vgpr_count:     8
    .vgpr_spill_count: 0
    .wavefront_size: 32
    .workgroup_processor_mode: 1
  - .args:
      - .offset:         0
        .size:           40
        .value_kind:     by_value
    .group_segment_fixed_size: 0
    .kernarg_segment_align: 8
    .kernarg_segment_size: 40
    .language:       OpenCL C
    .language_version:
      - 2
      - 0
    .max_flat_workgroup_size: 128
    .name:           _ZN7rocprim17ROCPRIM_400000_NS6detail17trampoline_kernelINS0_14default_configENS1_38merge_sort_block_merge_config_selectorIiNS0_10empty_typeEEEZZNS1_27merge_sort_block_merge_implIS3_N6thrust23THRUST_200600_302600_NS6detail15normal_iteratorINS9_10device_ptrIiEEEEPS5_jNS1_19radix_merge_compareILb0ELb0EiNS0_19identity_decomposerEEEEE10hipError_tT0_T1_T2_jT3_P12ihipStream_tbPNSt15iterator_traitsISK_E10value_typeEPNSQ_ISL_E10value_typeEPSM_NS1_7vsmem_tEENKUlT_SK_SL_SM_E_clISE_PiSF_SF_EESJ_SZ_SK_SL_SM_EUlSZ_E_NS1_11comp_targetILNS1_3genE0ELNS1_11target_archE4294967295ELNS1_3gpuE0ELNS1_3repE0EEENS1_48merge_mergepath_partition_config_static_selectorELNS0_4arch9wavefront6targetE0EEEvSL_
    .private_segment_fixed_size: 0
    .sgpr_count:     0
    .sgpr_spill_count: 0
    .symbol:         _ZN7rocprim17ROCPRIM_400000_NS6detail17trampoline_kernelINS0_14default_configENS1_38merge_sort_block_merge_config_selectorIiNS0_10empty_typeEEEZZNS1_27merge_sort_block_merge_implIS3_N6thrust23THRUST_200600_302600_NS6detail15normal_iteratorINS9_10device_ptrIiEEEEPS5_jNS1_19radix_merge_compareILb0ELb0EiNS0_19identity_decomposerEEEEE10hipError_tT0_T1_T2_jT3_P12ihipStream_tbPNSt15iterator_traitsISK_E10value_typeEPNSQ_ISL_E10value_typeEPSM_NS1_7vsmem_tEENKUlT_SK_SL_SM_E_clISE_PiSF_SF_EESJ_SZ_SK_SL_SM_EUlSZ_E_NS1_11comp_targetILNS1_3genE0ELNS1_11target_archE4294967295ELNS1_3gpuE0ELNS1_3repE0EEENS1_48merge_mergepath_partition_config_static_selectorELNS0_4arch9wavefront6targetE0EEEvSL_.kd
    .uniform_work_group_size: 1
    .uses_dynamic_stack: false
    .vgpr_count:     0
    .vgpr_spill_count: 0
    .wavefront_size: 32
    .workgroup_processor_mode: 1
  - .args:
      - .offset:         0
        .size:           40
        .value_kind:     by_value
    .group_segment_fixed_size: 0
    .kernarg_segment_align: 8
    .kernarg_segment_size: 40
    .language:       OpenCL C
    .language_version:
      - 2
      - 0
    .max_flat_workgroup_size: 128
    .name:           _ZN7rocprim17ROCPRIM_400000_NS6detail17trampoline_kernelINS0_14default_configENS1_38merge_sort_block_merge_config_selectorIiNS0_10empty_typeEEEZZNS1_27merge_sort_block_merge_implIS3_N6thrust23THRUST_200600_302600_NS6detail15normal_iteratorINS9_10device_ptrIiEEEEPS5_jNS1_19radix_merge_compareILb0ELb0EiNS0_19identity_decomposerEEEEE10hipError_tT0_T1_T2_jT3_P12ihipStream_tbPNSt15iterator_traitsISK_E10value_typeEPNSQ_ISL_E10value_typeEPSM_NS1_7vsmem_tEENKUlT_SK_SL_SM_E_clISE_PiSF_SF_EESJ_SZ_SK_SL_SM_EUlSZ_E_NS1_11comp_targetILNS1_3genE10ELNS1_11target_archE1201ELNS1_3gpuE5ELNS1_3repE0EEENS1_48merge_mergepath_partition_config_static_selectorELNS0_4arch9wavefront6targetE0EEEvSL_
    .private_segment_fixed_size: 0
    .sgpr_count:     0
    .sgpr_spill_count: 0
    .symbol:         _ZN7rocprim17ROCPRIM_400000_NS6detail17trampoline_kernelINS0_14default_configENS1_38merge_sort_block_merge_config_selectorIiNS0_10empty_typeEEEZZNS1_27merge_sort_block_merge_implIS3_N6thrust23THRUST_200600_302600_NS6detail15normal_iteratorINS9_10device_ptrIiEEEEPS5_jNS1_19radix_merge_compareILb0ELb0EiNS0_19identity_decomposerEEEEE10hipError_tT0_T1_T2_jT3_P12ihipStream_tbPNSt15iterator_traitsISK_E10value_typeEPNSQ_ISL_E10value_typeEPSM_NS1_7vsmem_tEENKUlT_SK_SL_SM_E_clISE_PiSF_SF_EESJ_SZ_SK_SL_SM_EUlSZ_E_NS1_11comp_targetILNS1_3genE10ELNS1_11target_archE1201ELNS1_3gpuE5ELNS1_3repE0EEENS1_48merge_mergepath_partition_config_static_selectorELNS0_4arch9wavefront6targetE0EEEvSL_.kd
    .uniform_work_group_size: 1
    .uses_dynamic_stack: false
    .vgpr_count:     0
    .vgpr_spill_count: 0
    .wavefront_size: 32
    .workgroup_processor_mode: 1
  - .args:
      - .offset:         0
        .size:           40
        .value_kind:     by_value
    .group_segment_fixed_size: 0
    .kernarg_segment_align: 8
    .kernarg_segment_size: 40
    .language:       OpenCL C
    .language_version:
      - 2
      - 0
    .max_flat_workgroup_size: 128
    .name:           _ZN7rocprim17ROCPRIM_400000_NS6detail17trampoline_kernelINS0_14default_configENS1_38merge_sort_block_merge_config_selectorIiNS0_10empty_typeEEEZZNS1_27merge_sort_block_merge_implIS3_N6thrust23THRUST_200600_302600_NS6detail15normal_iteratorINS9_10device_ptrIiEEEEPS5_jNS1_19radix_merge_compareILb0ELb0EiNS0_19identity_decomposerEEEEE10hipError_tT0_T1_T2_jT3_P12ihipStream_tbPNSt15iterator_traitsISK_E10value_typeEPNSQ_ISL_E10value_typeEPSM_NS1_7vsmem_tEENKUlT_SK_SL_SM_E_clISE_PiSF_SF_EESJ_SZ_SK_SL_SM_EUlSZ_E_NS1_11comp_targetILNS1_3genE5ELNS1_11target_archE942ELNS1_3gpuE9ELNS1_3repE0EEENS1_48merge_mergepath_partition_config_static_selectorELNS0_4arch9wavefront6targetE0EEEvSL_
    .private_segment_fixed_size: 0
    .sgpr_count:     0
    .sgpr_spill_count: 0
    .symbol:         _ZN7rocprim17ROCPRIM_400000_NS6detail17trampoline_kernelINS0_14default_configENS1_38merge_sort_block_merge_config_selectorIiNS0_10empty_typeEEEZZNS1_27merge_sort_block_merge_implIS3_N6thrust23THRUST_200600_302600_NS6detail15normal_iteratorINS9_10device_ptrIiEEEEPS5_jNS1_19radix_merge_compareILb0ELb0EiNS0_19identity_decomposerEEEEE10hipError_tT0_T1_T2_jT3_P12ihipStream_tbPNSt15iterator_traitsISK_E10value_typeEPNSQ_ISL_E10value_typeEPSM_NS1_7vsmem_tEENKUlT_SK_SL_SM_E_clISE_PiSF_SF_EESJ_SZ_SK_SL_SM_EUlSZ_E_NS1_11comp_targetILNS1_3genE5ELNS1_11target_archE942ELNS1_3gpuE9ELNS1_3repE0EEENS1_48merge_mergepath_partition_config_static_selectorELNS0_4arch9wavefront6targetE0EEEvSL_.kd
    .uniform_work_group_size: 1
    .uses_dynamic_stack: false
    .vgpr_count:     0
    .vgpr_spill_count: 0
    .wavefront_size: 32
    .workgroup_processor_mode: 1
  - .args:
      - .offset:         0
        .size:           40
        .value_kind:     by_value
    .group_segment_fixed_size: 0
    .kernarg_segment_align: 8
    .kernarg_segment_size: 40
    .language:       OpenCL C
    .language_version:
      - 2
      - 0
    .max_flat_workgroup_size: 128
    .name:           _ZN7rocprim17ROCPRIM_400000_NS6detail17trampoline_kernelINS0_14default_configENS1_38merge_sort_block_merge_config_selectorIiNS0_10empty_typeEEEZZNS1_27merge_sort_block_merge_implIS3_N6thrust23THRUST_200600_302600_NS6detail15normal_iteratorINS9_10device_ptrIiEEEEPS5_jNS1_19radix_merge_compareILb0ELb0EiNS0_19identity_decomposerEEEEE10hipError_tT0_T1_T2_jT3_P12ihipStream_tbPNSt15iterator_traitsISK_E10value_typeEPNSQ_ISL_E10value_typeEPSM_NS1_7vsmem_tEENKUlT_SK_SL_SM_E_clISE_PiSF_SF_EESJ_SZ_SK_SL_SM_EUlSZ_E_NS1_11comp_targetILNS1_3genE4ELNS1_11target_archE910ELNS1_3gpuE8ELNS1_3repE0EEENS1_48merge_mergepath_partition_config_static_selectorELNS0_4arch9wavefront6targetE0EEEvSL_
    .private_segment_fixed_size: 0
    .sgpr_count:     0
    .sgpr_spill_count: 0
    .symbol:         _ZN7rocprim17ROCPRIM_400000_NS6detail17trampoline_kernelINS0_14default_configENS1_38merge_sort_block_merge_config_selectorIiNS0_10empty_typeEEEZZNS1_27merge_sort_block_merge_implIS3_N6thrust23THRUST_200600_302600_NS6detail15normal_iteratorINS9_10device_ptrIiEEEEPS5_jNS1_19radix_merge_compareILb0ELb0EiNS0_19identity_decomposerEEEEE10hipError_tT0_T1_T2_jT3_P12ihipStream_tbPNSt15iterator_traitsISK_E10value_typeEPNSQ_ISL_E10value_typeEPSM_NS1_7vsmem_tEENKUlT_SK_SL_SM_E_clISE_PiSF_SF_EESJ_SZ_SK_SL_SM_EUlSZ_E_NS1_11comp_targetILNS1_3genE4ELNS1_11target_archE910ELNS1_3gpuE8ELNS1_3repE0EEENS1_48merge_mergepath_partition_config_static_selectorELNS0_4arch9wavefront6targetE0EEEvSL_.kd
    .uniform_work_group_size: 1
    .uses_dynamic_stack: false
    .vgpr_count:     0
    .vgpr_spill_count: 0
    .wavefront_size: 32
    .workgroup_processor_mode: 1
  - .args:
      - .offset:         0
        .size:           40
        .value_kind:     by_value
    .group_segment_fixed_size: 0
    .kernarg_segment_align: 8
    .kernarg_segment_size: 40
    .language:       OpenCL C
    .language_version:
      - 2
      - 0
    .max_flat_workgroup_size: 128
    .name:           _ZN7rocprim17ROCPRIM_400000_NS6detail17trampoline_kernelINS0_14default_configENS1_38merge_sort_block_merge_config_selectorIiNS0_10empty_typeEEEZZNS1_27merge_sort_block_merge_implIS3_N6thrust23THRUST_200600_302600_NS6detail15normal_iteratorINS9_10device_ptrIiEEEEPS5_jNS1_19radix_merge_compareILb0ELb0EiNS0_19identity_decomposerEEEEE10hipError_tT0_T1_T2_jT3_P12ihipStream_tbPNSt15iterator_traitsISK_E10value_typeEPNSQ_ISL_E10value_typeEPSM_NS1_7vsmem_tEENKUlT_SK_SL_SM_E_clISE_PiSF_SF_EESJ_SZ_SK_SL_SM_EUlSZ_E_NS1_11comp_targetILNS1_3genE3ELNS1_11target_archE908ELNS1_3gpuE7ELNS1_3repE0EEENS1_48merge_mergepath_partition_config_static_selectorELNS0_4arch9wavefront6targetE0EEEvSL_
    .private_segment_fixed_size: 0
    .sgpr_count:     0
    .sgpr_spill_count: 0
    .symbol:         _ZN7rocprim17ROCPRIM_400000_NS6detail17trampoline_kernelINS0_14default_configENS1_38merge_sort_block_merge_config_selectorIiNS0_10empty_typeEEEZZNS1_27merge_sort_block_merge_implIS3_N6thrust23THRUST_200600_302600_NS6detail15normal_iteratorINS9_10device_ptrIiEEEEPS5_jNS1_19radix_merge_compareILb0ELb0EiNS0_19identity_decomposerEEEEE10hipError_tT0_T1_T2_jT3_P12ihipStream_tbPNSt15iterator_traitsISK_E10value_typeEPNSQ_ISL_E10value_typeEPSM_NS1_7vsmem_tEENKUlT_SK_SL_SM_E_clISE_PiSF_SF_EESJ_SZ_SK_SL_SM_EUlSZ_E_NS1_11comp_targetILNS1_3genE3ELNS1_11target_archE908ELNS1_3gpuE7ELNS1_3repE0EEENS1_48merge_mergepath_partition_config_static_selectorELNS0_4arch9wavefront6targetE0EEEvSL_.kd
    .uniform_work_group_size: 1
    .uses_dynamic_stack: false
    .vgpr_count:     0
    .vgpr_spill_count: 0
    .wavefront_size: 32
    .workgroup_processor_mode: 1
  - .args:
      - .offset:         0
        .size:           40
        .value_kind:     by_value
    .group_segment_fixed_size: 0
    .kernarg_segment_align: 8
    .kernarg_segment_size: 40
    .language:       OpenCL C
    .language_version:
      - 2
      - 0
    .max_flat_workgroup_size: 128
    .name:           _ZN7rocprim17ROCPRIM_400000_NS6detail17trampoline_kernelINS0_14default_configENS1_38merge_sort_block_merge_config_selectorIiNS0_10empty_typeEEEZZNS1_27merge_sort_block_merge_implIS3_N6thrust23THRUST_200600_302600_NS6detail15normal_iteratorINS9_10device_ptrIiEEEEPS5_jNS1_19radix_merge_compareILb0ELb0EiNS0_19identity_decomposerEEEEE10hipError_tT0_T1_T2_jT3_P12ihipStream_tbPNSt15iterator_traitsISK_E10value_typeEPNSQ_ISL_E10value_typeEPSM_NS1_7vsmem_tEENKUlT_SK_SL_SM_E_clISE_PiSF_SF_EESJ_SZ_SK_SL_SM_EUlSZ_E_NS1_11comp_targetILNS1_3genE2ELNS1_11target_archE906ELNS1_3gpuE6ELNS1_3repE0EEENS1_48merge_mergepath_partition_config_static_selectorELNS0_4arch9wavefront6targetE0EEEvSL_
    .private_segment_fixed_size: 0
    .sgpr_count:     0
    .sgpr_spill_count: 0
    .symbol:         _ZN7rocprim17ROCPRIM_400000_NS6detail17trampoline_kernelINS0_14default_configENS1_38merge_sort_block_merge_config_selectorIiNS0_10empty_typeEEEZZNS1_27merge_sort_block_merge_implIS3_N6thrust23THRUST_200600_302600_NS6detail15normal_iteratorINS9_10device_ptrIiEEEEPS5_jNS1_19radix_merge_compareILb0ELb0EiNS0_19identity_decomposerEEEEE10hipError_tT0_T1_T2_jT3_P12ihipStream_tbPNSt15iterator_traitsISK_E10value_typeEPNSQ_ISL_E10value_typeEPSM_NS1_7vsmem_tEENKUlT_SK_SL_SM_E_clISE_PiSF_SF_EESJ_SZ_SK_SL_SM_EUlSZ_E_NS1_11comp_targetILNS1_3genE2ELNS1_11target_archE906ELNS1_3gpuE6ELNS1_3repE0EEENS1_48merge_mergepath_partition_config_static_selectorELNS0_4arch9wavefront6targetE0EEEvSL_.kd
    .uniform_work_group_size: 1
    .uses_dynamic_stack: false
    .vgpr_count:     0
    .vgpr_spill_count: 0
    .wavefront_size: 32
    .workgroup_processor_mode: 1
  - .args:
      - .offset:         0
        .size:           40
        .value_kind:     by_value
    .group_segment_fixed_size: 0
    .kernarg_segment_align: 8
    .kernarg_segment_size: 40
    .language:       OpenCL C
    .language_version:
      - 2
      - 0
    .max_flat_workgroup_size: 128
    .name:           _ZN7rocprim17ROCPRIM_400000_NS6detail17trampoline_kernelINS0_14default_configENS1_38merge_sort_block_merge_config_selectorIiNS0_10empty_typeEEEZZNS1_27merge_sort_block_merge_implIS3_N6thrust23THRUST_200600_302600_NS6detail15normal_iteratorINS9_10device_ptrIiEEEEPS5_jNS1_19radix_merge_compareILb0ELb0EiNS0_19identity_decomposerEEEEE10hipError_tT0_T1_T2_jT3_P12ihipStream_tbPNSt15iterator_traitsISK_E10value_typeEPNSQ_ISL_E10value_typeEPSM_NS1_7vsmem_tEENKUlT_SK_SL_SM_E_clISE_PiSF_SF_EESJ_SZ_SK_SL_SM_EUlSZ_E_NS1_11comp_targetILNS1_3genE9ELNS1_11target_archE1100ELNS1_3gpuE3ELNS1_3repE0EEENS1_48merge_mergepath_partition_config_static_selectorELNS0_4arch9wavefront6targetE0EEEvSL_
    .private_segment_fixed_size: 0
    .sgpr_count:     0
    .sgpr_spill_count: 0
    .symbol:         _ZN7rocprim17ROCPRIM_400000_NS6detail17trampoline_kernelINS0_14default_configENS1_38merge_sort_block_merge_config_selectorIiNS0_10empty_typeEEEZZNS1_27merge_sort_block_merge_implIS3_N6thrust23THRUST_200600_302600_NS6detail15normal_iteratorINS9_10device_ptrIiEEEEPS5_jNS1_19radix_merge_compareILb0ELb0EiNS0_19identity_decomposerEEEEE10hipError_tT0_T1_T2_jT3_P12ihipStream_tbPNSt15iterator_traitsISK_E10value_typeEPNSQ_ISL_E10value_typeEPSM_NS1_7vsmem_tEENKUlT_SK_SL_SM_E_clISE_PiSF_SF_EESJ_SZ_SK_SL_SM_EUlSZ_E_NS1_11comp_targetILNS1_3genE9ELNS1_11target_archE1100ELNS1_3gpuE3ELNS1_3repE0EEENS1_48merge_mergepath_partition_config_static_selectorELNS0_4arch9wavefront6targetE0EEEvSL_.kd
    .uniform_work_group_size: 1
    .uses_dynamic_stack: false
    .vgpr_count:     0
    .vgpr_spill_count: 0
    .wavefront_size: 32
    .workgroup_processor_mode: 1
  - .args:
      - .offset:         0
        .size:           40
        .value_kind:     by_value
    .group_segment_fixed_size: 0
    .kernarg_segment_align: 8
    .kernarg_segment_size: 40
    .language:       OpenCL C
    .language_version:
      - 2
      - 0
    .max_flat_workgroup_size: 128
    .name:           _ZN7rocprim17ROCPRIM_400000_NS6detail17trampoline_kernelINS0_14default_configENS1_38merge_sort_block_merge_config_selectorIiNS0_10empty_typeEEEZZNS1_27merge_sort_block_merge_implIS3_N6thrust23THRUST_200600_302600_NS6detail15normal_iteratorINS9_10device_ptrIiEEEEPS5_jNS1_19radix_merge_compareILb0ELb0EiNS0_19identity_decomposerEEEEE10hipError_tT0_T1_T2_jT3_P12ihipStream_tbPNSt15iterator_traitsISK_E10value_typeEPNSQ_ISL_E10value_typeEPSM_NS1_7vsmem_tEENKUlT_SK_SL_SM_E_clISE_PiSF_SF_EESJ_SZ_SK_SL_SM_EUlSZ_E_NS1_11comp_targetILNS1_3genE8ELNS1_11target_archE1030ELNS1_3gpuE2ELNS1_3repE0EEENS1_48merge_mergepath_partition_config_static_selectorELNS0_4arch9wavefront6targetE0EEEvSL_
    .private_segment_fixed_size: 0
    .sgpr_count:     9
    .sgpr_spill_count: 0
    .symbol:         _ZN7rocprim17ROCPRIM_400000_NS6detail17trampoline_kernelINS0_14default_configENS1_38merge_sort_block_merge_config_selectorIiNS0_10empty_typeEEEZZNS1_27merge_sort_block_merge_implIS3_N6thrust23THRUST_200600_302600_NS6detail15normal_iteratorINS9_10device_ptrIiEEEEPS5_jNS1_19radix_merge_compareILb0ELb0EiNS0_19identity_decomposerEEEEE10hipError_tT0_T1_T2_jT3_P12ihipStream_tbPNSt15iterator_traitsISK_E10value_typeEPNSQ_ISL_E10value_typeEPSM_NS1_7vsmem_tEENKUlT_SK_SL_SM_E_clISE_PiSF_SF_EESJ_SZ_SK_SL_SM_EUlSZ_E_NS1_11comp_targetILNS1_3genE8ELNS1_11target_archE1030ELNS1_3gpuE2ELNS1_3repE0EEENS1_48merge_mergepath_partition_config_static_selectorELNS0_4arch9wavefront6targetE0EEEvSL_.kd
    .uniform_work_group_size: 1
    .uses_dynamic_stack: false
    .vgpr_count:     15
    .vgpr_spill_count: 0
    .wavefront_size: 32
    .workgroup_processor_mode: 1
  - .args:
      - .offset:         0
        .size:           64
        .value_kind:     by_value
    .group_segment_fixed_size: 0
    .kernarg_segment_align: 8
    .kernarg_segment_size: 64
    .language:       OpenCL C
    .language_version:
      - 2
      - 0
    .max_flat_workgroup_size: 128
    .name:           _ZN7rocprim17ROCPRIM_400000_NS6detail17trampoline_kernelINS0_14default_configENS1_38merge_sort_block_merge_config_selectorIiNS0_10empty_typeEEEZZNS1_27merge_sort_block_merge_implIS3_N6thrust23THRUST_200600_302600_NS6detail15normal_iteratorINS9_10device_ptrIiEEEEPS5_jNS1_19radix_merge_compareILb0ELb0EiNS0_19identity_decomposerEEEEE10hipError_tT0_T1_T2_jT3_P12ihipStream_tbPNSt15iterator_traitsISK_E10value_typeEPNSQ_ISL_E10value_typeEPSM_NS1_7vsmem_tEENKUlT_SK_SL_SM_E_clISE_PiSF_SF_EESJ_SZ_SK_SL_SM_EUlSZ_E0_NS1_11comp_targetILNS1_3genE0ELNS1_11target_archE4294967295ELNS1_3gpuE0ELNS1_3repE0EEENS1_38merge_mergepath_config_static_selectorELNS0_4arch9wavefront6targetE0EEEvSL_
    .private_segment_fixed_size: 0
    .sgpr_count:     0
    .sgpr_spill_count: 0
    .symbol:         _ZN7rocprim17ROCPRIM_400000_NS6detail17trampoline_kernelINS0_14default_configENS1_38merge_sort_block_merge_config_selectorIiNS0_10empty_typeEEEZZNS1_27merge_sort_block_merge_implIS3_N6thrust23THRUST_200600_302600_NS6detail15normal_iteratorINS9_10device_ptrIiEEEEPS5_jNS1_19radix_merge_compareILb0ELb0EiNS0_19identity_decomposerEEEEE10hipError_tT0_T1_T2_jT3_P12ihipStream_tbPNSt15iterator_traitsISK_E10value_typeEPNSQ_ISL_E10value_typeEPSM_NS1_7vsmem_tEENKUlT_SK_SL_SM_E_clISE_PiSF_SF_EESJ_SZ_SK_SL_SM_EUlSZ_E0_NS1_11comp_targetILNS1_3genE0ELNS1_11target_archE4294967295ELNS1_3gpuE0ELNS1_3repE0EEENS1_38merge_mergepath_config_static_selectorELNS0_4arch9wavefront6targetE0EEEvSL_.kd
    .uniform_work_group_size: 1
    .uses_dynamic_stack: false
    .vgpr_count:     0
    .vgpr_spill_count: 0
    .wavefront_size: 32
    .workgroup_processor_mode: 1
  - .args:
      - .offset:         0
        .size:           64
        .value_kind:     by_value
    .group_segment_fixed_size: 0
    .kernarg_segment_align: 8
    .kernarg_segment_size: 64
    .language:       OpenCL C
    .language_version:
      - 2
      - 0
    .max_flat_workgroup_size: 256
    .name:           _ZN7rocprim17ROCPRIM_400000_NS6detail17trampoline_kernelINS0_14default_configENS1_38merge_sort_block_merge_config_selectorIiNS0_10empty_typeEEEZZNS1_27merge_sort_block_merge_implIS3_N6thrust23THRUST_200600_302600_NS6detail15normal_iteratorINS9_10device_ptrIiEEEEPS5_jNS1_19radix_merge_compareILb0ELb0EiNS0_19identity_decomposerEEEEE10hipError_tT0_T1_T2_jT3_P12ihipStream_tbPNSt15iterator_traitsISK_E10value_typeEPNSQ_ISL_E10value_typeEPSM_NS1_7vsmem_tEENKUlT_SK_SL_SM_E_clISE_PiSF_SF_EESJ_SZ_SK_SL_SM_EUlSZ_E0_NS1_11comp_targetILNS1_3genE10ELNS1_11target_archE1201ELNS1_3gpuE5ELNS1_3repE0EEENS1_38merge_mergepath_config_static_selectorELNS0_4arch9wavefront6targetE0EEEvSL_
    .private_segment_fixed_size: 0
    .sgpr_count:     0
    .sgpr_spill_count: 0
    .symbol:         _ZN7rocprim17ROCPRIM_400000_NS6detail17trampoline_kernelINS0_14default_configENS1_38merge_sort_block_merge_config_selectorIiNS0_10empty_typeEEEZZNS1_27merge_sort_block_merge_implIS3_N6thrust23THRUST_200600_302600_NS6detail15normal_iteratorINS9_10device_ptrIiEEEEPS5_jNS1_19radix_merge_compareILb0ELb0EiNS0_19identity_decomposerEEEEE10hipError_tT0_T1_T2_jT3_P12ihipStream_tbPNSt15iterator_traitsISK_E10value_typeEPNSQ_ISL_E10value_typeEPSM_NS1_7vsmem_tEENKUlT_SK_SL_SM_E_clISE_PiSF_SF_EESJ_SZ_SK_SL_SM_EUlSZ_E0_NS1_11comp_targetILNS1_3genE10ELNS1_11target_archE1201ELNS1_3gpuE5ELNS1_3repE0EEENS1_38merge_mergepath_config_static_selectorELNS0_4arch9wavefront6targetE0EEEvSL_.kd
    .uniform_work_group_size: 1
    .uses_dynamic_stack: false
    .vgpr_count:     0
    .vgpr_spill_count: 0
    .wavefront_size: 32
    .workgroup_processor_mode: 1
  - .args:
      - .offset:         0
        .size:           64
        .value_kind:     by_value
    .group_segment_fixed_size: 0
    .kernarg_segment_align: 8
    .kernarg_segment_size: 64
    .language:       OpenCL C
    .language_version:
      - 2
      - 0
    .max_flat_workgroup_size: 128
    .name:           _ZN7rocprim17ROCPRIM_400000_NS6detail17trampoline_kernelINS0_14default_configENS1_38merge_sort_block_merge_config_selectorIiNS0_10empty_typeEEEZZNS1_27merge_sort_block_merge_implIS3_N6thrust23THRUST_200600_302600_NS6detail15normal_iteratorINS9_10device_ptrIiEEEEPS5_jNS1_19radix_merge_compareILb0ELb0EiNS0_19identity_decomposerEEEEE10hipError_tT0_T1_T2_jT3_P12ihipStream_tbPNSt15iterator_traitsISK_E10value_typeEPNSQ_ISL_E10value_typeEPSM_NS1_7vsmem_tEENKUlT_SK_SL_SM_E_clISE_PiSF_SF_EESJ_SZ_SK_SL_SM_EUlSZ_E0_NS1_11comp_targetILNS1_3genE5ELNS1_11target_archE942ELNS1_3gpuE9ELNS1_3repE0EEENS1_38merge_mergepath_config_static_selectorELNS0_4arch9wavefront6targetE0EEEvSL_
    .private_segment_fixed_size: 0
    .sgpr_count:     0
    .sgpr_spill_count: 0
    .symbol:         _ZN7rocprim17ROCPRIM_400000_NS6detail17trampoline_kernelINS0_14default_configENS1_38merge_sort_block_merge_config_selectorIiNS0_10empty_typeEEEZZNS1_27merge_sort_block_merge_implIS3_N6thrust23THRUST_200600_302600_NS6detail15normal_iteratorINS9_10device_ptrIiEEEEPS5_jNS1_19radix_merge_compareILb0ELb0EiNS0_19identity_decomposerEEEEE10hipError_tT0_T1_T2_jT3_P12ihipStream_tbPNSt15iterator_traitsISK_E10value_typeEPNSQ_ISL_E10value_typeEPSM_NS1_7vsmem_tEENKUlT_SK_SL_SM_E_clISE_PiSF_SF_EESJ_SZ_SK_SL_SM_EUlSZ_E0_NS1_11comp_targetILNS1_3genE5ELNS1_11target_archE942ELNS1_3gpuE9ELNS1_3repE0EEENS1_38merge_mergepath_config_static_selectorELNS0_4arch9wavefront6targetE0EEEvSL_.kd
    .uniform_work_group_size: 1
    .uses_dynamic_stack: false
    .vgpr_count:     0
    .vgpr_spill_count: 0
    .wavefront_size: 32
    .workgroup_processor_mode: 1
  - .args:
      - .offset:         0
        .size:           64
        .value_kind:     by_value
    .group_segment_fixed_size: 0
    .kernarg_segment_align: 8
    .kernarg_segment_size: 64
    .language:       OpenCL C
    .language_version:
      - 2
      - 0
    .max_flat_workgroup_size: 128
    .name:           _ZN7rocprim17ROCPRIM_400000_NS6detail17trampoline_kernelINS0_14default_configENS1_38merge_sort_block_merge_config_selectorIiNS0_10empty_typeEEEZZNS1_27merge_sort_block_merge_implIS3_N6thrust23THRUST_200600_302600_NS6detail15normal_iteratorINS9_10device_ptrIiEEEEPS5_jNS1_19radix_merge_compareILb0ELb0EiNS0_19identity_decomposerEEEEE10hipError_tT0_T1_T2_jT3_P12ihipStream_tbPNSt15iterator_traitsISK_E10value_typeEPNSQ_ISL_E10value_typeEPSM_NS1_7vsmem_tEENKUlT_SK_SL_SM_E_clISE_PiSF_SF_EESJ_SZ_SK_SL_SM_EUlSZ_E0_NS1_11comp_targetILNS1_3genE4ELNS1_11target_archE910ELNS1_3gpuE8ELNS1_3repE0EEENS1_38merge_mergepath_config_static_selectorELNS0_4arch9wavefront6targetE0EEEvSL_
    .private_segment_fixed_size: 0
    .sgpr_count:     0
    .sgpr_spill_count: 0
    .symbol:         _ZN7rocprim17ROCPRIM_400000_NS6detail17trampoline_kernelINS0_14default_configENS1_38merge_sort_block_merge_config_selectorIiNS0_10empty_typeEEEZZNS1_27merge_sort_block_merge_implIS3_N6thrust23THRUST_200600_302600_NS6detail15normal_iteratorINS9_10device_ptrIiEEEEPS5_jNS1_19radix_merge_compareILb0ELb0EiNS0_19identity_decomposerEEEEE10hipError_tT0_T1_T2_jT3_P12ihipStream_tbPNSt15iterator_traitsISK_E10value_typeEPNSQ_ISL_E10value_typeEPSM_NS1_7vsmem_tEENKUlT_SK_SL_SM_E_clISE_PiSF_SF_EESJ_SZ_SK_SL_SM_EUlSZ_E0_NS1_11comp_targetILNS1_3genE4ELNS1_11target_archE910ELNS1_3gpuE8ELNS1_3repE0EEENS1_38merge_mergepath_config_static_selectorELNS0_4arch9wavefront6targetE0EEEvSL_.kd
    .uniform_work_group_size: 1
    .uses_dynamic_stack: false
    .vgpr_count:     0
    .vgpr_spill_count: 0
    .wavefront_size: 32
    .workgroup_processor_mode: 1
  - .args:
      - .offset:         0
        .size:           64
        .value_kind:     by_value
    .group_segment_fixed_size: 0
    .kernarg_segment_align: 8
    .kernarg_segment_size: 64
    .language:       OpenCL C
    .language_version:
      - 2
      - 0
    .max_flat_workgroup_size: 128
    .name:           _ZN7rocprim17ROCPRIM_400000_NS6detail17trampoline_kernelINS0_14default_configENS1_38merge_sort_block_merge_config_selectorIiNS0_10empty_typeEEEZZNS1_27merge_sort_block_merge_implIS3_N6thrust23THRUST_200600_302600_NS6detail15normal_iteratorINS9_10device_ptrIiEEEEPS5_jNS1_19radix_merge_compareILb0ELb0EiNS0_19identity_decomposerEEEEE10hipError_tT0_T1_T2_jT3_P12ihipStream_tbPNSt15iterator_traitsISK_E10value_typeEPNSQ_ISL_E10value_typeEPSM_NS1_7vsmem_tEENKUlT_SK_SL_SM_E_clISE_PiSF_SF_EESJ_SZ_SK_SL_SM_EUlSZ_E0_NS1_11comp_targetILNS1_3genE3ELNS1_11target_archE908ELNS1_3gpuE7ELNS1_3repE0EEENS1_38merge_mergepath_config_static_selectorELNS0_4arch9wavefront6targetE0EEEvSL_
    .private_segment_fixed_size: 0
    .sgpr_count:     0
    .sgpr_spill_count: 0
    .symbol:         _ZN7rocprim17ROCPRIM_400000_NS6detail17trampoline_kernelINS0_14default_configENS1_38merge_sort_block_merge_config_selectorIiNS0_10empty_typeEEEZZNS1_27merge_sort_block_merge_implIS3_N6thrust23THRUST_200600_302600_NS6detail15normal_iteratorINS9_10device_ptrIiEEEEPS5_jNS1_19radix_merge_compareILb0ELb0EiNS0_19identity_decomposerEEEEE10hipError_tT0_T1_T2_jT3_P12ihipStream_tbPNSt15iterator_traitsISK_E10value_typeEPNSQ_ISL_E10value_typeEPSM_NS1_7vsmem_tEENKUlT_SK_SL_SM_E_clISE_PiSF_SF_EESJ_SZ_SK_SL_SM_EUlSZ_E0_NS1_11comp_targetILNS1_3genE3ELNS1_11target_archE908ELNS1_3gpuE7ELNS1_3repE0EEENS1_38merge_mergepath_config_static_selectorELNS0_4arch9wavefront6targetE0EEEvSL_.kd
    .uniform_work_group_size: 1
    .uses_dynamic_stack: false
    .vgpr_count:     0
    .vgpr_spill_count: 0
    .wavefront_size: 32
    .workgroup_processor_mode: 1
  - .args:
      - .offset:         0
        .size:           64
        .value_kind:     by_value
    .group_segment_fixed_size: 0
    .kernarg_segment_align: 8
    .kernarg_segment_size: 64
    .language:       OpenCL C
    .language_version:
      - 2
      - 0
    .max_flat_workgroup_size: 128
    .name:           _ZN7rocprim17ROCPRIM_400000_NS6detail17trampoline_kernelINS0_14default_configENS1_38merge_sort_block_merge_config_selectorIiNS0_10empty_typeEEEZZNS1_27merge_sort_block_merge_implIS3_N6thrust23THRUST_200600_302600_NS6detail15normal_iteratorINS9_10device_ptrIiEEEEPS5_jNS1_19radix_merge_compareILb0ELb0EiNS0_19identity_decomposerEEEEE10hipError_tT0_T1_T2_jT3_P12ihipStream_tbPNSt15iterator_traitsISK_E10value_typeEPNSQ_ISL_E10value_typeEPSM_NS1_7vsmem_tEENKUlT_SK_SL_SM_E_clISE_PiSF_SF_EESJ_SZ_SK_SL_SM_EUlSZ_E0_NS1_11comp_targetILNS1_3genE2ELNS1_11target_archE906ELNS1_3gpuE6ELNS1_3repE0EEENS1_38merge_mergepath_config_static_selectorELNS0_4arch9wavefront6targetE0EEEvSL_
    .private_segment_fixed_size: 0
    .sgpr_count:     0
    .sgpr_spill_count: 0
    .symbol:         _ZN7rocprim17ROCPRIM_400000_NS6detail17trampoline_kernelINS0_14default_configENS1_38merge_sort_block_merge_config_selectorIiNS0_10empty_typeEEEZZNS1_27merge_sort_block_merge_implIS3_N6thrust23THRUST_200600_302600_NS6detail15normal_iteratorINS9_10device_ptrIiEEEEPS5_jNS1_19radix_merge_compareILb0ELb0EiNS0_19identity_decomposerEEEEE10hipError_tT0_T1_T2_jT3_P12ihipStream_tbPNSt15iterator_traitsISK_E10value_typeEPNSQ_ISL_E10value_typeEPSM_NS1_7vsmem_tEENKUlT_SK_SL_SM_E_clISE_PiSF_SF_EESJ_SZ_SK_SL_SM_EUlSZ_E0_NS1_11comp_targetILNS1_3genE2ELNS1_11target_archE906ELNS1_3gpuE6ELNS1_3repE0EEENS1_38merge_mergepath_config_static_selectorELNS0_4arch9wavefront6targetE0EEEvSL_.kd
    .uniform_work_group_size: 1
    .uses_dynamic_stack: false
    .vgpr_count:     0
    .vgpr_spill_count: 0
    .wavefront_size: 32
    .workgroup_processor_mode: 1
  - .args:
      - .offset:         0
        .size:           64
        .value_kind:     by_value
    .group_segment_fixed_size: 0
    .kernarg_segment_align: 8
    .kernarg_segment_size: 64
    .language:       OpenCL C
    .language_version:
      - 2
      - 0
    .max_flat_workgroup_size: 256
    .name:           _ZN7rocprim17ROCPRIM_400000_NS6detail17trampoline_kernelINS0_14default_configENS1_38merge_sort_block_merge_config_selectorIiNS0_10empty_typeEEEZZNS1_27merge_sort_block_merge_implIS3_N6thrust23THRUST_200600_302600_NS6detail15normal_iteratorINS9_10device_ptrIiEEEEPS5_jNS1_19radix_merge_compareILb0ELb0EiNS0_19identity_decomposerEEEEE10hipError_tT0_T1_T2_jT3_P12ihipStream_tbPNSt15iterator_traitsISK_E10value_typeEPNSQ_ISL_E10value_typeEPSM_NS1_7vsmem_tEENKUlT_SK_SL_SM_E_clISE_PiSF_SF_EESJ_SZ_SK_SL_SM_EUlSZ_E0_NS1_11comp_targetILNS1_3genE9ELNS1_11target_archE1100ELNS1_3gpuE3ELNS1_3repE0EEENS1_38merge_mergepath_config_static_selectorELNS0_4arch9wavefront6targetE0EEEvSL_
    .private_segment_fixed_size: 0
    .sgpr_count:     0
    .sgpr_spill_count: 0
    .symbol:         _ZN7rocprim17ROCPRIM_400000_NS6detail17trampoline_kernelINS0_14default_configENS1_38merge_sort_block_merge_config_selectorIiNS0_10empty_typeEEEZZNS1_27merge_sort_block_merge_implIS3_N6thrust23THRUST_200600_302600_NS6detail15normal_iteratorINS9_10device_ptrIiEEEEPS5_jNS1_19radix_merge_compareILb0ELb0EiNS0_19identity_decomposerEEEEE10hipError_tT0_T1_T2_jT3_P12ihipStream_tbPNSt15iterator_traitsISK_E10value_typeEPNSQ_ISL_E10value_typeEPSM_NS1_7vsmem_tEENKUlT_SK_SL_SM_E_clISE_PiSF_SF_EESJ_SZ_SK_SL_SM_EUlSZ_E0_NS1_11comp_targetILNS1_3genE9ELNS1_11target_archE1100ELNS1_3gpuE3ELNS1_3repE0EEENS1_38merge_mergepath_config_static_selectorELNS0_4arch9wavefront6targetE0EEEvSL_.kd
    .uniform_work_group_size: 1
    .uses_dynamic_stack: false
    .vgpr_count:     0
    .vgpr_spill_count: 0
    .wavefront_size: 32
    .workgroup_processor_mode: 1
  - .args:
      - .offset:         0
        .size:           64
        .value_kind:     by_value
      - .offset:         64
        .size:           4
        .value_kind:     hidden_block_count_x
      - .offset:         68
        .size:           4
        .value_kind:     hidden_block_count_y
      - .offset:         72
        .size:           4
        .value_kind:     hidden_block_count_z
      - .offset:         76
        .size:           2
        .value_kind:     hidden_group_size_x
      - .offset:         78
        .size:           2
        .value_kind:     hidden_group_size_y
      - .offset:         80
        .size:           2
        .value_kind:     hidden_group_size_z
      - .offset:         82
        .size:           2
        .value_kind:     hidden_remainder_x
      - .offset:         84
        .size:           2
        .value_kind:     hidden_remainder_y
      - .offset:         86
        .size:           2
        .value_kind:     hidden_remainder_z
      - .offset:         104
        .size:           8
        .value_kind:     hidden_global_offset_x
      - .offset:         112
        .size:           8
        .value_kind:     hidden_global_offset_y
      - .offset:         120
        .size:           8
        .value_kind:     hidden_global_offset_z
      - .offset:         128
        .size:           2
        .value_kind:     hidden_grid_dims
    .group_segment_fixed_size: 4224
    .kernarg_segment_align: 8
    .kernarg_segment_size: 320
    .language:       OpenCL C
    .language_version:
      - 2
      - 0
    .max_flat_workgroup_size: 512
    .name:           _ZN7rocprim17ROCPRIM_400000_NS6detail17trampoline_kernelINS0_14default_configENS1_38merge_sort_block_merge_config_selectorIiNS0_10empty_typeEEEZZNS1_27merge_sort_block_merge_implIS3_N6thrust23THRUST_200600_302600_NS6detail15normal_iteratorINS9_10device_ptrIiEEEEPS5_jNS1_19radix_merge_compareILb0ELb0EiNS0_19identity_decomposerEEEEE10hipError_tT0_T1_T2_jT3_P12ihipStream_tbPNSt15iterator_traitsISK_E10value_typeEPNSQ_ISL_E10value_typeEPSM_NS1_7vsmem_tEENKUlT_SK_SL_SM_E_clISE_PiSF_SF_EESJ_SZ_SK_SL_SM_EUlSZ_E0_NS1_11comp_targetILNS1_3genE8ELNS1_11target_archE1030ELNS1_3gpuE2ELNS1_3repE0EEENS1_38merge_mergepath_config_static_selectorELNS0_4arch9wavefront6targetE0EEEvSL_
    .private_segment_fixed_size: 0
    .sgpr_count:     25
    .sgpr_spill_count: 0
    .symbol:         _ZN7rocprim17ROCPRIM_400000_NS6detail17trampoline_kernelINS0_14default_configENS1_38merge_sort_block_merge_config_selectorIiNS0_10empty_typeEEEZZNS1_27merge_sort_block_merge_implIS3_N6thrust23THRUST_200600_302600_NS6detail15normal_iteratorINS9_10device_ptrIiEEEEPS5_jNS1_19radix_merge_compareILb0ELb0EiNS0_19identity_decomposerEEEEE10hipError_tT0_T1_T2_jT3_P12ihipStream_tbPNSt15iterator_traitsISK_E10value_typeEPNSQ_ISL_E10value_typeEPSM_NS1_7vsmem_tEENKUlT_SK_SL_SM_E_clISE_PiSF_SF_EESJ_SZ_SK_SL_SM_EUlSZ_E0_NS1_11comp_targetILNS1_3genE8ELNS1_11target_archE1030ELNS1_3gpuE2ELNS1_3repE0EEENS1_38merge_mergepath_config_static_selectorELNS0_4arch9wavefront6targetE0EEEvSL_.kd
    .uniform_work_group_size: 1
    .uses_dynamic_stack: false
    .vgpr_count:     14
    .vgpr_spill_count: 0
    .wavefront_size: 32
    .workgroup_processor_mode: 1
  - .args:
      - .offset:         0
        .size:           48
        .value_kind:     by_value
    .group_segment_fixed_size: 0
    .kernarg_segment_align: 8
    .kernarg_segment_size: 48
    .language:       OpenCL C
    .language_version:
      - 2
      - 0
    .max_flat_workgroup_size: 256
    .name:           _ZN7rocprim17ROCPRIM_400000_NS6detail17trampoline_kernelINS0_14default_configENS1_38merge_sort_block_merge_config_selectorIiNS0_10empty_typeEEEZZNS1_27merge_sort_block_merge_implIS3_N6thrust23THRUST_200600_302600_NS6detail15normal_iteratorINS9_10device_ptrIiEEEEPS5_jNS1_19radix_merge_compareILb0ELb0EiNS0_19identity_decomposerEEEEE10hipError_tT0_T1_T2_jT3_P12ihipStream_tbPNSt15iterator_traitsISK_E10value_typeEPNSQ_ISL_E10value_typeEPSM_NS1_7vsmem_tEENKUlT_SK_SL_SM_E_clISE_PiSF_SF_EESJ_SZ_SK_SL_SM_EUlSZ_E1_NS1_11comp_targetILNS1_3genE0ELNS1_11target_archE4294967295ELNS1_3gpuE0ELNS1_3repE0EEENS1_36merge_oddeven_config_static_selectorELNS0_4arch9wavefront6targetE0EEEvSL_
    .private_segment_fixed_size: 0
    .sgpr_count:     0
    .sgpr_spill_count: 0
    .symbol:         _ZN7rocprim17ROCPRIM_400000_NS6detail17trampoline_kernelINS0_14default_configENS1_38merge_sort_block_merge_config_selectorIiNS0_10empty_typeEEEZZNS1_27merge_sort_block_merge_implIS3_N6thrust23THRUST_200600_302600_NS6detail15normal_iteratorINS9_10device_ptrIiEEEEPS5_jNS1_19radix_merge_compareILb0ELb0EiNS0_19identity_decomposerEEEEE10hipError_tT0_T1_T2_jT3_P12ihipStream_tbPNSt15iterator_traitsISK_E10value_typeEPNSQ_ISL_E10value_typeEPSM_NS1_7vsmem_tEENKUlT_SK_SL_SM_E_clISE_PiSF_SF_EESJ_SZ_SK_SL_SM_EUlSZ_E1_NS1_11comp_targetILNS1_3genE0ELNS1_11target_archE4294967295ELNS1_3gpuE0ELNS1_3repE0EEENS1_36merge_oddeven_config_static_selectorELNS0_4arch9wavefront6targetE0EEEvSL_.kd
    .uniform_work_group_size: 1
    .uses_dynamic_stack: false
    .vgpr_count:     0
    .vgpr_spill_count: 0
    .wavefront_size: 32
    .workgroup_processor_mode: 1
  - .args:
      - .offset:         0
        .size:           48
        .value_kind:     by_value
    .group_segment_fixed_size: 0
    .kernarg_segment_align: 8
    .kernarg_segment_size: 48
    .language:       OpenCL C
    .language_version:
      - 2
      - 0
    .max_flat_workgroup_size: 256
    .name:           _ZN7rocprim17ROCPRIM_400000_NS6detail17trampoline_kernelINS0_14default_configENS1_38merge_sort_block_merge_config_selectorIiNS0_10empty_typeEEEZZNS1_27merge_sort_block_merge_implIS3_N6thrust23THRUST_200600_302600_NS6detail15normal_iteratorINS9_10device_ptrIiEEEEPS5_jNS1_19radix_merge_compareILb0ELb0EiNS0_19identity_decomposerEEEEE10hipError_tT0_T1_T2_jT3_P12ihipStream_tbPNSt15iterator_traitsISK_E10value_typeEPNSQ_ISL_E10value_typeEPSM_NS1_7vsmem_tEENKUlT_SK_SL_SM_E_clISE_PiSF_SF_EESJ_SZ_SK_SL_SM_EUlSZ_E1_NS1_11comp_targetILNS1_3genE10ELNS1_11target_archE1201ELNS1_3gpuE5ELNS1_3repE0EEENS1_36merge_oddeven_config_static_selectorELNS0_4arch9wavefront6targetE0EEEvSL_
    .private_segment_fixed_size: 0
    .sgpr_count:     0
    .sgpr_spill_count: 0
    .symbol:         _ZN7rocprim17ROCPRIM_400000_NS6detail17trampoline_kernelINS0_14default_configENS1_38merge_sort_block_merge_config_selectorIiNS0_10empty_typeEEEZZNS1_27merge_sort_block_merge_implIS3_N6thrust23THRUST_200600_302600_NS6detail15normal_iteratorINS9_10device_ptrIiEEEEPS5_jNS1_19radix_merge_compareILb0ELb0EiNS0_19identity_decomposerEEEEE10hipError_tT0_T1_T2_jT3_P12ihipStream_tbPNSt15iterator_traitsISK_E10value_typeEPNSQ_ISL_E10value_typeEPSM_NS1_7vsmem_tEENKUlT_SK_SL_SM_E_clISE_PiSF_SF_EESJ_SZ_SK_SL_SM_EUlSZ_E1_NS1_11comp_targetILNS1_3genE10ELNS1_11target_archE1201ELNS1_3gpuE5ELNS1_3repE0EEENS1_36merge_oddeven_config_static_selectorELNS0_4arch9wavefront6targetE0EEEvSL_.kd
    .uniform_work_group_size: 1
    .uses_dynamic_stack: false
    .vgpr_count:     0
    .vgpr_spill_count: 0
    .wavefront_size: 32
    .workgroup_processor_mode: 1
  - .args:
      - .offset:         0
        .size:           48
        .value_kind:     by_value
    .group_segment_fixed_size: 0
    .kernarg_segment_align: 8
    .kernarg_segment_size: 48
    .language:       OpenCL C
    .language_version:
      - 2
      - 0
    .max_flat_workgroup_size: 256
    .name:           _ZN7rocprim17ROCPRIM_400000_NS6detail17trampoline_kernelINS0_14default_configENS1_38merge_sort_block_merge_config_selectorIiNS0_10empty_typeEEEZZNS1_27merge_sort_block_merge_implIS3_N6thrust23THRUST_200600_302600_NS6detail15normal_iteratorINS9_10device_ptrIiEEEEPS5_jNS1_19radix_merge_compareILb0ELb0EiNS0_19identity_decomposerEEEEE10hipError_tT0_T1_T2_jT3_P12ihipStream_tbPNSt15iterator_traitsISK_E10value_typeEPNSQ_ISL_E10value_typeEPSM_NS1_7vsmem_tEENKUlT_SK_SL_SM_E_clISE_PiSF_SF_EESJ_SZ_SK_SL_SM_EUlSZ_E1_NS1_11comp_targetILNS1_3genE5ELNS1_11target_archE942ELNS1_3gpuE9ELNS1_3repE0EEENS1_36merge_oddeven_config_static_selectorELNS0_4arch9wavefront6targetE0EEEvSL_
    .private_segment_fixed_size: 0
    .sgpr_count:     0
    .sgpr_spill_count: 0
    .symbol:         _ZN7rocprim17ROCPRIM_400000_NS6detail17trampoline_kernelINS0_14default_configENS1_38merge_sort_block_merge_config_selectorIiNS0_10empty_typeEEEZZNS1_27merge_sort_block_merge_implIS3_N6thrust23THRUST_200600_302600_NS6detail15normal_iteratorINS9_10device_ptrIiEEEEPS5_jNS1_19radix_merge_compareILb0ELb0EiNS0_19identity_decomposerEEEEE10hipError_tT0_T1_T2_jT3_P12ihipStream_tbPNSt15iterator_traitsISK_E10value_typeEPNSQ_ISL_E10value_typeEPSM_NS1_7vsmem_tEENKUlT_SK_SL_SM_E_clISE_PiSF_SF_EESJ_SZ_SK_SL_SM_EUlSZ_E1_NS1_11comp_targetILNS1_3genE5ELNS1_11target_archE942ELNS1_3gpuE9ELNS1_3repE0EEENS1_36merge_oddeven_config_static_selectorELNS0_4arch9wavefront6targetE0EEEvSL_.kd
    .uniform_work_group_size: 1
    .uses_dynamic_stack: false
    .vgpr_count:     0
    .vgpr_spill_count: 0
    .wavefront_size: 32
    .workgroup_processor_mode: 1
  - .args:
      - .offset:         0
        .size:           48
        .value_kind:     by_value
    .group_segment_fixed_size: 0
    .kernarg_segment_align: 8
    .kernarg_segment_size: 48
    .language:       OpenCL C
    .language_version:
      - 2
      - 0
    .max_flat_workgroup_size: 256
    .name:           _ZN7rocprim17ROCPRIM_400000_NS6detail17trampoline_kernelINS0_14default_configENS1_38merge_sort_block_merge_config_selectorIiNS0_10empty_typeEEEZZNS1_27merge_sort_block_merge_implIS3_N6thrust23THRUST_200600_302600_NS6detail15normal_iteratorINS9_10device_ptrIiEEEEPS5_jNS1_19radix_merge_compareILb0ELb0EiNS0_19identity_decomposerEEEEE10hipError_tT0_T1_T2_jT3_P12ihipStream_tbPNSt15iterator_traitsISK_E10value_typeEPNSQ_ISL_E10value_typeEPSM_NS1_7vsmem_tEENKUlT_SK_SL_SM_E_clISE_PiSF_SF_EESJ_SZ_SK_SL_SM_EUlSZ_E1_NS1_11comp_targetILNS1_3genE4ELNS1_11target_archE910ELNS1_3gpuE8ELNS1_3repE0EEENS1_36merge_oddeven_config_static_selectorELNS0_4arch9wavefront6targetE0EEEvSL_
    .private_segment_fixed_size: 0
    .sgpr_count:     0
    .sgpr_spill_count: 0
    .symbol:         _ZN7rocprim17ROCPRIM_400000_NS6detail17trampoline_kernelINS0_14default_configENS1_38merge_sort_block_merge_config_selectorIiNS0_10empty_typeEEEZZNS1_27merge_sort_block_merge_implIS3_N6thrust23THRUST_200600_302600_NS6detail15normal_iteratorINS9_10device_ptrIiEEEEPS5_jNS1_19radix_merge_compareILb0ELb0EiNS0_19identity_decomposerEEEEE10hipError_tT0_T1_T2_jT3_P12ihipStream_tbPNSt15iterator_traitsISK_E10value_typeEPNSQ_ISL_E10value_typeEPSM_NS1_7vsmem_tEENKUlT_SK_SL_SM_E_clISE_PiSF_SF_EESJ_SZ_SK_SL_SM_EUlSZ_E1_NS1_11comp_targetILNS1_3genE4ELNS1_11target_archE910ELNS1_3gpuE8ELNS1_3repE0EEENS1_36merge_oddeven_config_static_selectorELNS0_4arch9wavefront6targetE0EEEvSL_.kd
    .uniform_work_group_size: 1
    .uses_dynamic_stack: false
    .vgpr_count:     0
    .vgpr_spill_count: 0
    .wavefront_size: 32
    .workgroup_processor_mode: 1
  - .args:
      - .offset:         0
        .size:           48
        .value_kind:     by_value
    .group_segment_fixed_size: 0
    .kernarg_segment_align: 8
    .kernarg_segment_size: 48
    .language:       OpenCL C
    .language_version:
      - 2
      - 0
    .max_flat_workgroup_size: 256
    .name:           _ZN7rocprim17ROCPRIM_400000_NS6detail17trampoline_kernelINS0_14default_configENS1_38merge_sort_block_merge_config_selectorIiNS0_10empty_typeEEEZZNS1_27merge_sort_block_merge_implIS3_N6thrust23THRUST_200600_302600_NS6detail15normal_iteratorINS9_10device_ptrIiEEEEPS5_jNS1_19radix_merge_compareILb0ELb0EiNS0_19identity_decomposerEEEEE10hipError_tT0_T1_T2_jT3_P12ihipStream_tbPNSt15iterator_traitsISK_E10value_typeEPNSQ_ISL_E10value_typeEPSM_NS1_7vsmem_tEENKUlT_SK_SL_SM_E_clISE_PiSF_SF_EESJ_SZ_SK_SL_SM_EUlSZ_E1_NS1_11comp_targetILNS1_3genE3ELNS1_11target_archE908ELNS1_3gpuE7ELNS1_3repE0EEENS1_36merge_oddeven_config_static_selectorELNS0_4arch9wavefront6targetE0EEEvSL_
    .private_segment_fixed_size: 0
    .sgpr_count:     0
    .sgpr_spill_count: 0
    .symbol:         _ZN7rocprim17ROCPRIM_400000_NS6detail17trampoline_kernelINS0_14default_configENS1_38merge_sort_block_merge_config_selectorIiNS0_10empty_typeEEEZZNS1_27merge_sort_block_merge_implIS3_N6thrust23THRUST_200600_302600_NS6detail15normal_iteratorINS9_10device_ptrIiEEEEPS5_jNS1_19radix_merge_compareILb0ELb0EiNS0_19identity_decomposerEEEEE10hipError_tT0_T1_T2_jT3_P12ihipStream_tbPNSt15iterator_traitsISK_E10value_typeEPNSQ_ISL_E10value_typeEPSM_NS1_7vsmem_tEENKUlT_SK_SL_SM_E_clISE_PiSF_SF_EESJ_SZ_SK_SL_SM_EUlSZ_E1_NS1_11comp_targetILNS1_3genE3ELNS1_11target_archE908ELNS1_3gpuE7ELNS1_3repE0EEENS1_36merge_oddeven_config_static_selectorELNS0_4arch9wavefront6targetE0EEEvSL_.kd
    .uniform_work_group_size: 1
    .uses_dynamic_stack: false
    .vgpr_count:     0
    .vgpr_spill_count: 0
    .wavefront_size: 32
    .workgroup_processor_mode: 1
  - .args:
      - .offset:         0
        .size:           48
        .value_kind:     by_value
    .group_segment_fixed_size: 0
    .kernarg_segment_align: 8
    .kernarg_segment_size: 48
    .language:       OpenCL C
    .language_version:
      - 2
      - 0
    .max_flat_workgroup_size: 256
    .name:           _ZN7rocprim17ROCPRIM_400000_NS6detail17trampoline_kernelINS0_14default_configENS1_38merge_sort_block_merge_config_selectorIiNS0_10empty_typeEEEZZNS1_27merge_sort_block_merge_implIS3_N6thrust23THRUST_200600_302600_NS6detail15normal_iteratorINS9_10device_ptrIiEEEEPS5_jNS1_19radix_merge_compareILb0ELb0EiNS0_19identity_decomposerEEEEE10hipError_tT0_T1_T2_jT3_P12ihipStream_tbPNSt15iterator_traitsISK_E10value_typeEPNSQ_ISL_E10value_typeEPSM_NS1_7vsmem_tEENKUlT_SK_SL_SM_E_clISE_PiSF_SF_EESJ_SZ_SK_SL_SM_EUlSZ_E1_NS1_11comp_targetILNS1_3genE2ELNS1_11target_archE906ELNS1_3gpuE6ELNS1_3repE0EEENS1_36merge_oddeven_config_static_selectorELNS0_4arch9wavefront6targetE0EEEvSL_
    .private_segment_fixed_size: 0
    .sgpr_count:     0
    .sgpr_spill_count: 0
    .symbol:         _ZN7rocprim17ROCPRIM_400000_NS6detail17trampoline_kernelINS0_14default_configENS1_38merge_sort_block_merge_config_selectorIiNS0_10empty_typeEEEZZNS1_27merge_sort_block_merge_implIS3_N6thrust23THRUST_200600_302600_NS6detail15normal_iteratorINS9_10device_ptrIiEEEEPS5_jNS1_19radix_merge_compareILb0ELb0EiNS0_19identity_decomposerEEEEE10hipError_tT0_T1_T2_jT3_P12ihipStream_tbPNSt15iterator_traitsISK_E10value_typeEPNSQ_ISL_E10value_typeEPSM_NS1_7vsmem_tEENKUlT_SK_SL_SM_E_clISE_PiSF_SF_EESJ_SZ_SK_SL_SM_EUlSZ_E1_NS1_11comp_targetILNS1_3genE2ELNS1_11target_archE906ELNS1_3gpuE6ELNS1_3repE0EEENS1_36merge_oddeven_config_static_selectorELNS0_4arch9wavefront6targetE0EEEvSL_.kd
    .uniform_work_group_size: 1
    .uses_dynamic_stack: false
    .vgpr_count:     0
    .vgpr_spill_count: 0
    .wavefront_size: 32
    .workgroup_processor_mode: 1
  - .args:
      - .offset:         0
        .size:           48
        .value_kind:     by_value
    .group_segment_fixed_size: 0
    .kernarg_segment_align: 8
    .kernarg_segment_size: 48
    .language:       OpenCL C
    .language_version:
      - 2
      - 0
    .max_flat_workgroup_size: 256
    .name:           _ZN7rocprim17ROCPRIM_400000_NS6detail17trampoline_kernelINS0_14default_configENS1_38merge_sort_block_merge_config_selectorIiNS0_10empty_typeEEEZZNS1_27merge_sort_block_merge_implIS3_N6thrust23THRUST_200600_302600_NS6detail15normal_iteratorINS9_10device_ptrIiEEEEPS5_jNS1_19radix_merge_compareILb0ELb0EiNS0_19identity_decomposerEEEEE10hipError_tT0_T1_T2_jT3_P12ihipStream_tbPNSt15iterator_traitsISK_E10value_typeEPNSQ_ISL_E10value_typeEPSM_NS1_7vsmem_tEENKUlT_SK_SL_SM_E_clISE_PiSF_SF_EESJ_SZ_SK_SL_SM_EUlSZ_E1_NS1_11comp_targetILNS1_3genE9ELNS1_11target_archE1100ELNS1_3gpuE3ELNS1_3repE0EEENS1_36merge_oddeven_config_static_selectorELNS0_4arch9wavefront6targetE0EEEvSL_
    .private_segment_fixed_size: 0
    .sgpr_count:     0
    .sgpr_spill_count: 0
    .symbol:         _ZN7rocprim17ROCPRIM_400000_NS6detail17trampoline_kernelINS0_14default_configENS1_38merge_sort_block_merge_config_selectorIiNS0_10empty_typeEEEZZNS1_27merge_sort_block_merge_implIS3_N6thrust23THRUST_200600_302600_NS6detail15normal_iteratorINS9_10device_ptrIiEEEEPS5_jNS1_19radix_merge_compareILb0ELb0EiNS0_19identity_decomposerEEEEE10hipError_tT0_T1_T2_jT3_P12ihipStream_tbPNSt15iterator_traitsISK_E10value_typeEPNSQ_ISL_E10value_typeEPSM_NS1_7vsmem_tEENKUlT_SK_SL_SM_E_clISE_PiSF_SF_EESJ_SZ_SK_SL_SM_EUlSZ_E1_NS1_11comp_targetILNS1_3genE9ELNS1_11target_archE1100ELNS1_3gpuE3ELNS1_3repE0EEENS1_36merge_oddeven_config_static_selectorELNS0_4arch9wavefront6targetE0EEEvSL_.kd
    .uniform_work_group_size: 1
    .uses_dynamic_stack: false
    .vgpr_count:     0
    .vgpr_spill_count: 0
    .wavefront_size: 32
    .workgroup_processor_mode: 1
  - .args:
      - .offset:         0
        .size:           48
        .value_kind:     by_value
    .group_segment_fixed_size: 0
    .kernarg_segment_align: 8
    .kernarg_segment_size: 48
    .language:       OpenCL C
    .language_version:
      - 2
      - 0
    .max_flat_workgroup_size: 256
    .name:           _ZN7rocprim17ROCPRIM_400000_NS6detail17trampoline_kernelINS0_14default_configENS1_38merge_sort_block_merge_config_selectorIiNS0_10empty_typeEEEZZNS1_27merge_sort_block_merge_implIS3_N6thrust23THRUST_200600_302600_NS6detail15normal_iteratorINS9_10device_ptrIiEEEEPS5_jNS1_19radix_merge_compareILb0ELb0EiNS0_19identity_decomposerEEEEE10hipError_tT0_T1_T2_jT3_P12ihipStream_tbPNSt15iterator_traitsISK_E10value_typeEPNSQ_ISL_E10value_typeEPSM_NS1_7vsmem_tEENKUlT_SK_SL_SM_E_clISE_PiSF_SF_EESJ_SZ_SK_SL_SM_EUlSZ_E1_NS1_11comp_targetILNS1_3genE8ELNS1_11target_archE1030ELNS1_3gpuE2ELNS1_3repE0EEENS1_36merge_oddeven_config_static_selectorELNS0_4arch9wavefront6targetE0EEEvSL_
    .private_segment_fixed_size: 0
    .sgpr_count:     18
    .sgpr_spill_count: 0
    .symbol:         _ZN7rocprim17ROCPRIM_400000_NS6detail17trampoline_kernelINS0_14default_configENS1_38merge_sort_block_merge_config_selectorIiNS0_10empty_typeEEEZZNS1_27merge_sort_block_merge_implIS3_N6thrust23THRUST_200600_302600_NS6detail15normal_iteratorINS9_10device_ptrIiEEEEPS5_jNS1_19radix_merge_compareILb0ELb0EiNS0_19identity_decomposerEEEEE10hipError_tT0_T1_T2_jT3_P12ihipStream_tbPNSt15iterator_traitsISK_E10value_typeEPNSQ_ISL_E10value_typeEPSM_NS1_7vsmem_tEENKUlT_SK_SL_SM_E_clISE_PiSF_SF_EESJ_SZ_SK_SL_SM_EUlSZ_E1_NS1_11comp_targetILNS1_3genE8ELNS1_11target_archE1030ELNS1_3gpuE2ELNS1_3repE0EEENS1_36merge_oddeven_config_static_selectorELNS0_4arch9wavefront6targetE0EEEvSL_.kd
    .uniform_work_group_size: 1
    .uses_dynamic_stack: false
    .vgpr_count:     8
    .vgpr_spill_count: 0
    .wavefront_size: 32
    .workgroup_processor_mode: 1
  - .args:
      - .offset:         0
        .size:           40
        .value_kind:     by_value
    .group_segment_fixed_size: 0
    .kernarg_segment_align: 8
    .kernarg_segment_size: 40
    .language:       OpenCL C
    .language_version:
      - 2
      - 0
    .max_flat_workgroup_size: 128
    .name:           _ZN7rocprim17ROCPRIM_400000_NS6detail17trampoline_kernelINS0_14default_configENS1_25transform_config_selectorIiLb0EEEZNS1_14transform_implILb0ES3_S5_PiN6thrust23THRUST_200600_302600_NS6detail15normal_iteratorINS9_10device_ptrIiEEEENS0_8identityIiEEEE10hipError_tT2_T3_mT4_P12ihipStream_tbEUlT_E_NS1_11comp_targetILNS1_3genE0ELNS1_11target_archE4294967295ELNS1_3gpuE0ELNS1_3repE0EEENS1_30default_config_static_selectorELNS0_4arch9wavefront6targetE0EEEvT1_
    .private_segment_fixed_size: 0
    .sgpr_count:     0
    .sgpr_spill_count: 0
    .symbol:         _ZN7rocprim17ROCPRIM_400000_NS6detail17trampoline_kernelINS0_14default_configENS1_25transform_config_selectorIiLb0EEEZNS1_14transform_implILb0ES3_S5_PiN6thrust23THRUST_200600_302600_NS6detail15normal_iteratorINS9_10device_ptrIiEEEENS0_8identityIiEEEE10hipError_tT2_T3_mT4_P12ihipStream_tbEUlT_E_NS1_11comp_targetILNS1_3genE0ELNS1_11target_archE4294967295ELNS1_3gpuE0ELNS1_3repE0EEENS1_30default_config_static_selectorELNS0_4arch9wavefront6targetE0EEEvT1_.kd
    .uniform_work_group_size: 1
    .uses_dynamic_stack: false
    .vgpr_count:     0
    .vgpr_spill_count: 0
    .wavefront_size: 32
    .workgroup_processor_mode: 1
  - .args:
      - .offset:         0
        .size:           40
        .value_kind:     by_value
    .group_segment_fixed_size: 0
    .kernarg_segment_align: 8
    .kernarg_segment_size: 40
    .language:       OpenCL C
    .language_version:
      - 2
      - 0
    .max_flat_workgroup_size: 512
    .name:           _ZN7rocprim17ROCPRIM_400000_NS6detail17trampoline_kernelINS0_14default_configENS1_25transform_config_selectorIiLb0EEEZNS1_14transform_implILb0ES3_S5_PiN6thrust23THRUST_200600_302600_NS6detail15normal_iteratorINS9_10device_ptrIiEEEENS0_8identityIiEEEE10hipError_tT2_T3_mT4_P12ihipStream_tbEUlT_E_NS1_11comp_targetILNS1_3genE5ELNS1_11target_archE942ELNS1_3gpuE9ELNS1_3repE0EEENS1_30default_config_static_selectorELNS0_4arch9wavefront6targetE0EEEvT1_
    .private_segment_fixed_size: 0
    .sgpr_count:     0
    .sgpr_spill_count: 0
    .symbol:         _ZN7rocprim17ROCPRIM_400000_NS6detail17trampoline_kernelINS0_14default_configENS1_25transform_config_selectorIiLb0EEEZNS1_14transform_implILb0ES3_S5_PiN6thrust23THRUST_200600_302600_NS6detail15normal_iteratorINS9_10device_ptrIiEEEENS0_8identityIiEEEE10hipError_tT2_T3_mT4_P12ihipStream_tbEUlT_E_NS1_11comp_targetILNS1_3genE5ELNS1_11target_archE942ELNS1_3gpuE9ELNS1_3repE0EEENS1_30default_config_static_selectorELNS0_4arch9wavefront6targetE0EEEvT1_.kd
    .uniform_work_group_size: 1
    .uses_dynamic_stack: false
    .vgpr_count:     0
    .vgpr_spill_count: 0
    .wavefront_size: 32
    .workgroup_processor_mode: 1
  - .args:
      - .offset:         0
        .size:           40
        .value_kind:     by_value
    .group_segment_fixed_size: 0
    .kernarg_segment_align: 8
    .kernarg_segment_size: 40
    .language:       OpenCL C
    .language_version:
      - 2
      - 0
    .max_flat_workgroup_size: 1024
    .name:           _ZN7rocprim17ROCPRIM_400000_NS6detail17trampoline_kernelINS0_14default_configENS1_25transform_config_selectorIiLb0EEEZNS1_14transform_implILb0ES3_S5_PiN6thrust23THRUST_200600_302600_NS6detail15normal_iteratorINS9_10device_ptrIiEEEENS0_8identityIiEEEE10hipError_tT2_T3_mT4_P12ihipStream_tbEUlT_E_NS1_11comp_targetILNS1_3genE4ELNS1_11target_archE910ELNS1_3gpuE8ELNS1_3repE0EEENS1_30default_config_static_selectorELNS0_4arch9wavefront6targetE0EEEvT1_
    .private_segment_fixed_size: 0
    .sgpr_count:     0
    .sgpr_spill_count: 0
    .symbol:         _ZN7rocprim17ROCPRIM_400000_NS6detail17trampoline_kernelINS0_14default_configENS1_25transform_config_selectorIiLb0EEEZNS1_14transform_implILb0ES3_S5_PiN6thrust23THRUST_200600_302600_NS6detail15normal_iteratorINS9_10device_ptrIiEEEENS0_8identityIiEEEE10hipError_tT2_T3_mT4_P12ihipStream_tbEUlT_E_NS1_11comp_targetILNS1_3genE4ELNS1_11target_archE910ELNS1_3gpuE8ELNS1_3repE0EEENS1_30default_config_static_selectorELNS0_4arch9wavefront6targetE0EEEvT1_.kd
    .uniform_work_group_size: 1
    .uses_dynamic_stack: false
    .vgpr_count:     0
    .vgpr_spill_count: 0
    .wavefront_size: 32
    .workgroup_processor_mode: 1
  - .args:
      - .offset:         0
        .size:           40
        .value_kind:     by_value
    .group_segment_fixed_size: 0
    .kernarg_segment_align: 8
    .kernarg_segment_size: 40
    .language:       OpenCL C
    .language_version:
      - 2
      - 0
    .max_flat_workgroup_size: 128
    .name:           _ZN7rocprim17ROCPRIM_400000_NS6detail17trampoline_kernelINS0_14default_configENS1_25transform_config_selectorIiLb0EEEZNS1_14transform_implILb0ES3_S5_PiN6thrust23THRUST_200600_302600_NS6detail15normal_iteratorINS9_10device_ptrIiEEEENS0_8identityIiEEEE10hipError_tT2_T3_mT4_P12ihipStream_tbEUlT_E_NS1_11comp_targetILNS1_3genE3ELNS1_11target_archE908ELNS1_3gpuE7ELNS1_3repE0EEENS1_30default_config_static_selectorELNS0_4arch9wavefront6targetE0EEEvT1_
    .private_segment_fixed_size: 0
    .sgpr_count:     0
    .sgpr_spill_count: 0
    .symbol:         _ZN7rocprim17ROCPRIM_400000_NS6detail17trampoline_kernelINS0_14default_configENS1_25transform_config_selectorIiLb0EEEZNS1_14transform_implILb0ES3_S5_PiN6thrust23THRUST_200600_302600_NS6detail15normal_iteratorINS9_10device_ptrIiEEEENS0_8identityIiEEEE10hipError_tT2_T3_mT4_P12ihipStream_tbEUlT_E_NS1_11comp_targetILNS1_3genE3ELNS1_11target_archE908ELNS1_3gpuE7ELNS1_3repE0EEENS1_30default_config_static_selectorELNS0_4arch9wavefront6targetE0EEEvT1_.kd
    .uniform_work_group_size: 1
    .uses_dynamic_stack: false
    .vgpr_count:     0
    .vgpr_spill_count: 0
    .wavefront_size: 32
    .workgroup_processor_mode: 1
  - .args:
      - .offset:         0
        .size:           40
        .value_kind:     by_value
    .group_segment_fixed_size: 0
    .kernarg_segment_align: 8
    .kernarg_segment_size: 40
    .language:       OpenCL C
    .language_version:
      - 2
      - 0
    .max_flat_workgroup_size: 1024
    .name:           _ZN7rocprim17ROCPRIM_400000_NS6detail17trampoline_kernelINS0_14default_configENS1_25transform_config_selectorIiLb0EEEZNS1_14transform_implILb0ES3_S5_PiN6thrust23THRUST_200600_302600_NS6detail15normal_iteratorINS9_10device_ptrIiEEEENS0_8identityIiEEEE10hipError_tT2_T3_mT4_P12ihipStream_tbEUlT_E_NS1_11comp_targetILNS1_3genE2ELNS1_11target_archE906ELNS1_3gpuE6ELNS1_3repE0EEENS1_30default_config_static_selectorELNS0_4arch9wavefront6targetE0EEEvT1_
    .private_segment_fixed_size: 0
    .sgpr_count:     0
    .sgpr_spill_count: 0
    .symbol:         _ZN7rocprim17ROCPRIM_400000_NS6detail17trampoline_kernelINS0_14default_configENS1_25transform_config_selectorIiLb0EEEZNS1_14transform_implILb0ES3_S5_PiN6thrust23THRUST_200600_302600_NS6detail15normal_iteratorINS9_10device_ptrIiEEEENS0_8identityIiEEEE10hipError_tT2_T3_mT4_P12ihipStream_tbEUlT_E_NS1_11comp_targetILNS1_3genE2ELNS1_11target_archE906ELNS1_3gpuE6ELNS1_3repE0EEENS1_30default_config_static_selectorELNS0_4arch9wavefront6targetE0EEEvT1_.kd
    .uniform_work_group_size: 1
    .uses_dynamic_stack: false
    .vgpr_count:     0
    .vgpr_spill_count: 0
    .wavefront_size: 32
    .workgroup_processor_mode: 1
  - .args:
      - .offset:         0
        .size:           40
        .value_kind:     by_value
    .group_segment_fixed_size: 0
    .kernarg_segment_align: 8
    .kernarg_segment_size: 40
    .language:       OpenCL C
    .language_version:
      - 2
      - 0
    .max_flat_workgroup_size: 1024
    .name:           _ZN7rocprim17ROCPRIM_400000_NS6detail17trampoline_kernelINS0_14default_configENS1_25transform_config_selectorIiLb0EEEZNS1_14transform_implILb0ES3_S5_PiN6thrust23THRUST_200600_302600_NS6detail15normal_iteratorINS9_10device_ptrIiEEEENS0_8identityIiEEEE10hipError_tT2_T3_mT4_P12ihipStream_tbEUlT_E_NS1_11comp_targetILNS1_3genE10ELNS1_11target_archE1201ELNS1_3gpuE5ELNS1_3repE0EEENS1_30default_config_static_selectorELNS0_4arch9wavefront6targetE0EEEvT1_
    .private_segment_fixed_size: 0
    .sgpr_count:     0
    .sgpr_spill_count: 0
    .symbol:         _ZN7rocprim17ROCPRIM_400000_NS6detail17trampoline_kernelINS0_14default_configENS1_25transform_config_selectorIiLb0EEEZNS1_14transform_implILb0ES3_S5_PiN6thrust23THRUST_200600_302600_NS6detail15normal_iteratorINS9_10device_ptrIiEEEENS0_8identityIiEEEE10hipError_tT2_T3_mT4_P12ihipStream_tbEUlT_E_NS1_11comp_targetILNS1_3genE10ELNS1_11target_archE1201ELNS1_3gpuE5ELNS1_3repE0EEENS1_30default_config_static_selectorELNS0_4arch9wavefront6targetE0EEEvT1_.kd
    .uniform_work_group_size: 1
    .uses_dynamic_stack: false
    .vgpr_count:     0
    .vgpr_spill_count: 0
    .wavefront_size: 32
    .workgroup_processor_mode: 1
  - .args:
      - .offset:         0
        .size:           40
        .value_kind:     by_value
    .group_segment_fixed_size: 0
    .kernarg_segment_align: 8
    .kernarg_segment_size: 40
    .language:       OpenCL C
    .language_version:
      - 2
      - 0
    .max_flat_workgroup_size: 512
    .name:           _ZN7rocprim17ROCPRIM_400000_NS6detail17trampoline_kernelINS0_14default_configENS1_25transform_config_selectorIiLb0EEEZNS1_14transform_implILb0ES3_S5_PiN6thrust23THRUST_200600_302600_NS6detail15normal_iteratorINS9_10device_ptrIiEEEENS0_8identityIiEEEE10hipError_tT2_T3_mT4_P12ihipStream_tbEUlT_E_NS1_11comp_targetILNS1_3genE10ELNS1_11target_archE1200ELNS1_3gpuE4ELNS1_3repE0EEENS1_30default_config_static_selectorELNS0_4arch9wavefront6targetE0EEEvT1_
    .private_segment_fixed_size: 0
    .sgpr_count:     0
    .sgpr_spill_count: 0
    .symbol:         _ZN7rocprim17ROCPRIM_400000_NS6detail17trampoline_kernelINS0_14default_configENS1_25transform_config_selectorIiLb0EEEZNS1_14transform_implILb0ES3_S5_PiN6thrust23THRUST_200600_302600_NS6detail15normal_iteratorINS9_10device_ptrIiEEEENS0_8identityIiEEEE10hipError_tT2_T3_mT4_P12ihipStream_tbEUlT_E_NS1_11comp_targetILNS1_3genE10ELNS1_11target_archE1200ELNS1_3gpuE4ELNS1_3repE0EEENS1_30default_config_static_selectorELNS0_4arch9wavefront6targetE0EEEvT1_.kd
    .uniform_work_group_size: 1
    .uses_dynamic_stack: false
    .vgpr_count:     0
    .vgpr_spill_count: 0
    .wavefront_size: 32
    .workgroup_processor_mode: 1
  - .args:
      - .offset:         0
        .size:           40
        .value_kind:     by_value
    .group_segment_fixed_size: 0
    .kernarg_segment_align: 8
    .kernarg_segment_size: 40
    .language:       OpenCL C
    .language_version:
      - 2
      - 0
    .max_flat_workgroup_size: 64
    .name:           _ZN7rocprim17ROCPRIM_400000_NS6detail17trampoline_kernelINS0_14default_configENS1_25transform_config_selectorIiLb0EEEZNS1_14transform_implILb0ES3_S5_PiN6thrust23THRUST_200600_302600_NS6detail15normal_iteratorINS9_10device_ptrIiEEEENS0_8identityIiEEEE10hipError_tT2_T3_mT4_P12ihipStream_tbEUlT_E_NS1_11comp_targetILNS1_3genE9ELNS1_11target_archE1100ELNS1_3gpuE3ELNS1_3repE0EEENS1_30default_config_static_selectorELNS0_4arch9wavefront6targetE0EEEvT1_
    .private_segment_fixed_size: 0
    .sgpr_count:     0
    .sgpr_spill_count: 0
    .symbol:         _ZN7rocprim17ROCPRIM_400000_NS6detail17trampoline_kernelINS0_14default_configENS1_25transform_config_selectorIiLb0EEEZNS1_14transform_implILb0ES3_S5_PiN6thrust23THRUST_200600_302600_NS6detail15normal_iteratorINS9_10device_ptrIiEEEENS0_8identityIiEEEE10hipError_tT2_T3_mT4_P12ihipStream_tbEUlT_E_NS1_11comp_targetILNS1_3genE9ELNS1_11target_archE1100ELNS1_3gpuE3ELNS1_3repE0EEENS1_30default_config_static_selectorELNS0_4arch9wavefront6targetE0EEEvT1_.kd
    .uniform_work_group_size: 1
    .uses_dynamic_stack: false
    .vgpr_count:     0
    .vgpr_spill_count: 0
    .wavefront_size: 32
    .workgroup_processor_mode: 1
  - .args:
      - .offset:         0
        .size:           40
        .value_kind:     by_value
      - .offset:         40
        .size:           4
        .value_kind:     hidden_block_count_x
      - .offset:         44
        .size:           4
        .value_kind:     hidden_block_count_y
      - .offset:         48
        .size:           4
        .value_kind:     hidden_block_count_z
      - .offset:         52
        .size:           2
        .value_kind:     hidden_group_size_x
      - .offset:         54
        .size:           2
        .value_kind:     hidden_group_size_y
      - .offset:         56
        .size:           2
        .value_kind:     hidden_group_size_z
      - .offset:         58
        .size:           2
        .value_kind:     hidden_remainder_x
      - .offset:         60
        .size:           2
        .value_kind:     hidden_remainder_y
      - .offset:         62
        .size:           2
        .value_kind:     hidden_remainder_z
      - .offset:         80
        .size:           8
        .value_kind:     hidden_global_offset_x
      - .offset:         88
        .size:           8
        .value_kind:     hidden_global_offset_y
      - .offset:         96
        .size:           8
        .value_kind:     hidden_global_offset_z
      - .offset:         104
        .size:           2
        .value_kind:     hidden_grid_dims
    .group_segment_fixed_size: 0
    .kernarg_segment_align: 8
    .kernarg_segment_size: 296
    .language:       OpenCL C
    .language_version:
      - 2
      - 0
    .max_flat_workgroup_size: 256
    .name:           _ZN7rocprim17ROCPRIM_400000_NS6detail17trampoline_kernelINS0_14default_configENS1_25transform_config_selectorIiLb0EEEZNS1_14transform_implILb0ES3_S5_PiN6thrust23THRUST_200600_302600_NS6detail15normal_iteratorINS9_10device_ptrIiEEEENS0_8identityIiEEEE10hipError_tT2_T3_mT4_P12ihipStream_tbEUlT_E_NS1_11comp_targetILNS1_3genE8ELNS1_11target_archE1030ELNS1_3gpuE2ELNS1_3repE0EEENS1_30default_config_static_selectorELNS0_4arch9wavefront6targetE0EEEvT1_
    .private_segment_fixed_size: 0
    .sgpr_count:     14
    .sgpr_spill_count: 0
    .symbol:         _ZN7rocprim17ROCPRIM_400000_NS6detail17trampoline_kernelINS0_14default_configENS1_25transform_config_selectorIiLb0EEEZNS1_14transform_implILb0ES3_S5_PiN6thrust23THRUST_200600_302600_NS6detail15normal_iteratorINS9_10device_ptrIiEEEENS0_8identityIiEEEE10hipError_tT2_T3_mT4_P12ihipStream_tbEUlT_E_NS1_11comp_targetILNS1_3genE8ELNS1_11target_archE1030ELNS1_3gpuE2ELNS1_3repE0EEENS1_30default_config_static_selectorELNS0_4arch9wavefront6targetE0EEEvT1_.kd
    .uniform_work_group_size: 1
    .uses_dynamic_stack: false
    .vgpr_count:     3
    .vgpr_spill_count: 0
    .wavefront_size: 32
    .workgroup_processor_mode: 1
  - .args:
      - .offset:         0
        .size:           40
        .value_kind:     by_value
    .group_segment_fixed_size: 0
    .kernarg_segment_align: 8
    .kernarg_segment_size: 40
    .language:       OpenCL C
    .language_version:
      - 2
      - 0
    .max_flat_workgroup_size: 128
    .name:           _ZN7rocprim17ROCPRIM_400000_NS6detail17trampoline_kernelINS0_14default_configENS1_25transform_config_selectorINS0_10empty_typeELb1EEEZNS1_14transform_implILb1ES3_S6_PS5_S8_NS0_8identityIS5_EEEE10hipError_tT2_T3_mT4_P12ihipStream_tbEUlT_E_NS1_11comp_targetILNS1_3genE0ELNS1_11target_archE4294967295ELNS1_3gpuE0ELNS1_3repE0EEENS1_30default_config_static_selectorELNS0_4arch9wavefront6targetE0EEEvT1_
    .private_segment_fixed_size: 0
    .sgpr_count:     0
    .sgpr_spill_count: 0
    .symbol:         _ZN7rocprim17ROCPRIM_400000_NS6detail17trampoline_kernelINS0_14default_configENS1_25transform_config_selectorINS0_10empty_typeELb1EEEZNS1_14transform_implILb1ES3_S6_PS5_S8_NS0_8identityIS5_EEEE10hipError_tT2_T3_mT4_P12ihipStream_tbEUlT_E_NS1_11comp_targetILNS1_3genE0ELNS1_11target_archE4294967295ELNS1_3gpuE0ELNS1_3repE0EEENS1_30default_config_static_selectorELNS0_4arch9wavefront6targetE0EEEvT1_.kd
    .uniform_work_group_size: 1
    .uses_dynamic_stack: false
    .vgpr_count:     0
    .vgpr_spill_count: 0
    .wavefront_size: 32
    .workgroup_processor_mode: 1
  - .args:
      - .offset:         0
        .size:           40
        .value_kind:     by_value
    .group_segment_fixed_size: 0
    .kernarg_segment_align: 8
    .kernarg_segment_size: 40
    .language:       OpenCL C
    .language_version:
      - 2
      - 0
    .max_flat_workgroup_size: 1024
    .name:           _ZN7rocprim17ROCPRIM_400000_NS6detail17trampoline_kernelINS0_14default_configENS1_25transform_config_selectorINS0_10empty_typeELb1EEEZNS1_14transform_implILb1ES3_S6_PS5_S8_NS0_8identityIS5_EEEE10hipError_tT2_T3_mT4_P12ihipStream_tbEUlT_E_NS1_11comp_targetILNS1_3genE10ELNS1_11target_archE1201ELNS1_3gpuE5ELNS1_3repE0EEENS1_30default_config_static_selectorELNS0_4arch9wavefront6targetE0EEEvT1_
    .private_segment_fixed_size: 0
    .sgpr_count:     0
    .sgpr_spill_count: 0
    .symbol:         _ZN7rocprim17ROCPRIM_400000_NS6detail17trampoline_kernelINS0_14default_configENS1_25transform_config_selectorINS0_10empty_typeELb1EEEZNS1_14transform_implILb1ES3_S6_PS5_S8_NS0_8identityIS5_EEEE10hipError_tT2_T3_mT4_P12ihipStream_tbEUlT_E_NS1_11comp_targetILNS1_3genE10ELNS1_11target_archE1201ELNS1_3gpuE5ELNS1_3repE0EEENS1_30default_config_static_selectorELNS0_4arch9wavefront6targetE0EEEvT1_.kd
    .uniform_work_group_size: 1
    .uses_dynamic_stack: false
    .vgpr_count:     0
    .vgpr_spill_count: 0
    .wavefront_size: 32
    .workgroup_processor_mode: 1
  - .args:
      - .offset:         0
        .size:           40
        .value_kind:     by_value
    .group_segment_fixed_size: 0
    .kernarg_segment_align: 8
    .kernarg_segment_size: 40
    .language:       OpenCL C
    .language_version:
      - 2
      - 0
    .max_flat_workgroup_size: 256
    .name:           _ZN7rocprim17ROCPRIM_400000_NS6detail17trampoline_kernelINS0_14default_configENS1_25transform_config_selectorINS0_10empty_typeELb1EEEZNS1_14transform_implILb1ES3_S6_PS5_S8_NS0_8identityIS5_EEEE10hipError_tT2_T3_mT4_P12ihipStream_tbEUlT_E_NS1_11comp_targetILNS1_3genE5ELNS1_11target_archE942ELNS1_3gpuE9ELNS1_3repE0EEENS1_30default_config_static_selectorELNS0_4arch9wavefront6targetE0EEEvT1_
    .private_segment_fixed_size: 0
    .sgpr_count:     0
    .sgpr_spill_count: 0
    .symbol:         _ZN7rocprim17ROCPRIM_400000_NS6detail17trampoline_kernelINS0_14default_configENS1_25transform_config_selectorINS0_10empty_typeELb1EEEZNS1_14transform_implILb1ES3_S6_PS5_S8_NS0_8identityIS5_EEEE10hipError_tT2_T3_mT4_P12ihipStream_tbEUlT_E_NS1_11comp_targetILNS1_3genE5ELNS1_11target_archE942ELNS1_3gpuE9ELNS1_3repE0EEENS1_30default_config_static_selectorELNS0_4arch9wavefront6targetE0EEEvT1_.kd
    .uniform_work_group_size: 1
    .uses_dynamic_stack: false
    .vgpr_count:     0
    .vgpr_spill_count: 0
    .wavefront_size: 32
    .workgroup_processor_mode: 1
  - .args:
      - .offset:         0
        .size:           40
        .value_kind:     by_value
    .group_segment_fixed_size: 0
    .kernarg_segment_align: 8
    .kernarg_segment_size: 40
    .language:       OpenCL C
    .language_version:
      - 2
      - 0
    .max_flat_workgroup_size: 1024
    .name:           _ZN7rocprim17ROCPRIM_400000_NS6detail17trampoline_kernelINS0_14default_configENS1_25transform_config_selectorINS0_10empty_typeELb1EEEZNS1_14transform_implILb1ES3_S6_PS5_S8_NS0_8identityIS5_EEEE10hipError_tT2_T3_mT4_P12ihipStream_tbEUlT_E_NS1_11comp_targetILNS1_3genE4ELNS1_11target_archE910ELNS1_3gpuE8ELNS1_3repE0EEENS1_30default_config_static_selectorELNS0_4arch9wavefront6targetE0EEEvT1_
    .private_segment_fixed_size: 0
    .sgpr_count:     0
    .sgpr_spill_count: 0
    .symbol:         _ZN7rocprim17ROCPRIM_400000_NS6detail17trampoline_kernelINS0_14default_configENS1_25transform_config_selectorINS0_10empty_typeELb1EEEZNS1_14transform_implILb1ES3_S6_PS5_S8_NS0_8identityIS5_EEEE10hipError_tT2_T3_mT4_P12ihipStream_tbEUlT_E_NS1_11comp_targetILNS1_3genE4ELNS1_11target_archE910ELNS1_3gpuE8ELNS1_3repE0EEENS1_30default_config_static_selectorELNS0_4arch9wavefront6targetE0EEEvT1_.kd
    .uniform_work_group_size: 1
    .uses_dynamic_stack: false
    .vgpr_count:     0
    .vgpr_spill_count: 0
    .wavefront_size: 32
    .workgroup_processor_mode: 1
  - .args:
      - .offset:         0
        .size:           40
        .value_kind:     by_value
    .group_segment_fixed_size: 0
    .kernarg_segment_align: 8
    .kernarg_segment_size: 40
    .language:       OpenCL C
    .language_version:
      - 2
      - 0
    .max_flat_workgroup_size: 128
    .name:           _ZN7rocprim17ROCPRIM_400000_NS6detail17trampoline_kernelINS0_14default_configENS1_25transform_config_selectorINS0_10empty_typeELb1EEEZNS1_14transform_implILb1ES3_S6_PS5_S8_NS0_8identityIS5_EEEE10hipError_tT2_T3_mT4_P12ihipStream_tbEUlT_E_NS1_11comp_targetILNS1_3genE3ELNS1_11target_archE908ELNS1_3gpuE7ELNS1_3repE0EEENS1_30default_config_static_selectorELNS0_4arch9wavefront6targetE0EEEvT1_
    .private_segment_fixed_size: 0
    .sgpr_count:     0
    .sgpr_spill_count: 0
    .symbol:         _ZN7rocprim17ROCPRIM_400000_NS6detail17trampoline_kernelINS0_14default_configENS1_25transform_config_selectorINS0_10empty_typeELb1EEEZNS1_14transform_implILb1ES3_S6_PS5_S8_NS0_8identityIS5_EEEE10hipError_tT2_T3_mT4_P12ihipStream_tbEUlT_E_NS1_11comp_targetILNS1_3genE3ELNS1_11target_archE908ELNS1_3gpuE7ELNS1_3repE0EEENS1_30default_config_static_selectorELNS0_4arch9wavefront6targetE0EEEvT1_.kd
    .uniform_work_group_size: 1
    .uses_dynamic_stack: false
    .vgpr_count:     0
    .vgpr_spill_count: 0
    .wavefront_size: 32
    .workgroup_processor_mode: 1
  - .args:
      - .offset:         0
        .size:           40
        .value_kind:     by_value
    .group_segment_fixed_size: 0
    .kernarg_segment_align: 8
    .kernarg_segment_size: 40
    .language:       OpenCL C
    .language_version:
      - 2
      - 0
    .max_flat_workgroup_size: 512
    .name:           _ZN7rocprim17ROCPRIM_400000_NS6detail17trampoline_kernelINS0_14default_configENS1_25transform_config_selectorINS0_10empty_typeELb1EEEZNS1_14transform_implILb1ES3_S6_PS5_S8_NS0_8identityIS5_EEEE10hipError_tT2_T3_mT4_P12ihipStream_tbEUlT_E_NS1_11comp_targetILNS1_3genE2ELNS1_11target_archE906ELNS1_3gpuE6ELNS1_3repE0EEENS1_30default_config_static_selectorELNS0_4arch9wavefront6targetE0EEEvT1_
    .private_segment_fixed_size: 0
    .sgpr_count:     0
    .sgpr_spill_count: 0
    .symbol:         _ZN7rocprim17ROCPRIM_400000_NS6detail17trampoline_kernelINS0_14default_configENS1_25transform_config_selectorINS0_10empty_typeELb1EEEZNS1_14transform_implILb1ES3_S6_PS5_S8_NS0_8identityIS5_EEEE10hipError_tT2_T3_mT4_P12ihipStream_tbEUlT_E_NS1_11comp_targetILNS1_3genE2ELNS1_11target_archE906ELNS1_3gpuE6ELNS1_3repE0EEENS1_30default_config_static_selectorELNS0_4arch9wavefront6targetE0EEEvT1_.kd
    .uniform_work_group_size: 1
    .uses_dynamic_stack: false
    .vgpr_count:     0
    .vgpr_spill_count: 0
    .wavefront_size: 32
    .workgroup_processor_mode: 1
  - .args:
      - .offset:         0
        .size:           40
        .value_kind:     by_value
    .group_segment_fixed_size: 0
    .kernarg_segment_align: 8
    .kernarg_segment_size: 40
    .language:       OpenCL C
    .language_version:
      - 2
      - 0
    .max_flat_workgroup_size: 1024
    .name:           _ZN7rocprim17ROCPRIM_400000_NS6detail17trampoline_kernelINS0_14default_configENS1_25transform_config_selectorINS0_10empty_typeELb1EEEZNS1_14transform_implILb1ES3_S6_PS5_S8_NS0_8identityIS5_EEEE10hipError_tT2_T3_mT4_P12ihipStream_tbEUlT_E_NS1_11comp_targetILNS1_3genE9ELNS1_11target_archE1100ELNS1_3gpuE3ELNS1_3repE0EEENS1_30default_config_static_selectorELNS0_4arch9wavefront6targetE0EEEvT1_
    .private_segment_fixed_size: 0
    .sgpr_count:     0
    .sgpr_spill_count: 0
    .symbol:         _ZN7rocprim17ROCPRIM_400000_NS6detail17trampoline_kernelINS0_14default_configENS1_25transform_config_selectorINS0_10empty_typeELb1EEEZNS1_14transform_implILb1ES3_S6_PS5_S8_NS0_8identityIS5_EEEE10hipError_tT2_T3_mT4_P12ihipStream_tbEUlT_E_NS1_11comp_targetILNS1_3genE9ELNS1_11target_archE1100ELNS1_3gpuE3ELNS1_3repE0EEENS1_30default_config_static_selectorELNS0_4arch9wavefront6targetE0EEEvT1_.kd
    .uniform_work_group_size: 1
    .uses_dynamic_stack: false
    .vgpr_count:     0
    .vgpr_spill_count: 0
    .wavefront_size: 32
    .workgroup_processor_mode: 1
  - .args:
      - .offset:         0
        .size:           40
        .value_kind:     by_value
    .group_segment_fixed_size: 0
    .kernarg_segment_align: 8
    .kernarg_segment_size: 40
    .language:       OpenCL C
    .language_version:
      - 2
      - 0
    .max_flat_workgroup_size: 1024
    .name:           _ZN7rocprim17ROCPRIM_400000_NS6detail17trampoline_kernelINS0_14default_configENS1_25transform_config_selectorINS0_10empty_typeELb1EEEZNS1_14transform_implILb1ES3_S6_PS5_S8_NS0_8identityIS5_EEEE10hipError_tT2_T3_mT4_P12ihipStream_tbEUlT_E_NS1_11comp_targetILNS1_3genE8ELNS1_11target_archE1030ELNS1_3gpuE2ELNS1_3repE0EEENS1_30default_config_static_selectorELNS0_4arch9wavefront6targetE0EEEvT1_
    .private_segment_fixed_size: 0
    .sgpr_count:     0
    .sgpr_spill_count: 0
    .symbol:         _ZN7rocprim17ROCPRIM_400000_NS6detail17trampoline_kernelINS0_14default_configENS1_25transform_config_selectorINS0_10empty_typeELb1EEEZNS1_14transform_implILb1ES3_S6_PS5_S8_NS0_8identityIS5_EEEE10hipError_tT2_T3_mT4_P12ihipStream_tbEUlT_E_NS1_11comp_targetILNS1_3genE8ELNS1_11target_archE1030ELNS1_3gpuE2ELNS1_3repE0EEENS1_30default_config_static_selectorELNS0_4arch9wavefront6targetE0EEEvT1_.kd
    .uniform_work_group_size: 1
    .uses_dynamic_stack: false
    .vgpr_count:     0
    .vgpr_spill_count: 0
    .wavefront_size: 32
    .workgroup_processor_mode: 1
  - .args:
      - .offset:         0
        .size:           40
        .value_kind:     by_value
    .group_segment_fixed_size: 0
    .kernarg_segment_align: 8
    .kernarg_segment_size: 40
    .language:       OpenCL C
    .language_version:
      - 2
      - 0
    .max_flat_workgroup_size: 128
    .name:           _ZN7rocprim17ROCPRIM_400000_NS6detail17trampoline_kernelINS0_14default_configENS1_38merge_sort_block_merge_config_selectorIiNS0_10empty_typeEEEZZNS1_27merge_sort_block_merge_implIS3_N6thrust23THRUST_200600_302600_NS6detail15normal_iteratorINS9_10device_ptrIiEEEEPS5_jNS1_19radix_merge_compareILb0ELb1EiNS0_19identity_decomposerEEEEE10hipError_tT0_T1_T2_jT3_P12ihipStream_tbPNSt15iterator_traitsISK_E10value_typeEPNSQ_ISL_E10value_typeEPSM_NS1_7vsmem_tEENKUlT_SK_SL_SM_E_clIPiSE_SF_SF_EESJ_SZ_SK_SL_SM_EUlSZ_E_NS1_11comp_targetILNS1_3genE0ELNS1_11target_archE4294967295ELNS1_3gpuE0ELNS1_3repE0EEENS1_48merge_mergepath_partition_config_static_selectorELNS0_4arch9wavefront6targetE0EEEvSL_
    .private_segment_fixed_size: 0
    .sgpr_count:     0
    .sgpr_spill_count: 0
    .symbol:         _ZN7rocprim17ROCPRIM_400000_NS6detail17trampoline_kernelINS0_14default_configENS1_38merge_sort_block_merge_config_selectorIiNS0_10empty_typeEEEZZNS1_27merge_sort_block_merge_implIS3_N6thrust23THRUST_200600_302600_NS6detail15normal_iteratorINS9_10device_ptrIiEEEEPS5_jNS1_19radix_merge_compareILb0ELb1EiNS0_19identity_decomposerEEEEE10hipError_tT0_T1_T2_jT3_P12ihipStream_tbPNSt15iterator_traitsISK_E10value_typeEPNSQ_ISL_E10value_typeEPSM_NS1_7vsmem_tEENKUlT_SK_SL_SM_E_clIPiSE_SF_SF_EESJ_SZ_SK_SL_SM_EUlSZ_E_NS1_11comp_targetILNS1_3genE0ELNS1_11target_archE4294967295ELNS1_3gpuE0ELNS1_3repE0EEENS1_48merge_mergepath_partition_config_static_selectorELNS0_4arch9wavefront6targetE0EEEvSL_.kd
    .uniform_work_group_size: 1
    .uses_dynamic_stack: false
    .vgpr_count:     0
    .vgpr_spill_count: 0
    .wavefront_size: 32
    .workgroup_processor_mode: 1
  - .args:
      - .offset:         0
        .size:           40
        .value_kind:     by_value
    .group_segment_fixed_size: 0
    .kernarg_segment_align: 8
    .kernarg_segment_size: 40
    .language:       OpenCL C
    .language_version:
      - 2
      - 0
    .max_flat_workgroup_size: 128
    .name:           _ZN7rocprim17ROCPRIM_400000_NS6detail17trampoline_kernelINS0_14default_configENS1_38merge_sort_block_merge_config_selectorIiNS0_10empty_typeEEEZZNS1_27merge_sort_block_merge_implIS3_N6thrust23THRUST_200600_302600_NS6detail15normal_iteratorINS9_10device_ptrIiEEEEPS5_jNS1_19radix_merge_compareILb0ELb1EiNS0_19identity_decomposerEEEEE10hipError_tT0_T1_T2_jT3_P12ihipStream_tbPNSt15iterator_traitsISK_E10value_typeEPNSQ_ISL_E10value_typeEPSM_NS1_7vsmem_tEENKUlT_SK_SL_SM_E_clIPiSE_SF_SF_EESJ_SZ_SK_SL_SM_EUlSZ_E_NS1_11comp_targetILNS1_3genE10ELNS1_11target_archE1201ELNS1_3gpuE5ELNS1_3repE0EEENS1_48merge_mergepath_partition_config_static_selectorELNS0_4arch9wavefront6targetE0EEEvSL_
    .private_segment_fixed_size: 0
    .sgpr_count:     0
    .sgpr_spill_count: 0
    .symbol:         _ZN7rocprim17ROCPRIM_400000_NS6detail17trampoline_kernelINS0_14default_configENS1_38merge_sort_block_merge_config_selectorIiNS0_10empty_typeEEEZZNS1_27merge_sort_block_merge_implIS3_N6thrust23THRUST_200600_302600_NS6detail15normal_iteratorINS9_10device_ptrIiEEEEPS5_jNS1_19radix_merge_compareILb0ELb1EiNS0_19identity_decomposerEEEEE10hipError_tT0_T1_T2_jT3_P12ihipStream_tbPNSt15iterator_traitsISK_E10value_typeEPNSQ_ISL_E10value_typeEPSM_NS1_7vsmem_tEENKUlT_SK_SL_SM_E_clIPiSE_SF_SF_EESJ_SZ_SK_SL_SM_EUlSZ_E_NS1_11comp_targetILNS1_3genE10ELNS1_11target_archE1201ELNS1_3gpuE5ELNS1_3repE0EEENS1_48merge_mergepath_partition_config_static_selectorELNS0_4arch9wavefront6targetE0EEEvSL_.kd
    .uniform_work_group_size: 1
    .uses_dynamic_stack: false
    .vgpr_count:     0
    .vgpr_spill_count: 0
    .wavefront_size: 32
    .workgroup_processor_mode: 1
  - .args:
      - .offset:         0
        .size:           40
        .value_kind:     by_value
    .group_segment_fixed_size: 0
    .kernarg_segment_align: 8
    .kernarg_segment_size: 40
    .language:       OpenCL C
    .language_version:
      - 2
      - 0
    .max_flat_workgroup_size: 128
    .name:           _ZN7rocprim17ROCPRIM_400000_NS6detail17trampoline_kernelINS0_14default_configENS1_38merge_sort_block_merge_config_selectorIiNS0_10empty_typeEEEZZNS1_27merge_sort_block_merge_implIS3_N6thrust23THRUST_200600_302600_NS6detail15normal_iteratorINS9_10device_ptrIiEEEEPS5_jNS1_19radix_merge_compareILb0ELb1EiNS0_19identity_decomposerEEEEE10hipError_tT0_T1_T2_jT3_P12ihipStream_tbPNSt15iterator_traitsISK_E10value_typeEPNSQ_ISL_E10value_typeEPSM_NS1_7vsmem_tEENKUlT_SK_SL_SM_E_clIPiSE_SF_SF_EESJ_SZ_SK_SL_SM_EUlSZ_E_NS1_11comp_targetILNS1_3genE5ELNS1_11target_archE942ELNS1_3gpuE9ELNS1_3repE0EEENS1_48merge_mergepath_partition_config_static_selectorELNS0_4arch9wavefront6targetE0EEEvSL_
    .private_segment_fixed_size: 0
    .sgpr_count:     0
    .sgpr_spill_count: 0
    .symbol:         _ZN7rocprim17ROCPRIM_400000_NS6detail17trampoline_kernelINS0_14default_configENS1_38merge_sort_block_merge_config_selectorIiNS0_10empty_typeEEEZZNS1_27merge_sort_block_merge_implIS3_N6thrust23THRUST_200600_302600_NS6detail15normal_iteratorINS9_10device_ptrIiEEEEPS5_jNS1_19radix_merge_compareILb0ELb1EiNS0_19identity_decomposerEEEEE10hipError_tT0_T1_T2_jT3_P12ihipStream_tbPNSt15iterator_traitsISK_E10value_typeEPNSQ_ISL_E10value_typeEPSM_NS1_7vsmem_tEENKUlT_SK_SL_SM_E_clIPiSE_SF_SF_EESJ_SZ_SK_SL_SM_EUlSZ_E_NS1_11comp_targetILNS1_3genE5ELNS1_11target_archE942ELNS1_3gpuE9ELNS1_3repE0EEENS1_48merge_mergepath_partition_config_static_selectorELNS0_4arch9wavefront6targetE0EEEvSL_.kd
    .uniform_work_group_size: 1
    .uses_dynamic_stack: false
    .vgpr_count:     0
    .vgpr_spill_count: 0
    .wavefront_size: 32
    .workgroup_processor_mode: 1
  - .args:
      - .offset:         0
        .size:           40
        .value_kind:     by_value
    .group_segment_fixed_size: 0
    .kernarg_segment_align: 8
    .kernarg_segment_size: 40
    .language:       OpenCL C
    .language_version:
      - 2
      - 0
    .max_flat_workgroup_size: 128
    .name:           _ZN7rocprim17ROCPRIM_400000_NS6detail17trampoline_kernelINS0_14default_configENS1_38merge_sort_block_merge_config_selectorIiNS0_10empty_typeEEEZZNS1_27merge_sort_block_merge_implIS3_N6thrust23THRUST_200600_302600_NS6detail15normal_iteratorINS9_10device_ptrIiEEEEPS5_jNS1_19radix_merge_compareILb0ELb1EiNS0_19identity_decomposerEEEEE10hipError_tT0_T1_T2_jT3_P12ihipStream_tbPNSt15iterator_traitsISK_E10value_typeEPNSQ_ISL_E10value_typeEPSM_NS1_7vsmem_tEENKUlT_SK_SL_SM_E_clIPiSE_SF_SF_EESJ_SZ_SK_SL_SM_EUlSZ_E_NS1_11comp_targetILNS1_3genE4ELNS1_11target_archE910ELNS1_3gpuE8ELNS1_3repE0EEENS1_48merge_mergepath_partition_config_static_selectorELNS0_4arch9wavefront6targetE0EEEvSL_
    .private_segment_fixed_size: 0
    .sgpr_count:     0
    .sgpr_spill_count: 0
    .symbol:         _ZN7rocprim17ROCPRIM_400000_NS6detail17trampoline_kernelINS0_14default_configENS1_38merge_sort_block_merge_config_selectorIiNS0_10empty_typeEEEZZNS1_27merge_sort_block_merge_implIS3_N6thrust23THRUST_200600_302600_NS6detail15normal_iteratorINS9_10device_ptrIiEEEEPS5_jNS1_19radix_merge_compareILb0ELb1EiNS0_19identity_decomposerEEEEE10hipError_tT0_T1_T2_jT3_P12ihipStream_tbPNSt15iterator_traitsISK_E10value_typeEPNSQ_ISL_E10value_typeEPSM_NS1_7vsmem_tEENKUlT_SK_SL_SM_E_clIPiSE_SF_SF_EESJ_SZ_SK_SL_SM_EUlSZ_E_NS1_11comp_targetILNS1_3genE4ELNS1_11target_archE910ELNS1_3gpuE8ELNS1_3repE0EEENS1_48merge_mergepath_partition_config_static_selectorELNS0_4arch9wavefront6targetE0EEEvSL_.kd
    .uniform_work_group_size: 1
    .uses_dynamic_stack: false
    .vgpr_count:     0
    .vgpr_spill_count: 0
    .wavefront_size: 32
    .workgroup_processor_mode: 1
  - .args:
      - .offset:         0
        .size:           40
        .value_kind:     by_value
    .group_segment_fixed_size: 0
    .kernarg_segment_align: 8
    .kernarg_segment_size: 40
    .language:       OpenCL C
    .language_version:
      - 2
      - 0
    .max_flat_workgroup_size: 128
    .name:           _ZN7rocprim17ROCPRIM_400000_NS6detail17trampoline_kernelINS0_14default_configENS1_38merge_sort_block_merge_config_selectorIiNS0_10empty_typeEEEZZNS1_27merge_sort_block_merge_implIS3_N6thrust23THRUST_200600_302600_NS6detail15normal_iteratorINS9_10device_ptrIiEEEEPS5_jNS1_19radix_merge_compareILb0ELb1EiNS0_19identity_decomposerEEEEE10hipError_tT0_T1_T2_jT3_P12ihipStream_tbPNSt15iterator_traitsISK_E10value_typeEPNSQ_ISL_E10value_typeEPSM_NS1_7vsmem_tEENKUlT_SK_SL_SM_E_clIPiSE_SF_SF_EESJ_SZ_SK_SL_SM_EUlSZ_E_NS1_11comp_targetILNS1_3genE3ELNS1_11target_archE908ELNS1_3gpuE7ELNS1_3repE0EEENS1_48merge_mergepath_partition_config_static_selectorELNS0_4arch9wavefront6targetE0EEEvSL_
    .private_segment_fixed_size: 0
    .sgpr_count:     0
    .sgpr_spill_count: 0
    .symbol:         _ZN7rocprim17ROCPRIM_400000_NS6detail17trampoline_kernelINS0_14default_configENS1_38merge_sort_block_merge_config_selectorIiNS0_10empty_typeEEEZZNS1_27merge_sort_block_merge_implIS3_N6thrust23THRUST_200600_302600_NS6detail15normal_iteratorINS9_10device_ptrIiEEEEPS5_jNS1_19radix_merge_compareILb0ELb1EiNS0_19identity_decomposerEEEEE10hipError_tT0_T1_T2_jT3_P12ihipStream_tbPNSt15iterator_traitsISK_E10value_typeEPNSQ_ISL_E10value_typeEPSM_NS1_7vsmem_tEENKUlT_SK_SL_SM_E_clIPiSE_SF_SF_EESJ_SZ_SK_SL_SM_EUlSZ_E_NS1_11comp_targetILNS1_3genE3ELNS1_11target_archE908ELNS1_3gpuE7ELNS1_3repE0EEENS1_48merge_mergepath_partition_config_static_selectorELNS0_4arch9wavefront6targetE0EEEvSL_.kd
    .uniform_work_group_size: 1
    .uses_dynamic_stack: false
    .vgpr_count:     0
    .vgpr_spill_count: 0
    .wavefront_size: 32
    .workgroup_processor_mode: 1
  - .args:
      - .offset:         0
        .size:           40
        .value_kind:     by_value
    .group_segment_fixed_size: 0
    .kernarg_segment_align: 8
    .kernarg_segment_size: 40
    .language:       OpenCL C
    .language_version:
      - 2
      - 0
    .max_flat_workgroup_size: 128
    .name:           _ZN7rocprim17ROCPRIM_400000_NS6detail17trampoline_kernelINS0_14default_configENS1_38merge_sort_block_merge_config_selectorIiNS0_10empty_typeEEEZZNS1_27merge_sort_block_merge_implIS3_N6thrust23THRUST_200600_302600_NS6detail15normal_iteratorINS9_10device_ptrIiEEEEPS5_jNS1_19radix_merge_compareILb0ELb1EiNS0_19identity_decomposerEEEEE10hipError_tT0_T1_T2_jT3_P12ihipStream_tbPNSt15iterator_traitsISK_E10value_typeEPNSQ_ISL_E10value_typeEPSM_NS1_7vsmem_tEENKUlT_SK_SL_SM_E_clIPiSE_SF_SF_EESJ_SZ_SK_SL_SM_EUlSZ_E_NS1_11comp_targetILNS1_3genE2ELNS1_11target_archE906ELNS1_3gpuE6ELNS1_3repE0EEENS1_48merge_mergepath_partition_config_static_selectorELNS0_4arch9wavefront6targetE0EEEvSL_
    .private_segment_fixed_size: 0
    .sgpr_count:     0
    .sgpr_spill_count: 0
    .symbol:         _ZN7rocprim17ROCPRIM_400000_NS6detail17trampoline_kernelINS0_14default_configENS1_38merge_sort_block_merge_config_selectorIiNS0_10empty_typeEEEZZNS1_27merge_sort_block_merge_implIS3_N6thrust23THRUST_200600_302600_NS6detail15normal_iteratorINS9_10device_ptrIiEEEEPS5_jNS1_19radix_merge_compareILb0ELb1EiNS0_19identity_decomposerEEEEE10hipError_tT0_T1_T2_jT3_P12ihipStream_tbPNSt15iterator_traitsISK_E10value_typeEPNSQ_ISL_E10value_typeEPSM_NS1_7vsmem_tEENKUlT_SK_SL_SM_E_clIPiSE_SF_SF_EESJ_SZ_SK_SL_SM_EUlSZ_E_NS1_11comp_targetILNS1_3genE2ELNS1_11target_archE906ELNS1_3gpuE6ELNS1_3repE0EEENS1_48merge_mergepath_partition_config_static_selectorELNS0_4arch9wavefront6targetE0EEEvSL_.kd
    .uniform_work_group_size: 1
    .uses_dynamic_stack: false
    .vgpr_count:     0
    .vgpr_spill_count: 0
    .wavefront_size: 32
    .workgroup_processor_mode: 1
  - .args:
      - .offset:         0
        .size:           40
        .value_kind:     by_value
    .group_segment_fixed_size: 0
    .kernarg_segment_align: 8
    .kernarg_segment_size: 40
    .language:       OpenCL C
    .language_version:
      - 2
      - 0
    .max_flat_workgroup_size: 128
    .name:           _ZN7rocprim17ROCPRIM_400000_NS6detail17trampoline_kernelINS0_14default_configENS1_38merge_sort_block_merge_config_selectorIiNS0_10empty_typeEEEZZNS1_27merge_sort_block_merge_implIS3_N6thrust23THRUST_200600_302600_NS6detail15normal_iteratorINS9_10device_ptrIiEEEEPS5_jNS1_19radix_merge_compareILb0ELb1EiNS0_19identity_decomposerEEEEE10hipError_tT0_T1_T2_jT3_P12ihipStream_tbPNSt15iterator_traitsISK_E10value_typeEPNSQ_ISL_E10value_typeEPSM_NS1_7vsmem_tEENKUlT_SK_SL_SM_E_clIPiSE_SF_SF_EESJ_SZ_SK_SL_SM_EUlSZ_E_NS1_11comp_targetILNS1_3genE9ELNS1_11target_archE1100ELNS1_3gpuE3ELNS1_3repE0EEENS1_48merge_mergepath_partition_config_static_selectorELNS0_4arch9wavefront6targetE0EEEvSL_
    .private_segment_fixed_size: 0
    .sgpr_count:     0
    .sgpr_spill_count: 0
    .symbol:         _ZN7rocprim17ROCPRIM_400000_NS6detail17trampoline_kernelINS0_14default_configENS1_38merge_sort_block_merge_config_selectorIiNS0_10empty_typeEEEZZNS1_27merge_sort_block_merge_implIS3_N6thrust23THRUST_200600_302600_NS6detail15normal_iteratorINS9_10device_ptrIiEEEEPS5_jNS1_19radix_merge_compareILb0ELb1EiNS0_19identity_decomposerEEEEE10hipError_tT0_T1_T2_jT3_P12ihipStream_tbPNSt15iterator_traitsISK_E10value_typeEPNSQ_ISL_E10value_typeEPSM_NS1_7vsmem_tEENKUlT_SK_SL_SM_E_clIPiSE_SF_SF_EESJ_SZ_SK_SL_SM_EUlSZ_E_NS1_11comp_targetILNS1_3genE9ELNS1_11target_archE1100ELNS1_3gpuE3ELNS1_3repE0EEENS1_48merge_mergepath_partition_config_static_selectorELNS0_4arch9wavefront6targetE0EEEvSL_.kd
    .uniform_work_group_size: 1
    .uses_dynamic_stack: false
    .vgpr_count:     0
    .vgpr_spill_count: 0
    .wavefront_size: 32
    .workgroup_processor_mode: 1
  - .args:
      - .offset:         0
        .size:           40
        .value_kind:     by_value
    .group_segment_fixed_size: 0
    .kernarg_segment_align: 8
    .kernarg_segment_size: 40
    .language:       OpenCL C
    .language_version:
      - 2
      - 0
    .max_flat_workgroup_size: 128
    .name:           _ZN7rocprim17ROCPRIM_400000_NS6detail17trampoline_kernelINS0_14default_configENS1_38merge_sort_block_merge_config_selectorIiNS0_10empty_typeEEEZZNS1_27merge_sort_block_merge_implIS3_N6thrust23THRUST_200600_302600_NS6detail15normal_iteratorINS9_10device_ptrIiEEEEPS5_jNS1_19radix_merge_compareILb0ELb1EiNS0_19identity_decomposerEEEEE10hipError_tT0_T1_T2_jT3_P12ihipStream_tbPNSt15iterator_traitsISK_E10value_typeEPNSQ_ISL_E10value_typeEPSM_NS1_7vsmem_tEENKUlT_SK_SL_SM_E_clIPiSE_SF_SF_EESJ_SZ_SK_SL_SM_EUlSZ_E_NS1_11comp_targetILNS1_3genE8ELNS1_11target_archE1030ELNS1_3gpuE2ELNS1_3repE0EEENS1_48merge_mergepath_partition_config_static_selectorELNS0_4arch9wavefront6targetE0EEEvSL_
    .private_segment_fixed_size: 0
    .sgpr_count:     10
    .sgpr_spill_count: 0
    .symbol:         _ZN7rocprim17ROCPRIM_400000_NS6detail17trampoline_kernelINS0_14default_configENS1_38merge_sort_block_merge_config_selectorIiNS0_10empty_typeEEEZZNS1_27merge_sort_block_merge_implIS3_N6thrust23THRUST_200600_302600_NS6detail15normal_iteratorINS9_10device_ptrIiEEEEPS5_jNS1_19radix_merge_compareILb0ELb1EiNS0_19identity_decomposerEEEEE10hipError_tT0_T1_T2_jT3_P12ihipStream_tbPNSt15iterator_traitsISK_E10value_typeEPNSQ_ISL_E10value_typeEPSM_NS1_7vsmem_tEENKUlT_SK_SL_SM_E_clIPiSE_SF_SF_EESJ_SZ_SK_SL_SM_EUlSZ_E_NS1_11comp_targetILNS1_3genE8ELNS1_11target_archE1030ELNS1_3gpuE2ELNS1_3repE0EEENS1_48merge_mergepath_partition_config_static_selectorELNS0_4arch9wavefront6targetE0EEEvSL_.kd
    .uniform_work_group_size: 1
    .uses_dynamic_stack: false
    .vgpr_count:     15
    .vgpr_spill_count: 0
    .wavefront_size: 32
    .workgroup_processor_mode: 1
  - .args:
      - .offset:         0
        .size:           64
        .value_kind:     by_value
    .group_segment_fixed_size: 0
    .kernarg_segment_align: 8
    .kernarg_segment_size: 64
    .language:       OpenCL C
    .language_version:
      - 2
      - 0
    .max_flat_workgroup_size: 128
    .name:           _ZN7rocprim17ROCPRIM_400000_NS6detail17trampoline_kernelINS0_14default_configENS1_38merge_sort_block_merge_config_selectorIiNS0_10empty_typeEEEZZNS1_27merge_sort_block_merge_implIS3_N6thrust23THRUST_200600_302600_NS6detail15normal_iteratorINS9_10device_ptrIiEEEEPS5_jNS1_19radix_merge_compareILb0ELb1EiNS0_19identity_decomposerEEEEE10hipError_tT0_T1_T2_jT3_P12ihipStream_tbPNSt15iterator_traitsISK_E10value_typeEPNSQ_ISL_E10value_typeEPSM_NS1_7vsmem_tEENKUlT_SK_SL_SM_E_clIPiSE_SF_SF_EESJ_SZ_SK_SL_SM_EUlSZ_E0_NS1_11comp_targetILNS1_3genE0ELNS1_11target_archE4294967295ELNS1_3gpuE0ELNS1_3repE0EEENS1_38merge_mergepath_config_static_selectorELNS0_4arch9wavefront6targetE0EEEvSL_
    .private_segment_fixed_size: 0
    .sgpr_count:     0
    .sgpr_spill_count: 0
    .symbol:         _ZN7rocprim17ROCPRIM_400000_NS6detail17trampoline_kernelINS0_14default_configENS1_38merge_sort_block_merge_config_selectorIiNS0_10empty_typeEEEZZNS1_27merge_sort_block_merge_implIS3_N6thrust23THRUST_200600_302600_NS6detail15normal_iteratorINS9_10device_ptrIiEEEEPS5_jNS1_19radix_merge_compareILb0ELb1EiNS0_19identity_decomposerEEEEE10hipError_tT0_T1_T2_jT3_P12ihipStream_tbPNSt15iterator_traitsISK_E10value_typeEPNSQ_ISL_E10value_typeEPSM_NS1_7vsmem_tEENKUlT_SK_SL_SM_E_clIPiSE_SF_SF_EESJ_SZ_SK_SL_SM_EUlSZ_E0_NS1_11comp_targetILNS1_3genE0ELNS1_11target_archE4294967295ELNS1_3gpuE0ELNS1_3repE0EEENS1_38merge_mergepath_config_static_selectorELNS0_4arch9wavefront6targetE0EEEvSL_.kd
    .uniform_work_group_size: 1
    .uses_dynamic_stack: false
    .vgpr_count:     0
    .vgpr_spill_count: 0
    .wavefront_size: 32
    .workgroup_processor_mode: 1
  - .args:
      - .offset:         0
        .size:           64
        .value_kind:     by_value
    .group_segment_fixed_size: 0
    .kernarg_segment_align: 8
    .kernarg_segment_size: 64
    .language:       OpenCL C
    .language_version:
      - 2
      - 0
    .max_flat_workgroup_size: 256
    .name:           _ZN7rocprim17ROCPRIM_400000_NS6detail17trampoline_kernelINS0_14default_configENS1_38merge_sort_block_merge_config_selectorIiNS0_10empty_typeEEEZZNS1_27merge_sort_block_merge_implIS3_N6thrust23THRUST_200600_302600_NS6detail15normal_iteratorINS9_10device_ptrIiEEEEPS5_jNS1_19radix_merge_compareILb0ELb1EiNS0_19identity_decomposerEEEEE10hipError_tT0_T1_T2_jT3_P12ihipStream_tbPNSt15iterator_traitsISK_E10value_typeEPNSQ_ISL_E10value_typeEPSM_NS1_7vsmem_tEENKUlT_SK_SL_SM_E_clIPiSE_SF_SF_EESJ_SZ_SK_SL_SM_EUlSZ_E0_NS1_11comp_targetILNS1_3genE10ELNS1_11target_archE1201ELNS1_3gpuE5ELNS1_3repE0EEENS1_38merge_mergepath_config_static_selectorELNS0_4arch9wavefront6targetE0EEEvSL_
    .private_segment_fixed_size: 0
    .sgpr_count:     0
    .sgpr_spill_count: 0
    .symbol:         _ZN7rocprim17ROCPRIM_400000_NS6detail17trampoline_kernelINS0_14default_configENS1_38merge_sort_block_merge_config_selectorIiNS0_10empty_typeEEEZZNS1_27merge_sort_block_merge_implIS3_N6thrust23THRUST_200600_302600_NS6detail15normal_iteratorINS9_10device_ptrIiEEEEPS5_jNS1_19radix_merge_compareILb0ELb1EiNS0_19identity_decomposerEEEEE10hipError_tT0_T1_T2_jT3_P12ihipStream_tbPNSt15iterator_traitsISK_E10value_typeEPNSQ_ISL_E10value_typeEPSM_NS1_7vsmem_tEENKUlT_SK_SL_SM_E_clIPiSE_SF_SF_EESJ_SZ_SK_SL_SM_EUlSZ_E0_NS1_11comp_targetILNS1_3genE10ELNS1_11target_archE1201ELNS1_3gpuE5ELNS1_3repE0EEENS1_38merge_mergepath_config_static_selectorELNS0_4arch9wavefront6targetE0EEEvSL_.kd
    .uniform_work_group_size: 1
    .uses_dynamic_stack: false
    .vgpr_count:     0
    .vgpr_spill_count: 0
    .wavefront_size: 32
    .workgroup_processor_mode: 1
  - .args:
      - .offset:         0
        .size:           64
        .value_kind:     by_value
    .group_segment_fixed_size: 0
    .kernarg_segment_align: 8
    .kernarg_segment_size: 64
    .language:       OpenCL C
    .language_version:
      - 2
      - 0
    .max_flat_workgroup_size: 128
    .name:           _ZN7rocprim17ROCPRIM_400000_NS6detail17trampoline_kernelINS0_14default_configENS1_38merge_sort_block_merge_config_selectorIiNS0_10empty_typeEEEZZNS1_27merge_sort_block_merge_implIS3_N6thrust23THRUST_200600_302600_NS6detail15normal_iteratorINS9_10device_ptrIiEEEEPS5_jNS1_19radix_merge_compareILb0ELb1EiNS0_19identity_decomposerEEEEE10hipError_tT0_T1_T2_jT3_P12ihipStream_tbPNSt15iterator_traitsISK_E10value_typeEPNSQ_ISL_E10value_typeEPSM_NS1_7vsmem_tEENKUlT_SK_SL_SM_E_clIPiSE_SF_SF_EESJ_SZ_SK_SL_SM_EUlSZ_E0_NS1_11comp_targetILNS1_3genE5ELNS1_11target_archE942ELNS1_3gpuE9ELNS1_3repE0EEENS1_38merge_mergepath_config_static_selectorELNS0_4arch9wavefront6targetE0EEEvSL_
    .private_segment_fixed_size: 0
    .sgpr_count:     0
    .sgpr_spill_count: 0
    .symbol:         _ZN7rocprim17ROCPRIM_400000_NS6detail17trampoline_kernelINS0_14default_configENS1_38merge_sort_block_merge_config_selectorIiNS0_10empty_typeEEEZZNS1_27merge_sort_block_merge_implIS3_N6thrust23THRUST_200600_302600_NS6detail15normal_iteratorINS9_10device_ptrIiEEEEPS5_jNS1_19radix_merge_compareILb0ELb1EiNS0_19identity_decomposerEEEEE10hipError_tT0_T1_T2_jT3_P12ihipStream_tbPNSt15iterator_traitsISK_E10value_typeEPNSQ_ISL_E10value_typeEPSM_NS1_7vsmem_tEENKUlT_SK_SL_SM_E_clIPiSE_SF_SF_EESJ_SZ_SK_SL_SM_EUlSZ_E0_NS1_11comp_targetILNS1_3genE5ELNS1_11target_archE942ELNS1_3gpuE9ELNS1_3repE0EEENS1_38merge_mergepath_config_static_selectorELNS0_4arch9wavefront6targetE0EEEvSL_.kd
    .uniform_work_group_size: 1
    .uses_dynamic_stack: false
    .vgpr_count:     0
    .vgpr_spill_count: 0
    .wavefront_size: 32
    .workgroup_processor_mode: 1
  - .args:
      - .offset:         0
        .size:           64
        .value_kind:     by_value
    .group_segment_fixed_size: 0
    .kernarg_segment_align: 8
    .kernarg_segment_size: 64
    .language:       OpenCL C
    .language_version:
      - 2
      - 0
    .max_flat_workgroup_size: 128
    .name:           _ZN7rocprim17ROCPRIM_400000_NS6detail17trampoline_kernelINS0_14default_configENS1_38merge_sort_block_merge_config_selectorIiNS0_10empty_typeEEEZZNS1_27merge_sort_block_merge_implIS3_N6thrust23THRUST_200600_302600_NS6detail15normal_iteratorINS9_10device_ptrIiEEEEPS5_jNS1_19radix_merge_compareILb0ELb1EiNS0_19identity_decomposerEEEEE10hipError_tT0_T1_T2_jT3_P12ihipStream_tbPNSt15iterator_traitsISK_E10value_typeEPNSQ_ISL_E10value_typeEPSM_NS1_7vsmem_tEENKUlT_SK_SL_SM_E_clIPiSE_SF_SF_EESJ_SZ_SK_SL_SM_EUlSZ_E0_NS1_11comp_targetILNS1_3genE4ELNS1_11target_archE910ELNS1_3gpuE8ELNS1_3repE0EEENS1_38merge_mergepath_config_static_selectorELNS0_4arch9wavefront6targetE0EEEvSL_
    .private_segment_fixed_size: 0
    .sgpr_count:     0
    .sgpr_spill_count: 0
    .symbol:         _ZN7rocprim17ROCPRIM_400000_NS6detail17trampoline_kernelINS0_14default_configENS1_38merge_sort_block_merge_config_selectorIiNS0_10empty_typeEEEZZNS1_27merge_sort_block_merge_implIS3_N6thrust23THRUST_200600_302600_NS6detail15normal_iteratorINS9_10device_ptrIiEEEEPS5_jNS1_19radix_merge_compareILb0ELb1EiNS0_19identity_decomposerEEEEE10hipError_tT0_T1_T2_jT3_P12ihipStream_tbPNSt15iterator_traitsISK_E10value_typeEPNSQ_ISL_E10value_typeEPSM_NS1_7vsmem_tEENKUlT_SK_SL_SM_E_clIPiSE_SF_SF_EESJ_SZ_SK_SL_SM_EUlSZ_E0_NS1_11comp_targetILNS1_3genE4ELNS1_11target_archE910ELNS1_3gpuE8ELNS1_3repE0EEENS1_38merge_mergepath_config_static_selectorELNS0_4arch9wavefront6targetE0EEEvSL_.kd
    .uniform_work_group_size: 1
    .uses_dynamic_stack: false
    .vgpr_count:     0
    .vgpr_spill_count: 0
    .wavefront_size: 32
    .workgroup_processor_mode: 1
  - .args:
      - .offset:         0
        .size:           64
        .value_kind:     by_value
    .group_segment_fixed_size: 0
    .kernarg_segment_align: 8
    .kernarg_segment_size: 64
    .language:       OpenCL C
    .language_version:
      - 2
      - 0
    .max_flat_workgroup_size: 128
    .name:           _ZN7rocprim17ROCPRIM_400000_NS6detail17trampoline_kernelINS0_14default_configENS1_38merge_sort_block_merge_config_selectorIiNS0_10empty_typeEEEZZNS1_27merge_sort_block_merge_implIS3_N6thrust23THRUST_200600_302600_NS6detail15normal_iteratorINS9_10device_ptrIiEEEEPS5_jNS1_19radix_merge_compareILb0ELb1EiNS0_19identity_decomposerEEEEE10hipError_tT0_T1_T2_jT3_P12ihipStream_tbPNSt15iterator_traitsISK_E10value_typeEPNSQ_ISL_E10value_typeEPSM_NS1_7vsmem_tEENKUlT_SK_SL_SM_E_clIPiSE_SF_SF_EESJ_SZ_SK_SL_SM_EUlSZ_E0_NS1_11comp_targetILNS1_3genE3ELNS1_11target_archE908ELNS1_3gpuE7ELNS1_3repE0EEENS1_38merge_mergepath_config_static_selectorELNS0_4arch9wavefront6targetE0EEEvSL_
    .private_segment_fixed_size: 0
    .sgpr_count:     0
    .sgpr_spill_count: 0
    .symbol:         _ZN7rocprim17ROCPRIM_400000_NS6detail17trampoline_kernelINS0_14default_configENS1_38merge_sort_block_merge_config_selectorIiNS0_10empty_typeEEEZZNS1_27merge_sort_block_merge_implIS3_N6thrust23THRUST_200600_302600_NS6detail15normal_iteratorINS9_10device_ptrIiEEEEPS5_jNS1_19radix_merge_compareILb0ELb1EiNS0_19identity_decomposerEEEEE10hipError_tT0_T1_T2_jT3_P12ihipStream_tbPNSt15iterator_traitsISK_E10value_typeEPNSQ_ISL_E10value_typeEPSM_NS1_7vsmem_tEENKUlT_SK_SL_SM_E_clIPiSE_SF_SF_EESJ_SZ_SK_SL_SM_EUlSZ_E0_NS1_11comp_targetILNS1_3genE3ELNS1_11target_archE908ELNS1_3gpuE7ELNS1_3repE0EEENS1_38merge_mergepath_config_static_selectorELNS0_4arch9wavefront6targetE0EEEvSL_.kd
    .uniform_work_group_size: 1
    .uses_dynamic_stack: false
    .vgpr_count:     0
    .vgpr_spill_count: 0
    .wavefront_size: 32
    .workgroup_processor_mode: 1
  - .args:
      - .offset:         0
        .size:           64
        .value_kind:     by_value
    .group_segment_fixed_size: 0
    .kernarg_segment_align: 8
    .kernarg_segment_size: 64
    .language:       OpenCL C
    .language_version:
      - 2
      - 0
    .max_flat_workgroup_size: 128
    .name:           _ZN7rocprim17ROCPRIM_400000_NS6detail17trampoline_kernelINS0_14default_configENS1_38merge_sort_block_merge_config_selectorIiNS0_10empty_typeEEEZZNS1_27merge_sort_block_merge_implIS3_N6thrust23THRUST_200600_302600_NS6detail15normal_iteratorINS9_10device_ptrIiEEEEPS5_jNS1_19radix_merge_compareILb0ELb1EiNS0_19identity_decomposerEEEEE10hipError_tT0_T1_T2_jT3_P12ihipStream_tbPNSt15iterator_traitsISK_E10value_typeEPNSQ_ISL_E10value_typeEPSM_NS1_7vsmem_tEENKUlT_SK_SL_SM_E_clIPiSE_SF_SF_EESJ_SZ_SK_SL_SM_EUlSZ_E0_NS1_11comp_targetILNS1_3genE2ELNS1_11target_archE906ELNS1_3gpuE6ELNS1_3repE0EEENS1_38merge_mergepath_config_static_selectorELNS0_4arch9wavefront6targetE0EEEvSL_
    .private_segment_fixed_size: 0
    .sgpr_count:     0
    .sgpr_spill_count: 0
    .symbol:         _ZN7rocprim17ROCPRIM_400000_NS6detail17trampoline_kernelINS0_14default_configENS1_38merge_sort_block_merge_config_selectorIiNS0_10empty_typeEEEZZNS1_27merge_sort_block_merge_implIS3_N6thrust23THRUST_200600_302600_NS6detail15normal_iteratorINS9_10device_ptrIiEEEEPS5_jNS1_19radix_merge_compareILb0ELb1EiNS0_19identity_decomposerEEEEE10hipError_tT0_T1_T2_jT3_P12ihipStream_tbPNSt15iterator_traitsISK_E10value_typeEPNSQ_ISL_E10value_typeEPSM_NS1_7vsmem_tEENKUlT_SK_SL_SM_E_clIPiSE_SF_SF_EESJ_SZ_SK_SL_SM_EUlSZ_E0_NS1_11comp_targetILNS1_3genE2ELNS1_11target_archE906ELNS1_3gpuE6ELNS1_3repE0EEENS1_38merge_mergepath_config_static_selectorELNS0_4arch9wavefront6targetE0EEEvSL_.kd
    .uniform_work_group_size: 1
    .uses_dynamic_stack: false
    .vgpr_count:     0
    .vgpr_spill_count: 0
    .wavefront_size: 32
    .workgroup_processor_mode: 1
  - .args:
      - .offset:         0
        .size:           64
        .value_kind:     by_value
    .group_segment_fixed_size: 0
    .kernarg_segment_align: 8
    .kernarg_segment_size: 64
    .language:       OpenCL C
    .language_version:
      - 2
      - 0
    .max_flat_workgroup_size: 256
    .name:           _ZN7rocprim17ROCPRIM_400000_NS6detail17trampoline_kernelINS0_14default_configENS1_38merge_sort_block_merge_config_selectorIiNS0_10empty_typeEEEZZNS1_27merge_sort_block_merge_implIS3_N6thrust23THRUST_200600_302600_NS6detail15normal_iteratorINS9_10device_ptrIiEEEEPS5_jNS1_19radix_merge_compareILb0ELb1EiNS0_19identity_decomposerEEEEE10hipError_tT0_T1_T2_jT3_P12ihipStream_tbPNSt15iterator_traitsISK_E10value_typeEPNSQ_ISL_E10value_typeEPSM_NS1_7vsmem_tEENKUlT_SK_SL_SM_E_clIPiSE_SF_SF_EESJ_SZ_SK_SL_SM_EUlSZ_E0_NS1_11comp_targetILNS1_3genE9ELNS1_11target_archE1100ELNS1_3gpuE3ELNS1_3repE0EEENS1_38merge_mergepath_config_static_selectorELNS0_4arch9wavefront6targetE0EEEvSL_
    .private_segment_fixed_size: 0
    .sgpr_count:     0
    .sgpr_spill_count: 0
    .symbol:         _ZN7rocprim17ROCPRIM_400000_NS6detail17trampoline_kernelINS0_14default_configENS1_38merge_sort_block_merge_config_selectorIiNS0_10empty_typeEEEZZNS1_27merge_sort_block_merge_implIS3_N6thrust23THRUST_200600_302600_NS6detail15normal_iteratorINS9_10device_ptrIiEEEEPS5_jNS1_19radix_merge_compareILb0ELb1EiNS0_19identity_decomposerEEEEE10hipError_tT0_T1_T2_jT3_P12ihipStream_tbPNSt15iterator_traitsISK_E10value_typeEPNSQ_ISL_E10value_typeEPSM_NS1_7vsmem_tEENKUlT_SK_SL_SM_E_clIPiSE_SF_SF_EESJ_SZ_SK_SL_SM_EUlSZ_E0_NS1_11comp_targetILNS1_3genE9ELNS1_11target_archE1100ELNS1_3gpuE3ELNS1_3repE0EEENS1_38merge_mergepath_config_static_selectorELNS0_4arch9wavefront6targetE0EEEvSL_.kd
    .uniform_work_group_size: 1
    .uses_dynamic_stack: false
    .vgpr_count:     0
    .vgpr_spill_count: 0
    .wavefront_size: 32
    .workgroup_processor_mode: 1
  - .args:
      - .offset:         0
        .size:           64
        .value_kind:     by_value
      - .offset:         64
        .size:           4
        .value_kind:     hidden_block_count_x
      - .offset:         68
        .size:           4
        .value_kind:     hidden_block_count_y
      - .offset:         72
        .size:           4
        .value_kind:     hidden_block_count_z
      - .offset:         76
        .size:           2
        .value_kind:     hidden_group_size_x
      - .offset:         78
        .size:           2
        .value_kind:     hidden_group_size_y
      - .offset:         80
        .size:           2
        .value_kind:     hidden_group_size_z
      - .offset:         82
        .size:           2
        .value_kind:     hidden_remainder_x
      - .offset:         84
        .size:           2
        .value_kind:     hidden_remainder_y
      - .offset:         86
        .size:           2
        .value_kind:     hidden_remainder_z
      - .offset:         104
        .size:           8
        .value_kind:     hidden_global_offset_x
      - .offset:         112
        .size:           8
        .value_kind:     hidden_global_offset_y
      - .offset:         120
        .size:           8
        .value_kind:     hidden_global_offset_z
      - .offset:         128
        .size:           2
        .value_kind:     hidden_grid_dims
    .group_segment_fixed_size: 4224
    .kernarg_segment_align: 8
    .kernarg_segment_size: 320
    .language:       OpenCL C
    .language_version:
      - 2
      - 0
    .max_flat_workgroup_size: 512
    .name:           _ZN7rocprim17ROCPRIM_400000_NS6detail17trampoline_kernelINS0_14default_configENS1_38merge_sort_block_merge_config_selectorIiNS0_10empty_typeEEEZZNS1_27merge_sort_block_merge_implIS3_N6thrust23THRUST_200600_302600_NS6detail15normal_iteratorINS9_10device_ptrIiEEEEPS5_jNS1_19radix_merge_compareILb0ELb1EiNS0_19identity_decomposerEEEEE10hipError_tT0_T1_T2_jT3_P12ihipStream_tbPNSt15iterator_traitsISK_E10value_typeEPNSQ_ISL_E10value_typeEPSM_NS1_7vsmem_tEENKUlT_SK_SL_SM_E_clIPiSE_SF_SF_EESJ_SZ_SK_SL_SM_EUlSZ_E0_NS1_11comp_targetILNS1_3genE8ELNS1_11target_archE1030ELNS1_3gpuE2ELNS1_3repE0EEENS1_38merge_mergepath_config_static_selectorELNS0_4arch9wavefront6targetE0EEEvSL_
    .private_segment_fixed_size: 0
    .sgpr_count:     26
    .sgpr_spill_count: 0
    .symbol:         _ZN7rocprim17ROCPRIM_400000_NS6detail17trampoline_kernelINS0_14default_configENS1_38merge_sort_block_merge_config_selectorIiNS0_10empty_typeEEEZZNS1_27merge_sort_block_merge_implIS3_N6thrust23THRUST_200600_302600_NS6detail15normal_iteratorINS9_10device_ptrIiEEEEPS5_jNS1_19radix_merge_compareILb0ELb1EiNS0_19identity_decomposerEEEEE10hipError_tT0_T1_T2_jT3_P12ihipStream_tbPNSt15iterator_traitsISK_E10value_typeEPNSQ_ISL_E10value_typeEPSM_NS1_7vsmem_tEENKUlT_SK_SL_SM_E_clIPiSE_SF_SF_EESJ_SZ_SK_SL_SM_EUlSZ_E0_NS1_11comp_targetILNS1_3genE8ELNS1_11target_archE1030ELNS1_3gpuE2ELNS1_3repE0EEENS1_38merge_mergepath_config_static_selectorELNS0_4arch9wavefront6targetE0EEEvSL_.kd
    .uniform_work_group_size: 1
    .uses_dynamic_stack: false
    .vgpr_count:     14
    .vgpr_spill_count: 0
    .wavefront_size: 32
    .workgroup_processor_mode: 1
  - .args:
      - .offset:         0
        .size:           48
        .value_kind:     by_value
    .group_segment_fixed_size: 0
    .kernarg_segment_align: 8
    .kernarg_segment_size: 48
    .language:       OpenCL C
    .language_version:
      - 2
      - 0
    .max_flat_workgroup_size: 256
    .name:           _ZN7rocprim17ROCPRIM_400000_NS6detail17trampoline_kernelINS0_14default_configENS1_38merge_sort_block_merge_config_selectorIiNS0_10empty_typeEEEZZNS1_27merge_sort_block_merge_implIS3_N6thrust23THRUST_200600_302600_NS6detail15normal_iteratorINS9_10device_ptrIiEEEEPS5_jNS1_19radix_merge_compareILb0ELb1EiNS0_19identity_decomposerEEEEE10hipError_tT0_T1_T2_jT3_P12ihipStream_tbPNSt15iterator_traitsISK_E10value_typeEPNSQ_ISL_E10value_typeEPSM_NS1_7vsmem_tEENKUlT_SK_SL_SM_E_clIPiSE_SF_SF_EESJ_SZ_SK_SL_SM_EUlSZ_E1_NS1_11comp_targetILNS1_3genE0ELNS1_11target_archE4294967295ELNS1_3gpuE0ELNS1_3repE0EEENS1_36merge_oddeven_config_static_selectorELNS0_4arch9wavefront6targetE0EEEvSL_
    .private_segment_fixed_size: 0
    .sgpr_count:     0
    .sgpr_spill_count: 0
    .symbol:         _ZN7rocprim17ROCPRIM_400000_NS6detail17trampoline_kernelINS0_14default_configENS1_38merge_sort_block_merge_config_selectorIiNS0_10empty_typeEEEZZNS1_27merge_sort_block_merge_implIS3_N6thrust23THRUST_200600_302600_NS6detail15normal_iteratorINS9_10device_ptrIiEEEEPS5_jNS1_19radix_merge_compareILb0ELb1EiNS0_19identity_decomposerEEEEE10hipError_tT0_T1_T2_jT3_P12ihipStream_tbPNSt15iterator_traitsISK_E10value_typeEPNSQ_ISL_E10value_typeEPSM_NS1_7vsmem_tEENKUlT_SK_SL_SM_E_clIPiSE_SF_SF_EESJ_SZ_SK_SL_SM_EUlSZ_E1_NS1_11comp_targetILNS1_3genE0ELNS1_11target_archE4294967295ELNS1_3gpuE0ELNS1_3repE0EEENS1_36merge_oddeven_config_static_selectorELNS0_4arch9wavefront6targetE0EEEvSL_.kd
    .uniform_work_group_size: 1
    .uses_dynamic_stack: false
    .vgpr_count:     0
    .vgpr_spill_count: 0
    .wavefront_size: 32
    .workgroup_processor_mode: 1
  - .args:
      - .offset:         0
        .size:           48
        .value_kind:     by_value
    .group_segment_fixed_size: 0
    .kernarg_segment_align: 8
    .kernarg_segment_size: 48
    .language:       OpenCL C
    .language_version:
      - 2
      - 0
    .max_flat_workgroup_size: 256
    .name:           _ZN7rocprim17ROCPRIM_400000_NS6detail17trampoline_kernelINS0_14default_configENS1_38merge_sort_block_merge_config_selectorIiNS0_10empty_typeEEEZZNS1_27merge_sort_block_merge_implIS3_N6thrust23THRUST_200600_302600_NS6detail15normal_iteratorINS9_10device_ptrIiEEEEPS5_jNS1_19radix_merge_compareILb0ELb1EiNS0_19identity_decomposerEEEEE10hipError_tT0_T1_T2_jT3_P12ihipStream_tbPNSt15iterator_traitsISK_E10value_typeEPNSQ_ISL_E10value_typeEPSM_NS1_7vsmem_tEENKUlT_SK_SL_SM_E_clIPiSE_SF_SF_EESJ_SZ_SK_SL_SM_EUlSZ_E1_NS1_11comp_targetILNS1_3genE10ELNS1_11target_archE1201ELNS1_3gpuE5ELNS1_3repE0EEENS1_36merge_oddeven_config_static_selectorELNS0_4arch9wavefront6targetE0EEEvSL_
    .private_segment_fixed_size: 0
    .sgpr_count:     0
    .sgpr_spill_count: 0
    .symbol:         _ZN7rocprim17ROCPRIM_400000_NS6detail17trampoline_kernelINS0_14default_configENS1_38merge_sort_block_merge_config_selectorIiNS0_10empty_typeEEEZZNS1_27merge_sort_block_merge_implIS3_N6thrust23THRUST_200600_302600_NS6detail15normal_iteratorINS9_10device_ptrIiEEEEPS5_jNS1_19radix_merge_compareILb0ELb1EiNS0_19identity_decomposerEEEEE10hipError_tT0_T1_T2_jT3_P12ihipStream_tbPNSt15iterator_traitsISK_E10value_typeEPNSQ_ISL_E10value_typeEPSM_NS1_7vsmem_tEENKUlT_SK_SL_SM_E_clIPiSE_SF_SF_EESJ_SZ_SK_SL_SM_EUlSZ_E1_NS1_11comp_targetILNS1_3genE10ELNS1_11target_archE1201ELNS1_3gpuE5ELNS1_3repE0EEENS1_36merge_oddeven_config_static_selectorELNS0_4arch9wavefront6targetE0EEEvSL_.kd
    .uniform_work_group_size: 1
    .uses_dynamic_stack: false
    .vgpr_count:     0
    .vgpr_spill_count: 0
    .wavefront_size: 32
    .workgroup_processor_mode: 1
  - .args:
      - .offset:         0
        .size:           48
        .value_kind:     by_value
    .group_segment_fixed_size: 0
    .kernarg_segment_align: 8
    .kernarg_segment_size: 48
    .language:       OpenCL C
    .language_version:
      - 2
      - 0
    .max_flat_workgroup_size: 256
    .name:           _ZN7rocprim17ROCPRIM_400000_NS6detail17trampoline_kernelINS0_14default_configENS1_38merge_sort_block_merge_config_selectorIiNS0_10empty_typeEEEZZNS1_27merge_sort_block_merge_implIS3_N6thrust23THRUST_200600_302600_NS6detail15normal_iteratorINS9_10device_ptrIiEEEEPS5_jNS1_19radix_merge_compareILb0ELb1EiNS0_19identity_decomposerEEEEE10hipError_tT0_T1_T2_jT3_P12ihipStream_tbPNSt15iterator_traitsISK_E10value_typeEPNSQ_ISL_E10value_typeEPSM_NS1_7vsmem_tEENKUlT_SK_SL_SM_E_clIPiSE_SF_SF_EESJ_SZ_SK_SL_SM_EUlSZ_E1_NS1_11comp_targetILNS1_3genE5ELNS1_11target_archE942ELNS1_3gpuE9ELNS1_3repE0EEENS1_36merge_oddeven_config_static_selectorELNS0_4arch9wavefront6targetE0EEEvSL_
    .private_segment_fixed_size: 0
    .sgpr_count:     0
    .sgpr_spill_count: 0
    .symbol:         _ZN7rocprim17ROCPRIM_400000_NS6detail17trampoline_kernelINS0_14default_configENS1_38merge_sort_block_merge_config_selectorIiNS0_10empty_typeEEEZZNS1_27merge_sort_block_merge_implIS3_N6thrust23THRUST_200600_302600_NS6detail15normal_iteratorINS9_10device_ptrIiEEEEPS5_jNS1_19radix_merge_compareILb0ELb1EiNS0_19identity_decomposerEEEEE10hipError_tT0_T1_T2_jT3_P12ihipStream_tbPNSt15iterator_traitsISK_E10value_typeEPNSQ_ISL_E10value_typeEPSM_NS1_7vsmem_tEENKUlT_SK_SL_SM_E_clIPiSE_SF_SF_EESJ_SZ_SK_SL_SM_EUlSZ_E1_NS1_11comp_targetILNS1_3genE5ELNS1_11target_archE942ELNS1_3gpuE9ELNS1_3repE0EEENS1_36merge_oddeven_config_static_selectorELNS0_4arch9wavefront6targetE0EEEvSL_.kd
    .uniform_work_group_size: 1
    .uses_dynamic_stack: false
    .vgpr_count:     0
    .vgpr_spill_count: 0
    .wavefront_size: 32
    .workgroup_processor_mode: 1
  - .args:
      - .offset:         0
        .size:           48
        .value_kind:     by_value
    .group_segment_fixed_size: 0
    .kernarg_segment_align: 8
    .kernarg_segment_size: 48
    .language:       OpenCL C
    .language_version:
      - 2
      - 0
    .max_flat_workgroup_size: 256
    .name:           _ZN7rocprim17ROCPRIM_400000_NS6detail17trampoline_kernelINS0_14default_configENS1_38merge_sort_block_merge_config_selectorIiNS0_10empty_typeEEEZZNS1_27merge_sort_block_merge_implIS3_N6thrust23THRUST_200600_302600_NS6detail15normal_iteratorINS9_10device_ptrIiEEEEPS5_jNS1_19radix_merge_compareILb0ELb1EiNS0_19identity_decomposerEEEEE10hipError_tT0_T1_T2_jT3_P12ihipStream_tbPNSt15iterator_traitsISK_E10value_typeEPNSQ_ISL_E10value_typeEPSM_NS1_7vsmem_tEENKUlT_SK_SL_SM_E_clIPiSE_SF_SF_EESJ_SZ_SK_SL_SM_EUlSZ_E1_NS1_11comp_targetILNS1_3genE4ELNS1_11target_archE910ELNS1_3gpuE8ELNS1_3repE0EEENS1_36merge_oddeven_config_static_selectorELNS0_4arch9wavefront6targetE0EEEvSL_
    .private_segment_fixed_size: 0
    .sgpr_count:     0
    .sgpr_spill_count: 0
    .symbol:         _ZN7rocprim17ROCPRIM_400000_NS6detail17trampoline_kernelINS0_14default_configENS1_38merge_sort_block_merge_config_selectorIiNS0_10empty_typeEEEZZNS1_27merge_sort_block_merge_implIS3_N6thrust23THRUST_200600_302600_NS6detail15normal_iteratorINS9_10device_ptrIiEEEEPS5_jNS1_19radix_merge_compareILb0ELb1EiNS0_19identity_decomposerEEEEE10hipError_tT0_T1_T2_jT3_P12ihipStream_tbPNSt15iterator_traitsISK_E10value_typeEPNSQ_ISL_E10value_typeEPSM_NS1_7vsmem_tEENKUlT_SK_SL_SM_E_clIPiSE_SF_SF_EESJ_SZ_SK_SL_SM_EUlSZ_E1_NS1_11comp_targetILNS1_3genE4ELNS1_11target_archE910ELNS1_3gpuE8ELNS1_3repE0EEENS1_36merge_oddeven_config_static_selectorELNS0_4arch9wavefront6targetE0EEEvSL_.kd
    .uniform_work_group_size: 1
    .uses_dynamic_stack: false
    .vgpr_count:     0
    .vgpr_spill_count: 0
    .wavefront_size: 32
    .workgroup_processor_mode: 1
  - .args:
      - .offset:         0
        .size:           48
        .value_kind:     by_value
    .group_segment_fixed_size: 0
    .kernarg_segment_align: 8
    .kernarg_segment_size: 48
    .language:       OpenCL C
    .language_version:
      - 2
      - 0
    .max_flat_workgroup_size: 256
    .name:           _ZN7rocprim17ROCPRIM_400000_NS6detail17trampoline_kernelINS0_14default_configENS1_38merge_sort_block_merge_config_selectorIiNS0_10empty_typeEEEZZNS1_27merge_sort_block_merge_implIS3_N6thrust23THRUST_200600_302600_NS6detail15normal_iteratorINS9_10device_ptrIiEEEEPS5_jNS1_19radix_merge_compareILb0ELb1EiNS0_19identity_decomposerEEEEE10hipError_tT0_T1_T2_jT3_P12ihipStream_tbPNSt15iterator_traitsISK_E10value_typeEPNSQ_ISL_E10value_typeEPSM_NS1_7vsmem_tEENKUlT_SK_SL_SM_E_clIPiSE_SF_SF_EESJ_SZ_SK_SL_SM_EUlSZ_E1_NS1_11comp_targetILNS1_3genE3ELNS1_11target_archE908ELNS1_3gpuE7ELNS1_3repE0EEENS1_36merge_oddeven_config_static_selectorELNS0_4arch9wavefront6targetE0EEEvSL_
    .private_segment_fixed_size: 0
    .sgpr_count:     0
    .sgpr_spill_count: 0
    .symbol:         _ZN7rocprim17ROCPRIM_400000_NS6detail17trampoline_kernelINS0_14default_configENS1_38merge_sort_block_merge_config_selectorIiNS0_10empty_typeEEEZZNS1_27merge_sort_block_merge_implIS3_N6thrust23THRUST_200600_302600_NS6detail15normal_iteratorINS9_10device_ptrIiEEEEPS5_jNS1_19radix_merge_compareILb0ELb1EiNS0_19identity_decomposerEEEEE10hipError_tT0_T1_T2_jT3_P12ihipStream_tbPNSt15iterator_traitsISK_E10value_typeEPNSQ_ISL_E10value_typeEPSM_NS1_7vsmem_tEENKUlT_SK_SL_SM_E_clIPiSE_SF_SF_EESJ_SZ_SK_SL_SM_EUlSZ_E1_NS1_11comp_targetILNS1_3genE3ELNS1_11target_archE908ELNS1_3gpuE7ELNS1_3repE0EEENS1_36merge_oddeven_config_static_selectorELNS0_4arch9wavefront6targetE0EEEvSL_.kd
    .uniform_work_group_size: 1
    .uses_dynamic_stack: false
    .vgpr_count:     0
    .vgpr_spill_count: 0
    .wavefront_size: 32
    .workgroup_processor_mode: 1
  - .args:
      - .offset:         0
        .size:           48
        .value_kind:     by_value
    .group_segment_fixed_size: 0
    .kernarg_segment_align: 8
    .kernarg_segment_size: 48
    .language:       OpenCL C
    .language_version:
      - 2
      - 0
    .max_flat_workgroup_size: 256
    .name:           _ZN7rocprim17ROCPRIM_400000_NS6detail17trampoline_kernelINS0_14default_configENS1_38merge_sort_block_merge_config_selectorIiNS0_10empty_typeEEEZZNS1_27merge_sort_block_merge_implIS3_N6thrust23THRUST_200600_302600_NS6detail15normal_iteratorINS9_10device_ptrIiEEEEPS5_jNS1_19radix_merge_compareILb0ELb1EiNS0_19identity_decomposerEEEEE10hipError_tT0_T1_T2_jT3_P12ihipStream_tbPNSt15iterator_traitsISK_E10value_typeEPNSQ_ISL_E10value_typeEPSM_NS1_7vsmem_tEENKUlT_SK_SL_SM_E_clIPiSE_SF_SF_EESJ_SZ_SK_SL_SM_EUlSZ_E1_NS1_11comp_targetILNS1_3genE2ELNS1_11target_archE906ELNS1_3gpuE6ELNS1_3repE0EEENS1_36merge_oddeven_config_static_selectorELNS0_4arch9wavefront6targetE0EEEvSL_
    .private_segment_fixed_size: 0
    .sgpr_count:     0
    .sgpr_spill_count: 0
    .symbol:         _ZN7rocprim17ROCPRIM_400000_NS6detail17trampoline_kernelINS0_14default_configENS1_38merge_sort_block_merge_config_selectorIiNS0_10empty_typeEEEZZNS1_27merge_sort_block_merge_implIS3_N6thrust23THRUST_200600_302600_NS6detail15normal_iteratorINS9_10device_ptrIiEEEEPS5_jNS1_19radix_merge_compareILb0ELb1EiNS0_19identity_decomposerEEEEE10hipError_tT0_T1_T2_jT3_P12ihipStream_tbPNSt15iterator_traitsISK_E10value_typeEPNSQ_ISL_E10value_typeEPSM_NS1_7vsmem_tEENKUlT_SK_SL_SM_E_clIPiSE_SF_SF_EESJ_SZ_SK_SL_SM_EUlSZ_E1_NS1_11comp_targetILNS1_3genE2ELNS1_11target_archE906ELNS1_3gpuE6ELNS1_3repE0EEENS1_36merge_oddeven_config_static_selectorELNS0_4arch9wavefront6targetE0EEEvSL_.kd
    .uniform_work_group_size: 1
    .uses_dynamic_stack: false
    .vgpr_count:     0
    .vgpr_spill_count: 0
    .wavefront_size: 32
    .workgroup_processor_mode: 1
  - .args:
      - .offset:         0
        .size:           48
        .value_kind:     by_value
    .group_segment_fixed_size: 0
    .kernarg_segment_align: 8
    .kernarg_segment_size: 48
    .language:       OpenCL C
    .language_version:
      - 2
      - 0
    .max_flat_workgroup_size: 256
    .name:           _ZN7rocprim17ROCPRIM_400000_NS6detail17trampoline_kernelINS0_14default_configENS1_38merge_sort_block_merge_config_selectorIiNS0_10empty_typeEEEZZNS1_27merge_sort_block_merge_implIS3_N6thrust23THRUST_200600_302600_NS6detail15normal_iteratorINS9_10device_ptrIiEEEEPS5_jNS1_19radix_merge_compareILb0ELb1EiNS0_19identity_decomposerEEEEE10hipError_tT0_T1_T2_jT3_P12ihipStream_tbPNSt15iterator_traitsISK_E10value_typeEPNSQ_ISL_E10value_typeEPSM_NS1_7vsmem_tEENKUlT_SK_SL_SM_E_clIPiSE_SF_SF_EESJ_SZ_SK_SL_SM_EUlSZ_E1_NS1_11comp_targetILNS1_3genE9ELNS1_11target_archE1100ELNS1_3gpuE3ELNS1_3repE0EEENS1_36merge_oddeven_config_static_selectorELNS0_4arch9wavefront6targetE0EEEvSL_
    .private_segment_fixed_size: 0
    .sgpr_count:     0
    .sgpr_spill_count: 0
    .symbol:         _ZN7rocprim17ROCPRIM_400000_NS6detail17trampoline_kernelINS0_14default_configENS1_38merge_sort_block_merge_config_selectorIiNS0_10empty_typeEEEZZNS1_27merge_sort_block_merge_implIS3_N6thrust23THRUST_200600_302600_NS6detail15normal_iteratorINS9_10device_ptrIiEEEEPS5_jNS1_19radix_merge_compareILb0ELb1EiNS0_19identity_decomposerEEEEE10hipError_tT0_T1_T2_jT3_P12ihipStream_tbPNSt15iterator_traitsISK_E10value_typeEPNSQ_ISL_E10value_typeEPSM_NS1_7vsmem_tEENKUlT_SK_SL_SM_E_clIPiSE_SF_SF_EESJ_SZ_SK_SL_SM_EUlSZ_E1_NS1_11comp_targetILNS1_3genE9ELNS1_11target_archE1100ELNS1_3gpuE3ELNS1_3repE0EEENS1_36merge_oddeven_config_static_selectorELNS0_4arch9wavefront6targetE0EEEvSL_.kd
    .uniform_work_group_size: 1
    .uses_dynamic_stack: false
    .vgpr_count:     0
    .vgpr_spill_count: 0
    .wavefront_size: 32
    .workgroup_processor_mode: 1
  - .args:
      - .offset:         0
        .size:           48
        .value_kind:     by_value
    .group_segment_fixed_size: 0
    .kernarg_segment_align: 8
    .kernarg_segment_size: 48
    .language:       OpenCL C
    .language_version:
      - 2
      - 0
    .max_flat_workgroup_size: 256
    .name:           _ZN7rocprim17ROCPRIM_400000_NS6detail17trampoline_kernelINS0_14default_configENS1_38merge_sort_block_merge_config_selectorIiNS0_10empty_typeEEEZZNS1_27merge_sort_block_merge_implIS3_N6thrust23THRUST_200600_302600_NS6detail15normal_iteratorINS9_10device_ptrIiEEEEPS5_jNS1_19radix_merge_compareILb0ELb1EiNS0_19identity_decomposerEEEEE10hipError_tT0_T1_T2_jT3_P12ihipStream_tbPNSt15iterator_traitsISK_E10value_typeEPNSQ_ISL_E10value_typeEPSM_NS1_7vsmem_tEENKUlT_SK_SL_SM_E_clIPiSE_SF_SF_EESJ_SZ_SK_SL_SM_EUlSZ_E1_NS1_11comp_targetILNS1_3genE8ELNS1_11target_archE1030ELNS1_3gpuE2ELNS1_3repE0EEENS1_36merge_oddeven_config_static_selectorELNS0_4arch9wavefront6targetE0EEEvSL_
    .private_segment_fixed_size: 0
    .sgpr_count:     20
    .sgpr_spill_count: 0
    .symbol:         _ZN7rocprim17ROCPRIM_400000_NS6detail17trampoline_kernelINS0_14default_configENS1_38merge_sort_block_merge_config_selectorIiNS0_10empty_typeEEEZZNS1_27merge_sort_block_merge_implIS3_N6thrust23THRUST_200600_302600_NS6detail15normal_iteratorINS9_10device_ptrIiEEEEPS5_jNS1_19radix_merge_compareILb0ELb1EiNS0_19identity_decomposerEEEEE10hipError_tT0_T1_T2_jT3_P12ihipStream_tbPNSt15iterator_traitsISK_E10value_typeEPNSQ_ISL_E10value_typeEPSM_NS1_7vsmem_tEENKUlT_SK_SL_SM_E_clIPiSE_SF_SF_EESJ_SZ_SK_SL_SM_EUlSZ_E1_NS1_11comp_targetILNS1_3genE8ELNS1_11target_archE1030ELNS1_3gpuE2ELNS1_3repE0EEENS1_36merge_oddeven_config_static_selectorELNS0_4arch9wavefront6targetE0EEEvSL_.kd
    .uniform_work_group_size: 1
    .uses_dynamic_stack: false
    .vgpr_count:     9
    .vgpr_spill_count: 0
    .wavefront_size: 32
    .workgroup_processor_mode: 1
  - .args:
      - .offset:         0
        .size:           40
        .value_kind:     by_value
    .group_segment_fixed_size: 0
    .kernarg_segment_align: 8
    .kernarg_segment_size: 40
    .language:       OpenCL C
    .language_version:
      - 2
      - 0
    .max_flat_workgroup_size: 128
    .name:           _ZN7rocprim17ROCPRIM_400000_NS6detail17trampoline_kernelINS0_14default_configENS1_38merge_sort_block_merge_config_selectorIiNS0_10empty_typeEEEZZNS1_27merge_sort_block_merge_implIS3_N6thrust23THRUST_200600_302600_NS6detail15normal_iteratorINS9_10device_ptrIiEEEEPS5_jNS1_19radix_merge_compareILb0ELb1EiNS0_19identity_decomposerEEEEE10hipError_tT0_T1_T2_jT3_P12ihipStream_tbPNSt15iterator_traitsISK_E10value_typeEPNSQ_ISL_E10value_typeEPSM_NS1_7vsmem_tEENKUlT_SK_SL_SM_E_clISE_PiSF_SF_EESJ_SZ_SK_SL_SM_EUlSZ_E_NS1_11comp_targetILNS1_3genE0ELNS1_11target_archE4294967295ELNS1_3gpuE0ELNS1_3repE0EEENS1_48merge_mergepath_partition_config_static_selectorELNS0_4arch9wavefront6targetE0EEEvSL_
    .private_segment_fixed_size: 0
    .sgpr_count:     0
    .sgpr_spill_count: 0
    .symbol:         _ZN7rocprim17ROCPRIM_400000_NS6detail17trampoline_kernelINS0_14default_configENS1_38merge_sort_block_merge_config_selectorIiNS0_10empty_typeEEEZZNS1_27merge_sort_block_merge_implIS3_N6thrust23THRUST_200600_302600_NS6detail15normal_iteratorINS9_10device_ptrIiEEEEPS5_jNS1_19radix_merge_compareILb0ELb1EiNS0_19identity_decomposerEEEEE10hipError_tT0_T1_T2_jT3_P12ihipStream_tbPNSt15iterator_traitsISK_E10value_typeEPNSQ_ISL_E10value_typeEPSM_NS1_7vsmem_tEENKUlT_SK_SL_SM_E_clISE_PiSF_SF_EESJ_SZ_SK_SL_SM_EUlSZ_E_NS1_11comp_targetILNS1_3genE0ELNS1_11target_archE4294967295ELNS1_3gpuE0ELNS1_3repE0EEENS1_48merge_mergepath_partition_config_static_selectorELNS0_4arch9wavefront6targetE0EEEvSL_.kd
    .uniform_work_group_size: 1
    .uses_dynamic_stack: false
    .vgpr_count:     0
    .vgpr_spill_count: 0
    .wavefront_size: 32
    .workgroup_processor_mode: 1
  - .args:
      - .offset:         0
        .size:           40
        .value_kind:     by_value
    .group_segment_fixed_size: 0
    .kernarg_segment_align: 8
    .kernarg_segment_size: 40
    .language:       OpenCL C
    .language_version:
      - 2
      - 0
    .max_flat_workgroup_size: 128
    .name:           _ZN7rocprim17ROCPRIM_400000_NS6detail17trampoline_kernelINS0_14default_configENS1_38merge_sort_block_merge_config_selectorIiNS0_10empty_typeEEEZZNS1_27merge_sort_block_merge_implIS3_N6thrust23THRUST_200600_302600_NS6detail15normal_iteratorINS9_10device_ptrIiEEEEPS5_jNS1_19radix_merge_compareILb0ELb1EiNS0_19identity_decomposerEEEEE10hipError_tT0_T1_T2_jT3_P12ihipStream_tbPNSt15iterator_traitsISK_E10value_typeEPNSQ_ISL_E10value_typeEPSM_NS1_7vsmem_tEENKUlT_SK_SL_SM_E_clISE_PiSF_SF_EESJ_SZ_SK_SL_SM_EUlSZ_E_NS1_11comp_targetILNS1_3genE10ELNS1_11target_archE1201ELNS1_3gpuE5ELNS1_3repE0EEENS1_48merge_mergepath_partition_config_static_selectorELNS0_4arch9wavefront6targetE0EEEvSL_
    .private_segment_fixed_size: 0
    .sgpr_count:     0
    .sgpr_spill_count: 0
    .symbol:         _ZN7rocprim17ROCPRIM_400000_NS6detail17trampoline_kernelINS0_14default_configENS1_38merge_sort_block_merge_config_selectorIiNS0_10empty_typeEEEZZNS1_27merge_sort_block_merge_implIS3_N6thrust23THRUST_200600_302600_NS6detail15normal_iteratorINS9_10device_ptrIiEEEEPS5_jNS1_19radix_merge_compareILb0ELb1EiNS0_19identity_decomposerEEEEE10hipError_tT0_T1_T2_jT3_P12ihipStream_tbPNSt15iterator_traitsISK_E10value_typeEPNSQ_ISL_E10value_typeEPSM_NS1_7vsmem_tEENKUlT_SK_SL_SM_E_clISE_PiSF_SF_EESJ_SZ_SK_SL_SM_EUlSZ_E_NS1_11comp_targetILNS1_3genE10ELNS1_11target_archE1201ELNS1_3gpuE5ELNS1_3repE0EEENS1_48merge_mergepath_partition_config_static_selectorELNS0_4arch9wavefront6targetE0EEEvSL_.kd
    .uniform_work_group_size: 1
    .uses_dynamic_stack: false
    .vgpr_count:     0
    .vgpr_spill_count: 0
    .wavefront_size: 32
    .workgroup_processor_mode: 1
  - .args:
      - .offset:         0
        .size:           40
        .value_kind:     by_value
    .group_segment_fixed_size: 0
    .kernarg_segment_align: 8
    .kernarg_segment_size: 40
    .language:       OpenCL C
    .language_version:
      - 2
      - 0
    .max_flat_workgroup_size: 128
    .name:           _ZN7rocprim17ROCPRIM_400000_NS6detail17trampoline_kernelINS0_14default_configENS1_38merge_sort_block_merge_config_selectorIiNS0_10empty_typeEEEZZNS1_27merge_sort_block_merge_implIS3_N6thrust23THRUST_200600_302600_NS6detail15normal_iteratorINS9_10device_ptrIiEEEEPS5_jNS1_19radix_merge_compareILb0ELb1EiNS0_19identity_decomposerEEEEE10hipError_tT0_T1_T2_jT3_P12ihipStream_tbPNSt15iterator_traitsISK_E10value_typeEPNSQ_ISL_E10value_typeEPSM_NS1_7vsmem_tEENKUlT_SK_SL_SM_E_clISE_PiSF_SF_EESJ_SZ_SK_SL_SM_EUlSZ_E_NS1_11comp_targetILNS1_3genE5ELNS1_11target_archE942ELNS1_3gpuE9ELNS1_3repE0EEENS1_48merge_mergepath_partition_config_static_selectorELNS0_4arch9wavefront6targetE0EEEvSL_
    .private_segment_fixed_size: 0
    .sgpr_count:     0
    .sgpr_spill_count: 0
    .symbol:         _ZN7rocprim17ROCPRIM_400000_NS6detail17trampoline_kernelINS0_14default_configENS1_38merge_sort_block_merge_config_selectorIiNS0_10empty_typeEEEZZNS1_27merge_sort_block_merge_implIS3_N6thrust23THRUST_200600_302600_NS6detail15normal_iteratorINS9_10device_ptrIiEEEEPS5_jNS1_19radix_merge_compareILb0ELb1EiNS0_19identity_decomposerEEEEE10hipError_tT0_T1_T2_jT3_P12ihipStream_tbPNSt15iterator_traitsISK_E10value_typeEPNSQ_ISL_E10value_typeEPSM_NS1_7vsmem_tEENKUlT_SK_SL_SM_E_clISE_PiSF_SF_EESJ_SZ_SK_SL_SM_EUlSZ_E_NS1_11comp_targetILNS1_3genE5ELNS1_11target_archE942ELNS1_3gpuE9ELNS1_3repE0EEENS1_48merge_mergepath_partition_config_static_selectorELNS0_4arch9wavefront6targetE0EEEvSL_.kd
    .uniform_work_group_size: 1
    .uses_dynamic_stack: false
    .vgpr_count:     0
    .vgpr_spill_count: 0
    .wavefront_size: 32
    .workgroup_processor_mode: 1
  - .args:
      - .offset:         0
        .size:           40
        .value_kind:     by_value
    .group_segment_fixed_size: 0
    .kernarg_segment_align: 8
    .kernarg_segment_size: 40
    .language:       OpenCL C
    .language_version:
      - 2
      - 0
    .max_flat_workgroup_size: 128
    .name:           _ZN7rocprim17ROCPRIM_400000_NS6detail17trampoline_kernelINS0_14default_configENS1_38merge_sort_block_merge_config_selectorIiNS0_10empty_typeEEEZZNS1_27merge_sort_block_merge_implIS3_N6thrust23THRUST_200600_302600_NS6detail15normal_iteratorINS9_10device_ptrIiEEEEPS5_jNS1_19radix_merge_compareILb0ELb1EiNS0_19identity_decomposerEEEEE10hipError_tT0_T1_T2_jT3_P12ihipStream_tbPNSt15iterator_traitsISK_E10value_typeEPNSQ_ISL_E10value_typeEPSM_NS1_7vsmem_tEENKUlT_SK_SL_SM_E_clISE_PiSF_SF_EESJ_SZ_SK_SL_SM_EUlSZ_E_NS1_11comp_targetILNS1_3genE4ELNS1_11target_archE910ELNS1_3gpuE8ELNS1_3repE0EEENS1_48merge_mergepath_partition_config_static_selectorELNS0_4arch9wavefront6targetE0EEEvSL_
    .private_segment_fixed_size: 0
    .sgpr_count:     0
    .sgpr_spill_count: 0
    .symbol:         _ZN7rocprim17ROCPRIM_400000_NS6detail17trampoline_kernelINS0_14default_configENS1_38merge_sort_block_merge_config_selectorIiNS0_10empty_typeEEEZZNS1_27merge_sort_block_merge_implIS3_N6thrust23THRUST_200600_302600_NS6detail15normal_iteratorINS9_10device_ptrIiEEEEPS5_jNS1_19radix_merge_compareILb0ELb1EiNS0_19identity_decomposerEEEEE10hipError_tT0_T1_T2_jT3_P12ihipStream_tbPNSt15iterator_traitsISK_E10value_typeEPNSQ_ISL_E10value_typeEPSM_NS1_7vsmem_tEENKUlT_SK_SL_SM_E_clISE_PiSF_SF_EESJ_SZ_SK_SL_SM_EUlSZ_E_NS1_11comp_targetILNS1_3genE4ELNS1_11target_archE910ELNS1_3gpuE8ELNS1_3repE0EEENS1_48merge_mergepath_partition_config_static_selectorELNS0_4arch9wavefront6targetE0EEEvSL_.kd
    .uniform_work_group_size: 1
    .uses_dynamic_stack: false
    .vgpr_count:     0
    .vgpr_spill_count: 0
    .wavefront_size: 32
    .workgroup_processor_mode: 1
  - .args:
      - .offset:         0
        .size:           40
        .value_kind:     by_value
    .group_segment_fixed_size: 0
    .kernarg_segment_align: 8
    .kernarg_segment_size: 40
    .language:       OpenCL C
    .language_version:
      - 2
      - 0
    .max_flat_workgroup_size: 128
    .name:           _ZN7rocprim17ROCPRIM_400000_NS6detail17trampoline_kernelINS0_14default_configENS1_38merge_sort_block_merge_config_selectorIiNS0_10empty_typeEEEZZNS1_27merge_sort_block_merge_implIS3_N6thrust23THRUST_200600_302600_NS6detail15normal_iteratorINS9_10device_ptrIiEEEEPS5_jNS1_19radix_merge_compareILb0ELb1EiNS0_19identity_decomposerEEEEE10hipError_tT0_T1_T2_jT3_P12ihipStream_tbPNSt15iterator_traitsISK_E10value_typeEPNSQ_ISL_E10value_typeEPSM_NS1_7vsmem_tEENKUlT_SK_SL_SM_E_clISE_PiSF_SF_EESJ_SZ_SK_SL_SM_EUlSZ_E_NS1_11comp_targetILNS1_3genE3ELNS1_11target_archE908ELNS1_3gpuE7ELNS1_3repE0EEENS1_48merge_mergepath_partition_config_static_selectorELNS0_4arch9wavefront6targetE0EEEvSL_
    .private_segment_fixed_size: 0
    .sgpr_count:     0
    .sgpr_spill_count: 0
    .symbol:         _ZN7rocprim17ROCPRIM_400000_NS6detail17trampoline_kernelINS0_14default_configENS1_38merge_sort_block_merge_config_selectorIiNS0_10empty_typeEEEZZNS1_27merge_sort_block_merge_implIS3_N6thrust23THRUST_200600_302600_NS6detail15normal_iteratorINS9_10device_ptrIiEEEEPS5_jNS1_19radix_merge_compareILb0ELb1EiNS0_19identity_decomposerEEEEE10hipError_tT0_T1_T2_jT3_P12ihipStream_tbPNSt15iterator_traitsISK_E10value_typeEPNSQ_ISL_E10value_typeEPSM_NS1_7vsmem_tEENKUlT_SK_SL_SM_E_clISE_PiSF_SF_EESJ_SZ_SK_SL_SM_EUlSZ_E_NS1_11comp_targetILNS1_3genE3ELNS1_11target_archE908ELNS1_3gpuE7ELNS1_3repE0EEENS1_48merge_mergepath_partition_config_static_selectorELNS0_4arch9wavefront6targetE0EEEvSL_.kd
    .uniform_work_group_size: 1
    .uses_dynamic_stack: false
    .vgpr_count:     0
    .vgpr_spill_count: 0
    .wavefront_size: 32
    .workgroup_processor_mode: 1
  - .args:
      - .offset:         0
        .size:           40
        .value_kind:     by_value
    .group_segment_fixed_size: 0
    .kernarg_segment_align: 8
    .kernarg_segment_size: 40
    .language:       OpenCL C
    .language_version:
      - 2
      - 0
    .max_flat_workgroup_size: 128
    .name:           _ZN7rocprim17ROCPRIM_400000_NS6detail17trampoline_kernelINS0_14default_configENS1_38merge_sort_block_merge_config_selectorIiNS0_10empty_typeEEEZZNS1_27merge_sort_block_merge_implIS3_N6thrust23THRUST_200600_302600_NS6detail15normal_iteratorINS9_10device_ptrIiEEEEPS5_jNS1_19radix_merge_compareILb0ELb1EiNS0_19identity_decomposerEEEEE10hipError_tT0_T1_T2_jT3_P12ihipStream_tbPNSt15iterator_traitsISK_E10value_typeEPNSQ_ISL_E10value_typeEPSM_NS1_7vsmem_tEENKUlT_SK_SL_SM_E_clISE_PiSF_SF_EESJ_SZ_SK_SL_SM_EUlSZ_E_NS1_11comp_targetILNS1_3genE2ELNS1_11target_archE906ELNS1_3gpuE6ELNS1_3repE0EEENS1_48merge_mergepath_partition_config_static_selectorELNS0_4arch9wavefront6targetE0EEEvSL_
    .private_segment_fixed_size: 0
    .sgpr_count:     0
    .sgpr_spill_count: 0
    .symbol:         _ZN7rocprim17ROCPRIM_400000_NS6detail17trampoline_kernelINS0_14default_configENS1_38merge_sort_block_merge_config_selectorIiNS0_10empty_typeEEEZZNS1_27merge_sort_block_merge_implIS3_N6thrust23THRUST_200600_302600_NS6detail15normal_iteratorINS9_10device_ptrIiEEEEPS5_jNS1_19radix_merge_compareILb0ELb1EiNS0_19identity_decomposerEEEEE10hipError_tT0_T1_T2_jT3_P12ihipStream_tbPNSt15iterator_traitsISK_E10value_typeEPNSQ_ISL_E10value_typeEPSM_NS1_7vsmem_tEENKUlT_SK_SL_SM_E_clISE_PiSF_SF_EESJ_SZ_SK_SL_SM_EUlSZ_E_NS1_11comp_targetILNS1_3genE2ELNS1_11target_archE906ELNS1_3gpuE6ELNS1_3repE0EEENS1_48merge_mergepath_partition_config_static_selectorELNS0_4arch9wavefront6targetE0EEEvSL_.kd
    .uniform_work_group_size: 1
    .uses_dynamic_stack: false
    .vgpr_count:     0
    .vgpr_spill_count: 0
    .wavefront_size: 32
    .workgroup_processor_mode: 1
  - .args:
      - .offset:         0
        .size:           40
        .value_kind:     by_value
    .group_segment_fixed_size: 0
    .kernarg_segment_align: 8
    .kernarg_segment_size: 40
    .language:       OpenCL C
    .language_version:
      - 2
      - 0
    .max_flat_workgroup_size: 128
    .name:           _ZN7rocprim17ROCPRIM_400000_NS6detail17trampoline_kernelINS0_14default_configENS1_38merge_sort_block_merge_config_selectorIiNS0_10empty_typeEEEZZNS1_27merge_sort_block_merge_implIS3_N6thrust23THRUST_200600_302600_NS6detail15normal_iteratorINS9_10device_ptrIiEEEEPS5_jNS1_19radix_merge_compareILb0ELb1EiNS0_19identity_decomposerEEEEE10hipError_tT0_T1_T2_jT3_P12ihipStream_tbPNSt15iterator_traitsISK_E10value_typeEPNSQ_ISL_E10value_typeEPSM_NS1_7vsmem_tEENKUlT_SK_SL_SM_E_clISE_PiSF_SF_EESJ_SZ_SK_SL_SM_EUlSZ_E_NS1_11comp_targetILNS1_3genE9ELNS1_11target_archE1100ELNS1_3gpuE3ELNS1_3repE0EEENS1_48merge_mergepath_partition_config_static_selectorELNS0_4arch9wavefront6targetE0EEEvSL_
    .private_segment_fixed_size: 0
    .sgpr_count:     0
    .sgpr_spill_count: 0
    .symbol:         _ZN7rocprim17ROCPRIM_400000_NS6detail17trampoline_kernelINS0_14default_configENS1_38merge_sort_block_merge_config_selectorIiNS0_10empty_typeEEEZZNS1_27merge_sort_block_merge_implIS3_N6thrust23THRUST_200600_302600_NS6detail15normal_iteratorINS9_10device_ptrIiEEEEPS5_jNS1_19radix_merge_compareILb0ELb1EiNS0_19identity_decomposerEEEEE10hipError_tT0_T1_T2_jT3_P12ihipStream_tbPNSt15iterator_traitsISK_E10value_typeEPNSQ_ISL_E10value_typeEPSM_NS1_7vsmem_tEENKUlT_SK_SL_SM_E_clISE_PiSF_SF_EESJ_SZ_SK_SL_SM_EUlSZ_E_NS1_11comp_targetILNS1_3genE9ELNS1_11target_archE1100ELNS1_3gpuE3ELNS1_3repE0EEENS1_48merge_mergepath_partition_config_static_selectorELNS0_4arch9wavefront6targetE0EEEvSL_.kd
    .uniform_work_group_size: 1
    .uses_dynamic_stack: false
    .vgpr_count:     0
    .vgpr_spill_count: 0
    .wavefront_size: 32
    .workgroup_processor_mode: 1
  - .args:
      - .offset:         0
        .size:           40
        .value_kind:     by_value
    .group_segment_fixed_size: 0
    .kernarg_segment_align: 8
    .kernarg_segment_size: 40
    .language:       OpenCL C
    .language_version:
      - 2
      - 0
    .max_flat_workgroup_size: 128
    .name:           _ZN7rocprim17ROCPRIM_400000_NS6detail17trampoline_kernelINS0_14default_configENS1_38merge_sort_block_merge_config_selectorIiNS0_10empty_typeEEEZZNS1_27merge_sort_block_merge_implIS3_N6thrust23THRUST_200600_302600_NS6detail15normal_iteratorINS9_10device_ptrIiEEEEPS5_jNS1_19radix_merge_compareILb0ELb1EiNS0_19identity_decomposerEEEEE10hipError_tT0_T1_T2_jT3_P12ihipStream_tbPNSt15iterator_traitsISK_E10value_typeEPNSQ_ISL_E10value_typeEPSM_NS1_7vsmem_tEENKUlT_SK_SL_SM_E_clISE_PiSF_SF_EESJ_SZ_SK_SL_SM_EUlSZ_E_NS1_11comp_targetILNS1_3genE8ELNS1_11target_archE1030ELNS1_3gpuE2ELNS1_3repE0EEENS1_48merge_mergepath_partition_config_static_selectorELNS0_4arch9wavefront6targetE0EEEvSL_
    .private_segment_fixed_size: 0
    .sgpr_count:     10
    .sgpr_spill_count: 0
    .symbol:         _ZN7rocprim17ROCPRIM_400000_NS6detail17trampoline_kernelINS0_14default_configENS1_38merge_sort_block_merge_config_selectorIiNS0_10empty_typeEEEZZNS1_27merge_sort_block_merge_implIS3_N6thrust23THRUST_200600_302600_NS6detail15normal_iteratorINS9_10device_ptrIiEEEEPS5_jNS1_19radix_merge_compareILb0ELb1EiNS0_19identity_decomposerEEEEE10hipError_tT0_T1_T2_jT3_P12ihipStream_tbPNSt15iterator_traitsISK_E10value_typeEPNSQ_ISL_E10value_typeEPSM_NS1_7vsmem_tEENKUlT_SK_SL_SM_E_clISE_PiSF_SF_EESJ_SZ_SK_SL_SM_EUlSZ_E_NS1_11comp_targetILNS1_3genE8ELNS1_11target_archE1030ELNS1_3gpuE2ELNS1_3repE0EEENS1_48merge_mergepath_partition_config_static_selectorELNS0_4arch9wavefront6targetE0EEEvSL_.kd
    .uniform_work_group_size: 1
    .uses_dynamic_stack: false
    .vgpr_count:     15
    .vgpr_spill_count: 0
    .wavefront_size: 32
    .workgroup_processor_mode: 1
  - .args:
      - .offset:         0
        .size:           64
        .value_kind:     by_value
    .group_segment_fixed_size: 0
    .kernarg_segment_align: 8
    .kernarg_segment_size: 64
    .language:       OpenCL C
    .language_version:
      - 2
      - 0
    .max_flat_workgroup_size: 128
    .name:           _ZN7rocprim17ROCPRIM_400000_NS6detail17trampoline_kernelINS0_14default_configENS1_38merge_sort_block_merge_config_selectorIiNS0_10empty_typeEEEZZNS1_27merge_sort_block_merge_implIS3_N6thrust23THRUST_200600_302600_NS6detail15normal_iteratorINS9_10device_ptrIiEEEEPS5_jNS1_19radix_merge_compareILb0ELb1EiNS0_19identity_decomposerEEEEE10hipError_tT0_T1_T2_jT3_P12ihipStream_tbPNSt15iterator_traitsISK_E10value_typeEPNSQ_ISL_E10value_typeEPSM_NS1_7vsmem_tEENKUlT_SK_SL_SM_E_clISE_PiSF_SF_EESJ_SZ_SK_SL_SM_EUlSZ_E0_NS1_11comp_targetILNS1_3genE0ELNS1_11target_archE4294967295ELNS1_3gpuE0ELNS1_3repE0EEENS1_38merge_mergepath_config_static_selectorELNS0_4arch9wavefront6targetE0EEEvSL_
    .private_segment_fixed_size: 0
    .sgpr_count:     0
    .sgpr_spill_count: 0
    .symbol:         _ZN7rocprim17ROCPRIM_400000_NS6detail17trampoline_kernelINS0_14default_configENS1_38merge_sort_block_merge_config_selectorIiNS0_10empty_typeEEEZZNS1_27merge_sort_block_merge_implIS3_N6thrust23THRUST_200600_302600_NS6detail15normal_iteratorINS9_10device_ptrIiEEEEPS5_jNS1_19radix_merge_compareILb0ELb1EiNS0_19identity_decomposerEEEEE10hipError_tT0_T1_T2_jT3_P12ihipStream_tbPNSt15iterator_traitsISK_E10value_typeEPNSQ_ISL_E10value_typeEPSM_NS1_7vsmem_tEENKUlT_SK_SL_SM_E_clISE_PiSF_SF_EESJ_SZ_SK_SL_SM_EUlSZ_E0_NS1_11comp_targetILNS1_3genE0ELNS1_11target_archE4294967295ELNS1_3gpuE0ELNS1_3repE0EEENS1_38merge_mergepath_config_static_selectorELNS0_4arch9wavefront6targetE0EEEvSL_.kd
    .uniform_work_group_size: 1
    .uses_dynamic_stack: false
    .vgpr_count:     0
    .vgpr_spill_count: 0
    .wavefront_size: 32
    .workgroup_processor_mode: 1
  - .args:
      - .offset:         0
        .size:           64
        .value_kind:     by_value
    .group_segment_fixed_size: 0
    .kernarg_segment_align: 8
    .kernarg_segment_size: 64
    .language:       OpenCL C
    .language_version:
      - 2
      - 0
    .max_flat_workgroup_size: 256
    .name:           _ZN7rocprim17ROCPRIM_400000_NS6detail17trampoline_kernelINS0_14default_configENS1_38merge_sort_block_merge_config_selectorIiNS0_10empty_typeEEEZZNS1_27merge_sort_block_merge_implIS3_N6thrust23THRUST_200600_302600_NS6detail15normal_iteratorINS9_10device_ptrIiEEEEPS5_jNS1_19radix_merge_compareILb0ELb1EiNS0_19identity_decomposerEEEEE10hipError_tT0_T1_T2_jT3_P12ihipStream_tbPNSt15iterator_traitsISK_E10value_typeEPNSQ_ISL_E10value_typeEPSM_NS1_7vsmem_tEENKUlT_SK_SL_SM_E_clISE_PiSF_SF_EESJ_SZ_SK_SL_SM_EUlSZ_E0_NS1_11comp_targetILNS1_3genE10ELNS1_11target_archE1201ELNS1_3gpuE5ELNS1_3repE0EEENS1_38merge_mergepath_config_static_selectorELNS0_4arch9wavefront6targetE0EEEvSL_
    .private_segment_fixed_size: 0
    .sgpr_count:     0
    .sgpr_spill_count: 0
    .symbol:         _ZN7rocprim17ROCPRIM_400000_NS6detail17trampoline_kernelINS0_14default_configENS1_38merge_sort_block_merge_config_selectorIiNS0_10empty_typeEEEZZNS1_27merge_sort_block_merge_implIS3_N6thrust23THRUST_200600_302600_NS6detail15normal_iteratorINS9_10device_ptrIiEEEEPS5_jNS1_19radix_merge_compareILb0ELb1EiNS0_19identity_decomposerEEEEE10hipError_tT0_T1_T2_jT3_P12ihipStream_tbPNSt15iterator_traitsISK_E10value_typeEPNSQ_ISL_E10value_typeEPSM_NS1_7vsmem_tEENKUlT_SK_SL_SM_E_clISE_PiSF_SF_EESJ_SZ_SK_SL_SM_EUlSZ_E0_NS1_11comp_targetILNS1_3genE10ELNS1_11target_archE1201ELNS1_3gpuE5ELNS1_3repE0EEENS1_38merge_mergepath_config_static_selectorELNS0_4arch9wavefront6targetE0EEEvSL_.kd
    .uniform_work_group_size: 1
    .uses_dynamic_stack: false
    .vgpr_count:     0
    .vgpr_spill_count: 0
    .wavefront_size: 32
    .workgroup_processor_mode: 1
  - .args:
      - .offset:         0
        .size:           64
        .value_kind:     by_value
    .group_segment_fixed_size: 0
    .kernarg_segment_align: 8
    .kernarg_segment_size: 64
    .language:       OpenCL C
    .language_version:
      - 2
      - 0
    .max_flat_workgroup_size: 128
    .name:           _ZN7rocprim17ROCPRIM_400000_NS6detail17trampoline_kernelINS0_14default_configENS1_38merge_sort_block_merge_config_selectorIiNS0_10empty_typeEEEZZNS1_27merge_sort_block_merge_implIS3_N6thrust23THRUST_200600_302600_NS6detail15normal_iteratorINS9_10device_ptrIiEEEEPS5_jNS1_19radix_merge_compareILb0ELb1EiNS0_19identity_decomposerEEEEE10hipError_tT0_T1_T2_jT3_P12ihipStream_tbPNSt15iterator_traitsISK_E10value_typeEPNSQ_ISL_E10value_typeEPSM_NS1_7vsmem_tEENKUlT_SK_SL_SM_E_clISE_PiSF_SF_EESJ_SZ_SK_SL_SM_EUlSZ_E0_NS1_11comp_targetILNS1_3genE5ELNS1_11target_archE942ELNS1_3gpuE9ELNS1_3repE0EEENS1_38merge_mergepath_config_static_selectorELNS0_4arch9wavefront6targetE0EEEvSL_
    .private_segment_fixed_size: 0
    .sgpr_count:     0
    .sgpr_spill_count: 0
    .symbol:         _ZN7rocprim17ROCPRIM_400000_NS6detail17trampoline_kernelINS0_14default_configENS1_38merge_sort_block_merge_config_selectorIiNS0_10empty_typeEEEZZNS1_27merge_sort_block_merge_implIS3_N6thrust23THRUST_200600_302600_NS6detail15normal_iteratorINS9_10device_ptrIiEEEEPS5_jNS1_19radix_merge_compareILb0ELb1EiNS0_19identity_decomposerEEEEE10hipError_tT0_T1_T2_jT3_P12ihipStream_tbPNSt15iterator_traitsISK_E10value_typeEPNSQ_ISL_E10value_typeEPSM_NS1_7vsmem_tEENKUlT_SK_SL_SM_E_clISE_PiSF_SF_EESJ_SZ_SK_SL_SM_EUlSZ_E0_NS1_11comp_targetILNS1_3genE5ELNS1_11target_archE942ELNS1_3gpuE9ELNS1_3repE0EEENS1_38merge_mergepath_config_static_selectorELNS0_4arch9wavefront6targetE0EEEvSL_.kd
    .uniform_work_group_size: 1
    .uses_dynamic_stack: false
    .vgpr_count:     0
    .vgpr_spill_count: 0
    .wavefront_size: 32
    .workgroup_processor_mode: 1
  - .args:
      - .offset:         0
        .size:           64
        .value_kind:     by_value
    .group_segment_fixed_size: 0
    .kernarg_segment_align: 8
    .kernarg_segment_size: 64
    .language:       OpenCL C
    .language_version:
      - 2
      - 0
    .max_flat_workgroup_size: 128
    .name:           _ZN7rocprim17ROCPRIM_400000_NS6detail17trampoline_kernelINS0_14default_configENS1_38merge_sort_block_merge_config_selectorIiNS0_10empty_typeEEEZZNS1_27merge_sort_block_merge_implIS3_N6thrust23THRUST_200600_302600_NS6detail15normal_iteratorINS9_10device_ptrIiEEEEPS5_jNS1_19radix_merge_compareILb0ELb1EiNS0_19identity_decomposerEEEEE10hipError_tT0_T1_T2_jT3_P12ihipStream_tbPNSt15iterator_traitsISK_E10value_typeEPNSQ_ISL_E10value_typeEPSM_NS1_7vsmem_tEENKUlT_SK_SL_SM_E_clISE_PiSF_SF_EESJ_SZ_SK_SL_SM_EUlSZ_E0_NS1_11comp_targetILNS1_3genE4ELNS1_11target_archE910ELNS1_3gpuE8ELNS1_3repE0EEENS1_38merge_mergepath_config_static_selectorELNS0_4arch9wavefront6targetE0EEEvSL_
    .private_segment_fixed_size: 0
    .sgpr_count:     0
    .sgpr_spill_count: 0
    .symbol:         _ZN7rocprim17ROCPRIM_400000_NS6detail17trampoline_kernelINS0_14default_configENS1_38merge_sort_block_merge_config_selectorIiNS0_10empty_typeEEEZZNS1_27merge_sort_block_merge_implIS3_N6thrust23THRUST_200600_302600_NS6detail15normal_iteratorINS9_10device_ptrIiEEEEPS5_jNS1_19radix_merge_compareILb0ELb1EiNS0_19identity_decomposerEEEEE10hipError_tT0_T1_T2_jT3_P12ihipStream_tbPNSt15iterator_traitsISK_E10value_typeEPNSQ_ISL_E10value_typeEPSM_NS1_7vsmem_tEENKUlT_SK_SL_SM_E_clISE_PiSF_SF_EESJ_SZ_SK_SL_SM_EUlSZ_E0_NS1_11comp_targetILNS1_3genE4ELNS1_11target_archE910ELNS1_3gpuE8ELNS1_3repE0EEENS1_38merge_mergepath_config_static_selectorELNS0_4arch9wavefront6targetE0EEEvSL_.kd
    .uniform_work_group_size: 1
    .uses_dynamic_stack: false
    .vgpr_count:     0
    .vgpr_spill_count: 0
    .wavefront_size: 32
    .workgroup_processor_mode: 1
  - .args:
      - .offset:         0
        .size:           64
        .value_kind:     by_value
    .group_segment_fixed_size: 0
    .kernarg_segment_align: 8
    .kernarg_segment_size: 64
    .language:       OpenCL C
    .language_version:
      - 2
      - 0
    .max_flat_workgroup_size: 128
    .name:           _ZN7rocprim17ROCPRIM_400000_NS6detail17trampoline_kernelINS0_14default_configENS1_38merge_sort_block_merge_config_selectorIiNS0_10empty_typeEEEZZNS1_27merge_sort_block_merge_implIS3_N6thrust23THRUST_200600_302600_NS6detail15normal_iteratorINS9_10device_ptrIiEEEEPS5_jNS1_19radix_merge_compareILb0ELb1EiNS0_19identity_decomposerEEEEE10hipError_tT0_T1_T2_jT3_P12ihipStream_tbPNSt15iterator_traitsISK_E10value_typeEPNSQ_ISL_E10value_typeEPSM_NS1_7vsmem_tEENKUlT_SK_SL_SM_E_clISE_PiSF_SF_EESJ_SZ_SK_SL_SM_EUlSZ_E0_NS1_11comp_targetILNS1_3genE3ELNS1_11target_archE908ELNS1_3gpuE7ELNS1_3repE0EEENS1_38merge_mergepath_config_static_selectorELNS0_4arch9wavefront6targetE0EEEvSL_
    .private_segment_fixed_size: 0
    .sgpr_count:     0
    .sgpr_spill_count: 0
    .symbol:         _ZN7rocprim17ROCPRIM_400000_NS6detail17trampoline_kernelINS0_14default_configENS1_38merge_sort_block_merge_config_selectorIiNS0_10empty_typeEEEZZNS1_27merge_sort_block_merge_implIS3_N6thrust23THRUST_200600_302600_NS6detail15normal_iteratorINS9_10device_ptrIiEEEEPS5_jNS1_19radix_merge_compareILb0ELb1EiNS0_19identity_decomposerEEEEE10hipError_tT0_T1_T2_jT3_P12ihipStream_tbPNSt15iterator_traitsISK_E10value_typeEPNSQ_ISL_E10value_typeEPSM_NS1_7vsmem_tEENKUlT_SK_SL_SM_E_clISE_PiSF_SF_EESJ_SZ_SK_SL_SM_EUlSZ_E0_NS1_11comp_targetILNS1_3genE3ELNS1_11target_archE908ELNS1_3gpuE7ELNS1_3repE0EEENS1_38merge_mergepath_config_static_selectorELNS0_4arch9wavefront6targetE0EEEvSL_.kd
    .uniform_work_group_size: 1
    .uses_dynamic_stack: false
    .vgpr_count:     0
    .vgpr_spill_count: 0
    .wavefront_size: 32
    .workgroup_processor_mode: 1
  - .args:
      - .offset:         0
        .size:           64
        .value_kind:     by_value
    .group_segment_fixed_size: 0
    .kernarg_segment_align: 8
    .kernarg_segment_size: 64
    .language:       OpenCL C
    .language_version:
      - 2
      - 0
    .max_flat_workgroup_size: 128
    .name:           _ZN7rocprim17ROCPRIM_400000_NS6detail17trampoline_kernelINS0_14default_configENS1_38merge_sort_block_merge_config_selectorIiNS0_10empty_typeEEEZZNS1_27merge_sort_block_merge_implIS3_N6thrust23THRUST_200600_302600_NS6detail15normal_iteratorINS9_10device_ptrIiEEEEPS5_jNS1_19radix_merge_compareILb0ELb1EiNS0_19identity_decomposerEEEEE10hipError_tT0_T1_T2_jT3_P12ihipStream_tbPNSt15iterator_traitsISK_E10value_typeEPNSQ_ISL_E10value_typeEPSM_NS1_7vsmem_tEENKUlT_SK_SL_SM_E_clISE_PiSF_SF_EESJ_SZ_SK_SL_SM_EUlSZ_E0_NS1_11comp_targetILNS1_3genE2ELNS1_11target_archE906ELNS1_3gpuE6ELNS1_3repE0EEENS1_38merge_mergepath_config_static_selectorELNS0_4arch9wavefront6targetE0EEEvSL_
    .private_segment_fixed_size: 0
    .sgpr_count:     0
    .sgpr_spill_count: 0
    .symbol:         _ZN7rocprim17ROCPRIM_400000_NS6detail17trampoline_kernelINS0_14default_configENS1_38merge_sort_block_merge_config_selectorIiNS0_10empty_typeEEEZZNS1_27merge_sort_block_merge_implIS3_N6thrust23THRUST_200600_302600_NS6detail15normal_iteratorINS9_10device_ptrIiEEEEPS5_jNS1_19radix_merge_compareILb0ELb1EiNS0_19identity_decomposerEEEEE10hipError_tT0_T1_T2_jT3_P12ihipStream_tbPNSt15iterator_traitsISK_E10value_typeEPNSQ_ISL_E10value_typeEPSM_NS1_7vsmem_tEENKUlT_SK_SL_SM_E_clISE_PiSF_SF_EESJ_SZ_SK_SL_SM_EUlSZ_E0_NS1_11comp_targetILNS1_3genE2ELNS1_11target_archE906ELNS1_3gpuE6ELNS1_3repE0EEENS1_38merge_mergepath_config_static_selectorELNS0_4arch9wavefront6targetE0EEEvSL_.kd
    .uniform_work_group_size: 1
    .uses_dynamic_stack: false
    .vgpr_count:     0
    .vgpr_spill_count: 0
    .wavefront_size: 32
    .workgroup_processor_mode: 1
  - .args:
      - .offset:         0
        .size:           64
        .value_kind:     by_value
    .group_segment_fixed_size: 0
    .kernarg_segment_align: 8
    .kernarg_segment_size: 64
    .language:       OpenCL C
    .language_version:
      - 2
      - 0
    .max_flat_workgroup_size: 256
    .name:           _ZN7rocprim17ROCPRIM_400000_NS6detail17trampoline_kernelINS0_14default_configENS1_38merge_sort_block_merge_config_selectorIiNS0_10empty_typeEEEZZNS1_27merge_sort_block_merge_implIS3_N6thrust23THRUST_200600_302600_NS6detail15normal_iteratorINS9_10device_ptrIiEEEEPS5_jNS1_19radix_merge_compareILb0ELb1EiNS0_19identity_decomposerEEEEE10hipError_tT0_T1_T2_jT3_P12ihipStream_tbPNSt15iterator_traitsISK_E10value_typeEPNSQ_ISL_E10value_typeEPSM_NS1_7vsmem_tEENKUlT_SK_SL_SM_E_clISE_PiSF_SF_EESJ_SZ_SK_SL_SM_EUlSZ_E0_NS1_11comp_targetILNS1_3genE9ELNS1_11target_archE1100ELNS1_3gpuE3ELNS1_3repE0EEENS1_38merge_mergepath_config_static_selectorELNS0_4arch9wavefront6targetE0EEEvSL_
    .private_segment_fixed_size: 0
    .sgpr_count:     0
    .sgpr_spill_count: 0
    .symbol:         _ZN7rocprim17ROCPRIM_400000_NS6detail17trampoline_kernelINS0_14default_configENS1_38merge_sort_block_merge_config_selectorIiNS0_10empty_typeEEEZZNS1_27merge_sort_block_merge_implIS3_N6thrust23THRUST_200600_302600_NS6detail15normal_iteratorINS9_10device_ptrIiEEEEPS5_jNS1_19radix_merge_compareILb0ELb1EiNS0_19identity_decomposerEEEEE10hipError_tT0_T1_T2_jT3_P12ihipStream_tbPNSt15iterator_traitsISK_E10value_typeEPNSQ_ISL_E10value_typeEPSM_NS1_7vsmem_tEENKUlT_SK_SL_SM_E_clISE_PiSF_SF_EESJ_SZ_SK_SL_SM_EUlSZ_E0_NS1_11comp_targetILNS1_3genE9ELNS1_11target_archE1100ELNS1_3gpuE3ELNS1_3repE0EEENS1_38merge_mergepath_config_static_selectorELNS0_4arch9wavefront6targetE0EEEvSL_.kd
    .uniform_work_group_size: 1
    .uses_dynamic_stack: false
    .vgpr_count:     0
    .vgpr_spill_count: 0
    .wavefront_size: 32
    .workgroup_processor_mode: 1
  - .args:
      - .offset:         0
        .size:           64
        .value_kind:     by_value
      - .offset:         64
        .size:           4
        .value_kind:     hidden_block_count_x
      - .offset:         68
        .size:           4
        .value_kind:     hidden_block_count_y
      - .offset:         72
        .size:           4
        .value_kind:     hidden_block_count_z
      - .offset:         76
        .size:           2
        .value_kind:     hidden_group_size_x
      - .offset:         78
        .size:           2
        .value_kind:     hidden_group_size_y
      - .offset:         80
        .size:           2
        .value_kind:     hidden_group_size_z
      - .offset:         82
        .size:           2
        .value_kind:     hidden_remainder_x
      - .offset:         84
        .size:           2
        .value_kind:     hidden_remainder_y
      - .offset:         86
        .size:           2
        .value_kind:     hidden_remainder_z
      - .offset:         104
        .size:           8
        .value_kind:     hidden_global_offset_x
      - .offset:         112
        .size:           8
        .value_kind:     hidden_global_offset_y
      - .offset:         120
        .size:           8
        .value_kind:     hidden_global_offset_z
      - .offset:         128
        .size:           2
        .value_kind:     hidden_grid_dims
    .group_segment_fixed_size: 4224
    .kernarg_segment_align: 8
    .kernarg_segment_size: 320
    .language:       OpenCL C
    .language_version:
      - 2
      - 0
    .max_flat_workgroup_size: 512
    .name:           _ZN7rocprim17ROCPRIM_400000_NS6detail17trampoline_kernelINS0_14default_configENS1_38merge_sort_block_merge_config_selectorIiNS0_10empty_typeEEEZZNS1_27merge_sort_block_merge_implIS3_N6thrust23THRUST_200600_302600_NS6detail15normal_iteratorINS9_10device_ptrIiEEEEPS5_jNS1_19radix_merge_compareILb0ELb1EiNS0_19identity_decomposerEEEEE10hipError_tT0_T1_T2_jT3_P12ihipStream_tbPNSt15iterator_traitsISK_E10value_typeEPNSQ_ISL_E10value_typeEPSM_NS1_7vsmem_tEENKUlT_SK_SL_SM_E_clISE_PiSF_SF_EESJ_SZ_SK_SL_SM_EUlSZ_E0_NS1_11comp_targetILNS1_3genE8ELNS1_11target_archE1030ELNS1_3gpuE2ELNS1_3repE0EEENS1_38merge_mergepath_config_static_selectorELNS0_4arch9wavefront6targetE0EEEvSL_
    .private_segment_fixed_size: 0
    .sgpr_count:     26
    .sgpr_spill_count: 0
    .symbol:         _ZN7rocprim17ROCPRIM_400000_NS6detail17trampoline_kernelINS0_14default_configENS1_38merge_sort_block_merge_config_selectorIiNS0_10empty_typeEEEZZNS1_27merge_sort_block_merge_implIS3_N6thrust23THRUST_200600_302600_NS6detail15normal_iteratorINS9_10device_ptrIiEEEEPS5_jNS1_19radix_merge_compareILb0ELb1EiNS0_19identity_decomposerEEEEE10hipError_tT0_T1_T2_jT3_P12ihipStream_tbPNSt15iterator_traitsISK_E10value_typeEPNSQ_ISL_E10value_typeEPSM_NS1_7vsmem_tEENKUlT_SK_SL_SM_E_clISE_PiSF_SF_EESJ_SZ_SK_SL_SM_EUlSZ_E0_NS1_11comp_targetILNS1_3genE8ELNS1_11target_archE1030ELNS1_3gpuE2ELNS1_3repE0EEENS1_38merge_mergepath_config_static_selectorELNS0_4arch9wavefront6targetE0EEEvSL_.kd
    .uniform_work_group_size: 1
    .uses_dynamic_stack: false
    .vgpr_count:     14
    .vgpr_spill_count: 0
    .wavefront_size: 32
    .workgroup_processor_mode: 1
  - .args:
      - .offset:         0
        .size:           48
        .value_kind:     by_value
    .group_segment_fixed_size: 0
    .kernarg_segment_align: 8
    .kernarg_segment_size: 48
    .language:       OpenCL C
    .language_version:
      - 2
      - 0
    .max_flat_workgroup_size: 256
    .name:           _ZN7rocprim17ROCPRIM_400000_NS6detail17trampoline_kernelINS0_14default_configENS1_38merge_sort_block_merge_config_selectorIiNS0_10empty_typeEEEZZNS1_27merge_sort_block_merge_implIS3_N6thrust23THRUST_200600_302600_NS6detail15normal_iteratorINS9_10device_ptrIiEEEEPS5_jNS1_19radix_merge_compareILb0ELb1EiNS0_19identity_decomposerEEEEE10hipError_tT0_T1_T2_jT3_P12ihipStream_tbPNSt15iterator_traitsISK_E10value_typeEPNSQ_ISL_E10value_typeEPSM_NS1_7vsmem_tEENKUlT_SK_SL_SM_E_clISE_PiSF_SF_EESJ_SZ_SK_SL_SM_EUlSZ_E1_NS1_11comp_targetILNS1_3genE0ELNS1_11target_archE4294967295ELNS1_3gpuE0ELNS1_3repE0EEENS1_36merge_oddeven_config_static_selectorELNS0_4arch9wavefront6targetE0EEEvSL_
    .private_segment_fixed_size: 0
    .sgpr_count:     0
    .sgpr_spill_count: 0
    .symbol:         _ZN7rocprim17ROCPRIM_400000_NS6detail17trampoline_kernelINS0_14default_configENS1_38merge_sort_block_merge_config_selectorIiNS0_10empty_typeEEEZZNS1_27merge_sort_block_merge_implIS3_N6thrust23THRUST_200600_302600_NS6detail15normal_iteratorINS9_10device_ptrIiEEEEPS5_jNS1_19radix_merge_compareILb0ELb1EiNS0_19identity_decomposerEEEEE10hipError_tT0_T1_T2_jT3_P12ihipStream_tbPNSt15iterator_traitsISK_E10value_typeEPNSQ_ISL_E10value_typeEPSM_NS1_7vsmem_tEENKUlT_SK_SL_SM_E_clISE_PiSF_SF_EESJ_SZ_SK_SL_SM_EUlSZ_E1_NS1_11comp_targetILNS1_3genE0ELNS1_11target_archE4294967295ELNS1_3gpuE0ELNS1_3repE0EEENS1_36merge_oddeven_config_static_selectorELNS0_4arch9wavefront6targetE0EEEvSL_.kd
    .uniform_work_group_size: 1
    .uses_dynamic_stack: false
    .vgpr_count:     0
    .vgpr_spill_count: 0
    .wavefront_size: 32
    .workgroup_processor_mode: 1
  - .args:
      - .offset:         0
        .size:           48
        .value_kind:     by_value
    .group_segment_fixed_size: 0
    .kernarg_segment_align: 8
    .kernarg_segment_size: 48
    .language:       OpenCL C
    .language_version:
      - 2
      - 0
    .max_flat_workgroup_size: 256
    .name:           _ZN7rocprim17ROCPRIM_400000_NS6detail17trampoline_kernelINS0_14default_configENS1_38merge_sort_block_merge_config_selectorIiNS0_10empty_typeEEEZZNS1_27merge_sort_block_merge_implIS3_N6thrust23THRUST_200600_302600_NS6detail15normal_iteratorINS9_10device_ptrIiEEEEPS5_jNS1_19radix_merge_compareILb0ELb1EiNS0_19identity_decomposerEEEEE10hipError_tT0_T1_T2_jT3_P12ihipStream_tbPNSt15iterator_traitsISK_E10value_typeEPNSQ_ISL_E10value_typeEPSM_NS1_7vsmem_tEENKUlT_SK_SL_SM_E_clISE_PiSF_SF_EESJ_SZ_SK_SL_SM_EUlSZ_E1_NS1_11comp_targetILNS1_3genE10ELNS1_11target_archE1201ELNS1_3gpuE5ELNS1_3repE0EEENS1_36merge_oddeven_config_static_selectorELNS0_4arch9wavefront6targetE0EEEvSL_
    .private_segment_fixed_size: 0
    .sgpr_count:     0
    .sgpr_spill_count: 0
    .symbol:         _ZN7rocprim17ROCPRIM_400000_NS6detail17trampoline_kernelINS0_14default_configENS1_38merge_sort_block_merge_config_selectorIiNS0_10empty_typeEEEZZNS1_27merge_sort_block_merge_implIS3_N6thrust23THRUST_200600_302600_NS6detail15normal_iteratorINS9_10device_ptrIiEEEEPS5_jNS1_19radix_merge_compareILb0ELb1EiNS0_19identity_decomposerEEEEE10hipError_tT0_T1_T2_jT3_P12ihipStream_tbPNSt15iterator_traitsISK_E10value_typeEPNSQ_ISL_E10value_typeEPSM_NS1_7vsmem_tEENKUlT_SK_SL_SM_E_clISE_PiSF_SF_EESJ_SZ_SK_SL_SM_EUlSZ_E1_NS1_11comp_targetILNS1_3genE10ELNS1_11target_archE1201ELNS1_3gpuE5ELNS1_3repE0EEENS1_36merge_oddeven_config_static_selectorELNS0_4arch9wavefront6targetE0EEEvSL_.kd
    .uniform_work_group_size: 1
    .uses_dynamic_stack: false
    .vgpr_count:     0
    .vgpr_spill_count: 0
    .wavefront_size: 32
    .workgroup_processor_mode: 1
  - .args:
      - .offset:         0
        .size:           48
        .value_kind:     by_value
    .group_segment_fixed_size: 0
    .kernarg_segment_align: 8
    .kernarg_segment_size: 48
    .language:       OpenCL C
    .language_version:
      - 2
      - 0
    .max_flat_workgroup_size: 256
    .name:           _ZN7rocprim17ROCPRIM_400000_NS6detail17trampoline_kernelINS0_14default_configENS1_38merge_sort_block_merge_config_selectorIiNS0_10empty_typeEEEZZNS1_27merge_sort_block_merge_implIS3_N6thrust23THRUST_200600_302600_NS6detail15normal_iteratorINS9_10device_ptrIiEEEEPS5_jNS1_19radix_merge_compareILb0ELb1EiNS0_19identity_decomposerEEEEE10hipError_tT0_T1_T2_jT3_P12ihipStream_tbPNSt15iterator_traitsISK_E10value_typeEPNSQ_ISL_E10value_typeEPSM_NS1_7vsmem_tEENKUlT_SK_SL_SM_E_clISE_PiSF_SF_EESJ_SZ_SK_SL_SM_EUlSZ_E1_NS1_11comp_targetILNS1_3genE5ELNS1_11target_archE942ELNS1_3gpuE9ELNS1_3repE0EEENS1_36merge_oddeven_config_static_selectorELNS0_4arch9wavefront6targetE0EEEvSL_
    .private_segment_fixed_size: 0
    .sgpr_count:     0
    .sgpr_spill_count: 0
    .symbol:         _ZN7rocprim17ROCPRIM_400000_NS6detail17trampoline_kernelINS0_14default_configENS1_38merge_sort_block_merge_config_selectorIiNS0_10empty_typeEEEZZNS1_27merge_sort_block_merge_implIS3_N6thrust23THRUST_200600_302600_NS6detail15normal_iteratorINS9_10device_ptrIiEEEEPS5_jNS1_19radix_merge_compareILb0ELb1EiNS0_19identity_decomposerEEEEE10hipError_tT0_T1_T2_jT3_P12ihipStream_tbPNSt15iterator_traitsISK_E10value_typeEPNSQ_ISL_E10value_typeEPSM_NS1_7vsmem_tEENKUlT_SK_SL_SM_E_clISE_PiSF_SF_EESJ_SZ_SK_SL_SM_EUlSZ_E1_NS1_11comp_targetILNS1_3genE5ELNS1_11target_archE942ELNS1_3gpuE9ELNS1_3repE0EEENS1_36merge_oddeven_config_static_selectorELNS0_4arch9wavefront6targetE0EEEvSL_.kd
    .uniform_work_group_size: 1
    .uses_dynamic_stack: false
    .vgpr_count:     0
    .vgpr_spill_count: 0
    .wavefront_size: 32
    .workgroup_processor_mode: 1
  - .args:
      - .offset:         0
        .size:           48
        .value_kind:     by_value
    .group_segment_fixed_size: 0
    .kernarg_segment_align: 8
    .kernarg_segment_size: 48
    .language:       OpenCL C
    .language_version:
      - 2
      - 0
    .max_flat_workgroup_size: 256
    .name:           _ZN7rocprim17ROCPRIM_400000_NS6detail17trampoline_kernelINS0_14default_configENS1_38merge_sort_block_merge_config_selectorIiNS0_10empty_typeEEEZZNS1_27merge_sort_block_merge_implIS3_N6thrust23THRUST_200600_302600_NS6detail15normal_iteratorINS9_10device_ptrIiEEEEPS5_jNS1_19radix_merge_compareILb0ELb1EiNS0_19identity_decomposerEEEEE10hipError_tT0_T1_T2_jT3_P12ihipStream_tbPNSt15iterator_traitsISK_E10value_typeEPNSQ_ISL_E10value_typeEPSM_NS1_7vsmem_tEENKUlT_SK_SL_SM_E_clISE_PiSF_SF_EESJ_SZ_SK_SL_SM_EUlSZ_E1_NS1_11comp_targetILNS1_3genE4ELNS1_11target_archE910ELNS1_3gpuE8ELNS1_3repE0EEENS1_36merge_oddeven_config_static_selectorELNS0_4arch9wavefront6targetE0EEEvSL_
    .private_segment_fixed_size: 0
    .sgpr_count:     0
    .sgpr_spill_count: 0
    .symbol:         _ZN7rocprim17ROCPRIM_400000_NS6detail17trampoline_kernelINS0_14default_configENS1_38merge_sort_block_merge_config_selectorIiNS0_10empty_typeEEEZZNS1_27merge_sort_block_merge_implIS3_N6thrust23THRUST_200600_302600_NS6detail15normal_iteratorINS9_10device_ptrIiEEEEPS5_jNS1_19radix_merge_compareILb0ELb1EiNS0_19identity_decomposerEEEEE10hipError_tT0_T1_T2_jT3_P12ihipStream_tbPNSt15iterator_traitsISK_E10value_typeEPNSQ_ISL_E10value_typeEPSM_NS1_7vsmem_tEENKUlT_SK_SL_SM_E_clISE_PiSF_SF_EESJ_SZ_SK_SL_SM_EUlSZ_E1_NS1_11comp_targetILNS1_3genE4ELNS1_11target_archE910ELNS1_3gpuE8ELNS1_3repE0EEENS1_36merge_oddeven_config_static_selectorELNS0_4arch9wavefront6targetE0EEEvSL_.kd
    .uniform_work_group_size: 1
    .uses_dynamic_stack: false
    .vgpr_count:     0
    .vgpr_spill_count: 0
    .wavefront_size: 32
    .workgroup_processor_mode: 1
  - .args:
      - .offset:         0
        .size:           48
        .value_kind:     by_value
    .group_segment_fixed_size: 0
    .kernarg_segment_align: 8
    .kernarg_segment_size: 48
    .language:       OpenCL C
    .language_version:
      - 2
      - 0
    .max_flat_workgroup_size: 256
    .name:           _ZN7rocprim17ROCPRIM_400000_NS6detail17trampoline_kernelINS0_14default_configENS1_38merge_sort_block_merge_config_selectorIiNS0_10empty_typeEEEZZNS1_27merge_sort_block_merge_implIS3_N6thrust23THRUST_200600_302600_NS6detail15normal_iteratorINS9_10device_ptrIiEEEEPS5_jNS1_19radix_merge_compareILb0ELb1EiNS0_19identity_decomposerEEEEE10hipError_tT0_T1_T2_jT3_P12ihipStream_tbPNSt15iterator_traitsISK_E10value_typeEPNSQ_ISL_E10value_typeEPSM_NS1_7vsmem_tEENKUlT_SK_SL_SM_E_clISE_PiSF_SF_EESJ_SZ_SK_SL_SM_EUlSZ_E1_NS1_11comp_targetILNS1_3genE3ELNS1_11target_archE908ELNS1_3gpuE7ELNS1_3repE0EEENS1_36merge_oddeven_config_static_selectorELNS0_4arch9wavefront6targetE0EEEvSL_
    .private_segment_fixed_size: 0
    .sgpr_count:     0
    .sgpr_spill_count: 0
    .symbol:         _ZN7rocprim17ROCPRIM_400000_NS6detail17trampoline_kernelINS0_14default_configENS1_38merge_sort_block_merge_config_selectorIiNS0_10empty_typeEEEZZNS1_27merge_sort_block_merge_implIS3_N6thrust23THRUST_200600_302600_NS6detail15normal_iteratorINS9_10device_ptrIiEEEEPS5_jNS1_19radix_merge_compareILb0ELb1EiNS0_19identity_decomposerEEEEE10hipError_tT0_T1_T2_jT3_P12ihipStream_tbPNSt15iterator_traitsISK_E10value_typeEPNSQ_ISL_E10value_typeEPSM_NS1_7vsmem_tEENKUlT_SK_SL_SM_E_clISE_PiSF_SF_EESJ_SZ_SK_SL_SM_EUlSZ_E1_NS1_11comp_targetILNS1_3genE3ELNS1_11target_archE908ELNS1_3gpuE7ELNS1_3repE0EEENS1_36merge_oddeven_config_static_selectorELNS0_4arch9wavefront6targetE0EEEvSL_.kd
    .uniform_work_group_size: 1
    .uses_dynamic_stack: false
    .vgpr_count:     0
    .vgpr_spill_count: 0
    .wavefront_size: 32
    .workgroup_processor_mode: 1
  - .args:
      - .offset:         0
        .size:           48
        .value_kind:     by_value
    .group_segment_fixed_size: 0
    .kernarg_segment_align: 8
    .kernarg_segment_size: 48
    .language:       OpenCL C
    .language_version:
      - 2
      - 0
    .max_flat_workgroup_size: 256
    .name:           _ZN7rocprim17ROCPRIM_400000_NS6detail17trampoline_kernelINS0_14default_configENS1_38merge_sort_block_merge_config_selectorIiNS0_10empty_typeEEEZZNS1_27merge_sort_block_merge_implIS3_N6thrust23THRUST_200600_302600_NS6detail15normal_iteratorINS9_10device_ptrIiEEEEPS5_jNS1_19radix_merge_compareILb0ELb1EiNS0_19identity_decomposerEEEEE10hipError_tT0_T1_T2_jT3_P12ihipStream_tbPNSt15iterator_traitsISK_E10value_typeEPNSQ_ISL_E10value_typeEPSM_NS1_7vsmem_tEENKUlT_SK_SL_SM_E_clISE_PiSF_SF_EESJ_SZ_SK_SL_SM_EUlSZ_E1_NS1_11comp_targetILNS1_3genE2ELNS1_11target_archE906ELNS1_3gpuE6ELNS1_3repE0EEENS1_36merge_oddeven_config_static_selectorELNS0_4arch9wavefront6targetE0EEEvSL_
    .private_segment_fixed_size: 0
    .sgpr_count:     0
    .sgpr_spill_count: 0
    .symbol:         _ZN7rocprim17ROCPRIM_400000_NS6detail17trampoline_kernelINS0_14default_configENS1_38merge_sort_block_merge_config_selectorIiNS0_10empty_typeEEEZZNS1_27merge_sort_block_merge_implIS3_N6thrust23THRUST_200600_302600_NS6detail15normal_iteratorINS9_10device_ptrIiEEEEPS5_jNS1_19radix_merge_compareILb0ELb1EiNS0_19identity_decomposerEEEEE10hipError_tT0_T1_T2_jT3_P12ihipStream_tbPNSt15iterator_traitsISK_E10value_typeEPNSQ_ISL_E10value_typeEPSM_NS1_7vsmem_tEENKUlT_SK_SL_SM_E_clISE_PiSF_SF_EESJ_SZ_SK_SL_SM_EUlSZ_E1_NS1_11comp_targetILNS1_3genE2ELNS1_11target_archE906ELNS1_3gpuE6ELNS1_3repE0EEENS1_36merge_oddeven_config_static_selectorELNS0_4arch9wavefront6targetE0EEEvSL_.kd
    .uniform_work_group_size: 1
    .uses_dynamic_stack: false
    .vgpr_count:     0
    .vgpr_spill_count: 0
    .wavefront_size: 32
    .workgroup_processor_mode: 1
  - .args:
      - .offset:         0
        .size:           48
        .value_kind:     by_value
    .group_segment_fixed_size: 0
    .kernarg_segment_align: 8
    .kernarg_segment_size: 48
    .language:       OpenCL C
    .language_version:
      - 2
      - 0
    .max_flat_workgroup_size: 256
    .name:           _ZN7rocprim17ROCPRIM_400000_NS6detail17trampoline_kernelINS0_14default_configENS1_38merge_sort_block_merge_config_selectorIiNS0_10empty_typeEEEZZNS1_27merge_sort_block_merge_implIS3_N6thrust23THRUST_200600_302600_NS6detail15normal_iteratorINS9_10device_ptrIiEEEEPS5_jNS1_19radix_merge_compareILb0ELb1EiNS0_19identity_decomposerEEEEE10hipError_tT0_T1_T2_jT3_P12ihipStream_tbPNSt15iterator_traitsISK_E10value_typeEPNSQ_ISL_E10value_typeEPSM_NS1_7vsmem_tEENKUlT_SK_SL_SM_E_clISE_PiSF_SF_EESJ_SZ_SK_SL_SM_EUlSZ_E1_NS1_11comp_targetILNS1_3genE9ELNS1_11target_archE1100ELNS1_3gpuE3ELNS1_3repE0EEENS1_36merge_oddeven_config_static_selectorELNS0_4arch9wavefront6targetE0EEEvSL_
    .private_segment_fixed_size: 0
    .sgpr_count:     0
    .sgpr_spill_count: 0
    .symbol:         _ZN7rocprim17ROCPRIM_400000_NS6detail17trampoline_kernelINS0_14default_configENS1_38merge_sort_block_merge_config_selectorIiNS0_10empty_typeEEEZZNS1_27merge_sort_block_merge_implIS3_N6thrust23THRUST_200600_302600_NS6detail15normal_iteratorINS9_10device_ptrIiEEEEPS5_jNS1_19radix_merge_compareILb0ELb1EiNS0_19identity_decomposerEEEEE10hipError_tT0_T1_T2_jT3_P12ihipStream_tbPNSt15iterator_traitsISK_E10value_typeEPNSQ_ISL_E10value_typeEPSM_NS1_7vsmem_tEENKUlT_SK_SL_SM_E_clISE_PiSF_SF_EESJ_SZ_SK_SL_SM_EUlSZ_E1_NS1_11comp_targetILNS1_3genE9ELNS1_11target_archE1100ELNS1_3gpuE3ELNS1_3repE0EEENS1_36merge_oddeven_config_static_selectorELNS0_4arch9wavefront6targetE0EEEvSL_.kd
    .uniform_work_group_size: 1
    .uses_dynamic_stack: false
    .vgpr_count:     0
    .vgpr_spill_count: 0
    .wavefront_size: 32
    .workgroup_processor_mode: 1
  - .args:
      - .offset:         0
        .size:           48
        .value_kind:     by_value
    .group_segment_fixed_size: 0
    .kernarg_segment_align: 8
    .kernarg_segment_size: 48
    .language:       OpenCL C
    .language_version:
      - 2
      - 0
    .max_flat_workgroup_size: 256
    .name:           _ZN7rocprim17ROCPRIM_400000_NS6detail17trampoline_kernelINS0_14default_configENS1_38merge_sort_block_merge_config_selectorIiNS0_10empty_typeEEEZZNS1_27merge_sort_block_merge_implIS3_N6thrust23THRUST_200600_302600_NS6detail15normal_iteratorINS9_10device_ptrIiEEEEPS5_jNS1_19radix_merge_compareILb0ELb1EiNS0_19identity_decomposerEEEEE10hipError_tT0_T1_T2_jT3_P12ihipStream_tbPNSt15iterator_traitsISK_E10value_typeEPNSQ_ISL_E10value_typeEPSM_NS1_7vsmem_tEENKUlT_SK_SL_SM_E_clISE_PiSF_SF_EESJ_SZ_SK_SL_SM_EUlSZ_E1_NS1_11comp_targetILNS1_3genE8ELNS1_11target_archE1030ELNS1_3gpuE2ELNS1_3repE0EEENS1_36merge_oddeven_config_static_selectorELNS0_4arch9wavefront6targetE0EEEvSL_
    .private_segment_fixed_size: 0
    .sgpr_count:     20
    .sgpr_spill_count: 0
    .symbol:         _ZN7rocprim17ROCPRIM_400000_NS6detail17trampoline_kernelINS0_14default_configENS1_38merge_sort_block_merge_config_selectorIiNS0_10empty_typeEEEZZNS1_27merge_sort_block_merge_implIS3_N6thrust23THRUST_200600_302600_NS6detail15normal_iteratorINS9_10device_ptrIiEEEEPS5_jNS1_19radix_merge_compareILb0ELb1EiNS0_19identity_decomposerEEEEE10hipError_tT0_T1_T2_jT3_P12ihipStream_tbPNSt15iterator_traitsISK_E10value_typeEPNSQ_ISL_E10value_typeEPSM_NS1_7vsmem_tEENKUlT_SK_SL_SM_E_clISE_PiSF_SF_EESJ_SZ_SK_SL_SM_EUlSZ_E1_NS1_11comp_targetILNS1_3genE8ELNS1_11target_archE1030ELNS1_3gpuE2ELNS1_3repE0EEENS1_36merge_oddeven_config_static_selectorELNS0_4arch9wavefront6targetE0EEEvSL_.kd
    .uniform_work_group_size: 1
    .uses_dynamic_stack: false
    .vgpr_count:     9
    .vgpr_spill_count: 0
    .wavefront_size: 32
    .workgroup_processor_mode: 1
  - .args:
      - .offset:         0
        .size:           40
        .value_kind:     by_value
    .group_segment_fixed_size: 0
    .kernarg_segment_align: 8
    .kernarg_segment_size: 40
    .language:       OpenCL C
    .language_version:
      - 2
      - 0
    .max_flat_workgroup_size: 512
    .name:           _ZN7rocprim17ROCPRIM_400000_NS6detail17trampoline_kernelINS0_14default_configENS1_35radix_sort_onesweep_config_selectorIiNS0_10empty_typeEEEZNS1_34radix_sort_onesweep_global_offsetsIS3_Lb0EN6thrust23THRUST_200600_302600_NS6detail15normal_iteratorINS9_10device_ptrIiEEEEPS5_jNS0_19identity_decomposerEEE10hipError_tT1_T2_PT3_SK_jT4_jjP12ihipStream_tbEUlT_E_NS1_11comp_targetILNS1_3genE0ELNS1_11target_archE4294967295ELNS1_3gpuE0ELNS1_3repE0EEENS1_52radix_sort_onesweep_histogram_config_static_selectorELNS0_4arch9wavefront6targetE0EEEvSI_
    .private_segment_fixed_size: 0
    .sgpr_count:     0
    .sgpr_spill_count: 0
    .symbol:         _ZN7rocprim17ROCPRIM_400000_NS6detail17trampoline_kernelINS0_14default_configENS1_35radix_sort_onesweep_config_selectorIiNS0_10empty_typeEEEZNS1_34radix_sort_onesweep_global_offsetsIS3_Lb0EN6thrust23THRUST_200600_302600_NS6detail15normal_iteratorINS9_10device_ptrIiEEEEPS5_jNS0_19identity_decomposerEEE10hipError_tT1_T2_PT3_SK_jT4_jjP12ihipStream_tbEUlT_E_NS1_11comp_targetILNS1_3genE0ELNS1_11target_archE4294967295ELNS1_3gpuE0ELNS1_3repE0EEENS1_52radix_sort_onesweep_histogram_config_static_selectorELNS0_4arch9wavefront6targetE0EEEvSI_.kd
    .uniform_work_group_size: 1
    .uses_dynamic_stack: false
    .vgpr_count:     0
    .vgpr_spill_count: 0
    .wavefront_size: 32
    .workgroup_processor_mode: 1
  - .args:
      - .offset:         0
        .size:           40
        .value_kind:     by_value
    .group_segment_fixed_size: 0
    .kernarg_segment_align: 8
    .kernarg_segment_size: 40
    .language:       OpenCL C
    .language_version:
      - 2
      - 0
    .max_flat_workgroup_size: 1024
    .name:           _ZN7rocprim17ROCPRIM_400000_NS6detail17trampoline_kernelINS0_14default_configENS1_35radix_sort_onesweep_config_selectorIiNS0_10empty_typeEEEZNS1_34radix_sort_onesweep_global_offsetsIS3_Lb0EN6thrust23THRUST_200600_302600_NS6detail15normal_iteratorINS9_10device_ptrIiEEEEPS5_jNS0_19identity_decomposerEEE10hipError_tT1_T2_PT3_SK_jT4_jjP12ihipStream_tbEUlT_E_NS1_11comp_targetILNS1_3genE6ELNS1_11target_archE950ELNS1_3gpuE13ELNS1_3repE0EEENS1_52radix_sort_onesweep_histogram_config_static_selectorELNS0_4arch9wavefront6targetE0EEEvSI_
    .private_segment_fixed_size: 0
    .sgpr_count:     0
    .sgpr_spill_count: 0
    .symbol:         _ZN7rocprim17ROCPRIM_400000_NS6detail17trampoline_kernelINS0_14default_configENS1_35radix_sort_onesweep_config_selectorIiNS0_10empty_typeEEEZNS1_34radix_sort_onesweep_global_offsetsIS3_Lb0EN6thrust23THRUST_200600_302600_NS6detail15normal_iteratorINS9_10device_ptrIiEEEEPS5_jNS0_19identity_decomposerEEE10hipError_tT1_T2_PT3_SK_jT4_jjP12ihipStream_tbEUlT_E_NS1_11comp_targetILNS1_3genE6ELNS1_11target_archE950ELNS1_3gpuE13ELNS1_3repE0EEENS1_52radix_sort_onesweep_histogram_config_static_selectorELNS0_4arch9wavefront6targetE0EEEvSI_.kd
    .uniform_work_group_size: 1
    .uses_dynamic_stack: false
    .vgpr_count:     0
    .vgpr_spill_count: 0
    .wavefront_size: 32
    .workgroup_processor_mode: 1
  - .args:
      - .offset:         0
        .size:           40
        .value_kind:     by_value
    .group_segment_fixed_size: 0
    .kernarg_segment_align: 8
    .kernarg_segment_size: 40
    .language:       OpenCL C
    .language_version:
      - 2
      - 0
    .max_flat_workgroup_size: 1024
    .name:           _ZN7rocprim17ROCPRIM_400000_NS6detail17trampoline_kernelINS0_14default_configENS1_35radix_sort_onesweep_config_selectorIiNS0_10empty_typeEEEZNS1_34radix_sort_onesweep_global_offsetsIS3_Lb0EN6thrust23THRUST_200600_302600_NS6detail15normal_iteratorINS9_10device_ptrIiEEEEPS5_jNS0_19identity_decomposerEEE10hipError_tT1_T2_PT3_SK_jT4_jjP12ihipStream_tbEUlT_E_NS1_11comp_targetILNS1_3genE5ELNS1_11target_archE942ELNS1_3gpuE9ELNS1_3repE0EEENS1_52radix_sort_onesweep_histogram_config_static_selectorELNS0_4arch9wavefront6targetE0EEEvSI_
    .private_segment_fixed_size: 0
    .sgpr_count:     0
    .sgpr_spill_count: 0
    .symbol:         _ZN7rocprim17ROCPRIM_400000_NS6detail17trampoline_kernelINS0_14default_configENS1_35radix_sort_onesweep_config_selectorIiNS0_10empty_typeEEEZNS1_34radix_sort_onesweep_global_offsetsIS3_Lb0EN6thrust23THRUST_200600_302600_NS6detail15normal_iteratorINS9_10device_ptrIiEEEEPS5_jNS0_19identity_decomposerEEE10hipError_tT1_T2_PT3_SK_jT4_jjP12ihipStream_tbEUlT_E_NS1_11comp_targetILNS1_3genE5ELNS1_11target_archE942ELNS1_3gpuE9ELNS1_3repE0EEENS1_52radix_sort_onesweep_histogram_config_static_selectorELNS0_4arch9wavefront6targetE0EEEvSI_.kd
    .uniform_work_group_size: 1
    .uses_dynamic_stack: false
    .vgpr_count:     0
    .vgpr_spill_count: 0
    .wavefront_size: 32
    .workgroup_processor_mode: 1
  - .args:
      - .offset:         0
        .size:           40
        .value_kind:     by_value
    .group_segment_fixed_size: 0
    .kernarg_segment_align: 8
    .kernarg_segment_size: 40
    .language:       OpenCL C
    .language_version:
      - 2
      - 0
    .max_flat_workgroup_size: 1024
    .name:           _ZN7rocprim17ROCPRIM_400000_NS6detail17trampoline_kernelINS0_14default_configENS1_35radix_sort_onesweep_config_selectorIiNS0_10empty_typeEEEZNS1_34radix_sort_onesweep_global_offsetsIS3_Lb0EN6thrust23THRUST_200600_302600_NS6detail15normal_iteratorINS9_10device_ptrIiEEEEPS5_jNS0_19identity_decomposerEEE10hipError_tT1_T2_PT3_SK_jT4_jjP12ihipStream_tbEUlT_E_NS1_11comp_targetILNS1_3genE2ELNS1_11target_archE906ELNS1_3gpuE6ELNS1_3repE0EEENS1_52radix_sort_onesweep_histogram_config_static_selectorELNS0_4arch9wavefront6targetE0EEEvSI_
    .private_segment_fixed_size: 0
    .sgpr_count:     0
    .sgpr_spill_count: 0
    .symbol:         _ZN7rocprim17ROCPRIM_400000_NS6detail17trampoline_kernelINS0_14default_configENS1_35radix_sort_onesweep_config_selectorIiNS0_10empty_typeEEEZNS1_34radix_sort_onesweep_global_offsetsIS3_Lb0EN6thrust23THRUST_200600_302600_NS6detail15normal_iteratorINS9_10device_ptrIiEEEEPS5_jNS0_19identity_decomposerEEE10hipError_tT1_T2_PT3_SK_jT4_jjP12ihipStream_tbEUlT_E_NS1_11comp_targetILNS1_3genE2ELNS1_11target_archE906ELNS1_3gpuE6ELNS1_3repE0EEENS1_52radix_sort_onesweep_histogram_config_static_selectorELNS0_4arch9wavefront6targetE0EEEvSI_.kd
    .uniform_work_group_size: 1
    .uses_dynamic_stack: false
    .vgpr_count:     0
    .vgpr_spill_count: 0
    .wavefront_size: 32
    .workgroup_processor_mode: 1
  - .args:
      - .offset:         0
        .size:           40
        .value_kind:     by_value
    .group_segment_fixed_size: 0
    .kernarg_segment_align: 8
    .kernarg_segment_size: 40
    .language:       OpenCL C
    .language_version:
      - 2
      - 0
    .max_flat_workgroup_size: 1024
    .name:           _ZN7rocprim17ROCPRIM_400000_NS6detail17trampoline_kernelINS0_14default_configENS1_35radix_sort_onesweep_config_selectorIiNS0_10empty_typeEEEZNS1_34radix_sort_onesweep_global_offsetsIS3_Lb0EN6thrust23THRUST_200600_302600_NS6detail15normal_iteratorINS9_10device_ptrIiEEEEPS5_jNS0_19identity_decomposerEEE10hipError_tT1_T2_PT3_SK_jT4_jjP12ihipStream_tbEUlT_E_NS1_11comp_targetILNS1_3genE4ELNS1_11target_archE910ELNS1_3gpuE8ELNS1_3repE0EEENS1_52radix_sort_onesweep_histogram_config_static_selectorELNS0_4arch9wavefront6targetE0EEEvSI_
    .private_segment_fixed_size: 0
    .sgpr_count:     0
    .sgpr_spill_count: 0
    .symbol:         _ZN7rocprim17ROCPRIM_400000_NS6detail17trampoline_kernelINS0_14default_configENS1_35radix_sort_onesweep_config_selectorIiNS0_10empty_typeEEEZNS1_34radix_sort_onesweep_global_offsetsIS3_Lb0EN6thrust23THRUST_200600_302600_NS6detail15normal_iteratorINS9_10device_ptrIiEEEEPS5_jNS0_19identity_decomposerEEE10hipError_tT1_T2_PT3_SK_jT4_jjP12ihipStream_tbEUlT_E_NS1_11comp_targetILNS1_3genE4ELNS1_11target_archE910ELNS1_3gpuE8ELNS1_3repE0EEENS1_52radix_sort_onesweep_histogram_config_static_selectorELNS0_4arch9wavefront6targetE0EEEvSI_.kd
    .uniform_work_group_size: 1
    .uses_dynamic_stack: false
    .vgpr_count:     0
    .vgpr_spill_count: 0
    .wavefront_size: 32
    .workgroup_processor_mode: 1
  - .args:
      - .offset:         0
        .size:           40
        .value_kind:     by_value
    .group_segment_fixed_size: 0
    .kernarg_segment_align: 8
    .kernarg_segment_size: 40
    .language:       OpenCL C
    .language_version:
      - 2
      - 0
    .max_flat_workgroup_size: 512
    .name:           _ZN7rocprim17ROCPRIM_400000_NS6detail17trampoline_kernelINS0_14default_configENS1_35radix_sort_onesweep_config_selectorIiNS0_10empty_typeEEEZNS1_34radix_sort_onesweep_global_offsetsIS3_Lb0EN6thrust23THRUST_200600_302600_NS6detail15normal_iteratorINS9_10device_ptrIiEEEEPS5_jNS0_19identity_decomposerEEE10hipError_tT1_T2_PT3_SK_jT4_jjP12ihipStream_tbEUlT_E_NS1_11comp_targetILNS1_3genE3ELNS1_11target_archE908ELNS1_3gpuE7ELNS1_3repE0EEENS1_52radix_sort_onesweep_histogram_config_static_selectorELNS0_4arch9wavefront6targetE0EEEvSI_
    .private_segment_fixed_size: 0
    .sgpr_count:     0
    .sgpr_spill_count: 0
    .symbol:         _ZN7rocprim17ROCPRIM_400000_NS6detail17trampoline_kernelINS0_14default_configENS1_35radix_sort_onesweep_config_selectorIiNS0_10empty_typeEEEZNS1_34radix_sort_onesweep_global_offsetsIS3_Lb0EN6thrust23THRUST_200600_302600_NS6detail15normal_iteratorINS9_10device_ptrIiEEEEPS5_jNS0_19identity_decomposerEEE10hipError_tT1_T2_PT3_SK_jT4_jjP12ihipStream_tbEUlT_E_NS1_11comp_targetILNS1_3genE3ELNS1_11target_archE908ELNS1_3gpuE7ELNS1_3repE0EEENS1_52radix_sort_onesweep_histogram_config_static_selectorELNS0_4arch9wavefront6targetE0EEEvSI_.kd
    .uniform_work_group_size: 1
    .uses_dynamic_stack: false
    .vgpr_count:     0
    .vgpr_spill_count: 0
    .wavefront_size: 32
    .workgroup_processor_mode: 1
  - .args:
      - .offset:         0
        .size:           40
        .value_kind:     by_value
    .group_segment_fixed_size: 0
    .kernarg_segment_align: 8
    .kernarg_segment_size: 40
    .language:       OpenCL C
    .language_version:
      - 2
      - 0
    .max_flat_workgroup_size: 1024
    .name:           _ZN7rocprim17ROCPRIM_400000_NS6detail17trampoline_kernelINS0_14default_configENS1_35radix_sort_onesweep_config_selectorIiNS0_10empty_typeEEEZNS1_34radix_sort_onesweep_global_offsetsIS3_Lb0EN6thrust23THRUST_200600_302600_NS6detail15normal_iteratorINS9_10device_ptrIiEEEEPS5_jNS0_19identity_decomposerEEE10hipError_tT1_T2_PT3_SK_jT4_jjP12ihipStream_tbEUlT_E_NS1_11comp_targetILNS1_3genE10ELNS1_11target_archE1201ELNS1_3gpuE5ELNS1_3repE0EEENS1_52radix_sort_onesweep_histogram_config_static_selectorELNS0_4arch9wavefront6targetE0EEEvSI_
    .private_segment_fixed_size: 0
    .sgpr_count:     0
    .sgpr_spill_count: 0
    .symbol:         _ZN7rocprim17ROCPRIM_400000_NS6detail17trampoline_kernelINS0_14default_configENS1_35radix_sort_onesweep_config_selectorIiNS0_10empty_typeEEEZNS1_34radix_sort_onesweep_global_offsetsIS3_Lb0EN6thrust23THRUST_200600_302600_NS6detail15normal_iteratorINS9_10device_ptrIiEEEEPS5_jNS0_19identity_decomposerEEE10hipError_tT1_T2_PT3_SK_jT4_jjP12ihipStream_tbEUlT_E_NS1_11comp_targetILNS1_3genE10ELNS1_11target_archE1201ELNS1_3gpuE5ELNS1_3repE0EEENS1_52radix_sort_onesweep_histogram_config_static_selectorELNS0_4arch9wavefront6targetE0EEEvSI_.kd
    .uniform_work_group_size: 1
    .uses_dynamic_stack: false
    .vgpr_count:     0
    .vgpr_spill_count: 0
    .wavefront_size: 32
    .workgroup_processor_mode: 1
  - .args:
      - .offset:         0
        .size:           40
        .value_kind:     by_value
    .group_segment_fixed_size: 0
    .kernarg_segment_align: 8
    .kernarg_segment_size: 40
    .language:       OpenCL C
    .language_version:
      - 2
      - 0
    .max_flat_workgroup_size: 1024
    .name:           _ZN7rocprim17ROCPRIM_400000_NS6detail17trampoline_kernelINS0_14default_configENS1_35radix_sort_onesweep_config_selectorIiNS0_10empty_typeEEEZNS1_34radix_sort_onesweep_global_offsetsIS3_Lb0EN6thrust23THRUST_200600_302600_NS6detail15normal_iteratorINS9_10device_ptrIiEEEEPS5_jNS0_19identity_decomposerEEE10hipError_tT1_T2_PT3_SK_jT4_jjP12ihipStream_tbEUlT_E_NS1_11comp_targetILNS1_3genE9ELNS1_11target_archE1100ELNS1_3gpuE3ELNS1_3repE0EEENS1_52radix_sort_onesweep_histogram_config_static_selectorELNS0_4arch9wavefront6targetE0EEEvSI_
    .private_segment_fixed_size: 0
    .sgpr_count:     0
    .sgpr_spill_count: 0
    .symbol:         _ZN7rocprim17ROCPRIM_400000_NS6detail17trampoline_kernelINS0_14default_configENS1_35radix_sort_onesweep_config_selectorIiNS0_10empty_typeEEEZNS1_34radix_sort_onesweep_global_offsetsIS3_Lb0EN6thrust23THRUST_200600_302600_NS6detail15normal_iteratorINS9_10device_ptrIiEEEEPS5_jNS0_19identity_decomposerEEE10hipError_tT1_T2_PT3_SK_jT4_jjP12ihipStream_tbEUlT_E_NS1_11comp_targetILNS1_3genE9ELNS1_11target_archE1100ELNS1_3gpuE3ELNS1_3repE0EEENS1_52radix_sort_onesweep_histogram_config_static_selectorELNS0_4arch9wavefront6targetE0EEEvSI_.kd
    .uniform_work_group_size: 1
    .uses_dynamic_stack: false
    .vgpr_count:     0
    .vgpr_spill_count: 0
    .wavefront_size: 32
    .workgroup_processor_mode: 1
  - .args:
      - .offset:         0
        .size:           40
        .value_kind:     by_value
    .group_segment_fixed_size: 16384
    .kernarg_segment_align: 8
    .kernarg_segment_size: 40
    .language:       OpenCL C
    .language_version:
      - 2
      - 0
    .max_flat_workgroup_size: 1024
    .name:           _ZN7rocprim17ROCPRIM_400000_NS6detail17trampoline_kernelINS0_14default_configENS1_35radix_sort_onesweep_config_selectorIiNS0_10empty_typeEEEZNS1_34radix_sort_onesweep_global_offsetsIS3_Lb0EN6thrust23THRUST_200600_302600_NS6detail15normal_iteratorINS9_10device_ptrIiEEEEPS5_jNS0_19identity_decomposerEEE10hipError_tT1_T2_PT3_SK_jT4_jjP12ihipStream_tbEUlT_E_NS1_11comp_targetILNS1_3genE8ELNS1_11target_archE1030ELNS1_3gpuE2ELNS1_3repE0EEENS1_52radix_sort_onesweep_histogram_config_static_selectorELNS0_4arch9wavefront6targetE0EEEvSI_
    .private_segment_fixed_size: 0
    .sgpr_count:     16
    .sgpr_spill_count: 0
    .symbol:         _ZN7rocprim17ROCPRIM_400000_NS6detail17trampoline_kernelINS0_14default_configENS1_35radix_sort_onesweep_config_selectorIiNS0_10empty_typeEEEZNS1_34radix_sort_onesweep_global_offsetsIS3_Lb0EN6thrust23THRUST_200600_302600_NS6detail15normal_iteratorINS9_10device_ptrIiEEEEPS5_jNS0_19identity_decomposerEEE10hipError_tT1_T2_PT3_SK_jT4_jjP12ihipStream_tbEUlT_E_NS1_11comp_targetILNS1_3genE8ELNS1_11target_archE1030ELNS1_3gpuE2ELNS1_3repE0EEENS1_52radix_sort_onesweep_histogram_config_static_selectorELNS0_4arch9wavefront6targetE0EEEvSI_.kd
    .uniform_work_group_size: 1
    .uses_dynamic_stack: false
    .vgpr_count:     14
    .vgpr_spill_count: 0
    .wavefront_size: 32
    .workgroup_processor_mode: 1
  - .args:
      - .address_space:  global
        .offset:         0
        .size:           8
        .value_kind:     global_buffer
    .group_segment_fixed_size: 0
    .kernarg_segment_align: 8
    .kernarg_segment_size: 8
    .language:       OpenCL C
    .language_version:
      - 2
      - 0
    .max_flat_workgroup_size: 512
    .name:           _ZN7rocprim17ROCPRIM_400000_NS6detail17trampoline_kernelINS0_14default_configENS1_35radix_sort_onesweep_config_selectorIiNS0_10empty_typeEEEZNS1_34radix_sort_onesweep_global_offsetsIS3_Lb0EN6thrust23THRUST_200600_302600_NS6detail15normal_iteratorINS9_10device_ptrIiEEEEPS5_jNS0_19identity_decomposerEEE10hipError_tT1_T2_PT3_SK_jT4_jjP12ihipStream_tbEUlT_E0_NS1_11comp_targetILNS1_3genE0ELNS1_11target_archE4294967295ELNS1_3gpuE0ELNS1_3repE0EEENS1_52radix_sort_onesweep_histogram_config_static_selectorELNS0_4arch9wavefront6targetE0EEEvSI_
    .private_segment_fixed_size: 0
    .sgpr_count:     0
    .sgpr_spill_count: 0
    .symbol:         _ZN7rocprim17ROCPRIM_400000_NS6detail17trampoline_kernelINS0_14default_configENS1_35radix_sort_onesweep_config_selectorIiNS0_10empty_typeEEEZNS1_34radix_sort_onesweep_global_offsetsIS3_Lb0EN6thrust23THRUST_200600_302600_NS6detail15normal_iteratorINS9_10device_ptrIiEEEEPS5_jNS0_19identity_decomposerEEE10hipError_tT1_T2_PT3_SK_jT4_jjP12ihipStream_tbEUlT_E0_NS1_11comp_targetILNS1_3genE0ELNS1_11target_archE4294967295ELNS1_3gpuE0ELNS1_3repE0EEENS1_52radix_sort_onesweep_histogram_config_static_selectorELNS0_4arch9wavefront6targetE0EEEvSI_.kd
    .uniform_work_group_size: 1
    .uses_dynamic_stack: false
    .vgpr_count:     0
    .vgpr_spill_count: 0
    .wavefront_size: 32
    .workgroup_processor_mode: 1
  - .args:
      - .address_space:  global
        .offset:         0
        .size:           8
        .value_kind:     global_buffer
    .group_segment_fixed_size: 0
    .kernarg_segment_align: 8
    .kernarg_segment_size: 8
    .language:       OpenCL C
    .language_version:
      - 2
      - 0
    .max_flat_workgroup_size: 1024
    .name:           _ZN7rocprim17ROCPRIM_400000_NS6detail17trampoline_kernelINS0_14default_configENS1_35radix_sort_onesweep_config_selectorIiNS0_10empty_typeEEEZNS1_34radix_sort_onesweep_global_offsetsIS3_Lb0EN6thrust23THRUST_200600_302600_NS6detail15normal_iteratorINS9_10device_ptrIiEEEEPS5_jNS0_19identity_decomposerEEE10hipError_tT1_T2_PT3_SK_jT4_jjP12ihipStream_tbEUlT_E0_NS1_11comp_targetILNS1_3genE6ELNS1_11target_archE950ELNS1_3gpuE13ELNS1_3repE0EEENS1_52radix_sort_onesweep_histogram_config_static_selectorELNS0_4arch9wavefront6targetE0EEEvSI_
    .private_segment_fixed_size: 0
    .sgpr_count:     0
    .sgpr_spill_count: 0
    .symbol:         _ZN7rocprim17ROCPRIM_400000_NS6detail17trampoline_kernelINS0_14default_configENS1_35radix_sort_onesweep_config_selectorIiNS0_10empty_typeEEEZNS1_34radix_sort_onesweep_global_offsetsIS3_Lb0EN6thrust23THRUST_200600_302600_NS6detail15normal_iteratorINS9_10device_ptrIiEEEEPS5_jNS0_19identity_decomposerEEE10hipError_tT1_T2_PT3_SK_jT4_jjP12ihipStream_tbEUlT_E0_NS1_11comp_targetILNS1_3genE6ELNS1_11target_archE950ELNS1_3gpuE13ELNS1_3repE0EEENS1_52radix_sort_onesweep_histogram_config_static_selectorELNS0_4arch9wavefront6targetE0EEEvSI_.kd
    .uniform_work_group_size: 1
    .uses_dynamic_stack: false
    .vgpr_count:     0
    .vgpr_spill_count: 0
    .wavefront_size: 32
    .workgroup_processor_mode: 1
  - .args:
      - .address_space:  global
        .offset:         0
        .size:           8
        .value_kind:     global_buffer
    .group_segment_fixed_size: 0
    .kernarg_segment_align: 8
    .kernarg_segment_size: 8
    .language:       OpenCL C
    .language_version:
      - 2
      - 0
    .max_flat_workgroup_size: 1024
    .name:           _ZN7rocprim17ROCPRIM_400000_NS6detail17trampoline_kernelINS0_14default_configENS1_35radix_sort_onesweep_config_selectorIiNS0_10empty_typeEEEZNS1_34radix_sort_onesweep_global_offsetsIS3_Lb0EN6thrust23THRUST_200600_302600_NS6detail15normal_iteratorINS9_10device_ptrIiEEEEPS5_jNS0_19identity_decomposerEEE10hipError_tT1_T2_PT3_SK_jT4_jjP12ihipStream_tbEUlT_E0_NS1_11comp_targetILNS1_3genE5ELNS1_11target_archE942ELNS1_3gpuE9ELNS1_3repE0EEENS1_52radix_sort_onesweep_histogram_config_static_selectorELNS0_4arch9wavefront6targetE0EEEvSI_
    .private_segment_fixed_size: 0
    .sgpr_count:     0
    .sgpr_spill_count: 0
    .symbol:         _ZN7rocprim17ROCPRIM_400000_NS6detail17trampoline_kernelINS0_14default_configENS1_35radix_sort_onesweep_config_selectorIiNS0_10empty_typeEEEZNS1_34radix_sort_onesweep_global_offsetsIS3_Lb0EN6thrust23THRUST_200600_302600_NS6detail15normal_iteratorINS9_10device_ptrIiEEEEPS5_jNS0_19identity_decomposerEEE10hipError_tT1_T2_PT3_SK_jT4_jjP12ihipStream_tbEUlT_E0_NS1_11comp_targetILNS1_3genE5ELNS1_11target_archE942ELNS1_3gpuE9ELNS1_3repE0EEENS1_52radix_sort_onesweep_histogram_config_static_selectorELNS0_4arch9wavefront6targetE0EEEvSI_.kd
    .uniform_work_group_size: 1
    .uses_dynamic_stack: false
    .vgpr_count:     0
    .vgpr_spill_count: 0
    .wavefront_size: 32
    .workgroup_processor_mode: 1
  - .args:
      - .address_space:  global
        .offset:         0
        .size:           8
        .value_kind:     global_buffer
    .group_segment_fixed_size: 0
    .kernarg_segment_align: 8
    .kernarg_segment_size: 8
    .language:       OpenCL C
    .language_version:
      - 2
      - 0
    .max_flat_workgroup_size: 1024
    .name:           _ZN7rocprim17ROCPRIM_400000_NS6detail17trampoline_kernelINS0_14default_configENS1_35radix_sort_onesweep_config_selectorIiNS0_10empty_typeEEEZNS1_34radix_sort_onesweep_global_offsetsIS3_Lb0EN6thrust23THRUST_200600_302600_NS6detail15normal_iteratorINS9_10device_ptrIiEEEEPS5_jNS0_19identity_decomposerEEE10hipError_tT1_T2_PT3_SK_jT4_jjP12ihipStream_tbEUlT_E0_NS1_11comp_targetILNS1_3genE2ELNS1_11target_archE906ELNS1_3gpuE6ELNS1_3repE0EEENS1_52radix_sort_onesweep_histogram_config_static_selectorELNS0_4arch9wavefront6targetE0EEEvSI_
    .private_segment_fixed_size: 0
    .sgpr_count:     0
    .sgpr_spill_count: 0
    .symbol:         _ZN7rocprim17ROCPRIM_400000_NS6detail17trampoline_kernelINS0_14default_configENS1_35radix_sort_onesweep_config_selectorIiNS0_10empty_typeEEEZNS1_34radix_sort_onesweep_global_offsetsIS3_Lb0EN6thrust23THRUST_200600_302600_NS6detail15normal_iteratorINS9_10device_ptrIiEEEEPS5_jNS0_19identity_decomposerEEE10hipError_tT1_T2_PT3_SK_jT4_jjP12ihipStream_tbEUlT_E0_NS1_11comp_targetILNS1_3genE2ELNS1_11target_archE906ELNS1_3gpuE6ELNS1_3repE0EEENS1_52radix_sort_onesweep_histogram_config_static_selectorELNS0_4arch9wavefront6targetE0EEEvSI_.kd
    .uniform_work_group_size: 1
    .uses_dynamic_stack: false
    .vgpr_count:     0
    .vgpr_spill_count: 0
    .wavefront_size: 32
    .workgroup_processor_mode: 1
  - .args:
      - .address_space:  global
        .offset:         0
        .size:           8
        .value_kind:     global_buffer
    .group_segment_fixed_size: 0
    .kernarg_segment_align: 8
    .kernarg_segment_size: 8
    .language:       OpenCL C
    .language_version:
      - 2
      - 0
    .max_flat_workgroup_size: 1024
    .name:           _ZN7rocprim17ROCPRIM_400000_NS6detail17trampoline_kernelINS0_14default_configENS1_35radix_sort_onesweep_config_selectorIiNS0_10empty_typeEEEZNS1_34radix_sort_onesweep_global_offsetsIS3_Lb0EN6thrust23THRUST_200600_302600_NS6detail15normal_iteratorINS9_10device_ptrIiEEEEPS5_jNS0_19identity_decomposerEEE10hipError_tT1_T2_PT3_SK_jT4_jjP12ihipStream_tbEUlT_E0_NS1_11comp_targetILNS1_3genE4ELNS1_11target_archE910ELNS1_3gpuE8ELNS1_3repE0EEENS1_52radix_sort_onesweep_histogram_config_static_selectorELNS0_4arch9wavefront6targetE0EEEvSI_
    .private_segment_fixed_size: 0
    .sgpr_count:     0
    .sgpr_spill_count: 0
    .symbol:         _ZN7rocprim17ROCPRIM_400000_NS6detail17trampoline_kernelINS0_14default_configENS1_35radix_sort_onesweep_config_selectorIiNS0_10empty_typeEEEZNS1_34radix_sort_onesweep_global_offsetsIS3_Lb0EN6thrust23THRUST_200600_302600_NS6detail15normal_iteratorINS9_10device_ptrIiEEEEPS5_jNS0_19identity_decomposerEEE10hipError_tT1_T2_PT3_SK_jT4_jjP12ihipStream_tbEUlT_E0_NS1_11comp_targetILNS1_3genE4ELNS1_11target_archE910ELNS1_3gpuE8ELNS1_3repE0EEENS1_52radix_sort_onesweep_histogram_config_static_selectorELNS0_4arch9wavefront6targetE0EEEvSI_.kd
    .uniform_work_group_size: 1
    .uses_dynamic_stack: false
    .vgpr_count:     0
    .vgpr_spill_count: 0
    .wavefront_size: 32
    .workgroup_processor_mode: 1
  - .args:
      - .address_space:  global
        .offset:         0
        .size:           8
        .value_kind:     global_buffer
    .group_segment_fixed_size: 0
    .kernarg_segment_align: 8
    .kernarg_segment_size: 8
    .language:       OpenCL C
    .language_version:
      - 2
      - 0
    .max_flat_workgroup_size: 512
    .name:           _ZN7rocprim17ROCPRIM_400000_NS6detail17trampoline_kernelINS0_14default_configENS1_35radix_sort_onesweep_config_selectorIiNS0_10empty_typeEEEZNS1_34radix_sort_onesweep_global_offsetsIS3_Lb0EN6thrust23THRUST_200600_302600_NS6detail15normal_iteratorINS9_10device_ptrIiEEEEPS5_jNS0_19identity_decomposerEEE10hipError_tT1_T2_PT3_SK_jT4_jjP12ihipStream_tbEUlT_E0_NS1_11comp_targetILNS1_3genE3ELNS1_11target_archE908ELNS1_3gpuE7ELNS1_3repE0EEENS1_52radix_sort_onesweep_histogram_config_static_selectorELNS0_4arch9wavefront6targetE0EEEvSI_
    .private_segment_fixed_size: 0
    .sgpr_count:     0
    .sgpr_spill_count: 0
    .symbol:         _ZN7rocprim17ROCPRIM_400000_NS6detail17trampoline_kernelINS0_14default_configENS1_35radix_sort_onesweep_config_selectorIiNS0_10empty_typeEEEZNS1_34radix_sort_onesweep_global_offsetsIS3_Lb0EN6thrust23THRUST_200600_302600_NS6detail15normal_iteratorINS9_10device_ptrIiEEEEPS5_jNS0_19identity_decomposerEEE10hipError_tT1_T2_PT3_SK_jT4_jjP12ihipStream_tbEUlT_E0_NS1_11comp_targetILNS1_3genE3ELNS1_11target_archE908ELNS1_3gpuE7ELNS1_3repE0EEENS1_52radix_sort_onesweep_histogram_config_static_selectorELNS0_4arch9wavefront6targetE0EEEvSI_.kd
    .uniform_work_group_size: 1
    .uses_dynamic_stack: false
    .vgpr_count:     0
    .vgpr_spill_count: 0
    .wavefront_size: 32
    .workgroup_processor_mode: 1
  - .args:
      - .address_space:  global
        .offset:         0
        .size:           8
        .value_kind:     global_buffer
    .group_segment_fixed_size: 0
    .kernarg_segment_align: 8
    .kernarg_segment_size: 8
    .language:       OpenCL C
    .language_version:
      - 2
      - 0
    .max_flat_workgroup_size: 1024
    .name:           _ZN7rocprim17ROCPRIM_400000_NS6detail17trampoline_kernelINS0_14default_configENS1_35radix_sort_onesweep_config_selectorIiNS0_10empty_typeEEEZNS1_34radix_sort_onesweep_global_offsetsIS3_Lb0EN6thrust23THRUST_200600_302600_NS6detail15normal_iteratorINS9_10device_ptrIiEEEEPS5_jNS0_19identity_decomposerEEE10hipError_tT1_T2_PT3_SK_jT4_jjP12ihipStream_tbEUlT_E0_NS1_11comp_targetILNS1_3genE10ELNS1_11target_archE1201ELNS1_3gpuE5ELNS1_3repE0EEENS1_52radix_sort_onesweep_histogram_config_static_selectorELNS0_4arch9wavefront6targetE0EEEvSI_
    .private_segment_fixed_size: 0
    .sgpr_count:     0
    .sgpr_spill_count: 0
    .symbol:         _ZN7rocprim17ROCPRIM_400000_NS6detail17trampoline_kernelINS0_14default_configENS1_35radix_sort_onesweep_config_selectorIiNS0_10empty_typeEEEZNS1_34radix_sort_onesweep_global_offsetsIS3_Lb0EN6thrust23THRUST_200600_302600_NS6detail15normal_iteratorINS9_10device_ptrIiEEEEPS5_jNS0_19identity_decomposerEEE10hipError_tT1_T2_PT3_SK_jT4_jjP12ihipStream_tbEUlT_E0_NS1_11comp_targetILNS1_3genE10ELNS1_11target_archE1201ELNS1_3gpuE5ELNS1_3repE0EEENS1_52radix_sort_onesweep_histogram_config_static_selectorELNS0_4arch9wavefront6targetE0EEEvSI_.kd
    .uniform_work_group_size: 1
    .uses_dynamic_stack: false
    .vgpr_count:     0
    .vgpr_spill_count: 0
    .wavefront_size: 32
    .workgroup_processor_mode: 1
  - .args:
      - .address_space:  global
        .offset:         0
        .size:           8
        .value_kind:     global_buffer
    .group_segment_fixed_size: 0
    .kernarg_segment_align: 8
    .kernarg_segment_size: 8
    .language:       OpenCL C
    .language_version:
      - 2
      - 0
    .max_flat_workgroup_size: 1024
    .name:           _ZN7rocprim17ROCPRIM_400000_NS6detail17trampoline_kernelINS0_14default_configENS1_35radix_sort_onesweep_config_selectorIiNS0_10empty_typeEEEZNS1_34radix_sort_onesweep_global_offsetsIS3_Lb0EN6thrust23THRUST_200600_302600_NS6detail15normal_iteratorINS9_10device_ptrIiEEEEPS5_jNS0_19identity_decomposerEEE10hipError_tT1_T2_PT3_SK_jT4_jjP12ihipStream_tbEUlT_E0_NS1_11comp_targetILNS1_3genE9ELNS1_11target_archE1100ELNS1_3gpuE3ELNS1_3repE0EEENS1_52radix_sort_onesweep_histogram_config_static_selectorELNS0_4arch9wavefront6targetE0EEEvSI_
    .private_segment_fixed_size: 0
    .sgpr_count:     0
    .sgpr_spill_count: 0
    .symbol:         _ZN7rocprim17ROCPRIM_400000_NS6detail17trampoline_kernelINS0_14default_configENS1_35radix_sort_onesweep_config_selectorIiNS0_10empty_typeEEEZNS1_34radix_sort_onesweep_global_offsetsIS3_Lb0EN6thrust23THRUST_200600_302600_NS6detail15normal_iteratorINS9_10device_ptrIiEEEEPS5_jNS0_19identity_decomposerEEE10hipError_tT1_T2_PT3_SK_jT4_jjP12ihipStream_tbEUlT_E0_NS1_11comp_targetILNS1_3genE9ELNS1_11target_archE1100ELNS1_3gpuE3ELNS1_3repE0EEENS1_52radix_sort_onesweep_histogram_config_static_selectorELNS0_4arch9wavefront6targetE0EEEvSI_.kd
    .uniform_work_group_size: 1
    .uses_dynamic_stack: false
    .vgpr_count:     0
    .vgpr_spill_count: 0
    .wavefront_size: 32
    .workgroup_processor_mode: 1
  - .args:
      - .address_space:  global
        .offset:         0
        .size:           8
        .value_kind:     global_buffer
    .group_segment_fixed_size: 128
    .kernarg_segment_align: 8
    .kernarg_segment_size: 8
    .language:       OpenCL C
    .language_version:
      - 2
      - 0
    .max_flat_workgroup_size: 1024
    .name:           _ZN7rocprim17ROCPRIM_400000_NS6detail17trampoline_kernelINS0_14default_configENS1_35radix_sort_onesweep_config_selectorIiNS0_10empty_typeEEEZNS1_34radix_sort_onesweep_global_offsetsIS3_Lb0EN6thrust23THRUST_200600_302600_NS6detail15normal_iteratorINS9_10device_ptrIiEEEEPS5_jNS0_19identity_decomposerEEE10hipError_tT1_T2_PT3_SK_jT4_jjP12ihipStream_tbEUlT_E0_NS1_11comp_targetILNS1_3genE8ELNS1_11target_archE1030ELNS1_3gpuE2ELNS1_3repE0EEENS1_52radix_sort_onesweep_histogram_config_static_selectorELNS0_4arch9wavefront6targetE0EEEvSI_
    .private_segment_fixed_size: 0
    .sgpr_count:     12
    .sgpr_spill_count: 0
    .symbol:         _ZN7rocprim17ROCPRIM_400000_NS6detail17trampoline_kernelINS0_14default_configENS1_35radix_sort_onesweep_config_selectorIiNS0_10empty_typeEEEZNS1_34radix_sort_onesweep_global_offsetsIS3_Lb0EN6thrust23THRUST_200600_302600_NS6detail15normal_iteratorINS9_10device_ptrIiEEEEPS5_jNS0_19identity_decomposerEEE10hipError_tT1_T2_PT3_SK_jT4_jjP12ihipStream_tbEUlT_E0_NS1_11comp_targetILNS1_3genE8ELNS1_11target_archE1030ELNS1_3gpuE2ELNS1_3repE0EEENS1_52radix_sort_onesweep_histogram_config_static_selectorELNS0_4arch9wavefront6targetE0EEEvSI_.kd
    .uniform_work_group_size: 1
    .uses_dynamic_stack: false
    .vgpr_count:     8
    .vgpr_spill_count: 0
    .wavefront_size: 32
    .workgroup_processor_mode: 1
  - .args:
      - .offset:         0
        .size:           40
        .value_kind:     by_value
    .group_segment_fixed_size: 0
    .kernarg_segment_align: 8
    .kernarg_segment_size: 40
    .language:       OpenCL C
    .language_version:
      - 2
      - 0
    .max_flat_workgroup_size: 128
    .name:           _ZN7rocprim17ROCPRIM_400000_NS6detail17trampoline_kernelINS0_14default_configENS1_25transform_config_selectorIiLb0EEEZNS1_14transform_implILb0ES3_S5_N6thrust23THRUST_200600_302600_NS6detail15normal_iteratorINS8_10device_ptrIiEEEEPiNS0_8identityIiEEEE10hipError_tT2_T3_mT4_P12ihipStream_tbEUlT_E_NS1_11comp_targetILNS1_3genE0ELNS1_11target_archE4294967295ELNS1_3gpuE0ELNS1_3repE0EEENS1_30default_config_static_selectorELNS0_4arch9wavefront6targetE0EEEvT1_
    .private_segment_fixed_size: 0
    .sgpr_count:     0
    .sgpr_spill_count: 0
    .symbol:         _ZN7rocprim17ROCPRIM_400000_NS6detail17trampoline_kernelINS0_14default_configENS1_25transform_config_selectorIiLb0EEEZNS1_14transform_implILb0ES3_S5_N6thrust23THRUST_200600_302600_NS6detail15normal_iteratorINS8_10device_ptrIiEEEEPiNS0_8identityIiEEEE10hipError_tT2_T3_mT4_P12ihipStream_tbEUlT_E_NS1_11comp_targetILNS1_3genE0ELNS1_11target_archE4294967295ELNS1_3gpuE0ELNS1_3repE0EEENS1_30default_config_static_selectorELNS0_4arch9wavefront6targetE0EEEvT1_.kd
    .uniform_work_group_size: 1
    .uses_dynamic_stack: false
    .vgpr_count:     0
    .vgpr_spill_count: 0
    .wavefront_size: 32
    .workgroup_processor_mode: 1
  - .args:
      - .offset:         0
        .size:           40
        .value_kind:     by_value
    .group_segment_fixed_size: 0
    .kernarg_segment_align: 8
    .kernarg_segment_size: 40
    .language:       OpenCL C
    .language_version:
      - 2
      - 0
    .max_flat_workgroup_size: 512
    .name:           _ZN7rocprim17ROCPRIM_400000_NS6detail17trampoline_kernelINS0_14default_configENS1_25transform_config_selectorIiLb0EEEZNS1_14transform_implILb0ES3_S5_N6thrust23THRUST_200600_302600_NS6detail15normal_iteratorINS8_10device_ptrIiEEEEPiNS0_8identityIiEEEE10hipError_tT2_T3_mT4_P12ihipStream_tbEUlT_E_NS1_11comp_targetILNS1_3genE5ELNS1_11target_archE942ELNS1_3gpuE9ELNS1_3repE0EEENS1_30default_config_static_selectorELNS0_4arch9wavefront6targetE0EEEvT1_
    .private_segment_fixed_size: 0
    .sgpr_count:     0
    .sgpr_spill_count: 0
    .symbol:         _ZN7rocprim17ROCPRIM_400000_NS6detail17trampoline_kernelINS0_14default_configENS1_25transform_config_selectorIiLb0EEEZNS1_14transform_implILb0ES3_S5_N6thrust23THRUST_200600_302600_NS6detail15normal_iteratorINS8_10device_ptrIiEEEEPiNS0_8identityIiEEEE10hipError_tT2_T3_mT4_P12ihipStream_tbEUlT_E_NS1_11comp_targetILNS1_3genE5ELNS1_11target_archE942ELNS1_3gpuE9ELNS1_3repE0EEENS1_30default_config_static_selectorELNS0_4arch9wavefront6targetE0EEEvT1_.kd
    .uniform_work_group_size: 1
    .uses_dynamic_stack: false
    .vgpr_count:     0
    .vgpr_spill_count: 0
    .wavefront_size: 32
    .workgroup_processor_mode: 1
  - .args:
      - .offset:         0
        .size:           40
        .value_kind:     by_value
    .group_segment_fixed_size: 0
    .kernarg_segment_align: 8
    .kernarg_segment_size: 40
    .language:       OpenCL C
    .language_version:
      - 2
      - 0
    .max_flat_workgroup_size: 1024
    .name:           _ZN7rocprim17ROCPRIM_400000_NS6detail17trampoline_kernelINS0_14default_configENS1_25transform_config_selectorIiLb0EEEZNS1_14transform_implILb0ES3_S5_N6thrust23THRUST_200600_302600_NS6detail15normal_iteratorINS8_10device_ptrIiEEEEPiNS0_8identityIiEEEE10hipError_tT2_T3_mT4_P12ihipStream_tbEUlT_E_NS1_11comp_targetILNS1_3genE4ELNS1_11target_archE910ELNS1_3gpuE8ELNS1_3repE0EEENS1_30default_config_static_selectorELNS0_4arch9wavefront6targetE0EEEvT1_
    .private_segment_fixed_size: 0
    .sgpr_count:     0
    .sgpr_spill_count: 0
    .symbol:         _ZN7rocprim17ROCPRIM_400000_NS6detail17trampoline_kernelINS0_14default_configENS1_25transform_config_selectorIiLb0EEEZNS1_14transform_implILb0ES3_S5_N6thrust23THRUST_200600_302600_NS6detail15normal_iteratorINS8_10device_ptrIiEEEEPiNS0_8identityIiEEEE10hipError_tT2_T3_mT4_P12ihipStream_tbEUlT_E_NS1_11comp_targetILNS1_3genE4ELNS1_11target_archE910ELNS1_3gpuE8ELNS1_3repE0EEENS1_30default_config_static_selectorELNS0_4arch9wavefront6targetE0EEEvT1_.kd
    .uniform_work_group_size: 1
    .uses_dynamic_stack: false
    .vgpr_count:     0
    .vgpr_spill_count: 0
    .wavefront_size: 32
    .workgroup_processor_mode: 1
  - .args:
      - .offset:         0
        .size:           40
        .value_kind:     by_value
    .group_segment_fixed_size: 0
    .kernarg_segment_align: 8
    .kernarg_segment_size: 40
    .language:       OpenCL C
    .language_version:
      - 2
      - 0
    .max_flat_workgroup_size: 128
    .name:           _ZN7rocprim17ROCPRIM_400000_NS6detail17trampoline_kernelINS0_14default_configENS1_25transform_config_selectorIiLb0EEEZNS1_14transform_implILb0ES3_S5_N6thrust23THRUST_200600_302600_NS6detail15normal_iteratorINS8_10device_ptrIiEEEEPiNS0_8identityIiEEEE10hipError_tT2_T3_mT4_P12ihipStream_tbEUlT_E_NS1_11comp_targetILNS1_3genE3ELNS1_11target_archE908ELNS1_3gpuE7ELNS1_3repE0EEENS1_30default_config_static_selectorELNS0_4arch9wavefront6targetE0EEEvT1_
    .private_segment_fixed_size: 0
    .sgpr_count:     0
    .sgpr_spill_count: 0
    .symbol:         _ZN7rocprim17ROCPRIM_400000_NS6detail17trampoline_kernelINS0_14default_configENS1_25transform_config_selectorIiLb0EEEZNS1_14transform_implILb0ES3_S5_N6thrust23THRUST_200600_302600_NS6detail15normal_iteratorINS8_10device_ptrIiEEEEPiNS0_8identityIiEEEE10hipError_tT2_T3_mT4_P12ihipStream_tbEUlT_E_NS1_11comp_targetILNS1_3genE3ELNS1_11target_archE908ELNS1_3gpuE7ELNS1_3repE0EEENS1_30default_config_static_selectorELNS0_4arch9wavefront6targetE0EEEvT1_.kd
    .uniform_work_group_size: 1
    .uses_dynamic_stack: false
    .vgpr_count:     0
    .vgpr_spill_count: 0
    .wavefront_size: 32
    .workgroup_processor_mode: 1
  - .args:
      - .offset:         0
        .size:           40
        .value_kind:     by_value
    .group_segment_fixed_size: 0
    .kernarg_segment_align: 8
    .kernarg_segment_size: 40
    .language:       OpenCL C
    .language_version:
      - 2
      - 0
    .max_flat_workgroup_size: 1024
    .name:           _ZN7rocprim17ROCPRIM_400000_NS6detail17trampoline_kernelINS0_14default_configENS1_25transform_config_selectorIiLb0EEEZNS1_14transform_implILb0ES3_S5_N6thrust23THRUST_200600_302600_NS6detail15normal_iteratorINS8_10device_ptrIiEEEEPiNS0_8identityIiEEEE10hipError_tT2_T3_mT4_P12ihipStream_tbEUlT_E_NS1_11comp_targetILNS1_3genE2ELNS1_11target_archE906ELNS1_3gpuE6ELNS1_3repE0EEENS1_30default_config_static_selectorELNS0_4arch9wavefront6targetE0EEEvT1_
    .private_segment_fixed_size: 0
    .sgpr_count:     0
    .sgpr_spill_count: 0
    .symbol:         _ZN7rocprim17ROCPRIM_400000_NS6detail17trampoline_kernelINS0_14default_configENS1_25transform_config_selectorIiLb0EEEZNS1_14transform_implILb0ES3_S5_N6thrust23THRUST_200600_302600_NS6detail15normal_iteratorINS8_10device_ptrIiEEEEPiNS0_8identityIiEEEE10hipError_tT2_T3_mT4_P12ihipStream_tbEUlT_E_NS1_11comp_targetILNS1_3genE2ELNS1_11target_archE906ELNS1_3gpuE6ELNS1_3repE0EEENS1_30default_config_static_selectorELNS0_4arch9wavefront6targetE0EEEvT1_.kd
    .uniform_work_group_size: 1
    .uses_dynamic_stack: false
    .vgpr_count:     0
    .vgpr_spill_count: 0
    .wavefront_size: 32
    .workgroup_processor_mode: 1
  - .args:
      - .offset:         0
        .size:           40
        .value_kind:     by_value
    .group_segment_fixed_size: 0
    .kernarg_segment_align: 8
    .kernarg_segment_size: 40
    .language:       OpenCL C
    .language_version:
      - 2
      - 0
    .max_flat_workgroup_size: 1024
    .name:           _ZN7rocprim17ROCPRIM_400000_NS6detail17trampoline_kernelINS0_14default_configENS1_25transform_config_selectorIiLb0EEEZNS1_14transform_implILb0ES3_S5_N6thrust23THRUST_200600_302600_NS6detail15normal_iteratorINS8_10device_ptrIiEEEEPiNS0_8identityIiEEEE10hipError_tT2_T3_mT4_P12ihipStream_tbEUlT_E_NS1_11comp_targetILNS1_3genE10ELNS1_11target_archE1201ELNS1_3gpuE5ELNS1_3repE0EEENS1_30default_config_static_selectorELNS0_4arch9wavefront6targetE0EEEvT1_
    .private_segment_fixed_size: 0
    .sgpr_count:     0
    .sgpr_spill_count: 0
    .symbol:         _ZN7rocprim17ROCPRIM_400000_NS6detail17trampoline_kernelINS0_14default_configENS1_25transform_config_selectorIiLb0EEEZNS1_14transform_implILb0ES3_S5_N6thrust23THRUST_200600_302600_NS6detail15normal_iteratorINS8_10device_ptrIiEEEEPiNS0_8identityIiEEEE10hipError_tT2_T3_mT4_P12ihipStream_tbEUlT_E_NS1_11comp_targetILNS1_3genE10ELNS1_11target_archE1201ELNS1_3gpuE5ELNS1_3repE0EEENS1_30default_config_static_selectorELNS0_4arch9wavefront6targetE0EEEvT1_.kd
    .uniform_work_group_size: 1
    .uses_dynamic_stack: false
    .vgpr_count:     0
    .vgpr_spill_count: 0
    .wavefront_size: 32
    .workgroup_processor_mode: 1
  - .args:
      - .offset:         0
        .size:           40
        .value_kind:     by_value
    .group_segment_fixed_size: 0
    .kernarg_segment_align: 8
    .kernarg_segment_size: 40
    .language:       OpenCL C
    .language_version:
      - 2
      - 0
    .max_flat_workgroup_size: 512
    .name:           _ZN7rocprim17ROCPRIM_400000_NS6detail17trampoline_kernelINS0_14default_configENS1_25transform_config_selectorIiLb0EEEZNS1_14transform_implILb0ES3_S5_N6thrust23THRUST_200600_302600_NS6detail15normal_iteratorINS8_10device_ptrIiEEEEPiNS0_8identityIiEEEE10hipError_tT2_T3_mT4_P12ihipStream_tbEUlT_E_NS1_11comp_targetILNS1_3genE10ELNS1_11target_archE1200ELNS1_3gpuE4ELNS1_3repE0EEENS1_30default_config_static_selectorELNS0_4arch9wavefront6targetE0EEEvT1_
    .private_segment_fixed_size: 0
    .sgpr_count:     0
    .sgpr_spill_count: 0
    .symbol:         _ZN7rocprim17ROCPRIM_400000_NS6detail17trampoline_kernelINS0_14default_configENS1_25transform_config_selectorIiLb0EEEZNS1_14transform_implILb0ES3_S5_N6thrust23THRUST_200600_302600_NS6detail15normal_iteratorINS8_10device_ptrIiEEEEPiNS0_8identityIiEEEE10hipError_tT2_T3_mT4_P12ihipStream_tbEUlT_E_NS1_11comp_targetILNS1_3genE10ELNS1_11target_archE1200ELNS1_3gpuE4ELNS1_3repE0EEENS1_30default_config_static_selectorELNS0_4arch9wavefront6targetE0EEEvT1_.kd
    .uniform_work_group_size: 1
    .uses_dynamic_stack: false
    .vgpr_count:     0
    .vgpr_spill_count: 0
    .wavefront_size: 32
    .workgroup_processor_mode: 1
  - .args:
      - .offset:         0
        .size:           40
        .value_kind:     by_value
    .group_segment_fixed_size: 0
    .kernarg_segment_align: 8
    .kernarg_segment_size: 40
    .language:       OpenCL C
    .language_version:
      - 2
      - 0
    .max_flat_workgroup_size: 64
    .name:           _ZN7rocprim17ROCPRIM_400000_NS6detail17trampoline_kernelINS0_14default_configENS1_25transform_config_selectorIiLb0EEEZNS1_14transform_implILb0ES3_S5_N6thrust23THRUST_200600_302600_NS6detail15normal_iteratorINS8_10device_ptrIiEEEEPiNS0_8identityIiEEEE10hipError_tT2_T3_mT4_P12ihipStream_tbEUlT_E_NS1_11comp_targetILNS1_3genE9ELNS1_11target_archE1100ELNS1_3gpuE3ELNS1_3repE0EEENS1_30default_config_static_selectorELNS0_4arch9wavefront6targetE0EEEvT1_
    .private_segment_fixed_size: 0
    .sgpr_count:     0
    .sgpr_spill_count: 0
    .symbol:         _ZN7rocprim17ROCPRIM_400000_NS6detail17trampoline_kernelINS0_14default_configENS1_25transform_config_selectorIiLb0EEEZNS1_14transform_implILb0ES3_S5_N6thrust23THRUST_200600_302600_NS6detail15normal_iteratorINS8_10device_ptrIiEEEEPiNS0_8identityIiEEEE10hipError_tT2_T3_mT4_P12ihipStream_tbEUlT_E_NS1_11comp_targetILNS1_3genE9ELNS1_11target_archE1100ELNS1_3gpuE3ELNS1_3repE0EEENS1_30default_config_static_selectorELNS0_4arch9wavefront6targetE0EEEvT1_.kd
    .uniform_work_group_size: 1
    .uses_dynamic_stack: false
    .vgpr_count:     0
    .vgpr_spill_count: 0
    .wavefront_size: 32
    .workgroup_processor_mode: 1
  - .args:
      - .offset:         0
        .size:           40
        .value_kind:     by_value
      - .offset:         40
        .size:           4
        .value_kind:     hidden_block_count_x
      - .offset:         44
        .size:           4
        .value_kind:     hidden_block_count_y
      - .offset:         48
        .size:           4
        .value_kind:     hidden_block_count_z
      - .offset:         52
        .size:           2
        .value_kind:     hidden_group_size_x
      - .offset:         54
        .size:           2
        .value_kind:     hidden_group_size_y
      - .offset:         56
        .size:           2
        .value_kind:     hidden_group_size_z
      - .offset:         58
        .size:           2
        .value_kind:     hidden_remainder_x
      - .offset:         60
        .size:           2
        .value_kind:     hidden_remainder_y
      - .offset:         62
        .size:           2
        .value_kind:     hidden_remainder_z
      - .offset:         80
        .size:           8
        .value_kind:     hidden_global_offset_x
      - .offset:         88
        .size:           8
        .value_kind:     hidden_global_offset_y
      - .offset:         96
        .size:           8
        .value_kind:     hidden_global_offset_z
      - .offset:         104
        .size:           2
        .value_kind:     hidden_grid_dims
    .group_segment_fixed_size: 0
    .kernarg_segment_align: 8
    .kernarg_segment_size: 296
    .language:       OpenCL C
    .language_version:
      - 2
      - 0
    .max_flat_workgroup_size: 256
    .name:           _ZN7rocprim17ROCPRIM_400000_NS6detail17trampoline_kernelINS0_14default_configENS1_25transform_config_selectorIiLb0EEEZNS1_14transform_implILb0ES3_S5_N6thrust23THRUST_200600_302600_NS6detail15normal_iteratorINS8_10device_ptrIiEEEEPiNS0_8identityIiEEEE10hipError_tT2_T3_mT4_P12ihipStream_tbEUlT_E_NS1_11comp_targetILNS1_3genE8ELNS1_11target_archE1030ELNS1_3gpuE2ELNS1_3repE0EEENS1_30default_config_static_selectorELNS0_4arch9wavefront6targetE0EEEvT1_
    .private_segment_fixed_size: 0
    .sgpr_count:     14
    .sgpr_spill_count: 0
    .symbol:         _ZN7rocprim17ROCPRIM_400000_NS6detail17trampoline_kernelINS0_14default_configENS1_25transform_config_selectorIiLb0EEEZNS1_14transform_implILb0ES3_S5_N6thrust23THRUST_200600_302600_NS6detail15normal_iteratorINS8_10device_ptrIiEEEEPiNS0_8identityIiEEEE10hipError_tT2_T3_mT4_P12ihipStream_tbEUlT_E_NS1_11comp_targetILNS1_3genE8ELNS1_11target_archE1030ELNS1_3gpuE2ELNS1_3repE0EEENS1_30default_config_static_selectorELNS0_4arch9wavefront6targetE0EEEvT1_.kd
    .uniform_work_group_size: 1
    .uses_dynamic_stack: false
    .vgpr_count:     3
    .vgpr_spill_count: 0
    .wavefront_size: 32
    .workgroup_processor_mode: 1
  - .args:
      - .offset:         0
        .size:           88
        .value_kind:     by_value
    .group_segment_fixed_size: 0
    .kernarg_segment_align: 8
    .kernarg_segment_size: 88
    .language:       OpenCL C
    .language_version:
      - 2
      - 0
    .max_flat_workgroup_size: 512
    .name:           _ZN7rocprim17ROCPRIM_400000_NS6detail17trampoline_kernelINS0_14default_configENS1_35radix_sort_onesweep_config_selectorIiNS0_10empty_typeEEEZZNS1_29radix_sort_onesweep_iterationIS3_Lb0EN6thrust23THRUST_200600_302600_NS6detail15normal_iteratorINS9_10device_ptrIiEEEESE_PS5_SF_jNS0_19identity_decomposerENS1_16block_id_wrapperIjLb1EEEEE10hipError_tT1_PNSt15iterator_traitsISK_E10value_typeET2_T3_PNSL_ISQ_E10value_typeET4_T5_PSV_SW_PNS1_23onesweep_lookback_stateEbbT6_jjT7_P12ihipStream_tbENKUlT_T0_SK_SP_E_clISE_SE_SF_SF_EEDaS13_S14_SK_SP_EUlS13_E_NS1_11comp_targetILNS1_3genE0ELNS1_11target_archE4294967295ELNS1_3gpuE0ELNS1_3repE0EEENS1_47radix_sort_onesweep_sort_config_static_selectorELNS0_4arch9wavefront6targetE0EEEvSK_
    .private_segment_fixed_size: 0
    .sgpr_count:     0
    .sgpr_spill_count: 0
    .symbol:         _ZN7rocprim17ROCPRIM_400000_NS6detail17trampoline_kernelINS0_14default_configENS1_35radix_sort_onesweep_config_selectorIiNS0_10empty_typeEEEZZNS1_29radix_sort_onesweep_iterationIS3_Lb0EN6thrust23THRUST_200600_302600_NS6detail15normal_iteratorINS9_10device_ptrIiEEEESE_PS5_SF_jNS0_19identity_decomposerENS1_16block_id_wrapperIjLb1EEEEE10hipError_tT1_PNSt15iterator_traitsISK_E10value_typeET2_T3_PNSL_ISQ_E10value_typeET4_T5_PSV_SW_PNS1_23onesweep_lookback_stateEbbT6_jjT7_P12ihipStream_tbENKUlT_T0_SK_SP_E_clISE_SE_SF_SF_EEDaS13_S14_SK_SP_EUlS13_E_NS1_11comp_targetILNS1_3genE0ELNS1_11target_archE4294967295ELNS1_3gpuE0ELNS1_3repE0EEENS1_47radix_sort_onesweep_sort_config_static_selectorELNS0_4arch9wavefront6targetE0EEEvSK_.kd
    .uniform_work_group_size: 1
    .uses_dynamic_stack: false
    .vgpr_count:     0
    .vgpr_spill_count: 0
    .wavefront_size: 32
    .workgroup_processor_mode: 1
  - .args:
      - .offset:         0
        .size:           88
        .value_kind:     by_value
    .group_segment_fixed_size: 0
    .kernarg_segment_align: 8
    .kernarg_segment_size: 88
    .language:       OpenCL C
    .language_version:
      - 2
      - 0
    .max_flat_workgroup_size: 1024
    .name:           _ZN7rocprim17ROCPRIM_400000_NS6detail17trampoline_kernelINS0_14default_configENS1_35radix_sort_onesweep_config_selectorIiNS0_10empty_typeEEEZZNS1_29radix_sort_onesweep_iterationIS3_Lb0EN6thrust23THRUST_200600_302600_NS6detail15normal_iteratorINS9_10device_ptrIiEEEESE_PS5_SF_jNS0_19identity_decomposerENS1_16block_id_wrapperIjLb1EEEEE10hipError_tT1_PNSt15iterator_traitsISK_E10value_typeET2_T3_PNSL_ISQ_E10value_typeET4_T5_PSV_SW_PNS1_23onesweep_lookback_stateEbbT6_jjT7_P12ihipStream_tbENKUlT_T0_SK_SP_E_clISE_SE_SF_SF_EEDaS13_S14_SK_SP_EUlS13_E_NS1_11comp_targetILNS1_3genE6ELNS1_11target_archE950ELNS1_3gpuE13ELNS1_3repE0EEENS1_47radix_sort_onesweep_sort_config_static_selectorELNS0_4arch9wavefront6targetE0EEEvSK_
    .private_segment_fixed_size: 0
    .sgpr_count:     0
    .sgpr_spill_count: 0
    .symbol:         _ZN7rocprim17ROCPRIM_400000_NS6detail17trampoline_kernelINS0_14default_configENS1_35radix_sort_onesweep_config_selectorIiNS0_10empty_typeEEEZZNS1_29radix_sort_onesweep_iterationIS3_Lb0EN6thrust23THRUST_200600_302600_NS6detail15normal_iteratorINS9_10device_ptrIiEEEESE_PS5_SF_jNS0_19identity_decomposerENS1_16block_id_wrapperIjLb1EEEEE10hipError_tT1_PNSt15iterator_traitsISK_E10value_typeET2_T3_PNSL_ISQ_E10value_typeET4_T5_PSV_SW_PNS1_23onesweep_lookback_stateEbbT6_jjT7_P12ihipStream_tbENKUlT_T0_SK_SP_E_clISE_SE_SF_SF_EEDaS13_S14_SK_SP_EUlS13_E_NS1_11comp_targetILNS1_3genE6ELNS1_11target_archE950ELNS1_3gpuE13ELNS1_3repE0EEENS1_47radix_sort_onesweep_sort_config_static_selectorELNS0_4arch9wavefront6targetE0EEEvSK_.kd
    .uniform_work_group_size: 1
    .uses_dynamic_stack: false
    .vgpr_count:     0
    .vgpr_spill_count: 0
    .wavefront_size: 32
    .workgroup_processor_mode: 1
  - .args:
      - .offset:         0
        .size:           88
        .value_kind:     by_value
    .group_segment_fixed_size: 0
    .kernarg_segment_align: 8
    .kernarg_segment_size: 88
    .language:       OpenCL C
    .language_version:
      - 2
      - 0
    .max_flat_workgroup_size: 1024
    .name:           _ZN7rocprim17ROCPRIM_400000_NS6detail17trampoline_kernelINS0_14default_configENS1_35radix_sort_onesweep_config_selectorIiNS0_10empty_typeEEEZZNS1_29radix_sort_onesweep_iterationIS3_Lb0EN6thrust23THRUST_200600_302600_NS6detail15normal_iteratorINS9_10device_ptrIiEEEESE_PS5_SF_jNS0_19identity_decomposerENS1_16block_id_wrapperIjLb1EEEEE10hipError_tT1_PNSt15iterator_traitsISK_E10value_typeET2_T3_PNSL_ISQ_E10value_typeET4_T5_PSV_SW_PNS1_23onesweep_lookback_stateEbbT6_jjT7_P12ihipStream_tbENKUlT_T0_SK_SP_E_clISE_SE_SF_SF_EEDaS13_S14_SK_SP_EUlS13_E_NS1_11comp_targetILNS1_3genE5ELNS1_11target_archE942ELNS1_3gpuE9ELNS1_3repE0EEENS1_47radix_sort_onesweep_sort_config_static_selectorELNS0_4arch9wavefront6targetE0EEEvSK_
    .private_segment_fixed_size: 0
    .sgpr_count:     0
    .sgpr_spill_count: 0
    .symbol:         _ZN7rocprim17ROCPRIM_400000_NS6detail17trampoline_kernelINS0_14default_configENS1_35radix_sort_onesweep_config_selectorIiNS0_10empty_typeEEEZZNS1_29radix_sort_onesweep_iterationIS3_Lb0EN6thrust23THRUST_200600_302600_NS6detail15normal_iteratorINS9_10device_ptrIiEEEESE_PS5_SF_jNS0_19identity_decomposerENS1_16block_id_wrapperIjLb1EEEEE10hipError_tT1_PNSt15iterator_traitsISK_E10value_typeET2_T3_PNSL_ISQ_E10value_typeET4_T5_PSV_SW_PNS1_23onesweep_lookback_stateEbbT6_jjT7_P12ihipStream_tbENKUlT_T0_SK_SP_E_clISE_SE_SF_SF_EEDaS13_S14_SK_SP_EUlS13_E_NS1_11comp_targetILNS1_3genE5ELNS1_11target_archE942ELNS1_3gpuE9ELNS1_3repE0EEENS1_47radix_sort_onesweep_sort_config_static_selectorELNS0_4arch9wavefront6targetE0EEEvSK_.kd
    .uniform_work_group_size: 1
    .uses_dynamic_stack: false
    .vgpr_count:     0
    .vgpr_spill_count: 0
    .wavefront_size: 32
    .workgroup_processor_mode: 1
  - .args:
      - .offset:         0
        .size:           88
        .value_kind:     by_value
    .group_segment_fixed_size: 0
    .kernarg_segment_align: 8
    .kernarg_segment_size: 88
    .language:       OpenCL C
    .language_version:
      - 2
      - 0
    .max_flat_workgroup_size: 1024
    .name:           _ZN7rocprim17ROCPRIM_400000_NS6detail17trampoline_kernelINS0_14default_configENS1_35radix_sort_onesweep_config_selectorIiNS0_10empty_typeEEEZZNS1_29radix_sort_onesweep_iterationIS3_Lb0EN6thrust23THRUST_200600_302600_NS6detail15normal_iteratorINS9_10device_ptrIiEEEESE_PS5_SF_jNS0_19identity_decomposerENS1_16block_id_wrapperIjLb1EEEEE10hipError_tT1_PNSt15iterator_traitsISK_E10value_typeET2_T3_PNSL_ISQ_E10value_typeET4_T5_PSV_SW_PNS1_23onesweep_lookback_stateEbbT6_jjT7_P12ihipStream_tbENKUlT_T0_SK_SP_E_clISE_SE_SF_SF_EEDaS13_S14_SK_SP_EUlS13_E_NS1_11comp_targetILNS1_3genE2ELNS1_11target_archE906ELNS1_3gpuE6ELNS1_3repE0EEENS1_47radix_sort_onesweep_sort_config_static_selectorELNS0_4arch9wavefront6targetE0EEEvSK_
    .private_segment_fixed_size: 0
    .sgpr_count:     0
    .sgpr_spill_count: 0
    .symbol:         _ZN7rocprim17ROCPRIM_400000_NS6detail17trampoline_kernelINS0_14default_configENS1_35radix_sort_onesweep_config_selectorIiNS0_10empty_typeEEEZZNS1_29radix_sort_onesweep_iterationIS3_Lb0EN6thrust23THRUST_200600_302600_NS6detail15normal_iteratorINS9_10device_ptrIiEEEESE_PS5_SF_jNS0_19identity_decomposerENS1_16block_id_wrapperIjLb1EEEEE10hipError_tT1_PNSt15iterator_traitsISK_E10value_typeET2_T3_PNSL_ISQ_E10value_typeET4_T5_PSV_SW_PNS1_23onesweep_lookback_stateEbbT6_jjT7_P12ihipStream_tbENKUlT_T0_SK_SP_E_clISE_SE_SF_SF_EEDaS13_S14_SK_SP_EUlS13_E_NS1_11comp_targetILNS1_3genE2ELNS1_11target_archE906ELNS1_3gpuE6ELNS1_3repE0EEENS1_47radix_sort_onesweep_sort_config_static_selectorELNS0_4arch9wavefront6targetE0EEEvSK_.kd
    .uniform_work_group_size: 1
    .uses_dynamic_stack: false
    .vgpr_count:     0
    .vgpr_spill_count: 0
    .wavefront_size: 32
    .workgroup_processor_mode: 1
  - .args:
      - .offset:         0
        .size:           88
        .value_kind:     by_value
    .group_segment_fixed_size: 0
    .kernarg_segment_align: 8
    .kernarg_segment_size: 88
    .language:       OpenCL C
    .language_version:
      - 2
      - 0
    .max_flat_workgroup_size: 1024
    .name:           _ZN7rocprim17ROCPRIM_400000_NS6detail17trampoline_kernelINS0_14default_configENS1_35radix_sort_onesweep_config_selectorIiNS0_10empty_typeEEEZZNS1_29radix_sort_onesweep_iterationIS3_Lb0EN6thrust23THRUST_200600_302600_NS6detail15normal_iteratorINS9_10device_ptrIiEEEESE_PS5_SF_jNS0_19identity_decomposerENS1_16block_id_wrapperIjLb1EEEEE10hipError_tT1_PNSt15iterator_traitsISK_E10value_typeET2_T3_PNSL_ISQ_E10value_typeET4_T5_PSV_SW_PNS1_23onesweep_lookback_stateEbbT6_jjT7_P12ihipStream_tbENKUlT_T0_SK_SP_E_clISE_SE_SF_SF_EEDaS13_S14_SK_SP_EUlS13_E_NS1_11comp_targetILNS1_3genE4ELNS1_11target_archE910ELNS1_3gpuE8ELNS1_3repE0EEENS1_47radix_sort_onesweep_sort_config_static_selectorELNS0_4arch9wavefront6targetE0EEEvSK_
    .private_segment_fixed_size: 0
    .sgpr_count:     0
    .sgpr_spill_count: 0
    .symbol:         _ZN7rocprim17ROCPRIM_400000_NS6detail17trampoline_kernelINS0_14default_configENS1_35radix_sort_onesweep_config_selectorIiNS0_10empty_typeEEEZZNS1_29radix_sort_onesweep_iterationIS3_Lb0EN6thrust23THRUST_200600_302600_NS6detail15normal_iteratorINS9_10device_ptrIiEEEESE_PS5_SF_jNS0_19identity_decomposerENS1_16block_id_wrapperIjLb1EEEEE10hipError_tT1_PNSt15iterator_traitsISK_E10value_typeET2_T3_PNSL_ISQ_E10value_typeET4_T5_PSV_SW_PNS1_23onesweep_lookback_stateEbbT6_jjT7_P12ihipStream_tbENKUlT_T0_SK_SP_E_clISE_SE_SF_SF_EEDaS13_S14_SK_SP_EUlS13_E_NS1_11comp_targetILNS1_3genE4ELNS1_11target_archE910ELNS1_3gpuE8ELNS1_3repE0EEENS1_47radix_sort_onesweep_sort_config_static_selectorELNS0_4arch9wavefront6targetE0EEEvSK_.kd
    .uniform_work_group_size: 1
    .uses_dynamic_stack: false
    .vgpr_count:     0
    .vgpr_spill_count: 0
    .wavefront_size: 32
    .workgroup_processor_mode: 1
  - .args:
      - .offset:         0
        .size:           88
        .value_kind:     by_value
    .group_segment_fixed_size: 0
    .kernarg_segment_align: 8
    .kernarg_segment_size: 88
    .language:       OpenCL C
    .language_version:
      - 2
      - 0
    .max_flat_workgroup_size: 512
    .name:           _ZN7rocprim17ROCPRIM_400000_NS6detail17trampoline_kernelINS0_14default_configENS1_35radix_sort_onesweep_config_selectorIiNS0_10empty_typeEEEZZNS1_29radix_sort_onesweep_iterationIS3_Lb0EN6thrust23THRUST_200600_302600_NS6detail15normal_iteratorINS9_10device_ptrIiEEEESE_PS5_SF_jNS0_19identity_decomposerENS1_16block_id_wrapperIjLb1EEEEE10hipError_tT1_PNSt15iterator_traitsISK_E10value_typeET2_T3_PNSL_ISQ_E10value_typeET4_T5_PSV_SW_PNS1_23onesweep_lookback_stateEbbT6_jjT7_P12ihipStream_tbENKUlT_T0_SK_SP_E_clISE_SE_SF_SF_EEDaS13_S14_SK_SP_EUlS13_E_NS1_11comp_targetILNS1_3genE3ELNS1_11target_archE908ELNS1_3gpuE7ELNS1_3repE0EEENS1_47radix_sort_onesweep_sort_config_static_selectorELNS0_4arch9wavefront6targetE0EEEvSK_
    .private_segment_fixed_size: 0
    .sgpr_count:     0
    .sgpr_spill_count: 0
    .symbol:         _ZN7rocprim17ROCPRIM_400000_NS6detail17trampoline_kernelINS0_14default_configENS1_35radix_sort_onesweep_config_selectorIiNS0_10empty_typeEEEZZNS1_29radix_sort_onesweep_iterationIS3_Lb0EN6thrust23THRUST_200600_302600_NS6detail15normal_iteratorINS9_10device_ptrIiEEEESE_PS5_SF_jNS0_19identity_decomposerENS1_16block_id_wrapperIjLb1EEEEE10hipError_tT1_PNSt15iterator_traitsISK_E10value_typeET2_T3_PNSL_ISQ_E10value_typeET4_T5_PSV_SW_PNS1_23onesweep_lookback_stateEbbT6_jjT7_P12ihipStream_tbENKUlT_T0_SK_SP_E_clISE_SE_SF_SF_EEDaS13_S14_SK_SP_EUlS13_E_NS1_11comp_targetILNS1_3genE3ELNS1_11target_archE908ELNS1_3gpuE7ELNS1_3repE0EEENS1_47radix_sort_onesweep_sort_config_static_selectorELNS0_4arch9wavefront6targetE0EEEvSK_.kd
    .uniform_work_group_size: 1
    .uses_dynamic_stack: false
    .vgpr_count:     0
    .vgpr_spill_count: 0
    .wavefront_size: 32
    .workgroup_processor_mode: 1
  - .args:
      - .offset:         0
        .size:           88
        .value_kind:     by_value
    .group_segment_fixed_size: 0
    .kernarg_segment_align: 8
    .kernarg_segment_size: 88
    .language:       OpenCL C
    .language_version:
      - 2
      - 0
    .max_flat_workgroup_size: 1024
    .name:           _ZN7rocprim17ROCPRIM_400000_NS6detail17trampoline_kernelINS0_14default_configENS1_35radix_sort_onesweep_config_selectorIiNS0_10empty_typeEEEZZNS1_29radix_sort_onesweep_iterationIS3_Lb0EN6thrust23THRUST_200600_302600_NS6detail15normal_iteratorINS9_10device_ptrIiEEEESE_PS5_SF_jNS0_19identity_decomposerENS1_16block_id_wrapperIjLb1EEEEE10hipError_tT1_PNSt15iterator_traitsISK_E10value_typeET2_T3_PNSL_ISQ_E10value_typeET4_T5_PSV_SW_PNS1_23onesweep_lookback_stateEbbT6_jjT7_P12ihipStream_tbENKUlT_T0_SK_SP_E_clISE_SE_SF_SF_EEDaS13_S14_SK_SP_EUlS13_E_NS1_11comp_targetILNS1_3genE10ELNS1_11target_archE1201ELNS1_3gpuE5ELNS1_3repE0EEENS1_47radix_sort_onesweep_sort_config_static_selectorELNS0_4arch9wavefront6targetE0EEEvSK_
    .private_segment_fixed_size: 0
    .sgpr_count:     0
    .sgpr_spill_count: 0
    .symbol:         _ZN7rocprim17ROCPRIM_400000_NS6detail17trampoline_kernelINS0_14default_configENS1_35radix_sort_onesweep_config_selectorIiNS0_10empty_typeEEEZZNS1_29radix_sort_onesweep_iterationIS3_Lb0EN6thrust23THRUST_200600_302600_NS6detail15normal_iteratorINS9_10device_ptrIiEEEESE_PS5_SF_jNS0_19identity_decomposerENS1_16block_id_wrapperIjLb1EEEEE10hipError_tT1_PNSt15iterator_traitsISK_E10value_typeET2_T3_PNSL_ISQ_E10value_typeET4_T5_PSV_SW_PNS1_23onesweep_lookback_stateEbbT6_jjT7_P12ihipStream_tbENKUlT_T0_SK_SP_E_clISE_SE_SF_SF_EEDaS13_S14_SK_SP_EUlS13_E_NS1_11comp_targetILNS1_3genE10ELNS1_11target_archE1201ELNS1_3gpuE5ELNS1_3repE0EEENS1_47radix_sort_onesweep_sort_config_static_selectorELNS0_4arch9wavefront6targetE0EEEvSK_.kd
    .uniform_work_group_size: 1
    .uses_dynamic_stack: false
    .vgpr_count:     0
    .vgpr_spill_count: 0
    .wavefront_size: 32
    .workgroup_processor_mode: 1
  - .args:
      - .offset:         0
        .size:           88
        .value_kind:     by_value
    .group_segment_fixed_size: 0
    .kernarg_segment_align: 8
    .kernarg_segment_size: 88
    .language:       OpenCL C
    .language_version:
      - 2
      - 0
    .max_flat_workgroup_size: 1024
    .name:           _ZN7rocprim17ROCPRIM_400000_NS6detail17trampoline_kernelINS0_14default_configENS1_35radix_sort_onesweep_config_selectorIiNS0_10empty_typeEEEZZNS1_29radix_sort_onesweep_iterationIS3_Lb0EN6thrust23THRUST_200600_302600_NS6detail15normal_iteratorINS9_10device_ptrIiEEEESE_PS5_SF_jNS0_19identity_decomposerENS1_16block_id_wrapperIjLb1EEEEE10hipError_tT1_PNSt15iterator_traitsISK_E10value_typeET2_T3_PNSL_ISQ_E10value_typeET4_T5_PSV_SW_PNS1_23onesweep_lookback_stateEbbT6_jjT7_P12ihipStream_tbENKUlT_T0_SK_SP_E_clISE_SE_SF_SF_EEDaS13_S14_SK_SP_EUlS13_E_NS1_11comp_targetILNS1_3genE9ELNS1_11target_archE1100ELNS1_3gpuE3ELNS1_3repE0EEENS1_47radix_sort_onesweep_sort_config_static_selectorELNS0_4arch9wavefront6targetE0EEEvSK_
    .private_segment_fixed_size: 0
    .sgpr_count:     0
    .sgpr_spill_count: 0
    .symbol:         _ZN7rocprim17ROCPRIM_400000_NS6detail17trampoline_kernelINS0_14default_configENS1_35radix_sort_onesweep_config_selectorIiNS0_10empty_typeEEEZZNS1_29radix_sort_onesweep_iterationIS3_Lb0EN6thrust23THRUST_200600_302600_NS6detail15normal_iteratorINS9_10device_ptrIiEEEESE_PS5_SF_jNS0_19identity_decomposerENS1_16block_id_wrapperIjLb1EEEEE10hipError_tT1_PNSt15iterator_traitsISK_E10value_typeET2_T3_PNSL_ISQ_E10value_typeET4_T5_PSV_SW_PNS1_23onesweep_lookback_stateEbbT6_jjT7_P12ihipStream_tbENKUlT_T0_SK_SP_E_clISE_SE_SF_SF_EEDaS13_S14_SK_SP_EUlS13_E_NS1_11comp_targetILNS1_3genE9ELNS1_11target_archE1100ELNS1_3gpuE3ELNS1_3repE0EEENS1_47radix_sort_onesweep_sort_config_static_selectorELNS0_4arch9wavefront6targetE0EEEvSK_.kd
    .uniform_work_group_size: 1
    .uses_dynamic_stack: false
    .vgpr_count:     0
    .vgpr_spill_count: 0
    .wavefront_size: 32
    .workgroup_processor_mode: 1
  - .args:
      - .offset:         0
        .size:           88
        .value_kind:     by_value
      - .offset:         88
        .size:           4
        .value_kind:     hidden_block_count_x
      - .offset:         92
        .size:           4
        .value_kind:     hidden_block_count_y
      - .offset:         96
        .size:           4
        .value_kind:     hidden_block_count_z
      - .offset:         100
        .size:           2
        .value_kind:     hidden_group_size_x
      - .offset:         102
        .size:           2
        .value_kind:     hidden_group_size_y
      - .offset:         104
        .size:           2
        .value_kind:     hidden_group_size_z
      - .offset:         106
        .size:           2
        .value_kind:     hidden_remainder_x
      - .offset:         108
        .size:           2
        .value_kind:     hidden_remainder_y
      - .offset:         110
        .size:           2
        .value_kind:     hidden_remainder_z
      - .offset:         128
        .size:           8
        .value_kind:     hidden_global_offset_x
      - .offset:         136
        .size:           8
        .value_kind:     hidden_global_offset_y
      - .offset:         144
        .size:           8
        .value_kind:     hidden_global_offset_z
      - .offset:         152
        .size:           2
        .value_kind:     hidden_grid_dims
    .group_segment_fixed_size: 37000
    .kernarg_segment_align: 8
    .kernarg_segment_size: 344
    .language:       OpenCL C
    .language_version:
      - 2
      - 0
    .max_flat_workgroup_size: 1024
    .name:           _ZN7rocprim17ROCPRIM_400000_NS6detail17trampoline_kernelINS0_14default_configENS1_35radix_sort_onesweep_config_selectorIiNS0_10empty_typeEEEZZNS1_29radix_sort_onesweep_iterationIS3_Lb0EN6thrust23THRUST_200600_302600_NS6detail15normal_iteratorINS9_10device_ptrIiEEEESE_PS5_SF_jNS0_19identity_decomposerENS1_16block_id_wrapperIjLb1EEEEE10hipError_tT1_PNSt15iterator_traitsISK_E10value_typeET2_T3_PNSL_ISQ_E10value_typeET4_T5_PSV_SW_PNS1_23onesweep_lookback_stateEbbT6_jjT7_P12ihipStream_tbENKUlT_T0_SK_SP_E_clISE_SE_SF_SF_EEDaS13_S14_SK_SP_EUlS13_E_NS1_11comp_targetILNS1_3genE8ELNS1_11target_archE1030ELNS1_3gpuE2ELNS1_3repE0EEENS1_47radix_sort_onesweep_sort_config_static_selectorELNS0_4arch9wavefront6targetE0EEEvSK_
    .private_segment_fixed_size: 0
    .sgpr_count:     29
    .sgpr_spill_count: 0
    .symbol:         _ZN7rocprim17ROCPRIM_400000_NS6detail17trampoline_kernelINS0_14default_configENS1_35radix_sort_onesweep_config_selectorIiNS0_10empty_typeEEEZZNS1_29radix_sort_onesweep_iterationIS3_Lb0EN6thrust23THRUST_200600_302600_NS6detail15normal_iteratorINS9_10device_ptrIiEEEESE_PS5_SF_jNS0_19identity_decomposerENS1_16block_id_wrapperIjLb1EEEEE10hipError_tT1_PNSt15iterator_traitsISK_E10value_typeET2_T3_PNSL_ISQ_E10value_typeET4_T5_PSV_SW_PNS1_23onesweep_lookback_stateEbbT6_jjT7_P12ihipStream_tbENKUlT_T0_SK_SP_E_clISE_SE_SF_SF_EEDaS13_S14_SK_SP_EUlS13_E_NS1_11comp_targetILNS1_3genE8ELNS1_11target_archE1030ELNS1_3gpuE2ELNS1_3repE0EEENS1_47radix_sort_onesweep_sort_config_static_selectorELNS0_4arch9wavefront6targetE0EEEvSK_.kd
    .uniform_work_group_size: 1
    .uses_dynamic_stack: false
    .vgpr_count:     34
    .vgpr_spill_count: 0
    .wavefront_size: 32
    .workgroup_processor_mode: 1
  - .args:
      - .offset:         0
        .size:           88
        .value_kind:     by_value
    .group_segment_fixed_size: 0
    .kernarg_segment_align: 8
    .kernarg_segment_size: 88
    .language:       OpenCL C
    .language_version:
      - 2
      - 0
    .max_flat_workgroup_size: 512
    .name:           _ZN7rocprim17ROCPRIM_400000_NS6detail17trampoline_kernelINS0_14default_configENS1_35radix_sort_onesweep_config_selectorIiNS0_10empty_typeEEEZZNS1_29radix_sort_onesweep_iterationIS3_Lb0EN6thrust23THRUST_200600_302600_NS6detail15normal_iteratorINS9_10device_ptrIiEEEESE_PS5_SF_jNS0_19identity_decomposerENS1_16block_id_wrapperIjLb1EEEEE10hipError_tT1_PNSt15iterator_traitsISK_E10value_typeET2_T3_PNSL_ISQ_E10value_typeET4_T5_PSV_SW_PNS1_23onesweep_lookback_stateEbbT6_jjT7_P12ihipStream_tbENKUlT_T0_SK_SP_E_clISE_PiSF_SF_EEDaS13_S14_SK_SP_EUlS13_E_NS1_11comp_targetILNS1_3genE0ELNS1_11target_archE4294967295ELNS1_3gpuE0ELNS1_3repE0EEENS1_47radix_sort_onesweep_sort_config_static_selectorELNS0_4arch9wavefront6targetE0EEEvSK_
    .private_segment_fixed_size: 0
    .sgpr_count:     0
    .sgpr_spill_count: 0
    .symbol:         _ZN7rocprim17ROCPRIM_400000_NS6detail17trampoline_kernelINS0_14default_configENS1_35radix_sort_onesweep_config_selectorIiNS0_10empty_typeEEEZZNS1_29radix_sort_onesweep_iterationIS3_Lb0EN6thrust23THRUST_200600_302600_NS6detail15normal_iteratorINS9_10device_ptrIiEEEESE_PS5_SF_jNS0_19identity_decomposerENS1_16block_id_wrapperIjLb1EEEEE10hipError_tT1_PNSt15iterator_traitsISK_E10value_typeET2_T3_PNSL_ISQ_E10value_typeET4_T5_PSV_SW_PNS1_23onesweep_lookback_stateEbbT6_jjT7_P12ihipStream_tbENKUlT_T0_SK_SP_E_clISE_PiSF_SF_EEDaS13_S14_SK_SP_EUlS13_E_NS1_11comp_targetILNS1_3genE0ELNS1_11target_archE4294967295ELNS1_3gpuE0ELNS1_3repE0EEENS1_47radix_sort_onesweep_sort_config_static_selectorELNS0_4arch9wavefront6targetE0EEEvSK_.kd
    .uniform_work_group_size: 1
    .uses_dynamic_stack: false
    .vgpr_count:     0
    .vgpr_spill_count: 0
    .wavefront_size: 32
    .workgroup_processor_mode: 1
  - .args:
      - .offset:         0
        .size:           88
        .value_kind:     by_value
    .group_segment_fixed_size: 0
    .kernarg_segment_align: 8
    .kernarg_segment_size: 88
    .language:       OpenCL C
    .language_version:
      - 2
      - 0
    .max_flat_workgroup_size: 1024
    .name:           _ZN7rocprim17ROCPRIM_400000_NS6detail17trampoline_kernelINS0_14default_configENS1_35radix_sort_onesweep_config_selectorIiNS0_10empty_typeEEEZZNS1_29radix_sort_onesweep_iterationIS3_Lb0EN6thrust23THRUST_200600_302600_NS6detail15normal_iteratorINS9_10device_ptrIiEEEESE_PS5_SF_jNS0_19identity_decomposerENS1_16block_id_wrapperIjLb1EEEEE10hipError_tT1_PNSt15iterator_traitsISK_E10value_typeET2_T3_PNSL_ISQ_E10value_typeET4_T5_PSV_SW_PNS1_23onesweep_lookback_stateEbbT6_jjT7_P12ihipStream_tbENKUlT_T0_SK_SP_E_clISE_PiSF_SF_EEDaS13_S14_SK_SP_EUlS13_E_NS1_11comp_targetILNS1_3genE6ELNS1_11target_archE950ELNS1_3gpuE13ELNS1_3repE0EEENS1_47radix_sort_onesweep_sort_config_static_selectorELNS0_4arch9wavefront6targetE0EEEvSK_
    .private_segment_fixed_size: 0
    .sgpr_count:     0
    .sgpr_spill_count: 0
    .symbol:         _ZN7rocprim17ROCPRIM_400000_NS6detail17trampoline_kernelINS0_14default_configENS1_35radix_sort_onesweep_config_selectorIiNS0_10empty_typeEEEZZNS1_29radix_sort_onesweep_iterationIS3_Lb0EN6thrust23THRUST_200600_302600_NS6detail15normal_iteratorINS9_10device_ptrIiEEEESE_PS5_SF_jNS0_19identity_decomposerENS1_16block_id_wrapperIjLb1EEEEE10hipError_tT1_PNSt15iterator_traitsISK_E10value_typeET2_T3_PNSL_ISQ_E10value_typeET4_T5_PSV_SW_PNS1_23onesweep_lookback_stateEbbT6_jjT7_P12ihipStream_tbENKUlT_T0_SK_SP_E_clISE_PiSF_SF_EEDaS13_S14_SK_SP_EUlS13_E_NS1_11comp_targetILNS1_3genE6ELNS1_11target_archE950ELNS1_3gpuE13ELNS1_3repE0EEENS1_47radix_sort_onesweep_sort_config_static_selectorELNS0_4arch9wavefront6targetE0EEEvSK_.kd
    .uniform_work_group_size: 1
    .uses_dynamic_stack: false
    .vgpr_count:     0
    .vgpr_spill_count: 0
    .wavefront_size: 32
    .workgroup_processor_mode: 1
  - .args:
      - .offset:         0
        .size:           88
        .value_kind:     by_value
    .group_segment_fixed_size: 0
    .kernarg_segment_align: 8
    .kernarg_segment_size: 88
    .language:       OpenCL C
    .language_version:
      - 2
      - 0
    .max_flat_workgroup_size: 1024
    .name:           _ZN7rocprim17ROCPRIM_400000_NS6detail17trampoline_kernelINS0_14default_configENS1_35radix_sort_onesweep_config_selectorIiNS0_10empty_typeEEEZZNS1_29radix_sort_onesweep_iterationIS3_Lb0EN6thrust23THRUST_200600_302600_NS6detail15normal_iteratorINS9_10device_ptrIiEEEESE_PS5_SF_jNS0_19identity_decomposerENS1_16block_id_wrapperIjLb1EEEEE10hipError_tT1_PNSt15iterator_traitsISK_E10value_typeET2_T3_PNSL_ISQ_E10value_typeET4_T5_PSV_SW_PNS1_23onesweep_lookback_stateEbbT6_jjT7_P12ihipStream_tbENKUlT_T0_SK_SP_E_clISE_PiSF_SF_EEDaS13_S14_SK_SP_EUlS13_E_NS1_11comp_targetILNS1_3genE5ELNS1_11target_archE942ELNS1_3gpuE9ELNS1_3repE0EEENS1_47radix_sort_onesweep_sort_config_static_selectorELNS0_4arch9wavefront6targetE0EEEvSK_
    .private_segment_fixed_size: 0
    .sgpr_count:     0
    .sgpr_spill_count: 0
    .symbol:         _ZN7rocprim17ROCPRIM_400000_NS6detail17trampoline_kernelINS0_14default_configENS1_35radix_sort_onesweep_config_selectorIiNS0_10empty_typeEEEZZNS1_29radix_sort_onesweep_iterationIS3_Lb0EN6thrust23THRUST_200600_302600_NS6detail15normal_iteratorINS9_10device_ptrIiEEEESE_PS5_SF_jNS0_19identity_decomposerENS1_16block_id_wrapperIjLb1EEEEE10hipError_tT1_PNSt15iterator_traitsISK_E10value_typeET2_T3_PNSL_ISQ_E10value_typeET4_T5_PSV_SW_PNS1_23onesweep_lookback_stateEbbT6_jjT7_P12ihipStream_tbENKUlT_T0_SK_SP_E_clISE_PiSF_SF_EEDaS13_S14_SK_SP_EUlS13_E_NS1_11comp_targetILNS1_3genE5ELNS1_11target_archE942ELNS1_3gpuE9ELNS1_3repE0EEENS1_47radix_sort_onesweep_sort_config_static_selectorELNS0_4arch9wavefront6targetE0EEEvSK_.kd
    .uniform_work_group_size: 1
    .uses_dynamic_stack: false
    .vgpr_count:     0
    .vgpr_spill_count: 0
    .wavefront_size: 32
    .workgroup_processor_mode: 1
  - .args:
      - .offset:         0
        .size:           88
        .value_kind:     by_value
    .group_segment_fixed_size: 0
    .kernarg_segment_align: 8
    .kernarg_segment_size: 88
    .language:       OpenCL C
    .language_version:
      - 2
      - 0
    .max_flat_workgroup_size: 1024
    .name:           _ZN7rocprim17ROCPRIM_400000_NS6detail17trampoline_kernelINS0_14default_configENS1_35radix_sort_onesweep_config_selectorIiNS0_10empty_typeEEEZZNS1_29radix_sort_onesweep_iterationIS3_Lb0EN6thrust23THRUST_200600_302600_NS6detail15normal_iteratorINS9_10device_ptrIiEEEESE_PS5_SF_jNS0_19identity_decomposerENS1_16block_id_wrapperIjLb1EEEEE10hipError_tT1_PNSt15iterator_traitsISK_E10value_typeET2_T3_PNSL_ISQ_E10value_typeET4_T5_PSV_SW_PNS1_23onesweep_lookback_stateEbbT6_jjT7_P12ihipStream_tbENKUlT_T0_SK_SP_E_clISE_PiSF_SF_EEDaS13_S14_SK_SP_EUlS13_E_NS1_11comp_targetILNS1_3genE2ELNS1_11target_archE906ELNS1_3gpuE6ELNS1_3repE0EEENS1_47radix_sort_onesweep_sort_config_static_selectorELNS0_4arch9wavefront6targetE0EEEvSK_
    .private_segment_fixed_size: 0
    .sgpr_count:     0
    .sgpr_spill_count: 0
    .symbol:         _ZN7rocprim17ROCPRIM_400000_NS6detail17trampoline_kernelINS0_14default_configENS1_35radix_sort_onesweep_config_selectorIiNS0_10empty_typeEEEZZNS1_29radix_sort_onesweep_iterationIS3_Lb0EN6thrust23THRUST_200600_302600_NS6detail15normal_iteratorINS9_10device_ptrIiEEEESE_PS5_SF_jNS0_19identity_decomposerENS1_16block_id_wrapperIjLb1EEEEE10hipError_tT1_PNSt15iterator_traitsISK_E10value_typeET2_T3_PNSL_ISQ_E10value_typeET4_T5_PSV_SW_PNS1_23onesweep_lookback_stateEbbT6_jjT7_P12ihipStream_tbENKUlT_T0_SK_SP_E_clISE_PiSF_SF_EEDaS13_S14_SK_SP_EUlS13_E_NS1_11comp_targetILNS1_3genE2ELNS1_11target_archE906ELNS1_3gpuE6ELNS1_3repE0EEENS1_47radix_sort_onesweep_sort_config_static_selectorELNS0_4arch9wavefront6targetE0EEEvSK_.kd
    .uniform_work_group_size: 1
    .uses_dynamic_stack: false
    .vgpr_count:     0
    .vgpr_spill_count: 0
    .wavefront_size: 32
    .workgroup_processor_mode: 1
  - .args:
      - .offset:         0
        .size:           88
        .value_kind:     by_value
    .group_segment_fixed_size: 0
    .kernarg_segment_align: 8
    .kernarg_segment_size: 88
    .language:       OpenCL C
    .language_version:
      - 2
      - 0
    .max_flat_workgroup_size: 1024
    .name:           _ZN7rocprim17ROCPRIM_400000_NS6detail17trampoline_kernelINS0_14default_configENS1_35radix_sort_onesweep_config_selectorIiNS0_10empty_typeEEEZZNS1_29radix_sort_onesweep_iterationIS3_Lb0EN6thrust23THRUST_200600_302600_NS6detail15normal_iteratorINS9_10device_ptrIiEEEESE_PS5_SF_jNS0_19identity_decomposerENS1_16block_id_wrapperIjLb1EEEEE10hipError_tT1_PNSt15iterator_traitsISK_E10value_typeET2_T3_PNSL_ISQ_E10value_typeET4_T5_PSV_SW_PNS1_23onesweep_lookback_stateEbbT6_jjT7_P12ihipStream_tbENKUlT_T0_SK_SP_E_clISE_PiSF_SF_EEDaS13_S14_SK_SP_EUlS13_E_NS1_11comp_targetILNS1_3genE4ELNS1_11target_archE910ELNS1_3gpuE8ELNS1_3repE0EEENS1_47radix_sort_onesweep_sort_config_static_selectorELNS0_4arch9wavefront6targetE0EEEvSK_
    .private_segment_fixed_size: 0
    .sgpr_count:     0
    .sgpr_spill_count: 0
    .symbol:         _ZN7rocprim17ROCPRIM_400000_NS6detail17trampoline_kernelINS0_14default_configENS1_35radix_sort_onesweep_config_selectorIiNS0_10empty_typeEEEZZNS1_29radix_sort_onesweep_iterationIS3_Lb0EN6thrust23THRUST_200600_302600_NS6detail15normal_iteratorINS9_10device_ptrIiEEEESE_PS5_SF_jNS0_19identity_decomposerENS1_16block_id_wrapperIjLb1EEEEE10hipError_tT1_PNSt15iterator_traitsISK_E10value_typeET2_T3_PNSL_ISQ_E10value_typeET4_T5_PSV_SW_PNS1_23onesweep_lookback_stateEbbT6_jjT7_P12ihipStream_tbENKUlT_T0_SK_SP_E_clISE_PiSF_SF_EEDaS13_S14_SK_SP_EUlS13_E_NS1_11comp_targetILNS1_3genE4ELNS1_11target_archE910ELNS1_3gpuE8ELNS1_3repE0EEENS1_47radix_sort_onesweep_sort_config_static_selectorELNS0_4arch9wavefront6targetE0EEEvSK_.kd
    .uniform_work_group_size: 1
    .uses_dynamic_stack: false
    .vgpr_count:     0
    .vgpr_spill_count: 0
    .wavefront_size: 32
    .workgroup_processor_mode: 1
  - .args:
      - .offset:         0
        .size:           88
        .value_kind:     by_value
    .group_segment_fixed_size: 0
    .kernarg_segment_align: 8
    .kernarg_segment_size: 88
    .language:       OpenCL C
    .language_version:
      - 2
      - 0
    .max_flat_workgroup_size: 512
    .name:           _ZN7rocprim17ROCPRIM_400000_NS6detail17trampoline_kernelINS0_14default_configENS1_35radix_sort_onesweep_config_selectorIiNS0_10empty_typeEEEZZNS1_29radix_sort_onesweep_iterationIS3_Lb0EN6thrust23THRUST_200600_302600_NS6detail15normal_iteratorINS9_10device_ptrIiEEEESE_PS5_SF_jNS0_19identity_decomposerENS1_16block_id_wrapperIjLb1EEEEE10hipError_tT1_PNSt15iterator_traitsISK_E10value_typeET2_T3_PNSL_ISQ_E10value_typeET4_T5_PSV_SW_PNS1_23onesweep_lookback_stateEbbT6_jjT7_P12ihipStream_tbENKUlT_T0_SK_SP_E_clISE_PiSF_SF_EEDaS13_S14_SK_SP_EUlS13_E_NS1_11comp_targetILNS1_3genE3ELNS1_11target_archE908ELNS1_3gpuE7ELNS1_3repE0EEENS1_47radix_sort_onesweep_sort_config_static_selectorELNS0_4arch9wavefront6targetE0EEEvSK_
    .private_segment_fixed_size: 0
    .sgpr_count:     0
    .sgpr_spill_count: 0
    .symbol:         _ZN7rocprim17ROCPRIM_400000_NS6detail17trampoline_kernelINS0_14default_configENS1_35radix_sort_onesweep_config_selectorIiNS0_10empty_typeEEEZZNS1_29radix_sort_onesweep_iterationIS3_Lb0EN6thrust23THRUST_200600_302600_NS6detail15normal_iteratorINS9_10device_ptrIiEEEESE_PS5_SF_jNS0_19identity_decomposerENS1_16block_id_wrapperIjLb1EEEEE10hipError_tT1_PNSt15iterator_traitsISK_E10value_typeET2_T3_PNSL_ISQ_E10value_typeET4_T5_PSV_SW_PNS1_23onesweep_lookback_stateEbbT6_jjT7_P12ihipStream_tbENKUlT_T0_SK_SP_E_clISE_PiSF_SF_EEDaS13_S14_SK_SP_EUlS13_E_NS1_11comp_targetILNS1_3genE3ELNS1_11target_archE908ELNS1_3gpuE7ELNS1_3repE0EEENS1_47radix_sort_onesweep_sort_config_static_selectorELNS0_4arch9wavefront6targetE0EEEvSK_.kd
    .uniform_work_group_size: 1
    .uses_dynamic_stack: false
    .vgpr_count:     0
    .vgpr_spill_count: 0
    .wavefront_size: 32
    .workgroup_processor_mode: 1
  - .args:
      - .offset:         0
        .size:           88
        .value_kind:     by_value
    .group_segment_fixed_size: 0
    .kernarg_segment_align: 8
    .kernarg_segment_size: 88
    .language:       OpenCL C
    .language_version:
      - 2
      - 0
    .max_flat_workgroup_size: 1024
    .name:           _ZN7rocprim17ROCPRIM_400000_NS6detail17trampoline_kernelINS0_14default_configENS1_35radix_sort_onesweep_config_selectorIiNS0_10empty_typeEEEZZNS1_29radix_sort_onesweep_iterationIS3_Lb0EN6thrust23THRUST_200600_302600_NS6detail15normal_iteratorINS9_10device_ptrIiEEEESE_PS5_SF_jNS0_19identity_decomposerENS1_16block_id_wrapperIjLb1EEEEE10hipError_tT1_PNSt15iterator_traitsISK_E10value_typeET2_T3_PNSL_ISQ_E10value_typeET4_T5_PSV_SW_PNS1_23onesweep_lookback_stateEbbT6_jjT7_P12ihipStream_tbENKUlT_T0_SK_SP_E_clISE_PiSF_SF_EEDaS13_S14_SK_SP_EUlS13_E_NS1_11comp_targetILNS1_3genE10ELNS1_11target_archE1201ELNS1_3gpuE5ELNS1_3repE0EEENS1_47radix_sort_onesweep_sort_config_static_selectorELNS0_4arch9wavefront6targetE0EEEvSK_
    .private_segment_fixed_size: 0
    .sgpr_count:     0
    .sgpr_spill_count: 0
    .symbol:         _ZN7rocprim17ROCPRIM_400000_NS6detail17trampoline_kernelINS0_14default_configENS1_35radix_sort_onesweep_config_selectorIiNS0_10empty_typeEEEZZNS1_29radix_sort_onesweep_iterationIS3_Lb0EN6thrust23THRUST_200600_302600_NS6detail15normal_iteratorINS9_10device_ptrIiEEEESE_PS5_SF_jNS0_19identity_decomposerENS1_16block_id_wrapperIjLb1EEEEE10hipError_tT1_PNSt15iterator_traitsISK_E10value_typeET2_T3_PNSL_ISQ_E10value_typeET4_T5_PSV_SW_PNS1_23onesweep_lookback_stateEbbT6_jjT7_P12ihipStream_tbENKUlT_T0_SK_SP_E_clISE_PiSF_SF_EEDaS13_S14_SK_SP_EUlS13_E_NS1_11comp_targetILNS1_3genE10ELNS1_11target_archE1201ELNS1_3gpuE5ELNS1_3repE0EEENS1_47radix_sort_onesweep_sort_config_static_selectorELNS0_4arch9wavefront6targetE0EEEvSK_.kd
    .uniform_work_group_size: 1
    .uses_dynamic_stack: false
    .vgpr_count:     0
    .vgpr_spill_count: 0
    .wavefront_size: 32
    .workgroup_processor_mode: 1
  - .args:
      - .offset:         0
        .size:           88
        .value_kind:     by_value
    .group_segment_fixed_size: 0
    .kernarg_segment_align: 8
    .kernarg_segment_size: 88
    .language:       OpenCL C
    .language_version:
      - 2
      - 0
    .max_flat_workgroup_size: 1024
    .name:           _ZN7rocprim17ROCPRIM_400000_NS6detail17trampoline_kernelINS0_14default_configENS1_35radix_sort_onesweep_config_selectorIiNS0_10empty_typeEEEZZNS1_29radix_sort_onesweep_iterationIS3_Lb0EN6thrust23THRUST_200600_302600_NS6detail15normal_iteratorINS9_10device_ptrIiEEEESE_PS5_SF_jNS0_19identity_decomposerENS1_16block_id_wrapperIjLb1EEEEE10hipError_tT1_PNSt15iterator_traitsISK_E10value_typeET2_T3_PNSL_ISQ_E10value_typeET4_T5_PSV_SW_PNS1_23onesweep_lookback_stateEbbT6_jjT7_P12ihipStream_tbENKUlT_T0_SK_SP_E_clISE_PiSF_SF_EEDaS13_S14_SK_SP_EUlS13_E_NS1_11comp_targetILNS1_3genE9ELNS1_11target_archE1100ELNS1_3gpuE3ELNS1_3repE0EEENS1_47radix_sort_onesweep_sort_config_static_selectorELNS0_4arch9wavefront6targetE0EEEvSK_
    .private_segment_fixed_size: 0
    .sgpr_count:     0
    .sgpr_spill_count: 0
    .symbol:         _ZN7rocprim17ROCPRIM_400000_NS6detail17trampoline_kernelINS0_14default_configENS1_35radix_sort_onesweep_config_selectorIiNS0_10empty_typeEEEZZNS1_29radix_sort_onesweep_iterationIS3_Lb0EN6thrust23THRUST_200600_302600_NS6detail15normal_iteratorINS9_10device_ptrIiEEEESE_PS5_SF_jNS0_19identity_decomposerENS1_16block_id_wrapperIjLb1EEEEE10hipError_tT1_PNSt15iterator_traitsISK_E10value_typeET2_T3_PNSL_ISQ_E10value_typeET4_T5_PSV_SW_PNS1_23onesweep_lookback_stateEbbT6_jjT7_P12ihipStream_tbENKUlT_T0_SK_SP_E_clISE_PiSF_SF_EEDaS13_S14_SK_SP_EUlS13_E_NS1_11comp_targetILNS1_3genE9ELNS1_11target_archE1100ELNS1_3gpuE3ELNS1_3repE0EEENS1_47radix_sort_onesweep_sort_config_static_selectorELNS0_4arch9wavefront6targetE0EEEvSK_.kd
    .uniform_work_group_size: 1
    .uses_dynamic_stack: false
    .vgpr_count:     0
    .vgpr_spill_count: 0
    .wavefront_size: 32
    .workgroup_processor_mode: 1
  - .args:
      - .offset:         0
        .size:           88
        .value_kind:     by_value
      - .offset:         88
        .size:           4
        .value_kind:     hidden_block_count_x
      - .offset:         92
        .size:           4
        .value_kind:     hidden_block_count_y
      - .offset:         96
        .size:           4
        .value_kind:     hidden_block_count_z
      - .offset:         100
        .size:           2
        .value_kind:     hidden_group_size_x
      - .offset:         102
        .size:           2
        .value_kind:     hidden_group_size_y
      - .offset:         104
        .size:           2
        .value_kind:     hidden_group_size_z
      - .offset:         106
        .size:           2
        .value_kind:     hidden_remainder_x
      - .offset:         108
        .size:           2
        .value_kind:     hidden_remainder_y
      - .offset:         110
        .size:           2
        .value_kind:     hidden_remainder_z
      - .offset:         128
        .size:           8
        .value_kind:     hidden_global_offset_x
      - .offset:         136
        .size:           8
        .value_kind:     hidden_global_offset_y
      - .offset:         144
        .size:           8
        .value_kind:     hidden_global_offset_z
      - .offset:         152
        .size:           2
        .value_kind:     hidden_grid_dims
    .group_segment_fixed_size: 37000
    .kernarg_segment_align: 8
    .kernarg_segment_size: 344
    .language:       OpenCL C
    .language_version:
      - 2
      - 0
    .max_flat_workgroup_size: 1024
    .name:           _ZN7rocprim17ROCPRIM_400000_NS6detail17trampoline_kernelINS0_14default_configENS1_35radix_sort_onesweep_config_selectorIiNS0_10empty_typeEEEZZNS1_29radix_sort_onesweep_iterationIS3_Lb0EN6thrust23THRUST_200600_302600_NS6detail15normal_iteratorINS9_10device_ptrIiEEEESE_PS5_SF_jNS0_19identity_decomposerENS1_16block_id_wrapperIjLb1EEEEE10hipError_tT1_PNSt15iterator_traitsISK_E10value_typeET2_T3_PNSL_ISQ_E10value_typeET4_T5_PSV_SW_PNS1_23onesweep_lookback_stateEbbT6_jjT7_P12ihipStream_tbENKUlT_T0_SK_SP_E_clISE_PiSF_SF_EEDaS13_S14_SK_SP_EUlS13_E_NS1_11comp_targetILNS1_3genE8ELNS1_11target_archE1030ELNS1_3gpuE2ELNS1_3repE0EEENS1_47radix_sort_onesweep_sort_config_static_selectorELNS0_4arch9wavefront6targetE0EEEvSK_
    .private_segment_fixed_size: 0
    .sgpr_count:     29
    .sgpr_spill_count: 0
    .symbol:         _ZN7rocprim17ROCPRIM_400000_NS6detail17trampoline_kernelINS0_14default_configENS1_35radix_sort_onesweep_config_selectorIiNS0_10empty_typeEEEZZNS1_29radix_sort_onesweep_iterationIS3_Lb0EN6thrust23THRUST_200600_302600_NS6detail15normal_iteratorINS9_10device_ptrIiEEEESE_PS5_SF_jNS0_19identity_decomposerENS1_16block_id_wrapperIjLb1EEEEE10hipError_tT1_PNSt15iterator_traitsISK_E10value_typeET2_T3_PNSL_ISQ_E10value_typeET4_T5_PSV_SW_PNS1_23onesweep_lookback_stateEbbT6_jjT7_P12ihipStream_tbENKUlT_T0_SK_SP_E_clISE_PiSF_SF_EEDaS13_S14_SK_SP_EUlS13_E_NS1_11comp_targetILNS1_3genE8ELNS1_11target_archE1030ELNS1_3gpuE2ELNS1_3repE0EEENS1_47radix_sort_onesweep_sort_config_static_selectorELNS0_4arch9wavefront6targetE0EEEvSK_.kd
    .uniform_work_group_size: 1
    .uses_dynamic_stack: false
    .vgpr_count:     34
    .vgpr_spill_count: 0
    .wavefront_size: 32
    .workgroup_processor_mode: 1
  - .args:
      - .offset:         0
        .size:           88
        .value_kind:     by_value
    .group_segment_fixed_size: 0
    .kernarg_segment_align: 8
    .kernarg_segment_size: 88
    .language:       OpenCL C
    .language_version:
      - 2
      - 0
    .max_flat_workgroup_size: 512
    .name:           _ZN7rocprim17ROCPRIM_400000_NS6detail17trampoline_kernelINS0_14default_configENS1_35radix_sort_onesweep_config_selectorIiNS0_10empty_typeEEEZZNS1_29radix_sort_onesweep_iterationIS3_Lb0EN6thrust23THRUST_200600_302600_NS6detail15normal_iteratorINS9_10device_ptrIiEEEESE_PS5_SF_jNS0_19identity_decomposerENS1_16block_id_wrapperIjLb1EEEEE10hipError_tT1_PNSt15iterator_traitsISK_E10value_typeET2_T3_PNSL_ISQ_E10value_typeET4_T5_PSV_SW_PNS1_23onesweep_lookback_stateEbbT6_jjT7_P12ihipStream_tbENKUlT_T0_SK_SP_E_clIPiSE_SF_SF_EEDaS13_S14_SK_SP_EUlS13_E_NS1_11comp_targetILNS1_3genE0ELNS1_11target_archE4294967295ELNS1_3gpuE0ELNS1_3repE0EEENS1_47radix_sort_onesweep_sort_config_static_selectorELNS0_4arch9wavefront6targetE0EEEvSK_
    .private_segment_fixed_size: 0
    .sgpr_count:     0
    .sgpr_spill_count: 0
    .symbol:         _ZN7rocprim17ROCPRIM_400000_NS6detail17trampoline_kernelINS0_14default_configENS1_35radix_sort_onesweep_config_selectorIiNS0_10empty_typeEEEZZNS1_29radix_sort_onesweep_iterationIS3_Lb0EN6thrust23THRUST_200600_302600_NS6detail15normal_iteratorINS9_10device_ptrIiEEEESE_PS5_SF_jNS0_19identity_decomposerENS1_16block_id_wrapperIjLb1EEEEE10hipError_tT1_PNSt15iterator_traitsISK_E10value_typeET2_T3_PNSL_ISQ_E10value_typeET4_T5_PSV_SW_PNS1_23onesweep_lookback_stateEbbT6_jjT7_P12ihipStream_tbENKUlT_T0_SK_SP_E_clIPiSE_SF_SF_EEDaS13_S14_SK_SP_EUlS13_E_NS1_11comp_targetILNS1_3genE0ELNS1_11target_archE4294967295ELNS1_3gpuE0ELNS1_3repE0EEENS1_47radix_sort_onesweep_sort_config_static_selectorELNS0_4arch9wavefront6targetE0EEEvSK_.kd
    .uniform_work_group_size: 1
    .uses_dynamic_stack: false
    .vgpr_count:     0
    .vgpr_spill_count: 0
    .wavefront_size: 32
    .workgroup_processor_mode: 1
  - .args:
      - .offset:         0
        .size:           88
        .value_kind:     by_value
    .group_segment_fixed_size: 0
    .kernarg_segment_align: 8
    .kernarg_segment_size: 88
    .language:       OpenCL C
    .language_version:
      - 2
      - 0
    .max_flat_workgroup_size: 1024
    .name:           _ZN7rocprim17ROCPRIM_400000_NS6detail17trampoline_kernelINS0_14default_configENS1_35radix_sort_onesweep_config_selectorIiNS0_10empty_typeEEEZZNS1_29radix_sort_onesweep_iterationIS3_Lb0EN6thrust23THRUST_200600_302600_NS6detail15normal_iteratorINS9_10device_ptrIiEEEESE_PS5_SF_jNS0_19identity_decomposerENS1_16block_id_wrapperIjLb1EEEEE10hipError_tT1_PNSt15iterator_traitsISK_E10value_typeET2_T3_PNSL_ISQ_E10value_typeET4_T5_PSV_SW_PNS1_23onesweep_lookback_stateEbbT6_jjT7_P12ihipStream_tbENKUlT_T0_SK_SP_E_clIPiSE_SF_SF_EEDaS13_S14_SK_SP_EUlS13_E_NS1_11comp_targetILNS1_3genE6ELNS1_11target_archE950ELNS1_3gpuE13ELNS1_3repE0EEENS1_47radix_sort_onesweep_sort_config_static_selectorELNS0_4arch9wavefront6targetE0EEEvSK_
    .private_segment_fixed_size: 0
    .sgpr_count:     0
    .sgpr_spill_count: 0
    .symbol:         _ZN7rocprim17ROCPRIM_400000_NS6detail17trampoline_kernelINS0_14default_configENS1_35radix_sort_onesweep_config_selectorIiNS0_10empty_typeEEEZZNS1_29radix_sort_onesweep_iterationIS3_Lb0EN6thrust23THRUST_200600_302600_NS6detail15normal_iteratorINS9_10device_ptrIiEEEESE_PS5_SF_jNS0_19identity_decomposerENS1_16block_id_wrapperIjLb1EEEEE10hipError_tT1_PNSt15iterator_traitsISK_E10value_typeET2_T3_PNSL_ISQ_E10value_typeET4_T5_PSV_SW_PNS1_23onesweep_lookback_stateEbbT6_jjT7_P12ihipStream_tbENKUlT_T0_SK_SP_E_clIPiSE_SF_SF_EEDaS13_S14_SK_SP_EUlS13_E_NS1_11comp_targetILNS1_3genE6ELNS1_11target_archE950ELNS1_3gpuE13ELNS1_3repE0EEENS1_47radix_sort_onesweep_sort_config_static_selectorELNS0_4arch9wavefront6targetE0EEEvSK_.kd
    .uniform_work_group_size: 1
    .uses_dynamic_stack: false
    .vgpr_count:     0
    .vgpr_spill_count: 0
    .wavefront_size: 32
    .workgroup_processor_mode: 1
  - .args:
      - .offset:         0
        .size:           88
        .value_kind:     by_value
    .group_segment_fixed_size: 0
    .kernarg_segment_align: 8
    .kernarg_segment_size: 88
    .language:       OpenCL C
    .language_version:
      - 2
      - 0
    .max_flat_workgroup_size: 1024
    .name:           _ZN7rocprim17ROCPRIM_400000_NS6detail17trampoline_kernelINS0_14default_configENS1_35radix_sort_onesweep_config_selectorIiNS0_10empty_typeEEEZZNS1_29radix_sort_onesweep_iterationIS3_Lb0EN6thrust23THRUST_200600_302600_NS6detail15normal_iteratorINS9_10device_ptrIiEEEESE_PS5_SF_jNS0_19identity_decomposerENS1_16block_id_wrapperIjLb1EEEEE10hipError_tT1_PNSt15iterator_traitsISK_E10value_typeET2_T3_PNSL_ISQ_E10value_typeET4_T5_PSV_SW_PNS1_23onesweep_lookback_stateEbbT6_jjT7_P12ihipStream_tbENKUlT_T0_SK_SP_E_clIPiSE_SF_SF_EEDaS13_S14_SK_SP_EUlS13_E_NS1_11comp_targetILNS1_3genE5ELNS1_11target_archE942ELNS1_3gpuE9ELNS1_3repE0EEENS1_47radix_sort_onesweep_sort_config_static_selectorELNS0_4arch9wavefront6targetE0EEEvSK_
    .private_segment_fixed_size: 0
    .sgpr_count:     0
    .sgpr_spill_count: 0
    .symbol:         _ZN7rocprim17ROCPRIM_400000_NS6detail17trampoline_kernelINS0_14default_configENS1_35radix_sort_onesweep_config_selectorIiNS0_10empty_typeEEEZZNS1_29radix_sort_onesweep_iterationIS3_Lb0EN6thrust23THRUST_200600_302600_NS6detail15normal_iteratorINS9_10device_ptrIiEEEESE_PS5_SF_jNS0_19identity_decomposerENS1_16block_id_wrapperIjLb1EEEEE10hipError_tT1_PNSt15iterator_traitsISK_E10value_typeET2_T3_PNSL_ISQ_E10value_typeET4_T5_PSV_SW_PNS1_23onesweep_lookback_stateEbbT6_jjT7_P12ihipStream_tbENKUlT_T0_SK_SP_E_clIPiSE_SF_SF_EEDaS13_S14_SK_SP_EUlS13_E_NS1_11comp_targetILNS1_3genE5ELNS1_11target_archE942ELNS1_3gpuE9ELNS1_3repE0EEENS1_47radix_sort_onesweep_sort_config_static_selectorELNS0_4arch9wavefront6targetE0EEEvSK_.kd
    .uniform_work_group_size: 1
    .uses_dynamic_stack: false
    .vgpr_count:     0
    .vgpr_spill_count: 0
    .wavefront_size: 32
    .workgroup_processor_mode: 1
  - .args:
      - .offset:         0
        .size:           88
        .value_kind:     by_value
    .group_segment_fixed_size: 0
    .kernarg_segment_align: 8
    .kernarg_segment_size: 88
    .language:       OpenCL C
    .language_version:
      - 2
      - 0
    .max_flat_workgroup_size: 1024
    .name:           _ZN7rocprim17ROCPRIM_400000_NS6detail17trampoline_kernelINS0_14default_configENS1_35radix_sort_onesweep_config_selectorIiNS0_10empty_typeEEEZZNS1_29radix_sort_onesweep_iterationIS3_Lb0EN6thrust23THRUST_200600_302600_NS6detail15normal_iteratorINS9_10device_ptrIiEEEESE_PS5_SF_jNS0_19identity_decomposerENS1_16block_id_wrapperIjLb1EEEEE10hipError_tT1_PNSt15iterator_traitsISK_E10value_typeET2_T3_PNSL_ISQ_E10value_typeET4_T5_PSV_SW_PNS1_23onesweep_lookback_stateEbbT6_jjT7_P12ihipStream_tbENKUlT_T0_SK_SP_E_clIPiSE_SF_SF_EEDaS13_S14_SK_SP_EUlS13_E_NS1_11comp_targetILNS1_3genE2ELNS1_11target_archE906ELNS1_3gpuE6ELNS1_3repE0EEENS1_47radix_sort_onesweep_sort_config_static_selectorELNS0_4arch9wavefront6targetE0EEEvSK_
    .private_segment_fixed_size: 0
    .sgpr_count:     0
    .sgpr_spill_count: 0
    .symbol:         _ZN7rocprim17ROCPRIM_400000_NS6detail17trampoline_kernelINS0_14default_configENS1_35radix_sort_onesweep_config_selectorIiNS0_10empty_typeEEEZZNS1_29radix_sort_onesweep_iterationIS3_Lb0EN6thrust23THRUST_200600_302600_NS6detail15normal_iteratorINS9_10device_ptrIiEEEESE_PS5_SF_jNS0_19identity_decomposerENS1_16block_id_wrapperIjLb1EEEEE10hipError_tT1_PNSt15iterator_traitsISK_E10value_typeET2_T3_PNSL_ISQ_E10value_typeET4_T5_PSV_SW_PNS1_23onesweep_lookback_stateEbbT6_jjT7_P12ihipStream_tbENKUlT_T0_SK_SP_E_clIPiSE_SF_SF_EEDaS13_S14_SK_SP_EUlS13_E_NS1_11comp_targetILNS1_3genE2ELNS1_11target_archE906ELNS1_3gpuE6ELNS1_3repE0EEENS1_47radix_sort_onesweep_sort_config_static_selectorELNS0_4arch9wavefront6targetE0EEEvSK_.kd
    .uniform_work_group_size: 1
    .uses_dynamic_stack: false
    .vgpr_count:     0
    .vgpr_spill_count: 0
    .wavefront_size: 32
    .workgroup_processor_mode: 1
  - .args:
      - .offset:         0
        .size:           88
        .value_kind:     by_value
    .group_segment_fixed_size: 0
    .kernarg_segment_align: 8
    .kernarg_segment_size: 88
    .language:       OpenCL C
    .language_version:
      - 2
      - 0
    .max_flat_workgroup_size: 1024
    .name:           _ZN7rocprim17ROCPRIM_400000_NS6detail17trampoline_kernelINS0_14default_configENS1_35radix_sort_onesweep_config_selectorIiNS0_10empty_typeEEEZZNS1_29radix_sort_onesweep_iterationIS3_Lb0EN6thrust23THRUST_200600_302600_NS6detail15normal_iteratorINS9_10device_ptrIiEEEESE_PS5_SF_jNS0_19identity_decomposerENS1_16block_id_wrapperIjLb1EEEEE10hipError_tT1_PNSt15iterator_traitsISK_E10value_typeET2_T3_PNSL_ISQ_E10value_typeET4_T5_PSV_SW_PNS1_23onesweep_lookback_stateEbbT6_jjT7_P12ihipStream_tbENKUlT_T0_SK_SP_E_clIPiSE_SF_SF_EEDaS13_S14_SK_SP_EUlS13_E_NS1_11comp_targetILNS1_3genE4ELNS1_11target_archE910ELNS1_3gpuE8ELNS1_3repE0EEENS1_47radix_sort_onesweep_sort_config_static_selectorELNS0_4arch9wavefront6targetE0EEEvSK_
    .private_segment_fixed_size: 0
    .sgpr_count:     0
    .sgpr_spill_count: 0
    .symbol:         _ZN7rocprim17ROCPRIM_400000_NS6detail17trampoline_kernelINS0_14default_configENS1_35radix_sort_onesweep_config_selectorIiNS0_10empty_typeEEEZZNS1_29radix_sort_onesweep_iterationIS3_Lb0EN6thrust23THRUST_200600_302600_NS6detail15normal_iteratorINS9_10device_ptrIiEEEESE_PS5_SF_jNS0_19identity_decomposerENS1_16block_id_wrapperIjLb1EEEEE10hipError_tT1_PNSt15iterator_traitsISK_E10value_typeET2_T3_PNSL_ISQ_E10value_typeET4_T5_PSV_SW_PNS1_23onesweep_lookback_stateEbbT6_jjT7_P12ihipStream_tbENKUlT_T0_SK_SP_E_clIPiSE_SF_SF_EEDaS13_S14_SK_SP_EUlS13_E_NS1_11comp_targetILNS1_3genE4ELNS1_11target_archE910ELNS1_3gpuE8ELNS1_3repE0EEENS1_47radix_sort_onesweep_sort_config_static_selectorELNS0_4arch9wavefront6targetE0EEEvSK_.kd
    .uniform_work_group_size: 1
    .uses_dynamic_stack: false
    .vgpr_count:     0
    .vgpr_spill_count: 0
    .wavefront_size: 32
    .workgroup_processor_mode: 1
  - .args:
      - .offset:         0
        .size:           88
        .value_kind:     by_value
    .group_segment_fixed_size: 0
    .kernarg_segment_align: 8
    .kernarg_segment_size: 88
    .language:       OpenCL C
    .language_version:
      - 2
      - 0
    .max_flat_workgroup_size: 512
    .name:           _ZN7rocprim17ROCPRIM_400000_NS6detail17trampoline_kernelINS0_14default_configENS1_35radix_sort_onesweep_config_selectorIiNS0_10empty_typeEEEZZNS1_29radix_sort_onesweep_iterationIS3_Lb0EN6thrust23THRUST_200600_302600_NS6detail15normal_iteratorINS9_10device_ptrIiEEEESE_PS5_SF_jNS0_19identity_decomposerENS1_16block_id_wrapperIjLb1EEEEE10hipError_tT1_PNSt15iterator_traitsISK_E10value_typeET2_T3_PNSL_ISQ_E10value_typeET4_T5_PSV_SW_PNS1_23onesweep_lookback_stateEbbT6_jjT7_P12ihipStream_tbENKUlT_T0_SK_SP_E_clIPiSE_SF_SF_EEDaS13_S14_SK_SP_EUlS13_E_NS1_11comp_targetILNS1_3genE3ELNS1_11target_archE908ELNS1_3gpuE7ELNS1_3repE0EEENS1_47radix_sort_onesweep_sort_config_static_selectorELNS0_4arch9wavefront6targetE0EEEvSK_
    .private_segment_fixed_size: 0
    .sgpr_count:     0
    .sgpr_spill_count: 0
    .symbol:         _ZN7rocprim17ROCPRIM_400000_NS6detail17trampoline_kernelINS0_14default_configENS1_35radix_sort_onesweep_config_selectorIiNS0_10empty_typeEEEZZNS1_29radix_sort_onesweep_iterationIS3_Lb0EN6thrust23THRUST_200600_302600_NS6detail15normal_iteratorINS9_10device_ptrIiEEEESE_PS5_SF_jNS0_19identity_decomposerENS1_16block_id_wrapperIjLb1EEEEE10hipError_tT1_PNSt15iterator_traitsISK_E10value_typeET2_T3_PNSL_ISQ_E10value_typeET4_T5_PSV_SW_PNS1_23onesweep_lookback_stateEbbT6_jjT7_P12ihipStream_tbENKUlT_T0_SK_SP_E_clIPiSE_SF_SF_EEDaS13_S14_SK_SP_EUlS13_E_NS1_11comp_targetILNS1_3genE3ELNS1_11target_archE908ELNS1_3gpuE7ELNS1_3repE0EEENS1_47radix_sort_onesweep_sort_config_static_selectorELNS0_4arch9wavefront6targetE0EEEvSK_.kd
    .uniform_work_group_size: 1
    .uses_dynamic_stack: false
    .vgpr_count:     0
    .vgpr_spill_count: 0
    .wavefront_size: 32
    .workgroup_processor_mode: 1
  - .args:
      - .offset:         0
        .size:           88
        .value_kind:     by_value
    .group_segment_fixed_size: 0
    .kernarg_segment_align: 8
    .kernarg_segment_size: 88
    .language:       OpenCL C
    .language_version:
      - 2
      - 0
    .max_flat_workgroup_size: 1024
    .name:           _ZN7rocprim17ROCPRIM_400000_NS6detail17trampoline_kernelINS0_14default_configENS1_35radix_sort_onesweep_config_selectorIiNS0_10empty_typeEEEZZNS1_29radix_sort_onesweep_iterationIS3_Lb0EN6thrust23THRUST_200600_302600_NS6detail15normal_iteratorINS9_10device_ptrIiEEEESE_PS5_SF_jNS0_19identity_decomposerENS1_16block_id_wrapperIjLb1EEEEE10hipError_tT1_PNSt15iterator_traitsISK_E10value_typeET2_T3_PNSL_ISQ_E10value_typeET4_T5_PSV_SW_PNS1_23onesweep_lookback_stateEbbT6_jjT7_P12ihipStream_tbENKUlT_T0_SK_SP_E_clIPiSE_SF_SF_EEDaS13_S14_SK_SP_EUlS13_E_NS1_11comp_targetILNS1_3genE10ELNS1_11target_archE1201ELNS1_3gpuE5ELNS1_3repE0EEENS1_47radix_sort_onesweep_sort_config_static_selectorELNS0_4arch9wavefront6targetE0EEEvSK_
    .private_segment_fixed_size: 0
    .sgpr_count:     0
    .sgpr_spill_count: 0
    .symbol:         _ZN7rocprim17ROCPRIM_400000_NS6detail17trampoline_kernelINS0_14default_configENS1_35radix_sort_onesweep_config_selectorIiNS0_10empty_typeEEEZZNS1_29radix_sort_onesweep_iterationIS3_Lb0EN6thrust23THRUST_200600_302600_NS6detail15normal_iteratorINS9_10device_ptrIiEEEESE_PS5_SF_jNS0_19identity_decomposerENS1_16block_id_wrapperIjLb1EEEEE10hipError_tT1_PNSt15iterator_traitsISK_E10value_typeET2_T3_PNSL_ISQ_E10value_typeET4_T5_PSV_SW_PNS1_23onesweep_lookback_stateEbbT6_jjT7_P12ihipStream_tbENKUlT_T0_SK_SP_E_clIPiSE_SF_SF_EEDaS13_S14_SK_SP_EUlS13_E_NS1_11comp_targetILNS1_3genE10ELNS1_11target_archE1201ELNS1_3gpuE5ELNS1_3repE0EEENS1_47radix_sort_onesweep_sort_config_static_selectorELNS0_4arch9wavefront6targetE0EEEvSK_.kd
    .uniform_work_group_size: 1
    .uses_dynamic_stack: false
    .vgpr_count:     0
    .vgpr_spill_count: 0
    .wavefront_size: 32
    .workgroup_processor_mode: 1
  - .args:
      - .offset:         0
        .size:           88
        .value_kind:     by_value
    .group_segment_fixed_size: 0
    .kernarg_segment_align: 8
    .kernarg_segment_size: 88
    .language:       OpenCL C
    .language_version:
      - 2
      - 0
    .max_flat_workgroup_size: 1024
    .name:           _ZN7rocprim17ROCPRIM_400000_NS6detail17trampoline_kernelINS0_14default_configENS1_35radix_sort_onesweep_config_selectorIiNS0_10empty_typeEEEZZNS1_29radix_sort_onesweep_iterationIS3_Lb0EN6thrust23THRUST_200600_302600_NS6detail15normal_iteratorINS9_10device_ptrIiEEEESE_PS5_SF_jNS0_19identity_decomposerENS1_16block_id_wrapperIjLb1EEEEE10hipError_tT1_PNSt15iterator_traitsISK_E10value_typeET2_T3_PNSL_ISQ_E10value_typeET4_T5_PSV_SW_PNS1_23onesweep_lookback_stateEbbT6_jjT7_P12ihipStream_tbENKUlT_T0_SK_SP_E_clIPiSE_SF_SF_EEDaS13_S14_SK_SP_EUlS13_E_NS1_11comp_targetILNS1_3genE9ELNS1_11target_archE1100ELNS1_3gpuE3ELNS1_3repE0EEENS1_47radix_sort_onesweep_sort_config_static_selectorELNS0_4arch9wavefront6targetE0EEEvSK_
    .private_segment_fixed_size: 0
    .sgpr_count:     0
    .sgpr_spill_count: 0
    .symbol:         _ZN7rocprim17ROCPRIM_400000_NS6detail17trampoline_kernelINS0_14default_configENS1_35radix_sort_onesweep_config_selectorIiNS0_10empty_typeEEEZZNS1_29radix_sort_onesweep_iterationIS3_Lb0EN6thrust23THRUST_200600_302600_NS6detail15normal_iteratorINS9_10device_ptrIiEEEESE_PS5_SF_jNS0_19identity_decomposerENS1_16block_id_wrapperIjLb1EEEEE10hipError_tT1_PNSt15iterator_traitsISK_E10value_typeET2_T3_PNSL_ISQ_E10value_typeET4_T5_PSV_SW_PNS1_23onesweep_lookback_stateEbbT6_jjT7_P12ihipStream_tbENKUlT_T0_SK_SP_E_clIPiSE_SF_SF_EEDaS13_S14_SK_SP_EUlS13_E_NS1_11comp_targetILNS1_3genE9ELNS1_11target_archE1100ELNS1_3gpuE3ELNS1_3repE0EEENS1_47radix_sort_onesweep_sort_config_static_selectorELNS0_4arch9wavefront6targetE0EEEvSK_.kd
    .uniform_work_group_size: 1
    .uses_dynamic_stack: false
    .vgpr_count:     0
    .vgpr_spill_count: 0
    .wavefront_size: 32
    .workgroup_processor_mode: 1
  - .args:
      - .offset:         0
        .size:           88
        .value_kind:     by_value
      - .offset:         88
        .size:           4
        .value_kind:     hidden_block_count_x
      - .offset:         92
        .size:           4
        .value_kind:     hidden_block_count_y
      - .offset:         96
        .size:           4
        .value_kind:     hidden_block_count_z
      - .offset:         100
        .size:           2
        .value_kind:     hidden_group_size_x
      - .offset:         102
        .size:           2
        .value_kind:     hidden_group_size_y
      - .offset:         104
        .size:           2
        .value_kind:     hidden_group_size_z
      - .offset:         106
        .size:           2
        .value_kind:     hidden_remainder_x
      - .offset:         108
        .size:           2
        .value_kind:     hidden_remainder_y
      - .offset:         110
        .size:           2
        .value_kind:     hidden_remainder_z
      - .offset:         128
        .size:           8
        .value_kind:     hidden_global_offset_x
      - .offset:         136
        .size:           8
        .value_kind:     hidden_global_offset_y
      - .offset:         144
        .size:           8
        .value_kind:     hidden_global_offset_z
      - .offset:         152
        .size:           2
        .value_kind:     hidden_grid_dims
    .group_segment_fixed_size: 37000
    .kernarg_segment_align: 8
    .kernarg_segment_size: 344
    .language:       OpenCL C
    .language_version:
      - 2
      - 0
    .max_flat_workgroup_size: 1024
    .name:           _ZN7rocprim17ROCPRIM_400000_NS6detail17trampoline_kernelINS0_14default_configENS1_35radix_sort_onesweep_config_selectorIiNS0_10empty_typeEEEZZNS1_29radix_sort_onesweep_iterationIS3_Lb0EN6thrust23THRUST_200600_302600_NS6detail15normal_iteratorINS9_10device_ptrIiEEEESE_PS5_SF_jNS0_19identity_decomposerENS1_16block_id_wrapperIjLb1EEEEE10hipError_tT1_PNSt15iterator_traitsISK_E10value_typeET2_T3_PNSL_ISQ_E10value_typeET4_T5_PSV_SW_PNS1_23onesweep_lookback_stateEbbT6_jjT7_P12ihipStream_tbENKUlT_T0_SK_SP_E_clIPiSE_SF_SF_EEDaS13_S14_SK_SP_EUlS13_E_NS1_11comp_targetILNS1_3genE8ELNS1_11target_archE1030ELNS1_3gpuE2ELNS1_3repE0EEENS1_47radix_sort_onesweep_sort_config_static_selectorELNS0_4arch9wavefront6targetE0EEEvSK_
    .private_segment_fixed_size: 0
    .sgpr_count:     29
    .sgpr_spill_count: 0
    .symbol:         _ZN7rocprim17ROCPRIM_400000_NS6detail17trampoline_kernelINS0_14default_configENS1_35radix_sort_onesweep_config_selectorIiNS0_10empty_typeEEEZZNS1_29radix_sort_onesweep_iterationIS3_Lb0EN6thrust23THRUST_200600_302600_NS6detail15normal_iteratorINS9_10device_ptrIiEEEESE_PS5_SF_jNS0_19identity_decomposerENS1_16block_id_wrapperIjLb1EEEEE10hipError_tT1_PNSt15iterator_traitsISK_E10value_typeET2_T3_PNSL_ISQ_E10value_typeET4_T5_PSV_SW_PNS1_23onesweep_lookback_stateEbbT6_jjT7_P12ihipStream_tbENKUlT_T0_SK_SP_E_clIPiSE_SF_SF_EEDaS13_S14_SK_SP_EUlS13_E_NS1_11comp_targetILNS1_3genE8ELNS1_11target_archE1030ELNS1_3gpuE2ELNS1_3repE0EEENS1_47radix_sort_onesweep_sort_config_static_selectorELNS0_4arch9wavefront6targetE0EEEvSK_.kd
    .uniform_work_group_size: 1
    .uses_dynamic_stack: false
    .vgpr_count:     34
    .vgpr_spill_count: 0
    .wavefront_size: 32
    .workgroup_processor_mode: 1
  - .args:
      - .offset:         0
        .size:           88
        .value_kind:     by_value
    .group_segment_fixed_size: 0
    .kernarg_segment_align: 8
    .kernarg_segment_size: 88
    .language:       OpenCL C
    .language_version:
      - 2
      - 0
    .max_flat_workgroup_size: 512
    .name:           _ZN7rocprim17ROCPRIM_400000_NS6detail17trampoline_kernelINS0_14default_configENS1_35radix_sort_onesweep_config_selectorIiNS0_10empty_typeEEEZZNS1_29radix_sort_onesweep_iterationIS3_Lb0EN6thrust23THRUST_200600_302600_NS6detail15normal_iteratorINS9_10device_ptrIiEEEESE_PS5_SF_jNS0_19identity_decomposerENS1_16block_id_wrapperIjLb0EEEEE10hipError_tT1_PNSt15iterator_traitsISK_E10value_typeET2_T3_PNSL_ISQ_E10value_typeET4_T5_PSV_SW_PNS1_23onesweep_lookback_stateEbbT6_jjT7_P12ihipStream_tbENKUlT_T0_SK_SP_E_clISE_SE_SF_SF_EEDaS13_S14_SK_SP_EUlS13_E_NS1_11comp_targetILNS1_3genE0ELNS1_11target_archE4294967295ELNS1_3gpuE0ELNS1_3repE0EEENS1_47radix_sort_onesweep_sort_config_static_selectorELNS0_4arch9wavefront6targetE0EEEvSK_
    .private_segment_fixed_size: 0
    .sgpr_count:     0
    .sgpr_spill_count: 0
    .symbol:         _ZN7rocprim17ROCPRIM_400000_NS6detail17trampoline_kernelINS0_14default_configENS1_35radix_sort_onesweep_config_selectorIiNS0_10empty_typeEEEZZNS1_29radix_sort_onesweep_iterationIS3_Lb0EN6thrust23THRUST_200600_302600_NS6detail15normal_iteratorINS9_10device_ptrIiEEEESE_PS5_SF_jNS0_19identity_decomposerENS1_16block_id_wrapperIjLb0EEEEE10hipError_tT1_PNSt15iterator_traitsISK_E10value_typeET2_T3_PNSL_ISQ_E10value_typeET4_T5_PSV_SW_PNS1_23onesweep_lookback_stateEbbT6_jjT7_P12ihipStream_tbENKUlT_T0_SK_SP_E_clISE_SE_SF_SF_EEDaS13_S14_SK_SP_EUlS13_E_NS1_11comp_targetILNS1_3genE0ELNS1_11target_archE4294967295ELNS1_3gpuE0ELNS1_3repE0EEENS1_47radix_sort_onesweep_sort_config_static_selectorELNS0_4arch9wavefront6targetE0EEEvSK_.kd
    .uniform_work_group_size: 1
    .uses_dynamic_stack: false
    .vgpr_count:     0
    .vgpr_spill_count: 0
    .wavefront_size: 32
    .workgroup_processor_mode: 1
  - .args:
      - .offset:         0
        .size:           88
        .value_kind:     by_value
    .group_segment_fixed_size: 0
    .kernarg_segment_align: 8
    .kernarg_segment_size: 88
    .language:       OpenCL C
    .language_version:
      - 2
      - 0
    .max_flat_workgroup_size: 1024
    .name:           _ZN7rocprim17ROCPRIM_400000_NS6detail17trampoline_kernelINS0_14default_configENS1_35radix_sort_onesweep_config_selectorIiNS0_10empty_typeEEEZZNS1_29radix_sort_onesweep_iterationIS3_Lb0EN6thrust23THRUST_200600_302600_NS6detail15normal_iteratorINS9_10device_ptrIiEEEESE_PS5_SF_jNS0_19identity_decomposerENS1_16block_id_wrapperIjLb0EEEEE10hipError_tT1_PNSt15iterator_traitsISK_E10value_typeET2_T3_PNSL_ISQ_E10value_typeET4_T5_PSV_SW_PNS1_23onesweep_lookback_stateEbbT6_jjT7_P12ihipStream_tbENKUlT_T0_SK_SP_E_clISE_SE_SF_SF_EEDaS13_S14_SK_SP_EUlS13_E_NS1_11comp_targetILNS1_3genE6ELNS1_11target_archE950ELNS1_3gpuE13ELNS1_3repE0EEENS1_47radix_sort_onesweep_sort_config_static_selectorELNS0_4arch9wavefront6targetE0EEEvSK_
    .private_segment_fixed_size: 0
    .sgpr_count:     0
    .sgpr_spill_count: 0
    .symbol:         _ZN7rocprim17ROCPRIM_400000_NS6detail17trampoline_kernelINS0_14default_configENS1_35radix_sort_onesweep_config_selectorIiNS0_10empty_typeEEEZZNS1_29radix_sort_onesweep_iterationIS3_Lb0EN6thrust23THRUST_200600_302600_NS6detail15normal_iteratorINS9_10device_ptrIiEEEESE_PS5_SF_jNS0_19identity_decomposerENS1_16block_id_wrapperIjLb0EEEEE10hipError_tT1_PNSt15iterator_traitsISK_E10value_typeET2_T3_PNSL_ISQ_E10value_typeET4_T5_PSV_SW_PNS1_23onesweep_lookback_stateEbbT6_jjT7_P12ihipStream_tbENKUlT_T0_SK_SP_E_clISE_SE_SF_SF_EEDaS13_S14_SK_SP_EUlS13_E_NS1_11comp_targetILNS1_3genE6ELNS1_11target_archE950ELNS1_3gpuE13ELNS1_3repE0EEENS1_47radix_sort_onesweep_sort_config_static_selectorELNS0_4arch9wavefront6targetE0EEEvSK_.kd
    .uniform_work_group_size: 1
    .uses_dynamic_stack: false
    .vgpr_count:     0
    .vgpr_spill_count: 0
    .wavefront_size: 32
    .workgroup_processor_mode: 1
  - .args:
      - .offset:         0
        .size:           88
        .value_kind:     by_value
    .group_segment_fixed_size: 0
    .kernarg_segment_align: 8
    .kernarg_segment_size: 88
    .language:       OpenCL C
    .language_version:
      - 2
      - 0
    .max_flat_workgroup_size: 1024
    .name:           _ZN7rocprim17ROCPRIM_400000_NS6detail17trampoline_kernelINS0_14default_configENS1_35radix_sort_onesweep_config_selectorIiNS0_10empty_typeEEEZZNS1_29radix_sort_onesweep_iterationIS3_Lb0EN6thrust23THRUST_200600_302600_NS6detail15normal_iteratorINS9_10device_ptrIiEEEESE_PS5_SF_jNS0_19identity_decomposerENS1_16block_id_wrapperIjLb0EEEEE10hipError_tT1_PNSt15iterator_traitsISK_E10value_typeET2_T3_PNSL_ISQ_E10value_typeET4_T5_PSV_SW_PNS1_23onesweep_lookback_stateEbbT6_jjT7_P12ihipStream_tbENKUlT_T0_SK_SP_E_clISE_SE_SF_SF_EEDaS13_S14_SK_SP_EUlS13_E_NS1_11comp_targetILNS1_3genE5ELNS1_11target_archE942ELNS1_3gpuE9ELNS1_3repE0EEENS1_47radix_sort_onesweep_sort_config_static_selectorELNS0_4arch9wavefront6targetE0EEEvSK_
    .private_segment_fixed_size: 0
    .sgpr_count:     0
    .sgpr_spill_count: 0
    .symbol:         _ZN7rocprim17ROCPRIM_400000_NS6detail17trampoline_kernelINS0_14default_configENS1_35radix_sort_onesweep_config_selectorIiNS0_10empty_typeEEEZZNS1_29radix_sort_onesweep_iterationIS3_Lb0EN6thrust23THRUST_200600_302600_NS6detail15normal_iteratorINS9_10device_ptrIiEEEESE_PS5_SF_jNS0_19identity_decomposerENS1_16block_id_wrapperIjLb0EEEEE10hipError_tT1_PNSt15iterator_traitsISK_E10value_typeET2_T3_PNSL_ISQ_E10value_typeET4_T5_PSV_SW_PNS1_23onesweep_lookback_stateEbbT6_jjT7_P12ihipStream_tbENKUlT_T0_SK_SP_E_clISE_SE_SF_SF_EEDaS13_S14_SK_SP_EUlS13_E_NS1_11comp_targetILNS1_3genE5ELNS1_11target_archE942ELNS1_3gpuE9ELNS1_3repE0EEENS1_47radix_sort_onesweep_sort_config_static_selectorELNS0_4arch9wavefront6targetE0EEEvSK_.kd
    .uniform_work_group_size: 1
    .uses_dynamic_stack: false
    .vgpr_count:     0
    .vgpr_spill_count: 0
    .wavefront_size: 32
    .workgroup_processor_mode: 1
  - .args:
      - .offset:         0
        .size:           88
        .value_kind:     by_value
    .group_segment_fixed_size: 0
    .kernarg_segment_align: 8
    .kernarg_segment_size: 88
    .language:       OpenCL C
    .language_version:
      - 2
      - 0
    .max_flat_workgroup_size: 1024
    .name:           _ZN7rocprim17ROCPRIM_400000_NS6detail17trampoline_kernelINS0_14default_configENS1_35radix_sort_onesweep_config_selectorIiNS0_10empty_typeEEEZZNS1_29radix_sort_onesweep_iterationIS3_Lb0EN6thrust23THRUST_200600_302600_NS6detail15normal_iteratorINS9_10device_ptrIiEEEESE_PS5_SF_jNS0_19identity_decomposerENS1_16block_id_wrapperIjLb0EEEEE10hipError_tT1_PNSt15iterator_traitsISK_E10value_typeET2_T3_PNSL_ISQ_E10value_typeET4_T5_PSV_SW_PNS1_23onesweep_lookback_stateEbbT6_jjT7_P12ihipStream_tbENKUlT_T0_SK_SP_E_clISE_SE_SF_SF_EEDaS13_S14_SK_SP_EUlS13_E_NS1_11comp_targetILNS1_3genE2ELNS1_11target_archE906ELNS1_3gpuE6ELNS1_3repE0EEENS1_47radix_sort_onesweep_sort_config_static_selectorELNS0_4arch9wavefront6targetE0EEEvSK_
    .private_segment_fixed_size: 0
    .sgpr_count:     0
    .sgpr_spill_count: 0
    .symbol:         _ZN7rocprim17ROCPRIM_400000_NS6detail17trampoline_kernelINS0_14default_configENS1_35radix_sort_onesweep_config_selectorIiNS0_10empty_typeEEEZZNS1_29radix_sort_onesweep_iterationIS3_Lb0EN6thrust23THRUST_200600_302600_NS6detail15normal_iteratorINS9_10device_ptrIiEEEESE_PS5_SF_jNS0_19identity_decomposerENS1_16block_id_wrapperIjLb0EEEEE10hipError_tT1_PNSt15iterator_traitsISK_E10value_typeET2_T3_PNSL_ISQ_E10value_typeET4_T5_PSV_SW_PNS1_23onesweep_lookback_stateEbbT6_jjT7_P12ihipStream_tbENKUlT_T0_SK_SP_E_clISE_SE_SF_SF_EEDaS13_S14_SK_SP_EUlS13_E_NS1_11comp_targetILNS1_3genE2ELNS1_11target_archE906ELNS1_3gpuE6ELNS1_3repE0EEENS1_47radix_sort_onesweep_sort_config_static_selectorELNS0_4arch9wavefront6targetE0EEEvSK_.kd
    .uniform_work_group_size: 1
    .uses_dynamic_stack: false
    .vgpr_count:     0
    .vgpr_spill_count: 0
    .wavefront_size: 32
    .workgroup_processor_mode: 1
  - .args:
      - .offset:         0
        .size:           88
        .value_kind:     by_value
    .group_segment_fixed_size: 0
    .kernarg_segment_align: 8
    .kernarg_segment_size: 88
    .language:       OpenCL C
    .language_version:
      - 2
      - 0
    .max_flat_workgroup_size: 1024
    .name:           _ZN7rocprim17ROCPRIM_400000_NS6detail17trampoline_kernelINS0_14default_configENS1_35radix_sort_onesweep_config_selectorIiNS0_10empty_typeEEEZZNS1_29radix_sort_onesweep_iterationIS3_Lb0EN6thrust23THRUST_200600_302600_NS6detail15normal_iteratorINS9_10device_ptrIiEEEESE_PS5_SF_jNS0_19identity_decomposerENS1_16block_id_wrapperIjLb0EEEEE10hipError_tT1_PNSt15iterator_traitsISK_E10value_typeET2_T3_PNSL_ISQ_E10value_typeET4_T5_PSV_SW_PNS1_23onesweep_lookback_stateEbbT6_jjT7_P12ihipStream_tbENKUlT_T0_SK_SP_E_clISE_SE_SF_SF_EEDaS13_S14_SK_SP_EUlS13_E_NS1_11comp_targetILNS1_3genE4ELNS1_11target_archE910ELNS1_3gpuE8ELNS1_3repE0EEENS1_47radix_sort_onesweep_sort_config_static_selectorELNS0_4arch9wavefront6targetE0EEEvSK_
    .private_segment_fixed_size: 0
    .sgpr_count:     0
    .sgpr_spill_count: 0
    .symbol:         _ZN7rocprim17ROCPRIM_400000_NS6detail17trampoline_kernelINS0_14default_configENS1_35radix_sort_onesweep_config_selectorIiNS0_10empty_typeEEEZZNS1_29radix_sort_onesweep_iterationIS3_Lb0EN6thrust23THRUST_200600_302600_NS6detail15normal_iteratorINS9_10device_ptrIiEEEESE_PS5_SF_jNS0_19identity_decomposerENS1_16block_id_wrapperIjLb0EEEEE10hipError_tT1_PNSt15iterator_traitsISK_E10value_typeET2_T3_PNSL_ISQ_E10value_typeET4_T5_PSV_SW_PNS1_23onesweep_lookback_stateEbbT6_jjT7_P12ihipStream_tbENKUlT_T0_SK_SP_E_clISE_SE_SF_SF_EEDaS13_S14_SK_SP_EUlS13_E_NS1_11comp_targetILNS1_3genE4ELNS1_11target_archE910ELNS1_3gpuE8ELNS1_3repE0EEENS1_47radix_sort_onesweep_sort_config_static_selectorELNS0_4arch9wavefront6targetE0EEEvSK_.kd
    .uniform_work_group_size: 1
    .uses_dynamic_stack: false
    .vgpr_count:     0
    .vgpr_spill_count: 0
    .wavefront_size: 32
    .workgroup_processor_mode: 1
  - .args:
      - .offset:         0
        .size:           88
        .value_kind:     by_value
    .group_segment_fixed_size: 0
    .kernarg_segment_align: 8
    .kernarg_segment_size: 88
    .language:       OpenCL C
    .language_version:
      - 2
      - 0
    .max_flat_workgroup_size: 512
    .name:           _ZN7rocprim17ROCPRIM_400000_NS6detail17trampoline_kernelINS0_14default_configENS1_35radix_sort_onesweep_config_selectorIiNS0_10empty_typeEEEZZNS1_29radix_sort_onesweep_iterationIS3_Lb0EN6thrust23THRUST_200600_302600_NS6detail15normal_iteratorINS9_10device_ptrIiEEEESE_PS5_SF_jNS0_19identity_decomposerENS1_16block_id_wrapperIjLb0EEEEE10hipError_tT1_PNSt15iterator_traitsISK_E10value_typeET2_T3_PNSL_ISQ_E10value_typeET4_T5_PSV_SW_PNS1_23onesweep_lookback_stateEbbT6_jjT7_P12ihipStream_tbENKUlT_T0_SK_SP_E_clISE_SE_SF_SF_EEDaS13_S14_SK_SP_EUlS13_E_NS1_11comp_targetILNS1_3genE3ELNS1_11target_archE908ELNS1_3gpuE7ELNS1_3repE0EEENS1_47radix_sort_onesweep_sort_config_static_selectorELNS0_4arch9wavefront6targetE0EEEvSK_
    .private_segment_fixed_size: 0
    .sgpr_count:     0
    .sgpr_spill_count: 0
    .symbol:         _ZN7rocprim17ROCPRIM_400000_NS6detail17trampoline_kernelINS0_14default_configENS1_35radix_sort_onesweep_config_selectorIiNS0_10empty_typeEEEZZNS1_29radix_sort_onesweep_iterationIS3_Lb0EN6thrust23THRUST_200600_302600_NS6detail15normal_iteratorINS9_10device_ptrIiEEEESE_PS5_SF_jNS0_19identity_decomposerENS1_16block_id_wrapperIjLb0EEEEE10hipError_tT1_PNSt15iterator_traitsISK_E10value_typeET2_T3_PNSL_ISQ_E10value_typeET4_T5_PSV_SW_PNS1_23onesweep_lookback_stateEbbT6_jjT7_P12ihipStream_tbENKUlT_T0_SK_SP_E_clISE_SE_SF_SF_EEDaS13_S14_SK_SP_EUlS13_E_NS1_11comp_targetILNS1_3genE3ELNS1_11target_archE908ELNS1_3gpuE7ELNS1_3repE0EEENS1_47radix_sort_onesweep_sort_config_static_selectorELNS0_4arch9wavefront6targetE0EEEvSK_.kd
    .uniform_work_group_size: 1
    .uses_dynamic_stack: false
    .vgpr_count:     0
    .vgpr_spill_count: 0
    .wavefront_size: 32
    .workgroup_processor_mode: 1
  - .args:
      - .offset:         0
        .size:           88
        .value_kind:     by_value
    .group_segment_fixed_size: 0
    .kernarg_segment_align: 8
    .kernarg_segment_size: 88
    .language:       OpenCL C
    .language_version:
      - 2
      - 0
    .max_flat_workgroup_size: 1024
    .name:           _ZN7rocprim17ROCPRIM_400000_NS6detail17trampoline_kernelINS0_14default_configENS1_35radix_sort_onesweep_config_selectorIiNS0_10empty_typeEEEZZNS1_29radix_sort_onesweep_iterationIS3_Lb0EN6thrust23THRUST_200600_302600_NS6detail15normal_iteratorINS9_10device_ptrIiEEEESE_PS5_SF_jNS0_19identity_decomposerENS1_16block_id_wrapperIjLb0EEEEE10hipError_tT1_PNSt15iterator_traitsISK_E10value_typeET2_T3_PNSL_ISQ_E10value_typeET4_T5_PSV_SW_PNS1_23onesweep_lookback_stateEbbT6_jjT7_P12ihipStream_tbENKUlT_T0_SK_SP_E_clISE_SE_SF_SF_EEDaS13_S14_SK_SP_EUlS13_E_NS1_11comp_targetILNS1_3genE10ELNS1_11target_archE1201ELNS1_3gpuE5ELNS1_3repE0EEENS1_47radix_sort_onesweep_sort_config_static_selectorELNS0_4arch9wavefront6targetE0EEEvSK_
    .private_segment_fixed_size: 0
    .sgpr_count:     0
    .sgpr_spill_count: 0
    .symbol:         _ZN7rocprim17ROCPRIM_400000_NS6detail17trampoline_kernelINS0_14default_configENS1_35radix_sort_onesweep_config_selectorIiNS0_10empty_typeEEEZZNS1_29radix_sort_onesweep_iterationIS3_Lb0EN6thrust23THRUST_200600_302600_NS6detail15normal_iteratorINS9_10device_ptrIiEEEESE_PS5_SF_jNS0_19identity_decomposerENS1_16block_id_wrapperIjLb0EEEEE10hipError_tT1_PNSt15iterator_traitsISK_E10value_typeET2_T3_PNSL_ISQ_E10value_typeET4_T5_PSV_SW_PNS1_23onesweep_lookback_stateEbbT6_jjT7_P12ihipStream_tbENKUlT_T0_SK_SP_E_clISE_SE_SF_SF_EEDaS13_S14_SK_SP_EUlS13_E_NS1_11comp_targetILNS1_3genE10ELNS1_11target_archE1201ELNS1_3gpuE5ELNS1_3repE0EEENS1_47radix_sort_onesweep_sort_config_static_selectorELNS0_4arch9wavefront6targetE0EEEvSK_.kd
    .uniform_work_group_size: 1
    .uses_dynamic_stack: false
    .vgpr_count:     0
    .vgpr_spill_count: 0
    .wavefront_size: 32
    .workgroup_processor_mode: 1
  - .args:
      - .offset:         0
        .size:           88
        .value_kind:     by_value
    .group_segment_fixed_size: 0
    .kernarg_segment_align: 8
    .kernarg_segment_size: 88
    .language:       OpenCL C
    .language_version:
      - 2
      - 0
    .max_flat_workgroup_size: 1024
    .name:           _ZN7rocprim17ROCPRIM_400000_NS6detail17trampoline_kernelINS0_14default_configENS1_35radix_sort_onesweep_config_selectorIiNS0_10empty_typeEEEZZNS1_29radix_sort_onesweep_iterationIS3_Lb0EN6thrust23THRUST_200600_302600_NS6detail15normal_iteratorINS9_10device_ptrIiEEEESE_PS5_SF_jNS0_19identity_decomposerENS1_16block_id_wrapperIjLb0EEEEE10hipError_tT1_PNSt15iterator_traitsISK_E10value_typeET2_T3_PNSL_ISQ_E10value_typeET4_T5_PSV_SW_PNS1_23onesweep_lookback_stateEbbT6_jjT7_P12ihipStream_tbENKUlT_T0_SK_SP_E_clISE_SE_SF_SF_EEDaS13_S14_SK_SP_EUlS13_E_NS1_11comp_targetILNS1_3genE9ELNS1_11target_archE1100ELNS1_3gpuE3ELNS1_3repE0EEENS1_47radix_sort_onesweep_sort_config_static_selectorELNS0_4arch9wavefront6targetE0EEEvSK_
    .private_segment_fixed_size: 0
    .sgpr_count:     0
    .sgpr_spill_count: 0
    .symbol:         _ZN7rocprim17ROCPRIM_400000_NS6detail17trampoline_kernelINS0_14default_configENS1_35radix_sort_onesweep_config_selectorIiNS0_10empty_typeEEEZZNS1_29radix_sort_onesweep_iterationIS3_Lb0EN6thrust23THRUST_200600_302600_NS6detail15normal_iteratorINS9_10device_ptrIiEEEESE_PS5_SF_jNS0_19identity_decomposerENS1_16block_id_wrapperIjLb0EEEEE10hipError_tT1_PNSt15iterator_traitsISK_E10value_typeET2_T3_PNSL_ISQ_E10value_typeET4_T5_PSV_SW_PNS1_23onesweep_lookback_stateEbbT6_jjT7_P12ihipStream_tbENKUlT_T0_SK_SP_E_clISE_SE_SF_SF_EEDaS13_S14_SK_SP_EUlS13_E_NS1_11comp_targetILNS1_3genE9ELNS1_11target_archE1100ELNS1_3gpuE3ELNS1_3repE0EEENS1_47radix_sort_onesweep_sort_config_static_selectorELNS0_4arch9wavefront6targetE0EEEvSK_.kd
    .uniform_work_group_size: 1
    .uses_dynamic_stack: false
    .vgpr_count:     0
    .vgpr_spill_count: 0
    .wavefront_size: 32
    .workgroup_processor_mode: 1
  - .args:
      - .offset:         0
        .size:           88
        .value_kind:     by_value
      - .offset:         88
        .size:           4
        .value_kind:     hidden_block_count_x
      - .offset:         92
        .size:           4
        .value_kind:     hidden_block_count_y
      - .offset:         96
        .size:           4
        .value_kind:     hidden_block_count_z
      - .offset:         100
        .size:           2
        .value_kind:     hidden_group_size_x
      - .offset:         102
        .size:           2
        .value_kind:     hidden_group_size_y
      - .offset:         104
        .size:           2
        .value_kind:     hidden_group_size_z
      - .offset:         106
        .size:           2
        .value_kind:     hidden_remainder_x
      - .offset:         108
        .size:           2
        .value_kind:     hidden_remainder_y
      - .offset:         110
        .size:           2
        .value_kind:     hidden_remainder_z
      - .offset:         128
        .size:           8
        .value_kind:     hidden_global_offset_x
      - .offset:         136
        .size:           8
        .value_kind:     hidden_global_offset_y
      - .offset:         144
        .size:           8
        .value_kind:     hidden_global_offset_z
      - .offset:         152
        .size:           2
        .value_kind:     hidden_grid_dims
    .group_segment_fixed_size: 37000
    .kernarg_segment_align: 8
    .kernarg_segment_size: 344
    .language:       OpenCL C
    .language_version:
      - 2
      - 0
    .max_flat_workgroup_size: 1024
    .name:           _ZN7rocprim17ROCPRIM_400000_NS6detail17trampoline_kernelINS0_14default_configENS1_35radix_sort_onesweep_config_selectorIiNS0_10empty_typeEEEZZNS1_29radix_sort_onesweep_iterationIS3_Lb0EN6thrust23THRUST_200600_302600_NS6detail15normal_iteratorINS9_10device_ptrIiEEEESE_PS5_SF_jNS0_19identity_decomposerENS1_16block_id_wrapperIjLb0EEEEE10hipError_tT1_PNSt15iterator_traitsISK_E10value_typeET2_T3_PNSL_ISQ_E10value_typeET4_T5_PSV_SW_PNS1_23onesweep_lookback_stateEbbT6_jjT7_P12ihipStream_tbENKUlT_T0_SK_SP_E_clISE_SE_SF_SF_EEDaS13_S14_SK_SP_EUlS13_E_NS1_11comp_targetILNS1_3genE8ELNS1_11target_archE1030ELNS1_3gpuE2ELNS1_3repE0EEENS1_47radix_sort_onesweep_sort_config_static_selectorELNS0_4arch9wavefront6targetE0EEEvSK_
    .private_segment_fixed_size: 0
    .sgpr_count:     27
    .sgpr_spill_count: 0
    .symbol:         _ZN7rocprim17ROCPRIM_400000_NS6detail17trampoline_kernelINS0_14default_configENS1_35radix_sort_onesweep_config_selectorIiNS0_10empty_typeEEEZZNS1_29radix_sort_onesweep_iterationIS3_Lb0EN6thrust23THRUST_200600_302600_NS6detail15normal_iteratorINS9_10device_ptrIiEEEESE_PS5_SF_jNS0_19identity_decomposerENS1_16block_id_wrapperIjLb0EEEEE10hipError_tT1_PNSt15iterator_traitsISK_E10value_typeET2_T3_PNSL_ISQ_E10value_typeET4_T5_PSV_SW_PNS1_23onesweep_lookback_stateEbbT6_jjT7_P12ihipStream_tbENKUlT_T0_SK_SP_E_clISE_SE_SF_SF_EEDaS13_S14_SK_SP_EUlS13_E_NS1_11comp_targetILNS1_3genE8ELNS1_11target_archE1030ELNS1_3gpuE2ELNS1_3repE0EEENS1_47radix_sort_onesweep_sort_config_static_selectorELNS0_4arch9wavefront6targetE0EEEvSK_.kd
    .uniform_work_group_size: 1
    .uses_dynamic_stack: false
    .vgpr_count:     34
    .vgpr_spill_count: 0
    .wavefront_size: 32
    .workgroup_processor_mode: 1
  - .args:
      - .offset:         0
        .size:           88
        .value_kind:     by_value
    .group_segment_fixed_size: 0
    .kernarg_segment_align: 8
    .kernarg_segment_size: 88
    .language:       OpenCL C
    .language_version:
      - 2
      - 0
    .max_flat_workgroup_size: 512
    .name:           _ZN7rocprim17ROCPRIM_400000_NS6detail17trampoline_kernelINS0_14default_configENS1_35radix_sort_onesweep_config_selectorIiNS0_10empty_typeEEEZZNS1_29radix_sort_onesweep_iterationIS3_Lb0EN6thrust23THRUST_200600_302600_NS6detail15normal_iteratorINS9_10device_ptrIiEEEESE_PS5_SF_jNS0_19identity_decomposerENS1_16block_id_wrapperIjLb0EEEEE10hipError_tT1_PNSt15iterator_traitsISK_E10value_typeET2_T3_PNSL_ISQ_E10value_typeET4_T5_PSV_SW_PNS1_23onesweep_lookback_stateEbbT6_jjT7_P12ihipStream_tbENKUlT_T0_SK_SP_E_clISE_PiSF_SF_EEDaS13_S14_SK_SP_EUlS13_E_NS1_11comp_targetILNS1_3genE0ELNS1_11target_archE4294967295ELNS1_3gpuE0ELNS1_3repE0EEENS1_47radix_sort_onesweep_sort_config_static_selectorELNS0_4arch9wavefront6targetE0EEEvSK_
    .private_segment_fixed_size: 0
    .sgpr_count:     0
    .sgpr_spill_count: 0
    .symbol:         _ZN7rocprim17ROCPRIM_400000_NS6detail17trampoline_kernelINS0_14default_configENS1_35radix_sort_onesweep_config_selectorIiNS0_10empty_typeEEEZZNS1_29radix_sort_onesweep_iterationIS3_Lb0EN6thrust23THRUST_200600_302600_NS6detail15normal_iteratorINS9_10device_ptrIiEEEESE_PS5_SF_jNS0_19identity_decomposerENS1_16block_id_wrapperIjLb0EEEEE10hipError_tT1_PNSt15iterator_traitsISK_E10value_typeET2_T3_PNSL_ISQ_E10value_typeET4_T5_PSV_SW_PNS1_23onesweep_lookback_stateEbbT6_jjT7_P12ihipStream_tbENKUlT_T0_SK_SP_E_clISE_PiSF_SF_EEDaS13_S14_SK_SP_EUlS13_E_NS1_11comp_targetILNS1_3genE0ELNS1_11target_archE4294967295ELNS1_3gpuE0ELNS1_3repE0EEENS1_47radix_sort_onesweep_sort_config_static_selectorELNS0_4arch9wavefront6targetE0EEEvSK_.kd
    .uniform_work_group_size: 1
    .uses_dynamic_stack: false
    .vgpr_count:     0
    .vgpr_spill_count: 0
    .wavefront_size: 32
    .workgroup_processor_mode: 1
  - .args:
      - .offset:         0
        .size:           88
        .value_kind:     by_value
    .group_segment_fixed_size: 0
    .kernarg_segment_align: 8
    .kernarg_segment_size: 88
    .language:       OpenCL C
    .language_version:
      - 2
      - 0
    .max_flat_workgroup_size: 1024
    .name:           _ZN7rocprim17ROCPRIM_400000_NS6detail17trampoline_kernelINS0_14default_configENS1_35radix_sort_onesweep_config_selectorIiNS0_10empty_typeEEEZZNS1_29radix_sort_onesweep_iterationIS3_Lb0EN6thrust23THRUST_200600_302600_NS6detail15normal_iteratorINS9_10device_ptrIiEEEESE_PS5_SF_jNS0_19identity_decomposerENS1_16block_id_wrapperIjLb0EEEEE10hipError_tT1_PNSt15iterator_traitsISK_E10value_typeET2_T3_PNSL_ISQ_E10value_typeET4_T5_PSV_SW_PNS1_23onesweep_lookback_stateEbbT6_jjT7_P12ihipStream_tbENKUlT_T0_SK_SP_E_clISE_PiSF_SF_EEDaS13_S14_SK_SP_EUlS13_E_NS1_11comp_targetILNS1_3genE6ELNS1_11target_archE950ELNS1_3gpuE13ELNS1_3repE0EEENS1_47radix_sort_onesweep_sort_config_static_selectorELNS0_4arch9wavefront6targetE0EEEvSK_
    .private_segment_fixed_size: 0
    .sgpr_count:     0
    .sgpr_spill_count: 0
    .symbol:         _ZN7rocprim17ROCPRIM_400000_NS6detail17trampoline_kernelINS0_14default_configENS1_35radix_sort_onesweep_config_selectorIiNS0_10empty_typeEEEZZNS1_29radix_sort_onesweep_iterationIS3_Lb0EN6thrust23THRUST_200600_302600_NS6detail15normal_iteratorINS9_10device_ptrIiEEEESE_PS5_SF_jNS0_19identity_decomposerENS1_16block_id_wrapperIjLb0EEEEE10hipError_tT1_PNSt15iterator_traitsISK_E10value_typeET2_T3_PNSL_ISQ_E10value_typeET4_T5_PSV_SW_PNS1_23onesweep_lookback_stateEbbT6_jjT7_P12ihipStream_tbENKUlT_T0_SK_SP_E_clISE_PiSF_SF_EEDaS13_S14_SK_SP_EUlS13_E_NS1_11comp_targetILNS1_3genE6ELNS1_11target_archE950ELNS1_3gpuE13ELNS1_3repE0EEENS1_47radix_sort_onesweep_sort_config_static_selectorELNS0_4arch9wavefront6targetE0EEEvSK_.kd
    .uniform_work_group_size: 1
    .uses_dynamic_stack: false
    .vgpr_count:     0
    .vgpr_spill_count: 0
    .wavefront_size: 32
    .workgroup_processor_mode: 1
  - .args:
      - .offset:         0
        .size:           88
        .value_kind:     by_value
    .group_segment_fixed_size: 0
    .kernarg_segment_align: 8
    .kernarg_segment_size: 88
    .language:       OpenCL C
    .language_version:
      - 2
      - 0
    .max_flat_workgroup_size: 1024
    .name:           _ZN7rocprim17ROCPRIM_400000_NS6detail17trampoline_kernelINS0_14default_configENS1_35radix_sort_onesweep_config_selectorIiNS0_10empty_typeEEEZZNS1_29radix_sort_onesweep_iterationIS3_Lb0EN6thrust23THRUST_200600_302600_NS6detail15normal_iteratorINS9_10device_ptrIiEEEESE_PS5_SF_jNS0_19identity_decomposerENS1_16block_id_wrapperIjLb0EEEEE10hipError_tT1_PNSt15iterator_traitsISK_E10value_typeET2_T3_PNSL_ISQ_E10value_typeET4_T5_PSV_SW_PNS1_23onesweep_lookback_stateEbbT6_jjT7_P12ihipStream_tbENKUlT_T0_SK_SP_E_clISE_PiSF_SF_EEDaS13_S14_SK_SP_EUlS13_E_NS1_11comp_targetILNS1_3genE5ELNS1_11target_archE942ELNS1_3gpuE9ELNS1_3repE0EEENS1_47radix_sort_onesweep_sort_config_static_selectorELNS0_4arch9wavefront6targetE0EEEvSK_
    .private_segment_fixed_size: 0
    .sgpr_count:     0
    .sgpr_spill_count: 0
    .symbol:         _ZN7rocprim17ROCPRIM_400000_NS6detail17trampoline_kernelINS0_14default_configENS1_35radix_sort_onesweep_config_selectorIiNS0_10empty_typeEEEZZNS1_29radix_sort_onesweep_iterationIS3_Lb0EN6thrust23THRUST_200600_302600_NS6detail15normal_iteratorINS9_10device_ptrIiEEEESE_PS5_SF_jNS0_19identity_decomposerENS1_16block_id_wrapperIjLb0EEEEE10hipError_tT1_PNSt15iterator_traitsISK_E10value_typeET2_T3_PNSL_ISQ_E10value_typeET4_T5_PSV_SW_PNS1_23onesweep_lookback_stateEbbT6_jjT7_P12ihipStream_tbENKUlT_T0_SK_SP_E_clISE_PiSF_SF_EEDaS13_S14_SK_SP_EUlS13_E_NS1_11comp_targetILNS1_3genE5ELNS1_11target_archE942ELNS1_3gpuE9ELNS1_3repE0EEENS1_47radix_sort_onesweep_sort_config_static_selectorELNS0_4arch9wavefront6targetE0EEEvSK_.kd
    .uniform_work_group_size: 1
    .uses_dynamic_stack: false
    .vgpr_count:     0
    .vgpr_spill_count: 0
    .wavefront_size: 32
    .workgroup_processor_mode: 1
  - .args:
      - .offset:         0
        .size:           88
        .value_kind:     by_value
    .group_segment_fixed_size: 0
    .kernarg_segment_align: 8
    .kernarg_segment_size: 88
    .language:       OpenCL C
    .language_version:
      - 2
      - 0
    .max_flat_workgroup_size: 1024
    .name:           _ZN7rocprim17ROCPRIM_400000_NS6detail17trampoline_kernelINS0_14default_configENS1_35radix_sort_onesweep_config_selectorIiNS0_10empty_typeEEEZZNS1_29radix_sort_onesweep_iterationIS3_Lb0EN6thrust23THRUST_200600_302600_NS6detail15normal_iteratorINS9_10device_ptrIiEEEESE_PS5_SF_jNS0_19identity_decomposerENS1_16block_id_wrapperIjLb0EEEEE10hipError_tT1_PNSt15iterator_traitsISK_E10value_typeET2_T3_PNSL_ISQ_E10value_typeET4_T5_PSV_SW_PNS1_23onesweep_lookback_stateEbbT6_jjT7_P12ihipStream_tbENKUlT_T0_SK_SP_E_clISE_PiSF_SF_EEDaS13_S14_SK_SP_EUlS13_E_NS1_11comp_targetILNS1_3genE2ELNS1_11target_archE906ELNS1_3gpuE6ELNS1_3repE0EEENS1_47radix_sort_onesweep_sort_config_static_selectorELNS0_4arch9wavefront6targetE0EEEvSK_
    .private_segment_fixed_size: 0
    .sgpr_count:     0
    .sgpr_spill_count: 0
    .symbol:         _ZN7rocprim17ROCPRIM_400000_NS6detail17trampoline_kernelINS0_14default_configENS1_35radix_sort_onesweep_config_selectorIiNS0_10empty_typeEEEZZNS1_29radix_sort_onesweep_iterationIS3_Lb0EN6thrust23THRUST_200600_302600_NS6detail15normal_iteratorINS9_10device_ptrIiEEEESE_PS5_SF_jNS0_19identity_decomposerENS1_16block_id_wrapperIjLb0EEEEE10hipError_tT1_PNSt15iterator_traitsISK_E10value_typeET2_T3_PNSL_ISQ_E10value_typeET4_T5_PSV_SW_PNS1_23onesweep_lookback_stateEbbT6_jjT7_P12ihipStream_tbENKUlT_T0_SK_SP_E_clISE_PiSF_SF_EEDaS13_S14_SK_SP_EUlS13_E_NS1_11comp_targetILNS1_3genE2ELNS1_11target_archE906ELNS1_3gpuE6ELNS1_3repE0EEENS1_47radix_sort_onesweep_sort_config_static_selectorELNS0_4arch9wavefront6targetE0EEEvSK_.kd
    .uniform_work_group_size: 1
    .uses_dynamic_stack: false
    .vgpr_count:     0
    .vgpr_spill_count: 0
    .wavefront_size: 32
    .workgroup_processor_mode: 1
  - .args:
      - .offset:         0
        .size:           88
        .value_kind:     by_value
    .group_segment_fixed_size: 0
    .kernarg_segment_align: 8
    .kernarg_segment_size: 88
    .language:       OpenCL C
    .language_version:
      - 2
      - 0
    .max_flat_workgroup_size: 1024
    .name:           _ZN7rocprim17ROCPRIM_400000_NS6detail17trampoline_kernelINS0_14default_configENS1_35radix_sort_onesweep_config_selectorIiNS0_10empty_typeEEEZZNS1_29radix_sort_onesweep_iterationIS3_Lb0EN6thrust23THRUST_200600_302600_NS6detail15normal_iteratorINS9_10device_ptrIiEEEESE_PS5_SF_jNS0_19identity_decomposerENS1_16block_id_wrapperIjLb0EEEEE10hipError_tT1_PNSt15iterator_traitsISK_E10value_typeET2_T3_PNSL_ISQ_E10value_typeET4_T5_PSV_SW_PNS1_23onesweep_lookback_stateEbbT6_jjT7_P12ihipStream_tbENKUlT_T0_SK_SP_E_clISE_PiSF_SF_EEDaS13_S14_SK_SP_EUlS13_E_NS1_11comp_targetILNS1_3genE4ELNS1_11target_archE910ELNS1_3gpuE8ELNS1_3repE0EEENS1_47radix_sort_onesweep_sort_config_static_selectorELNS0_4arch9wavefront6targetE0EEEvSK_
    .private_segment_fixed_size: 0
    .sgpr_count:     0
    .sgpr_spill_count: 0
    .symbol:         _ZN7rocprim17ROCPRIM_400000_NS6detail17trampoline_kernelINS0_14default_configENS1_35radix_sort_onesweep_config_selectorIiNS0_10empty_typeEEEZZNS1_29radix_sort_onesweep_iterationIS3_Lb0EN6thrust23THRUST_200600_302600_NS6detail15normal_iteratorINS9_10device_ptrIiEEEESE_PS5_SF_jNS0_19identity_decomposerENS1_16block_id_wrapperIjLb0EEEEE10hipError_tT1_PNSt15iterator_traitsISK_E10value_typeET2_T3_PNSL_ISQ_E10value_typeET4_T5_PSV_SW_PNS1_23onesweep_lookback_stateEbbT6_jjT7_P12ihipStream_tbENKUlT_T0_SK_SP_E_clISE_PiSF_SF_EEDaS13_S14_SK_SP_EUlS13_E_NS1_11comp_targetILNS1_3genE4ELNS1_11target_archE910ELNS1_3gpuE8ELNS1_3repE0EEENS1_47radix_sort_onesweep_sort_config_static_selectorELNS0_4arch9wavefront6targetE0EEEvSK_.kd
    .uniform_work_group_size: 1
    .uses_dynamic_stack: false
    .vgpr_count:     0
    .vgpr_spill_count: 0
    .wavefront_size: 32
    .workgroup_processor_mode: 1
  - .args:
      - .offset:         0
        .size:           88
        .value_kind:     by_value
    .group_segment_fixed_size: 0
    .kernarg_segment_align: 8
    .kernarg_segment_size: 88
    .language:       OpenCL C
    .language_version:
      - 2
      - 0
    .max_flat_workgroup_size: 512
    .name:           _ZN7rocprim17ROCPRIM_400000_NS6detail17trampoline_kernelINS0_14default_configENS1_35radix_sort_onesweep_config_selectorIiNS0_10empty_typeEEEZZNS1_29radix_sort_onesweep_iterationIS3_Lb0EN6thrust23THRUST_200600_302600_NS6detail15normal_iteratorINS9_10device_ptrIiEEEESE_PS5_SF_jNS0_19identity_decomposerENS1_16block_id_wrapperIjLb0EEEEE10hipError_tT1_PNSt15iterator_traitsISK_E10value_typeET2_T3_PNSL_ISQ_E10value_typeET4_T5_PSV_SW_PNS1_23onesweep_lookback_stateEbbT6_jjT7_P12ihipStream_tbENKUlT_T0_SK_SP_E_clISE_PiSF_SF_EEDaS13_S14_SK_SP_EUlS13_E_NS1_11comp_targetILNS1_3genE3ELNS1_11target_archE908ELNS1_3gpuE7ELNS1_3repE0EEENS1_47radix_sort_onesweep_sort_config_static_selectorELNS0_4arch9wavefront6targetE0EEEvSK_
    .private_segment_fixed_size: 0
    .sgpr_count:     0
    .sgpr_spill_count: 0
    .symbol:         _ZN7rocprim17ROCPRIM_400000_NS6detail17trampoline_kernelINS0_14default_configENS1_35radix_sort_onesweep_config_selectorIiNS0_10empty_typeEEEZZNS1_29radix_sort_onesweep_iterationIS3_Lb0EN6thrust23THRUST_200600_302600_NS6detail15normal_iteratorINS9_10device_ptrIiEEEESE_PS5_SF_jNS0_19identity_decomposerENS1_16block_id_wrapperIjLb0EEEEE10hipError_tT1_PNSt15iterator_traitsISK_E10value_typeET2_T3_PNSL_ISQ_E10value_typeET4_T5_PSV_SW_PNS1_23onesweep_lookback_stateEbbT6_jjT7_P12ihipStream_tbENKUlT_T0_SK_SP_E_clISE_PiSF_SF_EEDaS13_S14_SK_SP_EUlS13_E_NS1_11comp_targetILNS1_3genE3ELNS1_11target_archE908ELNS1_3gpuE7ELNS1_3repE0EEENS1_47radix_sort_onesweep_sort_config_static_selectorELNS0_4arch9wavefront6targetE0EEEvSK_.kd
    .uniform_work_group_size: 1
    .uses_dynamic_stack: false
    .vgpr_count:     0
    .vgpr_spill_count: 0
    .wavefront_size: 32
    .workgroup_processor_mode: 1
  - .args:
      - .offset:         0
        .size:           88
        .value_kind:     by_value
    .group_segment_fixed_size: 0
    .kernarg_segment_align: 8
    .kernarg_segment_size: 88
    .language:       OpenCL C
    .language_version:
      - 2
      - 0
    .max_flat_workgroup_size: 1024
    .name:           _ZN7rocprim17ROCPRIM_400000_NS6detail17trampoline_kernelINS0_14default_configENS1_35radix_sort_onesweep_config_selectorIiNS0_10empty_typeEEEZZNS1_29radix_sort_onesweep_iterationIS3_Lb0EN6thrust23THRUST_200600_302600_NS6detail15normal_iteratorINS9_10device_ptrIiEEEESE_PS5_SF_jNS0_19identity_decomposerENS1_16block_id_wrapperIjLb0EEEEE10hipError_tT1_PNSt15iterator_traitsISK_E10value_typeET2_T3_PNSL_ISQ_E10value_typeET4_T5_PSV_SW_PNS1_23onesweep_lookback_stateEbbT6_jjT7_P12ihipStream_tbENKUlT_T0_SK_SP_E_clISE_PiSF_SF_EEDaS13_S14_SK_SP_EUlS13_E_NS1_11comp_targetILNS1_3genE10ELNS1_11target_archE1201ELNS1_3gpuE5ELNS1_3repE0EEENS1_47radix_sort_onesweep_sort_config_static_selectorELNS0_4arch9wavefront6targetE0EEEvSK_
    .private_segment_fixed_size: 0
    .sgpr_count:     0
    .sgpr_spill_count: 0
    .symbol:         _ZN7rocprim17ROCPRIM_400000_NS6detail17trampoline_kernelINS0_14default_configENS1_35radix_sort_onesweep_config_selectorIiNS0_10empty_typeEEEZZNS1_29radix_sort_onesweep_iterationIS3_Lb0EN6thrust23THRUST_200600_302600_NS6detail15normal_iteratorINS9_10device_ptrIiEEEESE_PS5_SF_jNS0_19identity_decomposerENS1_16block_id_wrapperIjLb0EEEEE10hipError_tT1_PNSt15iterator_traitsISK_E10value_typeET2_T3_PNSL_ISQ_E10value_typeET4_T5_PSV_SW_PNS1_23onesweep_lookback_stateEbbT6_jjT7_P12ihipStream_tbENKUlT_T0_SK_SP_E_clISE_PiSF_SF_EEDaS13_S14_SK_SP_EUlS13_E_NS1_11comp_targetILNS1_3genE10ELNS1_11target_archE1201ELNS1_3gpuE5ELNS1_3repE0EEENS1_47radix_sort_onesweep_sort_config_static_selectorELNS0_4arch9wavefront6targetE0EEEvSK_.kd
    .uniform_work_group_size: 1
    .uses_dynamic_stack: false
    .vgpr_count:     0
    .vgpr_spill_count: 0
    .wavefront_size: 32
    .workgroup_processor_mode: 1
  - .args:
      - .offset:         0
        .size:           88
        .value_kind:     by_value
    .group_segment_fixed_size: 0
    .kernarg_segment_align: 8
    .kernarg_segment_size: 88
    .language:       OpenCL C
    .language_version:
      - 2
      - 0
    .max_flat_workgroup_size: 1024
    .name:           _ZN7rocprim17ROCPRIM_400000_NS6detail17trampoline_kernelINS0_14default_configENS1_35radix_sort_onesweep_config_selectorIiNS0_10empty_typeEEEZZNS1_29radix_sort_onesweep_iterationIS3_Lb0EN6thrust23THRUST_200600_302600_NS6detail15normal_iteratorINS9_10device_ptrIiEEEESE_PS5_SF_jNS0_19identity_decomposerENS1_16block_id_wrapperIjLb0EEEEE10hipError_tT1_PNSt15iterator_traitsISK_E10value_typeET2_T3_PNSL_ISQ_E10value_typeET4_T5_PSV_SW_PNS1_23onesweep_lookback_stateEbbT6_jjT7_P12ihipStream_tbENKUlT_T0_SK_SP_E_clISE_PiSF_SF_EEDaS13_S14_SK_SP_EUlS13_E_NS1_11comp_targetILNS1_3genE9ELNS1_11target_archE1100ELNS1_3gpuE3ELNS1_3repE0EEENS1_47radix_sort_onesweep_sort_config_static_selectorELNS0_4arch9wavefront6targetE0EEEvSK_
    .private_segment_fixed_size: 0
    .sgpr_count:     0
    .sgpr_spill_count: 0
    .symbol:         _ZN7rocprim17ROCPRIM_400000_NS6detail17trampoline_kernelINS0_14default_configENS1_35radix_sort_onesweep_config_selectorIiNS0_10empty_typeEEEZZNS1_29radix_sort_onesweep_iterationIS3_Lb0EN6thrust23THRUST_200600_302600_NS6detail15normal_iteratorINS9_10device_ptrIiEEEESE_PS5_SF_jNS0_19identity_decomposerENS1_16block_id_wrapperIjLb0EEEEE10hipError_tT1_PNSt15iterator_traitsISK_E10value_typeET2_T3_PNSL_ISQ_E10value_typeET4_T5_PSV_SW_PNS1_23onesweep_lookback_stateEbbT6_jjT7_P12ihipStream_tbENKUlT_T0_SK_SP_E_clISE_PiSF_SF_EEDaS13_S14_SK_SP_EUlS13_E_NS1_11comp_targetILNS1_3genE9ELNS1_11target_archE1100ELNS1_3gpuE3ELNS1_3repE0EEENS1_47radix_sort_onesweep_sort_config_static_selectorELNS0_4arch9wavefront6targetE0EEEvSK_.kd
    .uniform_work_group_size: 1
    .uses_dynamic_stack: false
    .vgpr_count:     0
    .vgpr_spill_count: 0
    .wavefront_size: 32
    .workgroup_processor_mode: 1
  - .args:
      - .offset:         0
        .size:           88
        .value_kind:     by_value
      - .offset:         88
        .size:           4
        .value_kind:     hidden_block_count_x
      - .offset:         92
        .size:           4
        .value_kind:     hidden_block_count_y
      - .offset:         96
        .size:           4
        .value_kind:     hidden_block_count_z
      - .offset:         100
        .size:           2
        .value_kind:     hidden_group_size_x
      - .offset:         102
        .size:           2
        .value_kind:     hidden_group_size_y
      - .offset:         104
        .size:           2
        .value_kind:     hidden_group_size_z
      - .offset:         106
        .size:           2
        .value_kind:     hidden_remainder_x
      - .offset:         108
        .size:           2
        .value_kind:     hidden_remainder_y
      - .offset:         110
        .size:           2
        .value_kind:     hidden_remainder_z
      - .offset:         128
        .size:           8
        .value_kind:     hidden_global_offset_x
      - .offset:         136
        .size:           8
        .value_kind:     hidden_global_offset_y
      - .offset:         144
        .size:           8
        .value_kind:     hidden_global_offset_z
      - .offset:         152
        .size:           2
        .value_kind:     hidden_grid_dims
    .group_segment_fixed_size: 37000
    .kernarg_segment_align: 8
    .kernarg_segment_size: 344
    .language:       OpenCL C
    .language_version:
      - 2
      - 0
    .max_flat_workgroup_size: 1024
    .name:           _ZN7rocprim17ROCPRIM_400000_NS6detail17trampoline_kernelINS0_14default_configENS1_35radix_sort_onesweep_config_selectorIiNS0_10empty_typeEEEZZNS1_29radix_sort_onesweep_iterationIS3_Lb0EN6thrust23THRUST_200600_302600_NS6detail15normal_iteratorINS9_10device_ptrIiEEEESE_PS5_SF_jNS0_19identity_decomposerENS1_16block_id_wrapperIjLb0EEEEE10hipError_tT1_PNSt15iterator_traitsISK_E10value_typeET2_T3_PNSL_ISQ_E10value_typeET4_T5_PSV_SW_PNS1_23onesweep_lookback_stateEbbT6_jjT7_P12ihipStream_tbENKUlT_T0_SK_SP_E_clISE_PiSF_SF_EEDaS13_S14_SK_SP_EUlS13_E_NS1_11comp_targetILNS1_3genE8ELNS1_11target_archE1030ELNS1_3gpuE2ELNS1_3repE0EEENS1_47radix_sort_onesweep_sort_config_static_selectorELNS0_4arch9wavefront6targetE0EEEvSK_
    .private_segment_fixed_size: 0
    .sgpr_count:     27
    .sgpr_spill_count: 0
    .symbol:         _ZN7rocprim17ROCPRIM_400000_NS6detail17trampoline_kernelINS0_14default_configENS1_35radix_sort_onesweep_config_selectorIiNS0_10empty_typeEEEZZNS1_29radix_sort_onesweep_iterationIS3_Lb0EN6thrust23THRUST_200600_302600_NS6detail15normal_iteratorINS9_10device_ptrIiEEEESE_PS5_SF_jNS0_19identity_decomposerENS1_16block_id_wrapperIjLb0EEEEE10hipError_tT1_PNSt15iterator_traitsISK_E10value_typeET2_T3_PNSL_ISQ_E10value_typeET4_T5_PSV_SW_PNS1_23onesweep_lookback_stateEbbT6_jjT7_P12ihipStream_tbENKUlT_T0_SK_SP_E_clISE_PiSF_SF_EEDaS13_S14_SK_SP_EUlS13_E_NS1_11comp_targetILNS1_3genE8ELNS1_11target_archE1030ELNS1_3gpuE2ELNS1_3repE0EEENS1_47radix_sort_onesweep_sort_config_static_selectorELNS0_4arch9wavefront6targetE0EEEvSK_.kd
    .uniform_work_group_size: 1
    .uses_dynamic_stack: false
    .vgpr_count:     34
    .vgpr_spill_count: 0
    .wavefront_size: 32
    .workgroup_processor_mode: 1
  - .args:
      - .offset:         0
        .size:           88
        .value_kind:     by_value
    .group_segment_fixed_size: 0
    .kernarg_segment_align: 8
    .kernarg_segment_size: 88
    .language:       OpenCL C
    .language_version:
      - 2
      - 0
    .max_flat_workgroup_size: 512
    .name:           _ZN7rocprim17ROCPRIM_400000_NS6detail17trampoline_kernelINS0_14default_configENS1_35radix_sort_onesweep_config_selectorIiNS0_10empty_typeEEEZZNS1_29radix_sort_onesweep_iterationIS3_Lb0EN6thrust23THRUST_200600_302600_NS6detail15normal_iteratorINS9_10device_ptrIiEEEESE_PS5_SF_jNS0_19identity_decomposerENS1_16block_id_wrapperIjLb0EEEEE10hipError_tT1_PNSt15iterator_traitsISK_E10value_typeET2_T3_PNSL_ISQ_E10value_typeET4_T5_PSV_SW_PNS1_23onesweep_lookback_stateEbbT6_jjT7_P12ihipStream_tbENKUlT_T0_SK_SP_E_clIPiSE_SF_SF_EEDaS13_S14_SK_SP_EUlS13_E_NS1_11comp_targetILNS1_3genE0ELNS1_11target_archE4294967295ELNS1_3gpuE0ELNS1_3repE0EEENS1_47radix_sort_onesweep_sort_config_static_selectorELNS0_4arch9wavefront6targetE0EEEvSK_
    .private_segment_fixed_size: 0
    .sgpr_count:     0
    .sgpr_spill_count: 0
    .symbol:         _ZN7rocprim17ROCPRIM_400000_NS6detail17trampoline_kernelINS0_14default_configENS1_35radix_sort_onesweep_config_selectorIiNS0_10empty_typeEEEZZNS1_29radix_sort_onesweep_iterationIS3_Lb0EN6thrust23THRUST_200600_302600_NS6detail15normal_iteratorINS9_10device_ptrIiEEEESE_PS5_SF_jNS0_19identity_decomposerENS1_16block_id_wrapperIjLb0EEEEE10hipError_tT1_PNSt15iterator_traitsISK_E10value_typeET2_T3_PNSL_ISQ_E10value_typeET4_T5_PSV_SW_PNS1_23onesweep_lookback_stateEbbT6_jjT7_P12ihipStream_tbENKUlT_T0_SK_SP_E_clIPiSE_SF_SF_EEDaS13_S14_SK_SP_EUlS13_E_NS1_11comp_targetILNS1_3genE0ELNS1_11target_archE4294967295ELNS1_3gpuE0ELNS1_3repE0EEENS1_47radix_sort_onesweep_sort_config_static_selectorELNS0_4arch9wavefront6targetE0EEEvSK_.kd
    .uniform_work_group_size: 1
    .uses_dynamic_stack: false
    .vgpr_count:     0
    .vgpr_spill_count: 0
    .wavefront_size: 32
    .workgroup_processor_mode: 1
  - .args:
      - .offset:         0
        .size:           88
        .value_kind:     by_value
    .group_segment_fixed_size: 0
    .kernarg_segment_align: 8
    .kernarg_segment_size: 88
    .language:       OpenCL C
    .language_version:
      - 2
      - 0
    .max_flat_workgroup_size: 1024
    .name:           _ZN7rocprim17ROCPRIM_400000_NS6detail17trampoline_kernelINS0_14default_configENS1_35radix_sort_onesweep_config_selectorIiNS0_10empty_typeEEEZZNS1_29radix_sort_onesweep_iterationIS3_Lb0EN6thrust23THRUST_200600_302600_NS6detail15normal_iteratorINS9_10device_ptrIiEEEESE_PS5_SF_jNS0_19identity_decomposerENS1_16block_id_wrapperIjLb0EEEEE10hipError_tT1_PNSt15iterator_traitsISK_E10value_typeET2_T3_PNSL_ISQ_E10value_typeET4_T5_PSV_SW_PNS1_23onesweep_lookback_stateEbbT6_jjT7_P12ihipStream_tbENKUlT_T0_SK_SP_E_clIPiSE_SF_SF_EEDaS13_S14_SK_SP_EUlS13_E_NS1_11comp_targetILNS1_3genE6ELNS1_11target_archE950ELNS1_3gpuE13ELNS1_3repE0EEENS1_47radix_sort_onesweep_sort_config_static_selectorELNS0_4arch9wavefront6targetE0EEEvSK_
    .private_segment_fixed_size: 0
    .sgpr_count:     0
    .sgpr_spill_count: 0
    .symbol:         _ZN7rocprim17ROCPRIM_400000_NS6detail17trampoline_kernelINS0_14default_configENS1_35radix_sort_onesweep_config_selectorIiNS0_10empty_typeEEEZZNS1_29radix_sort_onesweep_iterationIS3_Lb0EN6thrust23THRUST_200600_302600_NS6detail15normal_iteratorINS9_10device_ptrIiEEEESE_PS5_SF_jNS0_19identity_decomposerENS1_16block_id_wrapperIjLb0EEEEE10hipError_tT1_PNSt15iterator_traitsISK_E10value_typeET2_T3_PNSL_ISQ_E10value_typeET4_T5_PSV_SW_PNS1_23onesweep_lookback_stateEbbT6_jjT7_P12ihipStream_tbENKUlT_T0_SK_SP_E_clIPiSE_SF_SF_EEDaS13_S14_SK_SP_EUlS13_E_NS1_11comp_targetILNS1_3genE6ELNS1_11target_archE950ELNS1_3gpuE13ELNS1_3repE0EEENS1_47radix_sort_onesweep_sort_config_static_selectorELNS0_4arch9wavefront6targetE0EEEvSK_.kd
    .uniform_work_group_size: 1
    .uses_dynamic_stack: false
    .vgpr_count:     0
    .vgpr_spill_count: 0
    .wavefront_size: 32
    .workgroup_processor_mode: 1
  - .args:
      - .offset:         0
        .size:           88
        .value_kind:     by_value
    .group_segment_fixed_size: 0
    .kernarg_segment_align: 8
    .kernarg_segment_size: 88
    .language:       OpenCL C
    .language_version:
      - 2
      - 0
    .max_flat_workgroup_size: 1024
    .name:           _ZN7rocprim17ROCPRIM_400000_NS6detail17trampoline_kernelINS0_14default_configENS1_35radix_sort_onesweep_config_selectorIiNS0_10empty_typeEEEZZNS1_29radix_sort_onesweep_iterationIS3_Lb0EN6thrust23THRUST_200600_302600_NS6detail15normal_iteratorINS9_10device_ptrIiEEEESE_PS5_SF_jNS0_19identity_decomposerENS1_16block_id_wrapperIjLb0EEEEE10hipError_tT1_PNSt15iterator_traitsISK_E10value_typeET2_T3_PNSL_ISQ_E10value_typeET4_T5_PSV_SW_PNS1_23onesweep_lookback_stateEbbT6_jjT7_P12ihipStream_tbENKUlT_T0_SK_SP_E_clIPiSE_SF_SF_EEDaS13_S14_SK_SP_EUlS13_E_NS1_11comp_targetILNS1_3genE5ELNS1_11target_archE942ELNS1_3gpuE9ELNS1_3repE0EEENS1_47radix_sort_onesweep_sort_config_static_selectorELNS0_4arch9wavefront6targetE0EEEvSK_
    .private_segment_fixed_size: 0
    .sgpr_count:     0
    .sgpr_spill_count: 0
    .symbol:         _ZN7rocprim17ROCPRIM_400000_NS6detail17trampoline_kernelINS0_14default_configENS1_35radix_sort_onesweep_config_selectorIiNS0_10empty_typeEEEZZNS1_29radix_sort_onesweep_iterationIS3_Lb0EN6thrust23THRUST_200600_302600_NS6detail15normal_iteratorINS9_10device_ptrIiEEEESE_PS5_SF_jNS0_19identity_decomposerENS1_16block_id_wrapperIjLb0EEEEE10hipError_tT1_PNSt15iterator_traitsISK_E10value_typeET2_T3_PNSL_ISQ_E10value_typeET4_T5_PSV_SW_PNS1_23onesweep_lookback_stateEbbT6_jjT7_P12ihipStream_tbENKUlT_T0_SK_SP_E_clIPiSE_SF_SF_EEDaS13_S14_SK_SP_EUlS13_E_NS1_11comp_targetILNS1_3genE5ELNS1_11target_archE942ELNS1_3gpuE9ELNS1_3repE0EEENS1_47radix_sort_onesweep_sort_config_static_selectorELNS0_4arch9wavefront6targetE0EEEvSK_.kd
    .uniform_work_group_size: 1
    .uses_dynamic_stack: false
    .vgpr_count:     0
    .vgpr_spill_count: 0
    .wavefront_size: 32
    .workgroup_processor_mode: 1
  - .args:
      - .offset:         0
        .size:           88
        .value_kind:     by_value
    .group_segment_fixed_size: 0
    .kernarg_segment_align: 8
    .kernarg_segment_size: 88
    .language:       OpenCL C
    .language_version:
      - 2
      - 0
    .max_flat_workgroup_size: 1024
    .name:           _ZN7rocprim17ROCPRIM_400000_NS6detail17trampoline_kernelINS0_14default_configENS1_35radix_sort_onesweep_config_selectorIiNS0_10empty_typeEEEZZNS1_29radix_sort_onesweep_iterationIS3_Lb0EN6thrust23THRUST_200600_302600_NS6detail15normal_iteratorINS9_10device_ptrIiEEEESE_PS5_SF_jNS0_19identity_decomposerENS1_16block_id_wrapperIjLb0EEEEE10hipError_tT1_PNSt15iterator_traitsISK_E10value_typeET2_T3_PNSL_ISQ_E10value_typeET4_T5_PSV_SW_PNS1_23onesweep_lookback_stateEbbT6_jjT7_P12ihipStream_tbENKUlT_T0_SK_SP_E_clIPiSE_SF_SF_EEDaS13_S14_SK_SP_EUlS13_E_NS1_11comp_targetILNS1_3genE2ELNS1_11target_archE906ELNS1_3gpuE6ELNS1_3repE0EEENS1_47radix_sort_onesweep_sort_config_static_selectorELNS0_4arch9wavefront6targetE0EEEvSK_
    .private_segment_fixed_size: 0
    .sgpr_count:     0
    .sgpr_spill_count: 0
    .symbol:         _ZN7rocprim17ROCPRIM_400000_NS6detail17trampoline_kernelINS0_14default_configENS1_35radix_sort_onesweep_config_selectorIiNS0_10empty_typeEEEZZNS1_29radix_sort_onesweep_iterationIS3_Lb0EN6thrust23THRUST_200600_302600_NS6detail15normal_iteratorINS9_10device_ptrIiEEEESE_PS5_SF_jNS0_19identity_decomposerENS1_16block_id_wrapperIjLb0EEEEE10hipError_tT1_PNSt15iterator_traitsISK_E10value_typeET2_T3_PNSL_ISQ_E10value_typeET4_T5_PSV_SW_PNS1_23onesweep_lookback_stateEbbT6_jjT7_P12ihipStream_tbENKUlT_T0_SK_SP_E_clIPiSE_SF_SF_EEDaS13_S14_SK_SP_EUlS13_E_NS1_11comp_targetILNS1_3genE2ELNS1_11target_archE906ELNS1_3gpuE6ELNS1_3repE0EEENS1_47radix_sort_onesweep_sort_config_static_selectorELNS0_4arch9wavefront6targetE0EEEvSK_.kd
    .uniform_work_group_size: 1
    .uses_dynamic_stack: false
    .vgpr_count:     0
    .vgpr_spill_count: 0
    .wavefront_size: 32
    .workgroup_processor_mode: 1
  - .args:
      - .offset:         0
        .size:           88
        .value_kind:     by_value
    .group_segment_fixed_size: 0
    .kernarg_segment_align: 8
    .kernarg_segment_size: 88
    .language:       OpenCL C
    .language_version:
      - 2
      - 0
    .max_flat_workgroup_size: 1024
    .name:           _ZN7rocprim17ROCPRIM_400000_NS6detail17trampoline_kernelINS0_14default_configENS1_35radix_sort_onesweep_config_selectorIiNS0_10empty_typeEEEZZNS1_29radix_sort_onesweep_iterationIS3_Lb0EN6thrust23THRUST_200600_302600_NS6detail15normal_iteratorINS9_10device_ptrIiEEEESE_PS5_SF_jNS0_19identity_decomposerENS1_16block_id_wrapperIjLb0EEEEE10hipError_tT1_PNSt15iterator_traitsISK_E10value_typeET2_T3_PNSL_ISQ_E10value_typeET4_T5_PSV_SW_PNS1_23onesweep_lookback_stateEbbT6_jjT7_P12ihipStream_tbENKUlT_T0_SK_SP_E_clIPiSE_SF_SF_EEDaS13_S14_SK_SP_EUlS13_E_NS1_11comp_targetILNS1_3genE4ELNS1_11target_archE910ELNS1_3gpuE8ELNS1_3repE0EEENS1_47radix_sort_onesweep_sort_config_static_selectorELNS0_4arch9wavefront6targetE0EEEvSK_
    .private_segment_fixed_size: 0
    .sgpr_count:     0
    .sgpr_spill_count: 0
    .symbol:         _ZN7rocprim17ROCPRIM_400000_NS6detail17trampoline_kernelINS0_14default_configENS1_35radix_sort_onesweep_config_selectorIiNS0_10empty_typeEEEZZNS1_29radix_sort_onesweep_iterationIS3_Lb0EN6thrust23THRUST_200600_302600_NS6detail15normal_iteratorINS9_10device_ptrIiEEEESE_PS5_SF_jNS0_19identity_decomposerENS1_16block_id_wrapperIjLb0EEEEE10hipError_tT1_PNSt15iterator_traitsISK_E10value_typeET2_T3_PNSL_ISQ_E10value_typeET4_T5_PSV_SW_PNS1_23onesweep_lookback_stateEbbT6_jjT7_P12ihipStream_tbENKUlT_T0_SK_SP_E_clIPiSE_SF_SF_EEDaS13_S14_SK_SP_EUlS13_E_NS1_11comp_targetILNS1_3genE4ELNS1_11target_archE910ELNS1_3gpuE8ELNS1_3repE0EEENS1_47radix_sort_onesweep_sort_config_static_selectorELNS0_4arch9wavefront6targetE0EEEvSK_.kd
    .uniform_work_group_size: 1
    .uses_dynamic_stack: false
    .vgpr_count:     0
    .vgpr_spill_count: 0
    .wavefront_size: 32
    .workgroup_processor_mode: 1
  - .args:
      - .offset:         0
        .size:           88
        .value_kind:     by_value
    .group_segment_fixed_size: 0
    .kernarg_segment_align: 8
    .kernarg_segment_size: 88
    .language:       OpenCL C
    .language_version:
      - 2
      - 0
    .max_flat_workgroup_size: 512
    .name:           _ZN7rocprim17ROCPRIM_400000_NS6detail17trampoline_kernelINS0_14default_configENS1_35radix_sort_onesweep_config_selectorIiNS0_10empty_typeEEEZZNS1_29radix_sort_onesweep_iterationIS3_Lb0EN6thrust23THRUST_200600_302600_NS6detail15normal_iteratorINS9_10device_ptrIiEEEESE_PS5_SF_jNS0_19identity_decomposerENS1_16block_id_wrapperIjLb0EEEEE10hipError_tT1_PNSt15iterator_traitsISK_E10value_typeET2_T3_PNSL_ISQ_E10value_typeET4_T5_PSV_SW_PNS1_23onesweep_lookback_stateEbbT6_jjT7_P12ihipStream_tbENKUlT_T0_SK_SP_E_clIPiSE_SF_SF_EEDaS13_S14_SK_SP_EUlS13_E_NS1_11comp_targetILNS1_3genE3ELNS1_11target_archE908ELNS1_3gpuE7ELNS1_3repE0EEENS1_47radix_sort_onesweep_sort_config_static_selectorELNS0_4arch9wavefront6targetE0EEEvSK_
    .private_segment_fixed_size: 0
    .sgpr_count:     0
    .sgpr_spill_count: 0
    .symbol:         _ZN7rocprim17ROCPRIM_400000_NS6detail17trampoline_kernelINS0_14default_configENS1_35radix_sort_onesweep_config_selectorIiNS0_10empty_typeEEEZZNS1_29radix_sort_onesweep_iterationIS3_Lb0EN6thrust23THRUST_200600_302600_NS6detail15normal_iteratorINS9_10device_ptrIiEEEESE_PS5_SF_jNS0_19identity_decomposerENS1_16block_id_wrapperIjLb0EEEEE10hipError_tT1_PNSt15iterator_traitsISK_E10value_typeET2_T3_PNSL_ISQ_E10value_typeET4_T5_PSV_SW_PNS1_23onesweep_lookback_stateEbbT6_jjT7_P12ihipStream_tbENKUlT_T0_SK_SP_E_clIPiSE_SF_SF_EEDaS13_S14_SK_SP_EUlS13_E_NS1_11comp_targetILNS1_3genE3ELNS1_11target_archE908ELNS1_3gpuE7ELNS1_3repE0EEENS1_47radix_sort_onesweep_sort_config_static_selectorELNS0_4arch9wavefront6targetE0EEEvSK_.kd
    .uniform_work_group_size: 1
    .uses_dynamic_stack: false
    .vgpr_count:     0
    .vgpr_spill_count: 0
    .wavefront_size: 32
    .workgroup_processor_mode: 1
  - .args:
      - .offset:         0
        .size:           88
        .value_kind:     by_value
    .group_segment_fixed_size: 0
    .kernarg_segment_align: 8
    .kernarg_segment_size: 88
    .language:       OpenCL C
    .language_version:
      - 2
      - 0
    .max_flat_workgroup_size: 1024
    .name:           _ZN7rocprim17ROCPRIM_400000_NS6detail17trampoline_kernelINS0_14default_configENS1_35radix_sort_onesweep_config_selectorIiNS0_10empty_typeEEEZZNS1_29radix_sort_onesweep_iterationIS3_Lb0EN6thrust23THRUST_200600_302600_NS6detail15normal_iteratorINS9_10device_ptrIiEEEESE_PS5_SF_jNS0_19identity_decomposerENS1_16block_id_wrapperIjLb0EEEEE10hipError_tT1_PNSt15iterator_traitsISK_E10value_typeET2_T3_PNSL_ISQ_E10value_typeET4_T5_PSV_SW_PNS1_23onesweep_lookback_stateEbbT6_jjT7_P12ihipStream_tbENKUlT_T0_SK_SP_E_clIPiSE_SF_SF_EEDaS13_S14_SK_SP_EUlS13_E_NS1_11comp_targetILNS1_3genE10ELNS1_11target_archE1201ELNS1_3gpuE5ELNS1_3repE0EEENS1_47radix_sort_onesweep_sort_config_static_selectorELNS0_4arch9wavefront6targetE0EEEvSK_
    .private_segment_fixed_size: 0
    .sgpr_count:     0
    .sgpr_spill_count: 0
    .symbol:         _ZN7rocprim17ROCPRIM_400000_NS6detail17trampoline_kernelINS0_14default_configENS1_35radix_sort_onesweep_config_selectorIiNS0_10empty_typeEEEZZNS1_29radix_sort_onesweep_iterationIS3_Lb0EN6thrust23THRUST_200600_302600_NS6detail15normal_iteratorINS9_10device_ptrIiEEEESE_PS5_SF_jNS0_19identity_decomposerENS1_16block_id_wrapperIjLb0EEEEE10hipError_tT1_PNSt15iterator_traitsISK_E10value_typeET2_T3_PNSL_ISQ_E10value_typeET4_T5_PSV_SW_PNS1_23onesweep_lookback_stateEbbT6_jjT7_P12ihipStream_tbENKUlT_T0_SK_SP_E_clIPiSE_SF_SF_EEDaS13_S14_SK_SP_EUlS13_E_NS1_11comp_targetILNS1_3genE10ELNS1_11target_archE1201ELNS1_3gpuE5ELNS1_3repE0EEENS1_47radix_sort_onesweep_sort_config_static_selectorELNS0_4arch9wavefront6targetE0EEEvSK_.kd
    .uniform_work_group_size: 1
    .uses_dynamic_stack: false
    .vgpr_count:     0
    .vgpr_spill_count: 0
    .wavefront_size: 32
    .workgroup_processor_mode: 1
  - .args:
      - .offset:         0
        .size:           88
        .value_kind:     by_value
    .group_segment_fixed_size: 0
    .kernarg_segment_align: 8
    .kernarg_segment_size: 88
    .language:       OpenCL C
    .language_version:
      - 2
      - 0
    .max_flat_workgroup_size: 1024
    .name:           _ZN7rocprim17ROCPRIM_400000_NS6detail17trampoline_kernelINS0_14default_configENS1_35radix_sort_onesweep_config_selectorIiNS0_10empty_typeEEEZZNS1_29radix_sort_onesweep_iterationIS3_Lb0EN6thrust23THRUST_200600_302600_NS6detail15normal_iteratorINS9_10device_ptrIiEEEESE_PS5_SF_jNS0_19identity_decomposerENS1_16block_id_wrapperIjLb0EEEEE10hipError_tT1_PNSt15iterator_traitsISK_E10value_typeET2_T3_PNSL_ISQ_E10value_typeET4_T5_PSV_SW_PNS1_23onesweep_lookback_stateEbbT6_jjT7_P12ihipStream_tbENKUlT_T0_SK_SP_E_clIPiSE_SF_SF_EEDaS13_S14_SK_SP_EUlS13_E_NS1_11comp_targetILNS1_3genE9ELNS1_11target_archE1100ELNS1_3gpuE3ELNS1_3repE0EEENS1_47radix_sort_onesweep_sort_config_static_selectorELNS0_4arch9wavefront6targetE0EEEvSK_
    .private_segment_fixed_size: 0
    .sgpr_count:     0
    .sgpr_spill_count: 0
    .symbol:         _ZN7rocprim17ROCPRIM_400000_NS6detail17trampoline_kernelINS0_14default_configENS1_35radix_sort_onesweep_config_selectorIiNS0_10empty_typeEEEZZNS1_29radix_sort_onesweep_iterationIS3_Lb0EN6thrust23THRUST_200600_302600_NS6detail15normal_iteratorINS9_10device_ptrIiEEEESE_PS5_SF_jNS0_19identity_decomposerENS1_16block_id_wrapperIjLb0EEEEE10hipError_tT1_PNSt15iterator_traitsISK_E10value_typeET2_T3_PNSL_ISQ_E10value_typeET4_T5_PSV_SW_PNS1_23onesweep_lookback_stateEbbT6_jjT7_P12ihipStream_tbENKUlT_T0_SK_SP_E_clIPiSE_SF_SF_EEDaS13_S14_SK_SP_EUlS13_E_NS1_11comp_targetILNS1_3genE9ELNS1_11target_archE1100ELNS1_3gpuE3ELNS1_3repE0EEENS1_47radix_sort_onesweep_sort_config_static_selectorELNS0_4arch9wavefront6targetE0EEEvSK_.kd
    .uniform_work_group_size: 1
    .uses_dynamic_stack: false
    .vgpr_count:     0
    .vgpr_spill_count: 0
    .wavefront_size: 32
    .workgroup_processor_mode: 1
  - .args:
      - .offset:         0
        .size:           88
        .value_kind:     by_value
      - .offset:         88
        .size:           4
        .value_kind:     hidden_block_count_x
      - .offset:         92
        .size:           4
        .value_kind:     hidden_block_count_y
      - .offset:         96
        .size:           4
        .value_kind:     hidden_block_count_z
      - .offset:         100
        .size:           2
        .value_kind:     hidden_group_size_x
      - .offset:         102
        .size:           2
        .value_kind:     hidden_group_size_y
      - .offset:         104
        .size:           2
        .value_kind:     hidden_group_size_z
      - .offset:         106
        .size:           2
        .value_kind:     hidden_remainder_x
      - .offset:         108
        .size:           2
        .value_kind:     hidden_remainder_y
      - .offset:         110
        .size:           2
        .value_kind:     hidden_remainder_z
      - .offset:         128
        .size:           8
        .value_kind:     hidden_global_offset_x
      - .offset:         136
        .size:           8
        .value_kind:     hidden_global_offset_y
      - .offset:         144
        .size:           8
        .value_kind:     hidden_global_offset_z
      - .offset:         152
        .size:           2
        .value_kind:     hidden_grid_dims
    .group_segment_fixed_size: 37000
    .kernarg_segment_align: 8
    .kernarg_segment_size: 344
    .language:       OpenCL C
    .language_version:
      - 2
      - 0
    .max_flat_workgroup_size: 1024
    .name:           _ZN7rocprim17ROCPRIM_400000_NS6detail17trampoline_kernelINS0_14default_configENS1_35radix_sort_onesweep_config_selectorIiNS0_10empty_typeEEEZZNS1_29radix_sort_onesweep_iterationIS3_Lb0EN6thrust23THRUST_200600_302600_NS6detail15normal_iteratorINS9_10device_ptrIiEEEESE_PS5_SF_jNS0_19identity_decomposerENS1_16block_id_wrapperIjLb0EEEEE10hipError_tT1_PNSt15iterator_traitsISK_E10value_typeET2_T3_PNSL_ISQ_E10value_typeET4_T5_PSV_SW_PNS1_23onesweep_lookback_stateEbbT6_jjT7_P12ihipStream_tbENKUlT_T0_SK_SP_E_clIPiSE_SF_SF_EEDaS13_S14_SK_SP_EUlS13_E_NS1_11comp_targetILNS1_3genE8ELNS1_11target_archE1030ELNS1_3gpuE2ELNS1_3repE0EEENS1_47radix_sort_onesweep_sort_config_static_selectorELNS0_4arch9wavefront6targetE0EEEvSK_
    .private_segment_fixed_size: 0
    .sgpr_count:     27
    .sgpr_spill_count: 0
    .symbol:         _ZN7rocprim17ROCPRIM_400000_NS6detail17trampoline_kernelINS0_14default_configENS1_35radix_sort_onesweep_config_selectorIiNS0_10empty_typeEEEZZNS1_29radix_sort_onesweep_iterationIS3_Lb0EN6thrust23THRUST_200600_302600_NS6detail15normal_iteratorINS9_10device_ptrIiEEEESE_PS5_SF_jNS0_19identity_decomposerENS1_16block_id_wrapperIjLb0EEEEE10hipError_tT1_PNSt15iterator_traitsISK_E10value_typeET2_T3_PNSL_ISQ_E10value_typeET4_T5_PSV_SW_PNS1_23onesweep_lookback_stateEbbT6_jjT7_P12ihipStream_tbENKUlT_T0_SK_SP_E_clIPiSE_SF_SF_EEDaS13_S14_SK_SP_EUlS13_E_NS1_11comp_targetILNS1_3genE8ELNS1_11target_archE1030ELNS1_3gpuE2ELNS1_3repE0EEENS1_47radix_sort_onesweep_sort_config_static_selectorELNS0_4arch9wavefront6targetE0EEEvSK_.kd
    .uniform_work_group_size: 1
    .uses_dynamic_stack: false
    .vgpr_count:     34
    .vgpr_spill_count: 0
    .wavefront_size: 32
    .workgroup_processor_mode: 1
  - .args:
      - .offset:         0
        .size:           48
        .value_kind:     by_value
    .group_segment_fixed_size: 0
    .kernarg_segment_align: 8
    .kernarg_segment_size: 48
    .language:       OpenCL C
    .language_version:
      - 2
      - 0
    .max_flat_workgroup_size: 256
    .name:           _ZN7rocprim17ROCPRIM_400000_NS6detail17trampoline_kernelINS0_13kernel_configILj256ELj4ELj4294967295EEENS1_37radix_sort_block_sort_config_selectorIiNS0_10empty_typeEEEZNS1_21radix_sort_block_sortIS4_Lb1EN6thrust23THRUST_200600_302600_NS6detail15normal_iteratorINSA_10device_ptrIiEEEESF_PS6_SG_NS0_19identity_decomposerEEE10hipError_tT1_T2_T3_T4_jRjT5_jjP12ihipStream_tbEUlT_E_NS1_11comp_targetILNS1_3genE0ELNS1_11target_archE4294967295ELNS1_3gpuE0ELNS1_3repE0EEENS1_44radix_sort_block_sort_config_static_selectorELNS0_4arch9wavefront6targetE0EEEvSJ_
    .private_segment_fixed_size: 0
    .sgpr_count:     0
    .sgpr_spill_count: 0
    .symbol:         _ZN7rocprim17ROCPRIM_400000_NS6detail17trampoline_kernelINS0_13kernel_configILj256ELj4ELj4294967295EEENS1_37radix_sort_block_sort_config_selectorIiNS0_10empty_typeEEEZNS1_21radix_sort_block_sortIS4_Lb1EN6thrust23THRUST_200600_302600_NS6detail15normal_iteratorINSA_10device_ptrIiEEEESF_PS6_SG_NS0_19identity_decomposerEEE10hipError_tT1_T2_T3_T4_jRjT5_jjP12ihipStream_tbEUlT_E_NS1_11comp_targetILNS1_3genE0ELNS1_11target_archE4294967295ELNS1_3gpuE0ELNS1_3repE0EEENS1_44radix_sort_block_sort_config_static_selectorELNS0_4arch9wavefront6targetE0EEEvSJ_.kd
    .uniform_work_group_size: 1
    .uses_dynamic_stack: false
    .vgpr_count:     0
    .vgpr_spill_count: 0
    .wavefront_size: 32
    .workgroup_processor_mode: 1
  - .args:
      - .offset:         0
        .size:           48
        .value_kind:     by_value
    .group_segment_fixed_size: 0
    .kernarg_segment_align: 8
    .kernarg_segment_size: 48
    .language:       OpenCL C
    .language_version:
      - 2
      - 0
    .max_flat_workgroup_size: 256
    .name:           _ZN7rocprim17ROCPRIM_400000_NS6detail17trampoline_kernelINS0_13kernel_configILj256ELj4ELj4294967295EEENS1_37radix_sort_block_sort_config_selectorIiNS0_10empty_typeEEEZNS1_21radix_sort_block_sortIS4_Lb1EN6thrust23THRUST_200600_302600_NS6detail15normal_iteratorINSA_10device_ptrIiEEEESF_PS6_SG_NS0_19identity_decomposerEEE10hipError_tT1_T2_T3_T4_jRjT5_jjP12ihipStream_tbEUlT_E_NS1_11comp_targetILNS1_3genE5ELNS1_11target_archE942ELNS1_3gpuE9ELNS1_3repE0EEENS1_44radix_sort_block_sort_config_static_selectorELNS0_4arch9wavefront6targetE0EEEvSJ_
    .private_segment_fixed_size: 0
    .sgpr_count:     0
    .sgpr_spill_count: 0
    .symbol:         _ZN7rocprim17ROCPRIM_400000_NS6detail17trampoline_kernelINS0_13kernel_configILj256ELj4ELj4294967295EEENS1_37radix_sort_block_sort_config_selectorIiNS0_10empty_typeEEEZNS1_21radix_sort_block_sortIS4_Lb1EN6thrust23THRUST_200600_302600_NS6detail15normal_iteratorINSA_10device_ptrIiEEEESF_PS6_SG_NS0_19identity_decomposerEEE10hipError_tT1_T2_T3_T4_jRjT5_jjP12ihipStream_tbEUlT_E_NS1_11comp_targetILNS1_3genE5ELNS1_11target_archE942ELNS1_3gpuE9ELNS1_3repE0EEENS1_44radix_sort_block_sort_config_static_selectorELNS0_4arch9wavefront6targetE0EEEvSJ_.kd
    .uniform_work_group_size: 1
    .uses_dynamic_stack: false
    .vgpr_count:     0
    .vgpr_spill_count: 0
    .wavefront_size: 32
    .workgroup_processor_mode: 1
  - .args:
      - .offset:         0
        .size:           48
        .value_kind:     by_value
    .group_segment_fixed_size: 0
    .kernarg_segment_align: 8
    .kernarg_segment_size: 48
    .language:       OpenCL C
    .language_version:
      - 2
      - 0
    .max_flat_workgroup_size: 256
    .name:           _ZN7rocprim17ROCPRIM_400000_NS6detail17trampoline_kernelINS0_13kernel_configILj256ELj4ELj4294967295EEENS1_37radix_sort_block_sort_config_selectorIiNS0_10empty_typeEEEZNS1_21radix_sort_block_sortIS4_Lb1EN6thrust23THRUST_200600_302600_NS6detail15normal_iteratorINSA_10device_ptrIiEEEESF_PS6_SG_NS0_19identity_decomposerEEE10hipError_tT1_T2_T3_T4_jRjT5_jjP12ihipStream_tbEUlT_E_NS1_11comp_targetILNS1_3genE4ELNS1_11target_archE910ELNS1_3gpuE8ELNS1_3repE0EEENS1_44radix_sort_block_sort_config_static_selectorELNS0_4arch9wavefront6targetE0EEEvSJ_
    .private_segment_fixed_size: 0
    .sgpr_count:     0
    .sgpr_spill_count: 0
    .symbol:         _ZN7rocprim17ROCPRIM_400000_NS6detail17trampoline_kernelINS0_13kernel_configILj256ELj4ELj4294967295EEENS1_37radix_sort_block_sort_config_selectorIiNS0_10empty_typeEEEZNS1_21radix_sort_block_sortIS4_Lb1EN6thrust23THRUST_200600_302600_NS6detail15normal_iteratorINSA_10device_ptrIiEEEESF_PS6_SG_NS0_19identity_decomposerEEE10hipError_tT1_T2_T3_T4_jRjT5_jjP12ihipStream_tbEUlT_E_NS1_11comp_targetILNS1_3genE4ELNS1_11target_archE910ELNS1_3gpuE8ELNS1_3repE0EEENS1_44radix_sort_block_sort_config_static_selectorELNS0_4arch9wavefront6targetE0EEEvSJ_.kd
    .uniform_work_group_size: 1
    .uses_dynamic_stack: false
    .vgpr_count:     0
    .vgpr_spill_count: 0
    .wavefront_size: 32
    .workgroup_processor_mode: 1
  - .args:
      - .offset:         0
        .size:           48
        .value_kind:     by_value
    .group_segment_fixed_size: 0
    .kernarg_segment_align: 8
    .kernarg_segment_size: 48
    .language:       OpenCL C
    .language_version:
      - 2
      - 0
    .max_flat_workgroup_size: 256
    .name:           _ZN7rocprim17ROCPRIM_400000_NS6detail17trampoline_kernelINS0_13kernel_configILj256ELj4ELj4294967295EEENS1_37radix_sort_block_sort_config_selectorIiNS0_10empty_typeEEEZNS1_21radix_sort_block_sortIS4_Lb1EN6thrust23THRUST_200600_302600_NS6detail15normal_iteratorINSA_10device_ptrIiEEEESF_PS6_SG_NS0_19identity_decomposerEEE10hipError_tT1_T2_T3_T4_jRjT5_jjP12ihipStream_tbEUlT_E_NS1_11comp_targetILNS1_3genE3ELNS1_11target_archE908ELNS1_3gpuE7ELNS1_3repE0EEENS1_44radix_sort_block_sort_config_static_selectorELNS0_4arch9wavefront6targetE0EEEvSJ_
    .private_segment_fixed_size: 0
    .sgpr_count:     0
    .sgpr_spill_count: 0
    .symbol:         _ZN7rocprim17ROCPRIM_400000_NS6detail17trampoline_kernelINS0_13kernel_configILj256ELj4ELj4294967295EEENS1_37radix_sort_block_sort_config_selectorIiNS0_10empty_typeEEEZNS1_21radix_sort_block_sortIS4_Lb1EN6thrust23THRUST_200600_302600_NS6detail15normal_iteratorINSA_10device_ptrIiEEEESF_PS6_SG_NS0_19identity_decomposerEEE10hipError_tT1_T2_T3_T4_jRjT5_jjP12ihipStream_tbEUlT_E_NS1_11comp_targetILNS1_3genE3ELNS1_11target_archE908ELNS1_3gpuE7ELNS1_3repE0EEENS1_44radix_sort_block_sort_config_static_selectorELNS0_4arch9wavefront6targetE0EEEvSJ_.kd
    .uniform_work_group_size: 1
    .uses_dynamic_stack: false
    .vgpr_count:     0
    .vgpr_spill_count: 0
    .wavefront_size: 32
    .workgroup_processor_mode: 1
  - .args:
      - .offset:         0
        .size:           48
        .value_kind:     by_value
    .group_segment_fixed_size: 0
    .kernarg_segment_align: 8
    .kernarg_segment_size: 48
    .language:       OpenCL C
    .language_version:
      - 2
      - 0
    .max_flat_workgroup_size: 256
    .name:           _ZN7rocprim17ROCPRIM_400000_NS6detail17trampoline_kernelINS0_13kernel_configILj256ELj4ELj4294967295EEENS1_37radix_sort_block_sort_config_selectorIiNS0_10empty_typeEEEZNS1_21radix_sort_block_sortIS4_Lb1EN6thrust23THRUST_200600_302600_NS6detail15normal_iteratorINSA_10device_ptrIiEEEESF_PS6_SG_NS0_19identity_decomposerEEE10hipError_tT1_T2_T3_T4_jRjT5_jjP12ihipStream_tbEUlT_E_NS1_11comp_targetILNS1_3genE2ELNS1_11target_archE906ELNS1_3gpuE6ELNS1_3repE0EEENS1_44radix_sort_block_sort_config_static_selectorELNS0_4arch9wavefront6targetE0EEEvSJ_
    .private_segment_fixed_size: 0
    .sgpr_count:     0
    .sgpr_spill_count: 0
    .symbol:         _ZN7rocprim17ROCPRIM_400000_NS6detail17trampoline_kernelINS0_13kernel_configILj256ELj4ELj4294967295EEENS1_37radix_sort_block_sort_config_selectorIiNS0_10empty_typeEEEZNS1_21radix_sort_block_sortIS4_Lb1EN6thrust23THRUST_200600_302600_NS6detail15normal_iteratorINSA_10device_ptrIiEEEESF_PS6_SG_NS0_19identity_decomposerEEE10hipError_tT1_T2_T3_T4_jRjT5_jjP12ihipStream_tbEUlT_E_NS1_11comp_targetILNS1_3genE2ELNS1_11target_archE906ELNS1_3gpuE6ELNS1_3repE0EEENS1_44radix_sort_block_sort_config_static_selectorELNS0_4arch9wavefront6targetE0EEEvSJ_.kd
    .uniform_work_group_size: 1
    .uses_dynamic_stack: false
    .vgpr_count:     0
    .vgpr_spill_count: 0
    .wavefront_size: 32
    .workgroup_processor_mode: 1
  - .args:
      - .offset:         0
        .size:           48
        .value_kind:     by_value
    .group_segment_fixed_size: 0
    .kernarg_segment_align: 8
    .kernarg_segment_size: 48
    .language:       OpenCL C
    .language_version:
      - 2
      - 0
    .max_flat_workgroup_size: 256
    .name:           _ZN7rocprim17ROCPRIM_400000_NS6detail17trampoline_kernelINS0_13kernel_configILj256ELj4ELj4294967295EEENS1_37radix_sort_block_sort_config_selectorIiNS0_10empty_typeEEEZNS1_21radix_sort_block_sortIS4_Lb1EN6thrust23THRUST_200600_302600_NS6detail15normal_iteratorINSA_10device_ptrIiEEEESF_PS6_SG_NS0_19identity_decomposerEEE10hipError_tT1_T2_T3_T4_jRjT5_jjP12ihipStream_tbEUlT_E_NS1_11comp_targetILNS1_3genE10ELNS1_11target_archE1201ELNS1_3gpuE5ELNS1_3repE0EEENS1_44radix_sort_block_sort_config_static_selectorELNS0_4arch9wavefront6targetE0EEEvSJ_
    .private_segment_fixed_size: 0
    .sgpr_count:     0
    .sgpr_spill_count: 0
    .symbol:         _ZN7rocprim17ROCPRIM_400000_NS6detail17trampoline_kernelINS0_13kernel_configILj256ELj4ELj4294967295EEENS1_37radix_sort_block_sort_config_selectorIiNS0_10empty_typeEEEZNS1_21radix_sort_block_sortIS4_Lb1EN6thrust23THRUST_200600_302600_NS6detail15normal_iteratorINSA_10device_ptrIiEEEESF_PS6_SG_NS0_19identity_decomposerEEE10hipError_tT1_T2_T3_T4_jRjT5_jjP12ihipStream_tbEUlT_E_NS1_11comp_targetILNS1_3genE10ELNS1_11target_archE1201ELNS1_3gpuE5ELNS1_3repE0EEENS1_44radix_sort_block_sort_config_static_selectorELNS0_4arch9wavefront6targetE0EEEvSJ_.kd
    .uniform_work_group_size: 1
    .uses_dynamic_stack: false
    .vgpr_count:     0
    .vgpr_spill_count: 0
    .wavefront_size: 32
    .workgroup_processor_mode: 1
  - .args:
      - .offset:         0
        .size:           48
        .value_kind:     by_value
    .group_segment_fixed_size: 0
    .kernarg_segment_align: 8
    .kernarg_segment_size: 48
    .language:       OpenCL C
    .language_version:
      - 2
      - 0
    .max_flat_workgroup_size: 256
    .name:           _ZN7rocprim17ROCPRIM_400000_NS6detail17trampoline_kernelINS0_13kernel_configILj256ELj4ELj4294967295EEENS1_37radix_sort_block_sort_config_selectorIiNS0_10empty_typeEEEZNS1_21radix_sort_block_sortIS4_Lb1EN6thrust23THRUST_200600_302600_NS6detail15normal_iteratorINSA_10device_ptrIiEEEESF_PS6_SG_NS0_19identity_decomposerEEE10hipError_tT1_T2_T3_T4_jRjT5_jjP12ihipStream_tbEUlT_E_NS1_11comp_targetILNS1_3genE10ELNS1_11target_archE1200ELNS1_3gpuE4ELNS1_3repE0EEENS1_44radix_sort_block_sort_config_static_selectorELNS0_4arch9wavefront6targetE0EEEvSJ_
    .private_segment_fixed_size: 0
    .sgpr_count:     0
    .sgpr_spill_count: 0
    .symbol:         _ZN7rocprim17ROCPRIM_400000_NS6detail17trampoline_kernelINS0_13kernel_configILj256ELj4ELj4294967295EEENS1_37radix_sort_block_sort_config_selectorIiNS0_10empty_typeEEEZNS1_21radix_sort_block_sortIS4_Lb1EN6thrust23THRUST_200600_302600_NS6detail15normal_iteratorINSA_10device_ptrIiEEEESF_PS6_SG_NS0_19identity_decomposerEEE10hipError_tT1_T2_T3_T4_jRjT5_jjP12ihipStream_tbEUlT_E_NS1_11comp_targetILNS1_3genE10ELNS1_11target_archE1200ELNS1_3gpuE4ELNS1_3repE0EEENS1_44radix_sort_block_sort_config_static_selectorELNS0_4arch9wavefront6targetE0EEEvSJ_.kd
    .uniform_work_group_size: 1
    .uses_dynamic_stack: false
    .vgpr_count:     0
    .vgpr_spill_count: 0
    .wavefront_size: 32
    .workgroup_processor_mode: 1
  - .args:
      - .offset:         0
        .size:           48
        .value_kind:     by_value
    .group_segment_fixed_size: 0
    .kernarg_segment_align: 8
    .kernarg_segment_size: 48
    .language:       OpenCL C
    .language_version:
      - 2
      - 0
    .max_flat_workgroup_size: 256
    .name:           _ZN7rocprim17ROCPRIM_400000_NS6detail17trampoline_kernelINS0_13kernel_configILj256ELj4ELj4294967295EEENS1_37radix_sort_block_sort_config_selectorIiNS0_10empty_typeEEEZNS1_21radix_sort_block_sortIS4_Lb1EN6thrust23THRUST_200600_302600_NS6detail15normal_iteratorINSA_10device_ptrIiEEEESF_PS6_SG_NS0_19identity_decomposerEEE10hipError_tT1_T2_T3_T4_jRjT5_jjP12ihipStream_tbEUlT_E_NS1_11comp_targetILNS1_3genE9ELNS1_11target_archE1100ELNS1_3gpuE3ELNS1_3repE0EEENS1_44radix_sort_block_sort_config_static_selectorELNS0_4arch9wavefront6targetE0EEEvSJ_
    .private_segment_fixed_size: 0
    .sgpr_count:     0
    .sgpr_spill_count: 0
    .symbol:         _ZN7rocprim17ROCPRIM_400000_NS6detail17trampoline_kernelINS0_13kernel_configILj256ELj4ELj4294967295EEENS1_37radix_sort_block_sort_config_selectorIiNS0_10empty_typeEEEZNS1_21radix_sort_block_sortIS4_Lb1EN6thrust23THRUST_200600_302600_NS6detail15normal_iteratorINSA_10device_ptrIiEEEESF_PS6_SG_NS0_19identity_decomposerEEE10hipError_tT1_T2_T3_T4_jRjT5_jjP12ihipStream_tbEUlT_E_NS1_11comp_targetILNS1_3genE9ELNS1_11target_archE1100ELNS1_3gpuE3ELNS1_3repE0EEENS1_44radix_sort_block_sort_config_static_selectorELNS0_4arch9wavefront6targetE0EEEvSJ_.kd
    .uniform_work_group_size: 1
    .uses_dynamic_stack: false
    .vgpr_count:     0
    .vgpr_spill_count: 0
    .wavefront_size: 32
    .workgroup_processor_mode: 1
  - .args:
      - .offset:         0
        .size:           48
        .value_kind:     by_value
      - .offset:         48
        .size:           4
        .value_kind:     hidden_block_count_x
      - .offset:         52
        .size:           4
        .value_kind:     hidden_block_count_y
      - .offset:         56
        .size:           4
        .value_kind:     hidden_block_count_z
      - .offset:         60
        .size:           2
        .value_kind:     hidden_group_size_x
      - .offset:         62
        .size:           2
        .value_kind:     hidden_group_size_y
      - .offset:         64
        .size:           2
        .value_kind:     hidden_group_size_z
      - .offset:         66
        .size:           2
        .value_kind:     hidden_remainder_x
      - .offset:         68
        .size:           2
        .value_kind:     hidden_remainder_y
      - .offset:         70
        .size:           2
        .value_kind:     hidden_remainder_z
      - .offset:         88
        .size:           8
        .value_kind:     hidden_global_offset_x
      - .offset:         96
        .size:           8
        .value_kind:     hidden_global_offset_y
      - .offset:         104
        .size:           8
        .value_kind:     hidden_global_offset_z
      - .offset:         112
        .size:           2
        .value_kind:     hidden_grid_dims
    .group_segment_fixed_size: 8224
    .kernarg_segment_align: 8
    .kernarg_segment_size: 304
    .language:       OpenCL C
    .language_version:
      - 2
      - 0
    .max_flat_workgroup_size: 256
    .name:           _ZN7rocprim17ROCPRIM_400000_NS6detail17trampoline_kernelINS0_13kernel_configILj256ELj4ELj4294967295EEENS1_37radix_sort_block_sort_config_selectorIiNS0_10empty_typeEEEZNS1_21radix_sort_block_sortIS4_Lb1EN6thrust23THRUST_200600_302600_NS6detail15normal_iteratorINSA_10device_ptrIiEEEESF_PS6_SG_NS0_19identity_decomposerEEE10hipError_tT1_T2_T3_T4_jRjT5_jjP12ihipStream_tbEUlT_E_NS1_11comp_targetILNS1_3genE8ELNS1_11target_archE1030ELNS1_3gpuE2ELNS1_3repE0EEENS1_44radix_sort_block_sort_config_static_selectorELNS0_4arch9wavefront6targetE0EEEvSJ_
    .private_segment_fixed_size: 0
    .sgpr_count:     30
    .sgpr_spill_count: 0
    .symbol:         _ZN7rocprim17ROCPRIM_400000_NS6detail17trampoline_kernelINS0_13kernel_configILj256ELj4ELj4294967295EEENS1_37radix_sort_block_sort_config_selectorIiNS0_10empty_typeEEEZNS1_21radix_sort_block_sortIS4_Lb1EN6thrust23THRUST_200600_302600_NS6detail15normal_iteratorINSA_10device_ptrIiEEEESF_PS6_SG_NS0_19identity_decomposerEEE10hipError_tT1_T2_T3_T4_jRjT5_jjP12ihipStream_tbEUlT_E_NS1_11comp_targetILNS1_3genE8ELNS1_11target_archE1030ELNS1_3gpuE2ELNS1_3repE0EEENS1_44radix_sort_block_sort_config_static_selectorELNS0_4arch9wavefront6targetE0EEEvSJ_.kd
    .uniform_work_group_size: 1
    .uses_dynamic_stack: false
    .vgpr_count:     38
    .vgpr_spill_count: 0
    .wavefront_size: 32
    .workgroup_processor_mode: 1
  - .args:
      - .offset:         0
        .size:           40
        .value_kind:     by_value
    .group_segment_fixed_size: 0
    .kernarg_segment_align: 8
    .kernarg_segment_size: 40
    .language:       OpenCL C
    .language_version:
      - 2
      - 0
    .max_flat_workgroup_size: 128
    .name:           _ZN7rocprim17ROCPRIM_400000_NS6detail17trampoline_kernelINS0_14default_configENS1_38merge_sort_block_merge_config_selectorIiNS0_10empty_typeEEEZZNS1_27merge_sort_block_merge_implIS3_N6thrust23THRUST_200600_302600_NS6detail15normal_iteratorINS9_10device_ptrIiEEEEPS5_jNS1_19radix_merge_compareILb1ELb0EiNS0_19identity_decomposerEEEEE10hipError_tT0_T1_T2_jT3_P12ihipStream_tbPNSt15iterator_traitsISK_E10value_typeEPNSQ_ISL_E10value_typeEPSM_NS1_7vsmem_tEENKUlT_SK_SL_SM_E_clIPiSE_SF_SF_EESJ_SZ_SK_SL_SM_EUlSZ_E_NS1_11comp_targetILNS1_3genE0ELNS1_11target_archE4294967295ELNS1_3gpuE0ELNS1_3repE0EEENS1_48merge_mergepath_partition_config_static_selectorELNS0_4arch9wavefront6targetE0EEEvSL_
    .private_segment_fixed_size: 0
    .sgpr_count:     0
    .sgpr_spill_count: 0
    .symbol:         _ZN7rocprim17ROCPRIM_400000_NS6detail17trampoline_kernelINS0_14default_configENS1_38merge_sort_block_merge_config_selectorIiNS0_10empty_typeEEEZZNS1_27merge_sort_block_merge_implIS3_N6thrust23THRUST_200600_302600_NS6detail15normal_iteratorINS9_10device_ptrIiEEEEPS5_jNS1_19radix_merge_compareILb1ELb0EiNS0_19identity_decomposerEEEEE10hipError_tT0_T1_T2_jT3_P12ihipStream_tbPNSt15iterator_traitsISK_E10value_typeEPNSQ_ISL_E10value_typeEPSM_NS1_7vsmem_tEENKUlT_SK_SL_SM_E_clIPiSE_SF_SF_EESJ_SZ_SK_SL_SM_EUlSZ_E_NS1_11comp_targetILNS1_3genE0ELNS1_11target_archE4294967295ELNS1_3gpuE0ELNS1_3repE0EEENS1_48merge_mergepath_partition_config_static_selectorELNS0_4arch9wavefront6targetE0EEEvSL_.kd
    .uniform_work_group_size: 1
    .uses_dynamic_stack: false
    .vgpr_count:     0
    .vgpr_spill_count: 0
    .wavefront_size: 32
    .workgroup_processor_mode: 1
  - .args:
      - .offset:         0
        .size:           40
        .value_kind:     by_value
    .group_segment_fixed_size: 0
    .kernarg_segment_align: 8
    .kernarg_segment_size: 40
    .language:       OpenCL C
    .language_version:
      - 2
      - 0
    .max_flat_workgroup_size: 128
    .name:           _ZN7rocprim17ROCPRIM_400000_NS6detail17trampoline_kernelINS0_14default_configENS1_38merge_sort_block_merge_config_selectorIiNS0_10empty_typeEEEZZNS1_27merge_sort_block_merge_implIS3_N6thrust23THRUST_200600_302600_NS6detail15normal_iteratorINS9_10device_ptrIiEEEEPS5_jNS1_19radix_merge_compareILb1ELb0EiNS0_19identity_decomposerEEEEE10hipError_tT0_T1_T2_jT3_P12ihipStream_tbPNSt15iterator_traitsISK_E10value_typeEPNSQ_ISL_E10value_typeEPSM_NS1_7vsmem_tEENKUlT_SK_SL_SM_E_clIPiSE_SF_SF_EESJ_SZ_SK_SL_SM_EUlSZ_E_NS1_11comp_targetILNS1_3genE10ELNS1_11target_archE1201ELNS1_3gpuE5ELNS1_3repE0EEENS1_48merge_mergepath_partition_config_static_selectorELNS0_4arch9wavefront6targetE0EEEvSL_
    .private_segment_fixed_size: 0
    .sgpr_count:     0
    .sgpr_spill_count: 0
    .symbol:         _ZN7rocprim17ROCPRIM_400000_NS6detail17trampoline_kernelINS0_14default_configENS1_38merge_sort_block_merge_config_selectorIiNS0_10empty_typeEEEZZNS1_27merge_sort_block_merge_implIS3_N6thrust23THRUST_200600_302600_NS6detail15normal_iteratorINS9_10device_ptrIiEEEEPS5_jNS1_19radix_merge_compareILb1ELb0EiNS0_19identity_decomposerEEEEE10hipError_tT0_T1_T2_jT3_P12ihipStream_tbPNSt15iterator_traitsISK_E10value_typeEPNSQ_ISL_E10value_typeEPSM_NS1_7vsmem_tEENKUlT_SK_SL_SM_E_clIPiSE_SF_SF_EESJ_SZ_SK_SL_SM_EUlSZ_E_NS1_11comp_targetILNS1_3genE10ELNS1_11target_archE1201ELNS1_3gpuE5ELNS1_3repE0EEENS1_48merge_mergepath_partition_config_static_selectorELNS0_4arch9wavefront6targetE0EEEvSL_.kd
    .uniform_work_group_size: 1
    .uses_dynamic_stack: false
    .vgpr_count:     0
    .vgpr_spill_count: 0
    .wavefront_size: 32
    .workgroup_processor_mode: 1
  - .args:
      - .offset:         0
        .size:           40
        .value_kind:     by_value
    .group_segment_fixed_size: 0
    .kernarg_segment_align: 8
    .kernarg_segment_size: 40
    .language:       OpenCL C
    .language_version:
      - 2
      - 0
    .max_flat_workgroup_size: 128
    .name:           _ZN7rocprim17ROCPRIM_400000_NS6detail17trampoline_kernelINS0_14default_configENS1_38merge_sort_block_merge_config_selectorIiNS0_10empty_typeEEEZZNS1_27merge_sort_block_merge_implIS3_N6thrust23THRUST_200600_302600_NS6detail15normal_iteratorINS9_10device_ptrIiEEEEPS5_jNS1_19radix_merge_compareILb1ELb0EiNS0_19identity_decomposerEEEEE10hipError_tT0_T1_T2_jT3_P12ihipStream_tbPNSt15iterator_traitsISK_E10value_typeEPNSQ_ISL_E10value_typeEPSM_NS1_7vsmem_tEENKUlT_SK_SL_SM_E_clIPiSE_SF_SF_EESJ_SZ_SK_SL_SM_EUlSZ_E_NS1_11comp_targetILNS1_3genE5ELNS1_11target_archE942ELNS1_3gpuE9ELNS1_3repE0EEENS1_48merge_mergepath_partition_config_static_selectorELNS0_4arch9wavefront6targetE0EEEvSL_
    .private_segment_fixed_size: 0
    .sgpr_count:     0
    .sgpr_spill_count: 0
    .symbol:         _ZN7rocprim17ROCPRIM_400000_NS6detail17trampoline_kernelINS0_14default_configENS1_38merge_sort_block_merge_config_selectorIiNS0_10empty_typeEEEZZNS1_27merge_sort_block_merge_implIS3_N6thrust23THRUST_200600_302600_NS6detail15normal_iteratorINS9_10device_ptrIiEEEEPS5_jNS1_19radix_merge_compareILb1ELb0EiNS0_19identity_decomposerEEEEE10hipError_tT0_T1_T2_jT3_P12ihipStream_tbPNSt15iterator_traitsISK_E10value_typeEPNSQ_ISL_E10value_typeEPSM_NS1_7vsmem_tEENKUlT_SK_SL_SM_E_clIPiSE_SF_SF_EESJ_SZ_SK_SL_SM_EUlSZ_E_NS1_11comp_targetILNS1_3genE5ELNS1_11target_archE942ELNS1_3gpuE9ELNS1_3repE0EEENS1_48merge_mergepath_partition_config_static_selectorELNS0_4arch9wavefront6targetE0EEEvSL_.kd
    .uniform_work_group_size: 1
    .uses_dynamic_stack: false
    .vgpr_count:     0
    .vgpr_spill_count: 0
    .wavefront_size: 32
    .workgroup_processor_mode: 1
  - .args:
      - .offset:         0
        .size:           40
        .value_kind:     by_value
    .group_segment_fixed_size: 0
    .kernarg_segment_align: 8
    .kernarg_segment_size: 40
    .language:       OpenCL C
    .language_version:
      - 2
      - 0
    .max_flat_workgroup_size: 128
    .name:           _ZN7rocprim17ROCPRIM_400000_NS6detail17trampoline_kernelINS0_14default_configENS1_38merge_sort_block_merge_config_selectorIiNS0_10empty_typeEEEZZNS1_27merge_sort_block_merge_implIS3_N6thrust23THRUST_200600_302600_NS6detail15normal_iteratorINS9_10device_ptrIiEEEEPS5_jNS1_19radix_merge_compareILb1ELb0EiNS0_19identity_decomposerEEEEE10hipError_tT0_T1_T2_jT3_P12ihipStream_tbPNSt15iterator_traitsISK_E10value_typeEPNSQ_ISL_E10value_typeEPSM_NS1_7vsmem_tEENKUlT_SK_SL_SM_E_clIPiSE_SF_SF_EESJ_SZ_SK_SL_SM_EUlSZ_E_NS1_11comp_targetILNS1_3genE4ELNS1_11target_archE910ELNS1_3gpuE8ELNS1_3repE0EEENS1_48merge_mergepath_partition_config_static_selectorELNS0_4arch9wavefront6targetE0EEEvSL_
    .private_segment_fixed_size: 0
    .sgpr_count:     0
    .sgpr_spill_count: 0
    .symbol:         _ZN7rocprim17ROCPRIM_400000_NS6detail17trampoline_kernelINS0_14default_configENS1_38merge_sort_block_merge_config_selectorIiNS0_10empty_typeEEEZZNS1_27merge_sort_block_merge_implIS3_N6thrust23THRUST_200600_302600_NS6detail15normal_iteratorINS9_10device_ptrIiEEEEPS5_jNS1_19radix_merge_compareILb1ELb0EiNS0_19identity_decomposerEEEEE10hipError_tT0_T1_T2_jT3_P12ihipStream_tbPNSt15iterator_traitsISK_E10value_typeEPNSQ_ISL_E10value_typeEPSM_NS1_7vsmem_tEENKUlT_SK_SL_SM_E_clIPiSE_SF_SF_EESJ_SZ_SK_SL_SM_EUlSZ_E_NS1_11comp_targetILNS1_3genE4ELNS1_11target_archE910ELNS1_3gpuE8ELNS1_3repE0EEENS1_48merge_mergepath_partition_config_static_selectorELNS0_4arch9wavefront6targetE0EEEvSL_.kd
    .uniform_work_group_size: 1
    .uses_dynamic_stack: false
    .vgpr_count:     0
    .vgpr_spill_count: 0
    .wavefront_size: 32
    .workgroup_processor_mode: 1
  - .args:
      - .offset:         0
        .size:           40
        .value_kind:     by_value
    .group_segment_fixed_size: 0
    .kernarg_segment_align: 8
    .kernarg_segment_size: 40
    .language:       OpenCL C
    .language_version:
      - 2
      - 0
    .max_flat_workgroup_size: 128
    .name:           _ZN7rocprim17ROCPRIM_400000_NS6detail17trampoline_kernelINS0_14default_configENS1_38merge_sort_block_merge_config_selectorIiNS0_10empty_typeEEEZZNS1_27merge_sort_block_merge_implIS3_N6thrust23THRUST_200600_302600_NS6detail15normal_iteratorINS9_10device_ptrIiEEEEPS5_jNS1_19radix_merge_compareILb1ELb0EiNS0_19identity_decomposerEEEEE10hipError_tT0_T1_T2_jT3_P12ihipStream_tbPNSt15iterator_traitsISK_E10value_typeEPNSQ_ISL_E10value_typeEPSM_NS1_7vsmem_tEENKUlT_SK_SL_SM_E_clIPiSE_SF_SF_EESJ_SZ_SK_SL_SM_EUlSZ_E_NS1_11comp_targetILNS1_3genE3ELNS1_11target_archE908ELNS1_3gpuE7ELNS1_3repE0EEENS1_48merge_mergepath_partition_config_static_selectorELNS0_4arch9wavefront6targetE0EEEvSL_
    .private_segment_fixed_size: 0
    .sgpr_count:     0
    .sgpr_spill_count: 0
    .symbol:         _ZN7rocprim17ROCPRIM_400000_NS6detail17trampoline_kernelINS0_14default_configENS1_38merge_sort_block_merge_config_selectorIiNS0_10empty_typeEEEZZNS1_27merge_sort_block_merge_implIS3_N6thrust23THRUST_200600_302600_NS6detail15normal_iteratorINS9_10device_ptrIiEEEEPS5_jNS1_19radix_merge_compareILb1ELb0EiNS0_19identity_decomposerEEEEE10hipError_tT0_T1_T2_jT3_P12ihipStream_tbPNSt15iterator_traitsISK_E10value_typeEPNSQ_ISL_E10value_typeEPSM_NS1_7vsmem_tEENKUlT_SK_SL_SM_E_clIPiSE_SF_SF_EESJ_SZ_SK_SL_SM_EUlSZ_E_NS1_11comp_targetILNS1_3genE3ELNS1_11target_archE908ELNS1_3gpuE7ELNS1_3repE0EEENS1_48merge_mergepath_partition_config_static_selectorELNS0_4arch9wavefront6targetE0EEEvSL_.kd
    .uniform_work_group_size: 1
    .uses_dynamic_stack: false
    .vgpr_count:     0
    .vgpr_spill_count: 0
    .wavefront_size: 32
    .workgroup_processor_mode: 1
  - .args:
      - .offset:         0
        .size:           40
        .value_kind:     by_value
    .group_segment_fixed_size: 0
    .kernarg_segment_align: 8
    .kernarg_segment_size: 40
    .language:       OpenCL C
    .language_version:
      - 2
      - 0
    .max_flat_workgroup_size: 128
    .name:           _ZN7rocprim17ROCPRIM_400000_NS6detail17trampoline_kernelINS0_14default_configENS1_38merge_sort_block_merge_config_selectorIiNS0_10empty_typeEEEZZNS1_27merge_sort_block_merge_implIS3_N6thrust23THRUST_200600_302600_NS6detail15normal_iteratorINS9_10device_ptrIiEEEEPS5_jNS1_19radix_merge_compareILb1ELb0EiNS0_19identity_decomposerEEEEE10hipError_tT0_T1_T2_jT3_P12ihipStream_tbPNSt15iterator_traitsISK_E10value_typeEPNSQ_ISL_E10value_typeEPSM_NS1_7vsmem_tEENKUlT_SK_SL_SM_E_clIPiSE_SF_SF_EESJ_SZ_SK_SL_SM_EUlSZ_E_NS1_11comp_targetILNS1_3genE2ELNS1_11target_archE906ELNS1_3gpuE6ELNS1_3repE0EEENS1_48merge_mergepath_partition_config_static_selectorELNS0_4arch9wavefront6targetE0EEEvSL_
    .private_segment_fixed_size: 0
    .sgpr_count:     0
    .sgpr_spill_count: 0
    .symbol:         _ZN7rocprim17ROCPRIM_400000_NS6detail17trampoline_kernelINS0_14default_configENS1_38merge_sort_block_merge_config_selectorIiNS0_10empty_typeEEEZZNS1_27merge_sort_block_merge_implIS3_N6thrust23THRUST_200600_302600_NS6detail15normal_iteratorINS9_10device_ptrIiEEEEPS5_jNS1_19radix_merge_compareILb1ELb0EiNS0_19identity_decomposerEEEEE10hipError_tT0_T1_T2_jT3_P12ihipStream_tbPNSt15iterator_traitsISK_E10value_typeEPNSQ_ISL_E10value_typeEPSM_NS1_7vsmem_tEENKUlT_SK_SL_SM_E_clIPiSE_SF_SF_EESJ_SZ_SK_SL_SM_EUlSZ_E_NS1_11comp_targetILNS1_3genE2ELNS1_11target_archE906ELNS1_3gpuE6ELNS1_3repE0EEENS1_48merge_mergepath_partition_config_static_selectorELNS0_4arch9wavefront6targetE0EEEvSL_.kd
    .uniform_work_group_size: 1
    .uses_dynamic_stack: false
    .vgpr_count:     0
    .vgpr_spill_count: 0
    .wavefront_size: 32
    .workgroup_processor_mode: 1
  - .args:
      - .offset:         0
        .size:           40
        .value_kind:     by_value
    .group_segment_fixed_size: 0
    .kernarg_segment_align: 8
    .kernarg_segment_size: 40
    .language:       OpenCL C
    .language_version:
      - 2
      - 0
    .max_flat_workgroup_size: 128
    .name:           _ZN7rocprim17ROCPRIM_400000_NS6detail17trampoline_kernelINS0_14default_configENS1_38merge_sort_block_merge_config_selectorIiNS0_10empty_typeEEEZZNS1_27merge_sort_block_merge_implIS3_N6thrust23THRUST_200600_302600_NS6detail15normal_iteratorINS9_10device_ptrIiEEEEPS5_jNS1_19radix_merge_compareILb1ELb0EiNS0_19identity_decomposerEEEEE10hipError_tT0_T1_T2_jT3_P12ihipStream_tbPNSt15iterator_traitsISK_E10value_typeEPNSQ_ISL_E10value_typeEPSM_NS1_7vsmem_tEENKUlT_SK_SL_SM_E_clIPiSE_SF_SF_EESJ_SZ_SK_SL_SM_EUlSZ_E_NS1_11comp_targetILNS1_3genE9ELNS1_11target_archE1100ELNS1_3gpuE3ELNS1_3repE0EEENS1_48merge_mergepath_partition_config_static_selectorELNS0_4arch9wavefront6targetE0EEEvSL_
    .private_segment_fixed_size: 0
    .sgpr_count:     0
    .sgpr_spill_count: 0
    .symbol:         _ZN7rocprim17ROCPRIM_400000_NS6detail17trampoline_kernelINS0_14default_configENS1_38merge_sort_block_merge_config_selectorIiNS0_10empty_typeEEEZZNS1_27merge_sort_block_merge_implIS3_N6thrust23THRUST_200600_302600_NS6detail15normal_iteratorINS9_10device_ptrIiEEEEPS5_jNS1_19radix_merge_compareILb1ELb0EiNS0_19identity_decomposerEEEEE10hipError_tT0_T1_T2_jT3_P12ihipStream_tbPNSt15iterator_traitsISK_E10value_typeEPNSQ_ISL_E10value_typeEPSM_NS1_7vsmem_tEENKUlT_SK_SL_SM_E_clIPiSE_SF_SF_EESJ_SZ_SK_SL_SM_EUlSZ_E_NS1_11comp_targetILNS1_3genE9ELNS1_11target_archE1100ELNS1_3gpuE3ELNS1_3repE0EEENS1_48merge_mergepath_partition_config_static_selectorELNS0_4arch9wavefront6targetE0EEEvSL_.kd
    .uniform_work_group_size: 1
    .uses_dynamic_stack: false
    .vgpr_count:     0
    .vgpr_spill_count: 0
    .wavefront_size: 32
    .workgroup_processor_mode: 1
  - .args:
      - .offset:         0
        .size:           40
        .value_kind:     by_value
    .group_segment_fixed_size: 0
    .kernarg_segment_align: 8
    .kernarg_segment_size: 40
    .language:       OpenCL C
    .language_version:
      - 2
      - 0
    .max_flat_workgroup_size: 128
    .name:           _ZN7rocprim17ROCPRIM_400000_NS6detail17trampoline_kernelINS0_14default_configENS1_38merge_sort_block_merge_config_selectorIiNS0_10empty_typeEEEZZNS1_27merge_sort_block_merge_implIS3_N6thrust23THRUST_200600_302600_NS6detail15normal_iteratorINS9_10device_ptrIiEEEEPS5_jNS1_19radix_merge_compareILb1ELb0EiNS0_19identity_decomposerEEEEE10hipError_tT0_T1_T2_jT3_P12ihipStream_tbPNSt15iterator_traitsISK_E10value_typeEPNSQ_ISL_E10value_typeEPSM_NS1_7vsmem_tEENKUlT_SK_SL_SM_E_clIPiSE_SF_SF_EESJ_SZ_SK_SL_SM_EUlSZ_E_NS1_11comp_targetILNS1_3genE8ELNS1_11target_archE1030ELNS1_3gpuE2ELNS1_3repE0EEENS1_48merge_mergepath_partition_config_static_selectorELNS0_4arch9wavefront6targetE0EEEvSL_
    .private_segment_fixed_size: 0
    .sgpr_count:     9
    .sgpr_spill_count: 0
    .symbol:         _ZN7rocprim17ROCPRIM_400000_NS6detail17trampoline_kernelINS0_14default_configENS1_38merge_sort_block_merge_config_selectorIiNS0_10empty_typeEEEZZNS1_27merge_sort_block_merge_implIS3_N6thrust23THRUST_200600_302600_NS6detail15normal_iteratorINS9_10device_ptrIiEEEEPS5_jNS1_19radix_merge_compareILb1ELb0EiNS0_19identity_decomposerEEEEE10hipError_tT0_T1_T2_jT3_P12ihipStream_tbPNSt15iterator_traitsISK_E10value_typeEPNSQ_ISL_E10value_typeEPSM_NS1_7vsmem_tEENKUlT_SK_SL_SM_E_clIPiSE_SF_SF_EESJ_SZ_SK_SL_SM_EUlSZ_E_NS1_11comp_targetILNS1_3genE8ELNS1_11target_archE1030ELNS1_3gpuE2ELNS1_3repE0EEENS1_48merge_mergepath_partition_config_static_selectorELNS0_4arch9wavefront6targetE0EEEvSL_.kd
    .uniform_work_group_size: 1
    .uses_dynamic_stack: false
    .vgpr_count:     15
    .vgpr_spill_count: 0
    .wavefront_size: 32
    .workgroup_processor_mode: 1
  - .args:
      - .offset:         0
        .size:           64
        .value_kind:     by_value
    .group_segment_fixed_size: 0
    .kernarg_segment_align: 8
    .kernarg_segment_size: 64
    .language:       OpenCL C
    .language_version:
      - 2
      - 0
    .max_flat_workgroup_size: 128
    .name:           _ZN7rocprim17ROCPRIM_400000_NS6detail17trampoline_kernelINS0_14default_configENS1_38merge_sort_block_merge_config_selectorIiNS0_10empty_typeEEEZZNS1_27merge_sort_block_merge_implIS3_N6thrust23THRUST_200600_302600_NS6detail15normal_iteratorINS9_10device_ptrIiEEEEPS5_jNS1_19radix_merge_compareILb1ELb0EiNS0_19identity_decomposerEEEEE10hipError_tT0_T1_T2_jT3_P12ihipStream_tbPNSt15iterator_traitsISK_E10value_typeEPNSQ_ISL_E10value_typeEPSM_NS1_7vsmem_tEENKUlT_SK_SL_SM_E_clIPiSE_SF_SF_EESJ_SZ_SK_SL_SM_EUlSZ_E0_NS1_11comp_targetILNS1_3genE0ELNS1_11target_archE4294967295ELNS1_3gpuE0ELNS1_3repE0EEENS1_38merge_mergepath_config_static_selectorELNS0_4arch9wavefront6targetE0EEEvSL_
    .private_segment_fixed_size: 0
    .sgpr_count:     0
    .sgpr_spill_count: 0
    .symbol:         _ZN7rocprim17ROCPRIM_400000_NS6detail17trampoline_kernelINS0_14default_configENS1_38merge_sort_block_merge_config_selectorIiNS0_10empty_typeEEEZZNS1_27merge_sort_block_merge_implIS3_N6thrust23THRUST_200600_302600_NS6detail15normal_iteratorINS9_10device_ptrIiEEEEPS5_jNS1_19radix_merge_compareILb1ELb0EiNS0_19identity_decomposerEEEEE10hipError_tT0_T1_T2_jT3_P12ihipStream_tbPNSt15iterator_traitsISK_E10value_typeEPNSQ_ISL_E10value_typeEPSM_NS1_7vsmem_tEENKUlT_SK_SL_SM_E_clIPiSE_SF_SF_EESJ_SZ_SK_SL_SM_EUlSZ_E0_NS1_11comp_targetILNS1_3genE0ELNS1_11target_archE4294967295ELNS1_3gpuE0ELNS1_3repE0EEENS1_38merge_mergepath_config_static_selectorELNS0_4arch9wavefront6targetE0EEEvSL_.kd
    .uniform_work_group_size: 1
    .uses_dynamic_stack: false
    .vgpr_count:     0
    .vgpr_spill_count: 0
    .wavefront_size: 32
    .workgroup_processor_mode: 1
  - .args:
      - .offset:         0
        .size:           64
        .value_kind:     by_value
    .group_segment_fixed_size: 0
    .kernarg_segment_align: 8
    .kernarg_segment_size: 64
    .language:       OpenCL C
    .language_version:
      - 2
      - 0
    .max_flat_workgroup_size: 256
    .name:           _ZN7rocprim17ROCPRIM_400000_NS6detail17trampoline_kernelINS0_14default_configENS1_38merge_sort_block_merge_config_selectorIiNS0_10empty_typeEEEZZNS1_27merge_sort_block_merge_implIS3_N6thrust23THRUST_200600_302600_NS6detail15normal_iteratorINS9_10device_ptrIiEEEEPS5_jNS1_19radix_merge_compareILb1ELb0EiNS0_19identity_decomposerEEEEE10hipError_tT0_T1_T2_jT3_P12ihipStream_tbPNSt15iterator_traitsISK_E10value_typeEPNSQ_ISL_E10value_typeEPSM_NS1_7vsmem_tEENKUlT_SK_SL_SM_E_clIPiSE_SF_SF_EESJ_SZ_SK_SL_SM_EUlSZ_E0_NS1_11comp_targetILNS1_3genE10ELNS1_11target_archE1201ELNS1_3gpuE5ELNS1_3repE0EEENS1_38merge_mergepath_config_static_selectorELNS0_4arch9wavefront6targetE0EEEvSL_
    .private_segment_fixed_size: 0
    .sgpr_count:     0
    .sgpr_spill_count: 0
    .symbol:         _ZN7rocprim17ROCPRIM_400000_NS6detail17trampoline_kernelINS0_14default_configENS1_38merge_sort_block_merge_config_selectorIiNS0_10empty_typeEEEZZNS1_27merge_sort_block_merge_implIS3_N6thrust23THRUST_200600_302600_NS6detail15normal_iteratorINS9_10device_ptrIiEEEEPS5_jNS1_19radix_merge_compareILb1ELb0EiNS0_19identity_decomposerEEEEE10hipError_tT0_T1_T2_jT3_P12ihipStream_tbPNSt15iterator_traitsISK_E10value_typeEPNSQ_ISL_E10value_typeEPSM_NS1_7vsmem_tEENKUlT_SK_SL_SM_E_clIPiSE_SF_SF_EESJ_SZ_SK_SL_SM_EUlSZ_E0_NS1_11comp_targetILNS1_3genE10ELNS1_11target_archE1201ELNS1_3gpuE5ELNS1_3repE0EEENS1_38merge_mergepath_config_static_selectorELNS0_4arch9wavefront6targetE0EEEvSL_.kd
    .uniform_work_group_size: 1
    .uses_dynamic_stack: false
    .vgpr_count:     0
    .vgpr_spill_count: 0
    .wavefront_size: 32
    .workgroup_processor_mode: 1
  - .args:
      - .offset:         0
        .size:           64
        .value_kind:     by_value
    .group_segment_fixed_size: 0
    .kernarg_segment_align: 8
    .kernarg_segment_size: 64
    .language:       OpenCL C
    .language_version:
      - 2
      - 0
    .max_flat_workgroup_size: 128
    .name:           _ZN7rocprim17ROCPRIM_400000_NS6detail17trampoline_kernelINS0_14default_configENS1_38merge_sort_block_merge_config_selectorIiNS0_10empty_typeEEEZZNS1_27merge_sort_block_merge_implIS3_N6thrust23THRUST_200600_302600_NS6detail15normal_iteratorINS9_10device_ptrIiEEEEPS5_jNS1_19radix_merge_compareILb1ELb0EiNS0_19identity_decomposerEEEEE10hipError_tT0_T1_T2_jT3_P12ihipStream_tbPNSt15iterator_traitsISK_E10value_typeEPNSQ_ISL_E10value_typeEPSM_NS1_7vsmem_tEENKUlT_SK_SL_SM_E_clIPiSE_SF_SF_EESJ_SZ_SK_SL_SM_EUlSZ_E0_NS1_11comp_targetILNS1_3genE5ELNS1_11target_archE942ELNS1_3gpuE9ELNS1_3repE0EEENS1_38merge_mergepath_config_static_selectorELNS0_4arch9wavefront6targetE0EEEvSL_
    .private_segment_fixed_size: 0
    .sgpr_count:     0
    .sgpr_spill_count: 0
    .symbol:         _ZN7rocprim17ROCPRIM_400000_NS6detail17trampoline_kernelINS0_14default_configENS1_38merge_sort_block_merge_config_selectorIiNS0_10empty_typeEEEZZNS1_27merge_sort_block_merge_implIS3_N6thrust23THRUST_200600_302600_NS6detail15normal_iteratorINS9_10device_ptrIiEEEEPS5_jNS1_19radix_merge_compareILb1ELb0EiNS0_19identity_decomposerEEEEE10hipError_tT0_T1_T2_jT3_P12ihipStream_tbPNSt15iterator_traitsISK_E10value_typeEPNSQ_ISL_E10value_typeEPSM_NS1_7vsmem_tEENKUlT_SK_SL_SM_E_clIPiSE_SF_SF_EESJ_SZ_SK_SL_SM_EUlSZ_E0_NS1_11comp_targetILNS1_3genE5ELNS1_11target_archE942ELNS1_3gpuE9ELNS1_3repE0EEENS1_38merge_mergepath_config_static_selectorELNS0_4arch9wavefront6targetE0EEEvSL_.kd
    .uniform_work_group_size: 1
    .uses_dynamic_stack: false
    .vgpr_count:     0
    .vgpr_spill_count: 0
    .wavefront_size: 32
    .workgroup_processor_mode: 1
  - .args:
      - .offset:         0
        .size:           64
        .value_kind:     by_value
    .group_segment_fixed_size: 0
    .kernarg_segment_align: 8
    .kernarg_segment_size: 64
    .language:       OpenCL C
    .language_version:
      - 2
      - 0
    .max_flat_workgroup_size: 128
    .name:           _ZN7rocprim17ROCPRIM_400000_NS6detail17trampoline_kernelINS0_14default_configENS1_38merge_sort_block_merge_config_selectorIiNS0_10empty_typeEEEZZNS1_27merge_sort_block_merge_implIS3_N6thrust23THRUST_200600_302600_NS6detail15normal_iteratorINS9_10device_ptrIiEEEEPS5_jNS1_19radix_merge_compareILb1ELb0EiNS0_19identity_decomposerEEEEE10hipError_tT0_T1_T2_jT3_P12ihipStream_tbPNSt15iterator_traitsISK_E10value_typeEPNSQ_ISL_E10value_typeEPSM_NS1_7vsmem_tEENKUlT_SK_SL_SM_E_clIPiSE_SF_SF_EESJ_SZ_SK_SL_SM_EUlSZ_E0_NS1_11comp_targetILNS1_3genE4ELNS1_11target_archE910ELNS1_3gpuE8ELNS1_3repE0EEENS1_38merge_mergepath_config_static_selectorELNS0_4arch9wavefront6targetE0EEEvSL_
    .private_segment_fixed_size: 0
    .sgpr_count:     0
    .sgpr_spill_count: 0
    .symbol:         _ZN7rocprim17ROCPRIM_400000_NS6detail17trampoline_kernelINS0_14default_configENS1_38merge_sort_block_merge_config_selectorIiNS0_10empty_typeEEEZZNS1_27merge_sort_block_merge_implIS3_N6thrust23THRUST_200600_302600_NS6detail15normal_iteratorINS9_10device_ptrIiEEEEPS5_jNS1_19radix_merge_compareILb1ELb0EiNS0_19identity_decomposerEEEEE10hipError_tT0_T1_T2_jT3_P12ihipStream_tbPNSt15iterator_traitsISK_E10value_typeEPNSQ_ISL_E10value_typeEPSM_NS1_7vsmem_tEENKUlT_SK_SL_SM_E_clIPiSE_SF_SF_EESJ_SZ_SK_SL_SM_EUlSZ_E0_NS1_11comp_targetILNS1_3genE4ELNS1_11target_archE910ELNS1_3gpuE8ELNS1_3repE0EEENS1_38merge_mergepath_config_static_selectorELNS0_4arch9wavefront6targetE0EEEvSL_.kd
    .uniform_work_group_size: 1
    .uses_dynamic_stack: false
    .vgpr_count:     0
    .vgpr_spill_count: 0
    .wavefront_size: 32
    .workgroup_processor_mode: 1
  - .args:
      - .offset:         0
        .size:           64
        .value_kind:     by_value
    .group_segment_fixed_size: 0
    .kernarg_segment_align: 8
    .kernarg_segment_size: 64
    .language:       OpenCL C
    .language_version:
      - 2
      - 0
    .max_flat_workgroup_size: 128
    .name:           _ZN7rocprim17ROCPRIM_400000_NS6detail17trampoline_kernelINS0_14default_configENS1_38merge_sort_block_merge_config_selectorIiNS0_10empty_typeEEEZZNS1_27merge_sort_block_merge_implIS3_N6thrust23THRUST_200600_302600_NS6detail15normal_iteratorINS9_10device_ptrIiEEEEPS5_jNS1_19radix_merge_compareILb1ELb0EiNS0_19identity_decomposerEEEEE10hipError_tT0_T1_T2_jT3_P12ihipStream_tbPNSt15iterator_traitsISK_E10value_typeEPNSQ_ISL_E10value_typeEPSM_NS1_7vsmem_tEENKUlT_SK_SL_SM_E_clIPiSE_SF_SF_EESJ_SZ_SK_SL_SM_EUlSZ_E0_NS1_11comp_targetILNS1_3genE3ELNS1_11target_archE908ELNS1_3gpuE7ELNS1_3repE0EEENS1_38merge_mergepath_config_static_selectorELNS0_4arch9wavefront6targetE0EEEvSL_
    .private_segment_fixed_size: 0
    .sgpr_count:     0
    .sgpr_spill_count: 0
    .symbol:         _ZN7rocprim17ROCPRIM_400000_NS6detail17trampoline_kernelINS0_14default_configENS1_38merge_sort_block_merge_config_selectorIiNS0_10empty_typeEEEZZNS1_27merge_sort_block_merge_implIS3_N6thrust23THRUST_200600_302600_NS6detail15normal_iteratorINS9_10device_ptrIiEEEEPS5_jNS1_19radix_merge_compareILb1ELb0EiNS0_19identity_decomposerEEEEE10hipError_tT0_T1_T2_jT3_P12ihipStream_tbPNSt15iterator_traitsISK_E10value_typeEPNSQ_ISL_E10value_typeEPSM_NS1_7vsmem_tEENKUlT_SK_SL_SM_E_clIPiSE_SF_SF_EESJ_SZ_SK_SL_SM_EUlSZ_E0_NS1_11comp_targetILNS1_3genE3ELNS1_11target_archE908ELNS1_3gpuE7ELNS1_3repE0EEENS1_38merge_mergepath_config_static_selectorELNS0_4arch9wavefront6targetE0EEEvSL_.kd
    .uniform_work_group_size: 1
    .uses_dynamic_stack: false
    .vgpr_count:     0
    .vgpr_spill_count: 0
    .wavefront_size: 32
    .workgroup_processor_mode: 1
  - .args:
      - .offset:         0
        .size:           64
        .value_kind:     by_value
    .group_segment_fixed_size: 0
    .kernarg_segment_align: 8
    .kernarg_segment_size: 64
    .language:       OpenCL C
    .language_version:
      - 2
      - 0
    .max_flat_workgroup_size: 128
    .name:           _ZN7rocprim17ROCPRIM_400000_NS6detail17trampoline_kernelINS0_14default_configENS1_38merge_sort_block_merge_config_selectorIiNS0_10empty_typeEEEZZNS1_27merge_sort_block_merge_implIS3_N6thrust23THRUST_200600_302600_NS6detail15normal_iteratorINS9_10device_ptrIiEEEEPS5_jNS1_19radix_merge_compareILb1ELb0EiNS0_19identity_decomposerEEEEE10hipError_tT0_T1_T2_jT3_P12ihipStream_tbPNSt15iterator_traitsISK_E10value_typeEPNSQ_ISL_E10value_typeEPSM_NS1_7vsmem_tEENKUlT_SK_SL_SM_E_clIPiSE_SF_SF_EESJ_SZ_SK_SL_SM_EUlSZ_E0_NS1_11comp_targetILNS1_3genE2ELNS1_11target_archE906ELNS1_3gpuE6ELNS1_3repE0EEENS1_38merge_mergepath_config_static_selectorELNS0_4arch9wavefront6targetE0EEEvSL_
    .private_segment_fixed_size: 0
    .sgpr_count:     0
    .sgpr_spill_count: 0
    .symbol:         _ZN7rocprim17ROCPRIM_400000_NS6detail17trampoline_kernelINS0_14default_configENS1_38merge_sort_block_merge_config_selectorIiNS0_10empty_typeEEEZZNS1_27merge_sort_block_merge_implIS3_N6thrust23THRUST_200600_302600_NS6detail15normal_iteratorINS9_10device_ptrIiEEEEPS5_jNS1_19radix_merge_compareILb1ELb0EiNS0_19identity_decomposerEEEEE10hipError_tT0_T1_T2_jT3_P12ihipStream_tbPNSt15iterator_traitsISK_E10value_typeEPNSQ_ISL_E10value_typeEPSM_NS1_7vsmem_tEENKUlT_SK_SL_SM_E_clIPiSE_SF_SF_EESJ_SZ_SK_SL_SM_EUlSZ_E0_NS1_11comp_targetILNS1_3genE2ELNS1_11target_archE906ELNS1_3gpuE6ELNS1_3repE0EEENS1_38merge_mergepath_config_static_selectorELNS0_4arch9wavefront6targetE0EEEvSL_.kd
    .uniform_work_group_size: 1
    .uses_dynamic_stack: false
    .vgpr_count:     0
    .vgpr_spill_count: 0
    .wavefront_size: 32
    .workgroup_processor_mode: 1
  - .args:
      - .offset:         0
        .size:           64
        .value_kind:     by_value
    .group_segment_fixed_size: 0
    .kernarg_segment_align: 8
    .kernarg_segment_size: 64
    .language:       OpenCL C
    .language_version:
      - 2
      - 0
    .max_flat_workgroup_size: 256
    .name:           _ZN7rocprim17ROCPRIM_400000_NS6detail17trampoline_kernelINS0_14default_configENS1_38merge_sort_block_merge_config_selectorIiNS0_10empty_typeEEEZZNS1_27merge_sort_block_merge_implIS3_N6thrust23THRUST_200600_302600_NS6detail15normal_iteratorINS9_10device_ptrIiEEEEPS5_jNS1_19radix_merge_compareILb1ELb0EiNS0_19identity_decomposerEEEEE10hipError_tT0_T1_T2_jT3_P12ihipStream_tbPNSt15iterator_traitsISK_E10value_typeEPNSQ_ISL_E10value_typeEPSM_NS1_7vsmem_tEENKUlT_SK_SL_SM_E_clIPiSE_SF_SF_EESJ_SZ_SK_SL_SM_EUlSZ_E0_NS1_11comp_targetILNS1_3genE9ELNS1_11target_archE1100ELNS1_3gpuE3ELNS1_3repE0EEENS1_38merge_mergepath_config_static_selectorELNS0_4arch9wavefront6targetE0EEEvSL_
    .private_segment_fixed_size: 0
    .sgpr_count:     0
    .sgpr_spill_count: 0
    .symbol:         _ZN7rocprim17ROCPRIM_400000_NS6detail17trampoline_kernelINS0_14default_configENS1_38merge_sort_block_merge_config_selectorIiNS0_10empty_typeEEEZZNS1_27merge_sort_block_merge_implIS3_N6thrust23THRUST_200600_302600_NS6detail15normal_iteratorINS9_10device_ptrIiEEEEPS5_jNS1_19radix_merge_compareILb1ELb0EiNS0_19identity_decomposerEEEEE10hipError_tT0_T1_T2_jT3_P12ihipStream_tbPNSt15iterator_traitsISK_E10value_typeEPNSQ_ISL_E10value_typeEPSM_NS1_7vsmem_tEENKUlT_SK_SL_SM_E_clIPiSE_SF_SF_EESJ_SZ_SK_SL_SM_EUlSZ_E0_NS1_11comp_targetILNS1_3genE9ELNS1_11target_archE1100ELNS1_3gpuE3ELNS1_3repE0EEENS1_38merge_mergepath_config_static_selectorELNS0_4arch9wavefront6targetE0EEEvSL_.kd
    .uniform_work_group_size: 1
    .uses_dynamic_stack: false
    .vgpr_count:     0
    .vgpr_spill_count: 0
    .wavefront_size: 32
    .workgroup_processor_mode: 1
  - .args:
      - .offset:         0
        .size:           64
        .value_kind:     by_value
      - .offset:         64
        .size:           4
        .value_kind:     hidden_block_count_x
      - .offset:         68
        .size:           4
        .value_kind:     hidden_block_count_y
      - .offset:         72
        .size:           4
        .value_kind:     hidden_block_count_z
      - .offset:         76
        .size:           2
        .value_kind:     hidden_group_size_x
      - .offset:         78
        .size:           2
        .value_kind:     hidden_group_size_y
      - .offset:         80
        .size:           2
        .value_kind:     hidden_group_size_z
      - .offset:         82
        .size:           2
        .value_kind:     hidden_remainder_x
      - .offset:         84
        .size:           2
        .value_kind:     hidden_remainder_y
      - .offset:         86
        .size:           2
        .value_kind:     hidden_remainder_z
      - .offset:         104
        .size:           8
        .value_kind:     hidden_global_offset_x
      - .offset:         112
        .size:           8
        .value_kind:     hidden_global_offset_y
      - .offset:         120
        .size:           8
        .value_kind:     hidden_global_offset_z
      - .offset:         128
        .size:           2
        .value_kind:     hidden_grid_dims
    .group_segment_fixed_size: 4224
    .kernarg_segment_align: 8
    .kernarg_segment_size: 320
    .language:       OpenCL C
    .language_version:
      - 2
      - 0
    .max_flat_workgroup_size: 512
    .name:           _ZN7rocprim17ROCPRIM_400000_NS6detail17trampoline_kernelINS0_14default_configENS1_38merge_sort_block_merge_config_selectorIiNS0_10empty_typeEEEZZNS1_27merge_sort_block_merge_implIS3_N6thrust23THRUST_200600_302600_NS6detail15normal_iteratorINS9_10device_ptrIiEEEEPS5_jNS1_19radix_merge_compareILb1ELb0EiNS0_19identity_decomposerEEEEE10hipError_tT0_T1_T2_jT3_P12ihipStream_tbPNSt15iterator_traitsISK_E10value_typeEPNSQ_ISL_E10value_typeEPSM_NS1_7vsmem_tEENKUlT_SK_SL_SM_E_clIPiSE_SF_SF_EESJ_SZ_SK_SL_SM_EUlSZ_E0_NS1_11comp_targetILNS1_3genE8ELNS1_11target_archE1030ELNS1_3gpuE2ELNS1_3repE0EEENS1_38merge_mergepath_config_static_selectorELNS0_4arch9wavefront6targetE0EEEvSL_
    .private_segment_fixed_size: 0
    .sgpr_count:     25
    .sgpr_spill_count: 0
    .symbol:         _ZN7rocprim17ROCPRIM_400000_NS6detail17trampoline_kernelINS0_14default_configENS1_38merge_sort_block_merge_config_selectorIiNS0_10empty_typeEEEZZNS1_27merge_sort_block_merge_implIS3_N6thrust23THRUST_200600_302600_NS6detail15normal_iteratorINS9_10device_ptrIiEEEEPS5_jNS1_19radix_merge_compareILb1ELb0EiNS0_19identity_decomposerEEEEE10hipError_tT0_T1_T2_jT3_P12ihipStream_tbPNSt15iterator_traitsISK_E10value_typeEPNSQ_ISL_E10value_typeEPSM_NS1_7vsmem_tEENKUlT_SK_SL_SM_E_clIPiSE_SF_SF_EESJ_SZ_SK_SL_SM_EUlSZ_E0_NS1_11comp_targetILNS1_3genE8ELNS1_11target_archE1030ELNS1_3gpuE2ELNS1_3repE0EEENS1_38merge_mergepath_config_static_selectorELNS0_4arch9wavefront6targetE0EEEvSL_.kd
    .uniform_work_group_size: 1
    .uses_dynamic_stack: false
    .vgpr_count:     14
    .vgpr_spill_count: 0
    .wavefront_size: 32
    .workgroup_processor_mode: 1
  - .args:
      - .offset:         0
        .size:           48
        .value_kind:     by_value
    .group_segment_fixed_size: 0
    .kernarg_segment_align: 8
    .kernarg_segment_size: 48
    .language:       OpenCL C
    .language_version:
      - 2
      - 0
    .max_flat_workgroup_size: 256
    .name:           _ZN7rocprim17ROCPRIM_400000_NS6detail17trampoline_kernelINS0_14default_configENS1_38merge_sort_block_merge_config_selectorIiNS0_10empty_typeEEEZZNS1_27merge_sort_block_merge_implIS3_N6thrust23THRUST_200600_302600_NS6detail15normal_iteratorINS9_10device_ptrIiEEEEPS5_jNS1_19radix_merge_compareILb1ELb0EiNS0_19identity_decomposerEEEEE10hipError_tT0_T1_T2_jT3_P12ihipStream_tbPNSt15iterator_traitsISK_E10value_typeEPNSQ_ISL_E10value_typeEPSM_NS1_7vsmem_tEENKUlT_SK_SL_SM_E_clIPiSE_SF_SF_EESJ_SZ_SK_SL_SM_EUlSZ_E1_NS1_11comp_targetILNS1_3genE0ELNS1_11target_archE4294967295ELNS1_3gpuE0ELNS1_3repE0EEENS1_36merge_oddeven_config_static_selectorELNS0_4arch9wavefront6targetE0EEEvSL_
    .private_segment_fixed_size: 0
    .sgpr_count:     0
    .sgpr_spill_count: 0
    .symbol:         _ZN7rocprim17ROCPRIM_400000_NS6detail17trampoline_kernelINS0_14default_configENS1_38merge_sort_block_merge_config_selectorIiNS0_10empty_typeEEEZZNS1_27merge_sort_block_merge_implIS3_N6thrust23THRUST_200600_302600_NS6detail15normal_iteratorINS9_10device_ptrIiEEEEPS5_jNS1_19radix_merge_compareILb1ELb0EiNS0_19identity_decomposerEEEEE10hipError_tT0_T1_T2_jT3_P12ihipStream_tbPNSt15iterator_traitsISK_E10value_typeEPNSQ_ISL_E10value_typeEPSM_NS1_7vsmem_tEENKUlT_SK_SL_SM_E_clIPiSE_SF_SF_EESJ_SZ_SK_SL_SM_EUlSZ_E1_NS1_11comp_targetILNS1_3genE0ELNS1_11target_archE4294967295ELNS1_3gpuE0ELNS1_3repE0EEENS1_36merge_oddeven_config_static_selectorELNS0_4arch9wavefront6targetE0EEEvSL_.kd
    .uniform_work_group_size: 1
    .uses_dynamic_stack: false
    .vgpr_count:     0
    .vgpr_spill_count: 0
    .wavefront_size: 32
    .workgroup_processor_mode: 1
  - .args:
      - .offset:         0
        .size:           48
        .value_kind:     by_value
    .group_segment_fixed_size: 0
    .kernarg_segment_align: 8
    .kernarg_segment_size: 48
    .language:       OpenCL C
    .language_version:
      - 2
      - 0
    .max_flat_workgroup_size: 256
    .name:           _ZN7rocprim17ROCPRIM_400000_NS6detail17trampoline_kernelINS0_14default_configENS1_38merge_sort_block_merge_config_selectorIiNS0_10empty_typeEEEZZNS1_27merge_sort_block_merge_implIS3_N6thrust23THRUST_200600_302600_NS6detail15normal_iteratorINS9_10device_ptrIiEEEEPS5_jNS1_19radix_merge_compareILb1ELb0EiNS0_19identity_decomposerEEEEE10hipError_tT0_T1_T2_jT3_P12ihipStream_tbPNSt15iterator_traitsISK_E10value_typeEPNSQ_ISL_E10value_typeEPSM_NS1_7vsmem_tEENKUlT_SK_SL_SM_E_clIPiSE_SF_SF_EESJ_SZ_SK_SL_SM_EUlSZ_E1_NS1_11comp_targetILNS1_3genE10ELNS1_11target_archE1201ELNS1_3gpuE5ELNS1_3repE0EEENS1_36merge_oddeven_config_static_selectorELNS0_4arch9wavefront6targetE0EEEvSL_
    .private_segment_fixed_size: 0
    .sgpr_count:     0
    .sgpr_spill_count: 0
    .symbol:         _ZN7rocprim17ROCPRIM_400000_NS6detail17trampoline_kernelINS0_14default_configENS1_38merge_sort_block_merge_config_selectorIiNS0_10empty_typeEEEZZNS1_27merge_sort_block_merge_implIS3_N6thrust23THRUST_200600_302600_NS6detail15normal_iteratorINS9_10device_ptrIiEEEEPS5_jNS1_19radix_merge_compareILb1ELb0EiNS0_19identity_decomposerEEEEE10hipError_tT0_T1_T2_jT3_P12ihipStream_tbPNSt15iterator_traitsISK_E10value_typeEPNSQ_ISL_E10value_typeEPSM_NS1_7vsmem_tEENKUlT_SK_SL_SM_E_clIPiSE_SF_SF_EESJ_SZ_SK_SL_SM_EUlSZ_E1_NS1_11comp_targetILNS1_3genE10ELNS1_11target_archE1201ELNS1_3gpuE5ELNS1_3repE0EEENS1_36merge_oddeven_config_static_selectorELNS0_4arch9wavefront6targetE0EEEvSL_.kd
    .uniform_work_group_size: 1
    .uses_dynamic_stack: false
    .vgpr_count:     0
    .vgpr_spill_count: 0
    .wavefront_size: 32
    .workgroup_processor_mode: 1
  - .args:
      - .offset:         0
        .size:           48
        .value_kind:     by_value
    .group_segment_fixed_size: 0
    .kernarg_segment_align: 8
    .kernarg_segment_size: 48
    .language:       OpenCL C
    .language_version:
      - 2
      - 0
    .max_flat_workgroup_size: 256
    .name:           _ZN7rocprim17ROCPRIM_400000_NS6detail17trampoline_kernelINS0_14default_configENS1_38merge_sort_block_merge_config_selectorIiNS0_10empty_typeEEEZZNS1_27merge_sort_block_merge_implIS3_N6thrust23THRUST_200600_302600_NS6detail15normal_iteratorINS9_10device_ptrIiEEEEPS5_jNS1_19radix_merge_compareILb1ELb0EiNS0_19identity_decomposerEEEEE10hipError_tT0_T1_T2_jT3_P12ihipStream_tbPNSt15iterator_traitsISK_E10value_typeEPNSQ_ISL_E10value_typeEPSM_NS1_7vsmem_tEENKUlT_SK_SL_SM_E_clIPiSE_SF_SF_EESJ_SZ_SK_SL_SM_EUlSZ_E1_NS1_11comp_targetILNS1_3genE5ELNS1_11target_archE942ELNS1_3gpuE9ELNS1_3repE0EEENS1_36merge_oddeven_config_static_selectorELNS0_4arch9wavefront6targetE0EEEvSL_
    .private_segment_fixed_size: 0
    .sgpr_count:     0
    .sgpr_spill_count: 0
    .symbol:         _ZN7rocprim17ROCPRIM_400000_NS6detail17trampoline_kernelINS0_14default_configENS1_38merge_sort_block_merge_config_selectorIiNS0_10empty_typeEEEZZNS1_27merge_sort_block_merge_implIS3_N6thrust23THRUST_200600_302600_NS6detail15normal_iteratorINS9_10device_ptrIiEEEEPS5_jNS1_19radix_merge_compareILb1ELb0EiNS0_19identity_decomposerEEEEE10hipError_tT0_T1_T2_jT3_P12ihipStream_tbPNSt15iterator_traitsISK_E10value_typeEPNSQ_ISL_E10value_typeEPSM_NS1_7vsmem_tEENKUlT_SK_SL_SM_E_clIPiSE_SF_SF_EESJ_SZ_SK_SL_SM_EUlSZ_E1_NS1_11comp_targetILNS1_3genE5ELNS1_11target_archE942ELNS1_3gpuE9ELNS1_3repE0EEENS1_36merge_oddeven_config_static_selectorELNS0_4arch9wavefront6targetE0EEEvSL_.kd
    .uniform_work_group_size: 1
    .uses_dynamic_stack: false
    .vgpr_count:     0
    .vgpr_spill_count: 0
    .wavefront_size: 32
    .workgroup_processor_mode: 1
  - .args:
      - .offset:         0
        .size:           48
        .value_kind:     by_value
    .group_segment_fixed_size: 0
    .kernarg_segment_align: 8
    .kernarg_segment_size: 48
    .language:       OpenCL C
    .language_version:
      - 2
      - 0
    .max_flat_workgroup_size: 256
    .name:           _ZN7rocprim17ROCPRIM_400000_NS6detail17trampoline_kernelINS0_14default_configENS1_38merge_sort_block_merge_config_selectorIiNS0_10empty_typeEEEZZNS1_27merge_sort_block_merge_implIS3_N6thrust23THRUST_200600_302600_NS6detail15normal_iteratorINS9_10device_ptrIiEEEEPS5_jNS1_19radix_merge_compareILb1ELb0EiNS0_19identity_decomposerEEEEE10hipError_tT0_T1_T2_jT3_P12ihipStream_tbPNSt15iterator_traitsISK_E10value_typeEPNSQ_ISL_E10value_typeEPSM_NS1_7vsmem_tEENKUlT_SK_SL_SM_E_clIPiSE_SF_SF_EESJ_SZ_SK_SL_SM_EUlSZ_E1_NS1_11comp_targetILNS1_3genE4ELNS1_11target_archE910ELNS1_3gpuE8ELNS1_3repE0EEENS1_36merge_oddeven_config_static_selectorELNS0_4arch9wavefront6targetE0EEEvSL_
    .private_segment_fixed_size: 0
    .sgpr_count:     0
    .sgpr_spill_count: 0
    .symbol:         _ZN7rocprim17ROCPRIM_400000_NS6detail17trampoline_kernelINS0_14default_configENS1_38merge_sort_block_merge_config_selectorIiNS0_10empty_typeEEEZZNS1_27merge_sort_block_merge_implIS3_N6thrust23THRUST_200600_302600_NS6detail15normal_iteratorINS9_10device_ptrIiEEEEPS5_jNS1_19radix_merge_compareILb1ELb0EiNS0_19identity_decomposerEEEEE10hipError_tT0_T1_T2_jT3_P12ihipStream_tbPNSt15iterator_traitsISK_E10value_typeEPNSQ_ISL_E10value_typeEPSM_NS1_7vsmem_tEENKUlT_SK_SL_SM_E_clIPiSE_SF_SF_EESJ_SZ_SK_SL_SM_EUlSZ_E1_NS1_11comp_targetILNS1_3genE4ELNS1_11target_archE910ELNS1_3gpuE8ELNS1_3repE0EEENS1_36merge_oddeven_config_static_selectorELNS0_4arch9wavefront6targetE0EEEvSL_.kd
    .uniform_work_group_size: 1
    .uses_dynamic_stack: false
    .vgpr_count:     0
    .vgpr_spill_count: 0
    .wavefront_size: 32
    .workgroup_processor_mode: 1
  - .args:
      - .offset:         0
        .size:           48
        .value_kind:     by_value
    .group_segment_fixed_size: 0
    .kernarg_segment_align: 8
    .kernarg_segment_size: 48
    .language:       OpenCL C
    .language_version:
      - 2
      - 0
    .max_flat_workgroup_size: 256
    .name:           _ZN7rocprim17ROCPRIM_400000_NS6detail17trampoline_kernelINS0_14default_configENS1_38merge_sort_block_merge_config_selectorIiNS0_10empty_typeEEEZZNS1_27merge_sort_block_merge_implIS3_N6thrust23THRUST_200600_302600_NS6detail15normal_iteratorINS9_10device_ptrIiEEEEPS5_jNS1_19radix_merge_compareILb1ELb0EiNS0_19identity_decomposerEEEEE10hipError_tT0_T1_T2_jT3_P12ihipStream_tbPNSt15iterator_traitsISK_E10value_typeEPNSQ_ISL_E10value_typeEPSM_NS1_7vsmem_tEENKUlT_SK_SL_SM_E_clIPiSE_SF_SF_EESJ_SZ_SK_SL_SM_EUlSZ_E1_NS1_11comp_targetILNS1_3genE3ELNS1_11target_archE908ELNS1_3gpuE7ELNS1_3repE0EEENS1_36merge_oddeven_config_static_selectorELNS0_4arch9wavefront6targetE0EEEvSL_
    .private_segment_fixed_size: 0
    .sgpr_count:     0
    .sgpr_spill_count: 0
    .symbol:         _ZN7rocprim17ROCPRIM_400000_NS6detail17trampoline_kernelINS0_14default_configENS1_38merge_sort_block_merge_config_selectorIiNS0_10empty_typeEEEZZNS1_27merge_sort_block_merge_implIS3_N6thrust23THRUST_200600_302600_NS6detail15normal_iteratorINS9_10device_ptrIiEEEEPS5_jNS1_19radix_merge_compareILb1ELb0EiNS0_19identity_decomposerEEEEE10hipError_tT0_T1_T2_jT3_P12ihipStream_tbPNSt15iterator_traitsISK_E10value_typeEPNSQ_ISL_E10value_typeEPSM_NS1_7vsmem_tEENKUlT_SK_SL_SM_E_clIPiSE_SF_SF_EESJ_SZ_SK_SL_SM_EUlSZ_E1_NS1_11comp_targetILNS1_3genE3ELNS1_11target_archE908ELNS1_3gpuE7ELNS1_3repE0EEENS1_36merge_oddeven_config_static_selectorELNS0_4arch9wavefront6targetE0EEEvSL_.kd
    .uniform_work_group_size: 1
    .uses_dynamic_stack: false
    .vgpr_count:     0
    .vgpr_spill_count: 0
    .wavefront_size: 32
    .workgroup_processor_mode: 1
  - .args:
      - .offset:         0
        .size:           48
        .value_kind:     by_value
    .group_segment_fixed_size: 0
    .kernarg_segment_align: 8
    .kernarg_segment_size: 48
    .language:       OpenCL C
    .language_version:
      - 2
      - 0
    .max_flat_workgroup_size: 256
    .name:           _ZN7rocprim17ROCPRIM_400000_NS6detail17trampoline_kernelINS0_14default_configENS1_38merge_sort_block_merge_config_selectorIiNS0_10empty_typeEEEZZNS1_27merge_sort_block_merge_implIS3_N6thrust23THRUST_200600_302600_NS6detail15normal_iteratorINS9_10device_ptrIiEEEEPS5_jNS1_19radix_merge_compareILb1ELb0EiNS0_19identity_decomposerEEEEE10hipError_tT0_T1_T2_jT3_P12ihipStream_tbPNSt15iterator_traitsISK_E10value_typeEPNSQ_ISL_E10value_typeEPSM_NS1_7vsmem_tEENKUlT_SK_SL_SM_E_clIPiSE_SF_SF_EESJ_SZ_SK_SL_SM_EUlSZ_E1_NS1_11comp_targetILNS1_3genE2ELNS1_11target_archE906ELNS1_3gpuE6ELNS1_3repE0EEENS1_36merge_oddeven_config_static_selectorELNS0_4arch9wavefront6targetE0EEEvSL_
    .private_segment_fixed_size: 0
    .sgpr_count:     0
    .sgpr_spill_count: 0
    .symbol:         _ZN7rocprim17ROCPRIM_400000_NS6detail17trampoline_kernelINS0_14default_configENS1_38merge_sort_block_merge_config_selectorIiNS0_10empty_typeEEEZZNS1_27merge_sort_block_merge_implIS3_N6thrust23THRUST_200600_302600_NS6detail15normal_iteratorINS9_10device_ptrIiEEEEPS5_jNS1_19radix_merge_compareILb1ELb0EiNS0_19identity_decomposerEEEEE10hipError_tT0_T1_T2_jT3_P12ihipStream_tbPNSt15iterator_traitsISK_E10value_typeEPNSQ_ISL_E10value_typeEPSM_NS1_7vsmem_tEENKUlT_SK_SL_SM_E_clIPiSE_SF_SF_EESJ_SZ_SK_SL_SM_EUlSZ_E1_NS1_11comp_targetILNS1_3genE2ELNS1_11target_archE906ELNS1_3gpuE6ELNS1_3repE0EEENS1_36merge_oddeven_config_static_selectorELNS0_4arch9wavefront6targetE0EEEvSL_.kd
    .uniform_work_group_size: 1
    .uses_dynamic_stack: false
    .vgpr_count:     0
    .vgpr_spill_count: 0
    .wavefront_size: 32
    .workgroup_processor_mode: 1
  - .args:
      - .offset:         0
        .size:           48
        .value_kind:     by_value
    .group_segment_fixed_size: 0
    .kernarg_segment_align: 8
    .kernarg_segment_size: 48
    .language:       OpenCL C
    .language_version:
      - 2
      - 0
    .max_flat_workgroup_size: 256
    .name:           _ZN7rocprim17ROCPRIM_400000_NS6detail17trampoline_kernelINS0_14default_configENS1_38merge_sort_block_merge_config_selectorIiNS0_10empty_typeEEEZZNS1_27merge_sort_block_merge_implIS3_N6thrust23THRUST_200600_302600_NS6detail15normal_iteratorINS9_10device_ptrIiEEEEPS5_jNS1_19radix_merge_compareILb1ELb0EiNS0_19identity_decomposerEEEEE10hipError_tT0_T1_T2_jT3_P12ihipStream_tbPNSt15iterator_traitsISK_E10value_typeEPNSQ_ISL_E10value_typeEPSM_NS1_7vsmem_tEENKUlT_SK_SL_SM_E_clIPiSE_SF_SF_EESJ_SZ_SK_SL_SM_EUlSZ_E1_NS1_11comp_targetILNS1_3genE9ELNS1_11target_archE1100ELNS1_3gpuE3ELNS1_3repE0EEENS1_36merge_oddeven_config_static_selectorELNS0_4arch9wavefront6targetE0EEEvSL_
    .private_segment_fixed_size: 0
    .sgpr_count:     0
    .sgpr_spill_count: 0
    .symbol:         _ZN7rocprim17ROCPRIM_400000_NS6detail17trampoline_kernelINS0_14default_configENS1_38merge_sort_block_merge_config_selectorIiNS0_10empty_typeEEEZZNS1_27merge_sort_block_merge_implIS3_N6thrust23THRUST_200600_302600_NS6detail15normal_iteratorINS9_10device_ptrIiEEEEPS5_jNS1_19radix_merge_compareILb1ELb0EiNS0_19identity_decomposerEEEEE10hipError_tT0_T1_T2_jT3_P12ihipStream_tbPNSt15iterator_traitsISK_E10value_typeEPNSQ_ISL_E10value_typeEPSM_NS1_7vsmem_tEENKUlT_SK_SL_SM_E_clIPiSE_SF_SF_EESJ_SZ_SK_SL_SM_EUlSZ_E1_NS1_11comp_targetILNS1_3genE9ELNS1_11target_archE1100ELNS1_3gpuE3ELNS1_3repE0EEENS1_36merge_oddeven_config_static_selectorELNS0_4arch9wavefront6targetE0EEEvSL_.kd
    .uniform_work_group_size: 1
    .uses_dynamic_stack: false
    .vgpr_count:     0
    .vgpr_spill_count: 0
    .wavefront_size: 32
    .workgroup_processor_mode: 1
  - .args:
      - .offset:         0
        .size:           48
        .value_kind:     by_value
    .group_segment_fixed_size: 0
    .kernarg_segment_align: 8
    .kernarg_segment_size: 48
    .language:       OpenCL C
    .language_version:
      - 2
      - 0
    .max_flat_workgroup_size: 256
    .name:           _ZN7rocprim17ROCPRIM_400000_NS6detail17trampoline_kernelINS0_14default_configENS1_38merge_sort_block_merge_config_selectorIiNS0_10empty_typeEEEZZNS1_27merge_sort_block_merge_implIS3_N6thrust23THRUST_200600_302600_NS6detail15normal_iteratorINS9_10device_ptrIiEEEEPS5_jNS1_19radix_merge_compareILb1ELb0EiNS0_19identity_decomposerEEEEE10hipError_tT0_T1_T2_jT3_P12ihipStream_tbPNSt15iterator_traitsISK_E10value_typeEPNSQ_ISL_E10value_typeEPSM_NS1_7vsmem_tEENKUlT_SK_SL_SM_E_clIPiSE_SF_SF_EESJ_SZ_SK_SL_SM_EUlSZ_E1_NS1_11comp_targetILNS1_3genE8ELNS1_11target_archE1030ELNS1_3gpuE2ELNS1_3repE0EEENS1_36merge_oddeven_config_static_selectorELNS0_4arch9wavefront6targetE0EEEvSL_
    .private_segment_fixed_size: 0
    .sgpr_count:     18
    .sgpr_spill_count: 0
    .symbol:         _ZN7rocprim17ROCPRIM_400000_NS6detail17trampoline_kernelINS0_14default_configENS1_38merge_sort_block_merge_config_selectorIiNS0_10empty_typeEEEZZNS1_27merge_sort_block_merge_implIS3_N6thrust23THRUST_200600_302600_NS6detail15normal_iteratorINS9_10device_ptrIiEEEEPS5_jNS1_19radix_merge_compareILb1ELb0EiNS0_19identity_decomposerEEEEE10hipError_tT0_T1_T2_jT3_P12ihipStream_tbPNSt15iterator_traitsISK_E10value_typeEPNSQ_ISL_E10value_typeEPSM_NS1_7vsmem_tEENKUlT_SK_SL_SM_E_clIPiSE_SF_SF_EESJ_SZ_SK_SL_SM_EUlSZ_E1_NS1_11comp_targetILNS1_3genE8ELNS1_11target_archE1030ELNS1_3gpuE2ELNS1_3repE0EEENS1_36merge_oddeven_config_static_selectorELNS0_4arch9wavefront6targetE0EEEvSL_.kd
    .uniform_work_group_size: 1
    .uses_dynamic_stack: false
    .vgpr_count:     8
    .vgpr_spill_count: 0
    .wavefront_size: 32
    .workgroup_processor_mode: 1
  - .args:
      - .offset:         0
        .size:           40
        .value_kind:     by_value
    .group_segment_fixed_size: 0
    .kernarg_segment_align: 8
    .kernarg_segment_size: 40
    .language:       OpenCL C
    .language_version:
      - 2
      - 0
    .max_flat_workgroup_size: 128
    .name:           _ZN7rocprim17ROCPRIM_400000_NS6detail17trampoline_kernelINS0_14default_configENS1_38merge_sort_block_merge_config_selectorIiNS0_10empty_typeEEEZZNS1_27merge_sort_block_merge_implIS3_N6thrust23THRUST_200600_302600_NS6detail15normal_iteratorINS9_10device_ptrIiEEEEPS5_jNS1_19radix_merge_compareILb1ELb0EiNS0_19identity_decomposerEEEEE10hipError_tT0_T1_T2_jT3_P12ihipStream_tbPNSt15iterator_traitsISK_E10value_typeEPNSQ_ISL_E10value_typeEPSM_NS1_7vsmem_tEENKUlT_SK_SL_SM_E_clISE_PiSF_SF_EESJ_SZ_SK_SL_SM_EUlSZ_E_NS1_11comp_targetILNS1_3genE0ELNS1_11target_archE4294967295ELNS1_3gpuE0ELNS1_3repE0EEENS1_48merge_mergepath_partition_config_static_selectorELNS0_4arch9wavefront6targetE0EEEvSL_
    .private_segment_fixed_size: 0
    .sgpr_count:     0
    .sgpr_spill_count: 0
    .symbol:         _ZN7rocprim17ROCPRIM_400000_NS6detail17trampoline_kernelINS0_14default_configENS1_38merge_sort_block_merge_config_selectorIiNS0_10empty_typeEEEZZNS1_27merge_sort_block_merge_implIS3_N6thrust23THRUST_200600_302600_NS6detail15normal_iteratorINS9_10device_ptrIiEEEEPS5_jNS1_19radix_merge_compareILb1ELb0EiNS0_19identity_decomposerEEEEE10hipError_tT0_T1_T2_jT3_P12ihipStream_tbPNSt15iterator_traitsISK_E10value_typeEPNSQ_ISL_E10value_typeEPSM_NS1_7vsmem_tEENKUlT_SK_SL_SM_E_clISE_PiSF_SF_EESJ_SZ_SK_SL_SM_EUlSZ_E_NS1_11comp_targetILNS1_3genE0ELNS1_11target_archE4294967295ELNS1_3gpuE0ELNS1_3repE0EEENS1_48merge_mergepath_partition_config_static_selectorELNS0_4arch9wavefront6targetE0EEEvSL_.kd
    .uniform_work_group_size: 1
    .uses_dynamic_stack: false
    .vgpr_count:     0
    .vgpr_spill_count: 0
    .wavefront_size: 32
    .workgroup_processor_mode: 1
  - .args:
      - .offset:         0
        .size:           40
        .value_kind:     by_value
    .group_segment_fixed_size: 0
    .kernarg_segment_align: 8
    .kernarg_segment_size: 40
    .language:       OpenCL C
    .language_version:
      - 2
      - 0
    .max_flat_workgroup_size: 128
    .name:           _ZN7rocprim17ROCPRIM_400000_NS6detail17trampoline_kernelINS0_14default_configENS1_38merge_sort_block_merge_config_selectorIiNS0_10empty_typeEEEZZNS1_27merge_sort_block_merge_implIS3_N6thrust23THRUST_200600_302600_NS6detail15normal_iteratorINS9_10device_ptrIiEEEEPS5_jNS1_19radix_merge_compareILb1ELb0EiNS0_19identity_decomposerEEEEE10hipError_tT0_T1_T2_jT3_P12ihipStream_tbPNSt15iterator_traitsISK_E10value_typeEPNSQ_ISL_E10value_typeEPSM_NS1_7vsmem_tEENKUlT_SK_SL_SM_E_clISE_PiSF_SF_EESJ_SZ_SK_SL_SM_EUlSZ_E_NS1_11comp_targetILNS1_3genE10ELNS1_11target_archE1201ELNS1_3gpuE5ELNS1_3repE0EEENS1_48merge_mergepath_partition_config_static_selectorELNS0_4arch9wavefront6targetE0EEEvSL_
    .private_segment_fixed_size: 0
    .sgpr_count:     0
    .sgpr_spill_count: 0
    .symbol:         _ZN7rocprim17ROCPRIM_400000_NS6detail17trampoline_kernelINS0_14default_configENS1_38merge_sort_block_merge_config_selectorIiNS0_10empty_typeEEEZZNS1_27merge_sort_block_merge_implIS3_N6thrust23THRUST_200600_302600_NS6detail15normal_iteratorINS9_10device_ptrIiEEEEPS5_jNS1_19radix_merge_compareILb1ELb0EiNS0_19identity_decomposerEEEEE10hipError_tT0_T1_T2_jT3_P12ihipStream_tbPNSt15iterator_traitsISK_E10value_typeEPNSQ_ISL_E10value_typeEPSM_NS1_7vsmem_tEENKUlT_SK_SL_SM_E_clISE_PiSF_SF_EESJ_SZ_SK_SL_SM_EUlSZ_E_NS1_11comp_targetILNS1_3genE10ELNS1_11target_archE1201ELNS1_3gpuE5ELNS1_3repE0EEENS1_48merge_mergepath_partition_config_static_selectorELNS0_4arch9wavefront6targetE0EEEvSL_.kd
    .uniform_work_group_size: 1
    .uses_dynamic_stack: false
    .vgpr_count:     0
    .vgpr_spill_count: 0
    .wavefront_size: 32
    .workgroup_processor_mode: 1
  - .args:
      - .offset:         0
        .size:           40
        .value_kind:     by_value
    .group_segment_fixed_size: 0
    .kernarg_segment_align: 8
    .kernarg_segment_size: 40
    .language:       OpenCL C
    .language_version:
      - 2
      - 0
    .max_flat_workgroup_size: 128
    .name:           _ZN7rocprim17ROCPRIM_400000_NS6detail17trampoline_kernelINS0_14default_configENS1_38merge_sort_block_merge_config_selectorIiNS0_10empty_typeEEEZZNS1_27merge_sort_block_merge_implIS3_N6thrust23THRUST_200600_302600_NS6detail15normal_iteratorINS9_10device_ptrIiEEEEPS5_jNS1_19radix_merge_compareILb1ELb0EiNS0_19identity_decomposerEEEEE10hipError_tT0_T1_T2_jT3_P12ihipStream_tbPNSt15iterator_traitsISK_E10value_typeEPNSQ_ISL_E10value_typeEPSM_NS1_7vsmem_tEENKUlT_SK_SL_SM_E_clISE_PiSF_SF_EESJ_SZ_SK_SL_SM_EUlSZ_E_NS1_11comp_targetILNS1_3genE5ELNS1_11target_archE942ELNS1_3gpuE9ELNS1_3repE0EEENS1_48merge_mergepath_partition_config_static_selectorELNS0_4arch9wavefront6targetE0EEEvSL_
    .private_segment_fixed_size: 0
    .sgpr_count:     0
    .sgpr_spill_count: 0
    .symbol:         _ZN7rocprim17ROCPRIM_400000_NS6detail17trampoline_kernelINS0_14default_configENS1_38merge_sort_block_merge_config_selectorIiNS0_10empty_typeEEEZZNS1_27merge_sort_block_merge_implIS3_N6thrust23THRUST_200600_302600_NS6detail15normal_iteratorINS9_10device_ptrIiEEEEPS5_jNS1_19radix_merge_compareILb1ELb0EiNS0_19identity_decomposerEEEEE10hipError_tT0_T1_T2_jT3_P12ihipStream_tbPNSt15iterator_traitsISK_E10value_typeEPNSQ_ISL_E10value_typeEPSM_NS1_7vsmem_tEENKUlT_SK_SL_SM_E_clISE_PiSF_SF_EESJ_SZ_SK_SL_SM_EUlSZ_E_NS1_11comp_targetILNS1_3genE5ELNS1_11target_archE942ELNS1_3gpuE9ELNS1_3repE0EEENS1_48merge_mergepath_partition_config_static_selectorELNS0_4arch9wavefront6targetE0EEEvSL_.kd
    .uniform_work_group_size: 1
    .uses_dynamic_stack: false
    .vgpr_count:     0
    .vgpr_spill_count: 0
    .wavefront_size: 32
    .workgroup_processor_mode: 1
  - .args:
      - .offset:         0
        .size:           40
        .value_kind:     by_value
    .group_segment_fixed_size: 0
    .kernarg_segment_align: 8
    .kernarg_segment_size: 40
    .language:       OpenCL C
    .language_version:
      - 2
      - 0
    .max_flat_workgroup_size: 128
    .name:           _ZN7rocprim17ROCPRIM_400000_NS6detail17trampoline_kernelINS0_14default_configENS1_38merge_sort_block_merge_config_selectorIiNS0_10empty_typeEEEZZNS1_27merge_sort_block_merge_implIS3_N6thrust23THRUST_200600_302600_NS6detail15normal_iteratorINS9_10device_ptrIiEEEEPS5_jNS1_19radix_merge_compareILb1ELb0EiNS0_19identity_decomposerEEEEE10hipError_tT0_T1_T2_jT3_P12ihipStream_tbPNSt15iterator_traitsISK_E10value_typeEPNSQ_ISL_E10value_typeEPSM_NS1_7vsmem_tEENKUlT_SK_SL_SM_E_clISE_PiSF_SF_EESJ_SZ_SK_SL_SM_EUlSZ_E_NS1_11comp_targetILNS1_3genE4ELNS1_11target_archE910ELNS1_3gpuE8ELNS1_3repE0EEENS1_48merge_mergepath_partition_config_static_selectorELNS0_4arch9wavefront6targetE0EEEvSL_
    .private_segment_fixed_size: 0
    .sgpr_count:     0
    .sgpr_spill_count: 0
    .symbol:         _ZN7rocprim17ROCPRIM_400000_NS6detail17trampoline_kernelINS0_14default_configENS1_38merge_sort_block_merge_config_selectorIiNS0_10empty_typeEEEZZNS1_27merge_sort_block_merge_implIS3_N6thrust23THRUST_200600_302600_NS6detail15normal_iteratorINS9_10device_ptrIiEEEEPS5_jNS1_19radix_merge_compareILb1ELb0EiNS0_19identity_decomposerEEEEE10hipError_tT0_T1_T2_jT3_P12ihipStream_tbPNSt15iterator_traitsISK_E10value_typeEPNSQ_ISL_E10value_typeEPSM_NS1_7vsmem_tEENKUlT_SK_SL_SM_E_clISE_PiSF_SF_EESJ_SZ_SK_SL_SM_EUlSZ_E_NS1_11comp_targetILNS1_3genE4ELNS1_11target_archE910ELNS1_3gpuE8ELNS1_3repE0EEENS1_48merge_mergepath_partition_config_static_selectorELNS0_4arch9wavefront6targetE0EEEvSL_.kd
    .uniform_work_group_size: 1
    .uses_dynamic_stack: false
    .vgpr_count:     0
    .vgpr_spill_count: 0
    .wavefront_size: 32
    .workgroup_processor_mode: 1
  - .args:
      - .offset:         0
        .size:           40
        .value_kind:     by_value
    .group_segment_fixed_size: 0
    .kernarg_segment_align: 8
    .kernarg_segment_size: 40
    .language:       OpenCL C
    .language_version:
      - 2
      - 0
    .max_flat_workgroup_size: 128
    .name:           _ZN7rocprim17ROCPRIM_400000_NS6detail17trampoline_kernelINS0_14default_configENS1_38merge_sort_block_merge_config_selectorIiNS0_10empty_typeEEEZZNS1_27merge_sort_block_merge_implIS3_N6thrust23THRUST_200600_302600_NS6detail15normal_iteratorINS9_10device_ptrIiEEEEPS5_jNS1_19radix_merge_compareILb1ELb0EiNS0_19identity_decomposerEEEEE10hipError_tT0_T1_T2_jT3_P12ihipStream_tbPNSt15iterator_traitsISK_E10value_typeEPNSQ_ISL_E10value_typeEPSM_NS1_7vsmem_tEENKUlT_SK_SL_SM_E_clISE_PiSF_SF_EESJ_SZ_SK_SL_SM_EUlSZ_E_NS1_11comp_targetILNS1_3genE3ELNS1_11target_archE908ELNS1_3gpuE7ELNS1_3repE0EEENS1_48merge_mergepath_partition_config_static_selectorELNS0_4arch9wavefront6targetE0EEEvSL_
    .private_segment_fixed_size: 0
    .sgpr_count:     0
    .sgpr_spill_count: 0
    .symbol:         _ZN7rocprim17ROCPRIM_400000_NS6detail17trampoline_kernelINS0_14default_configENS1_38merge_sort_block_merge_config_selectorIiNS0_10empty_typeEEEZZNS1_27merge_sort_block_merge_implIS3_N6thrust23THRUST_200600_302600_NS6detail15normal_iteratorINS9_10device_ptrIiEEEEPS5_jNS1_19radix_merge_compareILb1ELb0EiNS0_19identity_decomposerEEEEE10hipError_tT0_T1_T2_jT3_P12ihipStream_tbPNSt15iterator_traitsISK_E10value_typeEPNSQ_ISL_E10value_typeEPSM_NS1_7vsmem_tEENKUlT_SK_SL_SM_E_clISE_PiSF_SF_EESJ_SZ_SK_SL_SM_EUlSZ_E_NS1_11comp_targetILNS1_3genE3ELNS1_11target_archE908ELNS1_3gpuE7ELNS1_3repE0EEENS1_48merge_mergepath_partition_config_static_selectorELNS0_4arch9wavefront6targetE0EEEvSL_.kd
    .uniform_work_group_size: 1
    .uses_dynamic_stack: false
    .vgpr_count:     0
    .vgpr_spill_count: 0
    .wavefront_size: 32
    .workgroup_processor_mode: 1
  - .args:
      - .offset:         0
        .size:           40
        .value_kind:     by_value
    .group_segment_fixed_size: 0
    .kernarg_segment_align: 8
    .kernarg_segment_size: 40
    .language:       OpenCL C
    .language_version:
      - 2
      - 0
    .max_flat_workgroup_size: 128
    .name:           _ZN7rocprim17ROCPRIM_400000_NS6detail17trampoline_kernelINS0_14default_configENS1_38merge_sort_block_merge_config_selectorIiNS0_10empty_typeEEEZZNS1_27merge_sort_block_merge_implIS3_N6thrust23THRUST_200600_302600_NS6detail15normal_iteratorINS9_10device_ptrIiEEEEPS5_jNS1_19radix_merge_compareILb1ELb0EiNS0_19identity_decomposerEEEEE10hipError_tT0_T1_T2_jT3_P12ihipStream_tbPNSt15iterator_traitsISK_E10value_typeEPNSQ_ISL_E10value_typeEPSM_NS1_7vsmem_tEENKUlT_SK_SL_SM_E_clISE_PiSF_SF_EESJ_SZ_SK_SL_SM_EUlSZ_E_NS1_11comp_targetILNS1_3genE2ELNS1_11target_archE906ELNS1_3gpuE6ELNS1_3repE0EEENS1_48merge_mergepath_partition_config_static_selectorELNS0_4arch9wavefront6targetE0EEEvSL_
    .private_segment_fixed_size: 0
    .sgpr_count:     0
    .sgpr_spill_count: 0
    .symbol:         _ZN7rocprim17ROCPRIM_400000_NS6detail17trampoline_kernelINS0_14default_configENS1_38merge_sort_block_merge_config_selectorIiNS0_10empty_typeEEEZZNS1_27merge_sort_block_merge_implIS3_N6thrust23THRUST_200600_302600_NS6detail15normal_iteratorINS9_10device_ptrIiEEEEPS5_jNS1_19radix_merge_compareILb1ELb0EiNS0_19identity_decomposerEEEEE10hipError_tT0_T1_T2_jT3_P12ihipStream_tbPNSt15iterator_traitsISK_E10value_typeEPNSQ_ISL_E10value_typeEPSM_NS1_7vsmem_tEENKUlT_SK_SL_SM_E_clISE_PiSF_SF_EESJ_SZ_SK_SL_SM_EUlSZ_E_NS1_11comp_targetILNS1_3genE2ELNS1_11target_archE906ELNS1_3gpuE6ELNS1_3repE0EEENS1_48merge_mergepath_partition_config_static_selectorELNS0_4arch9wavefront6targetE0EEEvSL_.kd
    .uniform_work_group_size: 1
    .uses_dynamic_stack: false
    .vgpr_count:     0
    .vgpr_spill_count: 0
    .wavefront_size: 32
    .workgroup_processor_mode: 1
  - .args:
      - .offset:         0
        .size:           40
        .value_kind:     by_value
    .group_segment_fixed_size: 0
    .kernarg_segment_align: 8
    .kernarg_segment_size: 40
    .language:       OpenCL C
    .language_version:
      - 2
      - 0
    .max_flat_workgroup_size: 128
    .name:           _ZN7rocprim17ROCPRIM_400000_NS6detail17trampoline_kernelINS0_14default_configENS1_38merge_sort_block_merge_config_selectorIiNS0_10empty_typeEEEZZNS1_27merge_sort_block_merge_implIS3_N6thrust23THRUST_200600_302600_NS6detail15normal_iteratorINS9_10device_ptrIiEEEEPS5_jNS1_19radix_merge_compareILb1ELb0EiNS0_19identity_decomposerEEEEE10hipError_tT0_T1_T2_jT3_P12ihipStream_tbPNSt15iterator_traitsISK_E10value_typeEPNSQ_ISL_E10value_typeEPSM_NS1_7vsmem_tEENKUlT_SK_SL_SM_E_clISE_PiSF_SF_EESJ_SZ_SK_SL_SM_EUlSZ_E_NS1_11comp_targetILNS1_3genE9ELNS1_11target_archE1100ELNS1_3gpuE3ELNS1_3repE0EEENS1_48merge_mergepath_partition_config_static_selectorELNS0_4arch9wavefront6targetE0EEEvSL_
    .private_segment_fixed_size: 0
    .sgpr_count:     0
    .sgpr_spill_count: 0
    .symbol:         _ZN7rocprim17ROCPRIM_400000_NS6detail17trampoline_kernelINS0_14default_configENS1_38merge_sort_block_merge_config_selectorIiNS0_10empty_typeEEEZZNS1_27merge_sort_block_merge_implIS3_N6thrust23THRUST_200600_302600_NS6detail15normal_iteratorINS9_10device_ptrIiEEEEPS5_jNS1_19radix_merge_compareILb1ELb0EiNS0_19identity_decomposerEEEEE10hipError_tT0_T1_T2_jT3_P12ihipStream_tbPNSt15iterator_traitsISK_E10value_typeEPNSQ_ISL_E10value_typeEPSM_NS1_7vsmem_tEENKUlT_SK_SL_SM_E_clISE_PiSF_SF_EESJ_SZ_SK_SL_SM_EUlSZ_E_NS1_11comp_targetILNS1_3genE9ELNS1_11target_archE1100ELNS1_3gpuE3ELNS1_3repE0EEENS1_48merge_mergepath_partition_config_static_selectorELNS0_4arch9wavefront6targetE0EEEvSL_.kd
    .uniform_work_group_size: 1
    .uses_dynamic_stack: false
    .vgpr_count:     0
    .vgpr_spill_count: 0
    .wavefront_size: 32
    .workgroup_processor_mode: 1
  - .args:
      - .offset:         0
        .size:           40
        .value_kind:     by_value
    .group_segment_fixed_size: 0
    .kernarg_segment_align: 8
    .kernarg_segment_size: 40
    .language:       OpenCL C
    .language_version:
      - 2
      - 0
    .max_flat_workgroup_size: 128
    .name:           _ZN7rocprim17ROCPRIM_400000_NS6detail17trampoline_kernelINS0_14default_configENS1_38merge_sort_block_merge_config_selectorIiNS0_10empty_typeEEEZZNS1_27merge_sort_block_merge_implIS3_N6thrust23THRUST_200600_302600_NS6detail15normal_iteratorINS9_10device_ptrIiEEEEPS5_jNS1_19radix_merge_compareILb1ELb0EiNS0_19identity_decomposerEEEEE10hipError_tT0_T1_T2_jT3_P12ihipStream_tbPNSt15iterator_traitsISK_E10value_typeEPNSQ_ISL_E10value_typeEPSM_NS1_7vsmem_tEENKUlT_SK_SL_SM_E_clISE_PiSF_SF_EESJ_SZ_SK_SL_SM_EUlSZ_E_NS1_11comp_targetILNS1_3genE8ELNS1_11target_archE1030ELNS1_3gpuE2ELNS1_3repE0EEENS1_48merge_mergepath_partition_config_static_selectorELNS0_4arch9wavefront6targetE0EEEvSL_
    .private_segment_fixed_size: 0
    .sgpr_count:     9
    .sgpr_spill_count: 0
    .symbol:         _ZN7rocprim17ROCPRIM_400000_NS6detail17trampoline_kernelINS0_14default_configENS1_38merge_sort_block_merge_config_selectorIiNS0_10empty_typeEEEZZNS1_27merge_sort_block_merge_implIS3_N6thrust23THRUST_200600_302600_NS6detail15normal_iteratorINS9_10device_ptrIiEEEEPS5_jNS1_19radix_merge_compareILb1ELb0EiNS0_19identity_decomposerEEEEE10hipError_tT0_T1_T2_jT3_P12ihipStream_tbPNSt15iterator_traitsISK_E10value_typeEPNSQ_ISL_E10value_typeEPSM_NS1_7vsmem_tEENKUlT_SK_SL_SM_E_clISE_PiSF_SF_EESJ_SZ_SK_SL_SM_EUlSZ_E_NS1_11comp_targetILNS1_3genE8ELNS1_11target_archE1030ELNS1_3gpuE2ELNS1_3repE0EEENS1_48merge_mergepath_partition_config_static_selectorELNS0_4arch9wavefront6targetE0EEEvSL_.kd
    .uniform_work_group_size: 1
    .uses_dynamic_stack: false
    .vgpr_count:     15
    .vgpr_spill_count: 0
    .wavefront_size: 32
    .workgroup_processor_mode: 1
  - .args:
      - .offset:         0
        .size:           64
        .value_kind:     by_value
    .group_segment_fixed_size: 0
    .kernarg_segment_align: 8
    .kernarg_segment_size: 64
    .language:       OpenCL C
    .language_version:
      - 2
      - 0
    .max_flat_workgroup_size: 128
    .name:           _ZN7rocprim17ROCPRIM_400000_NS6detail17trampoline_kernelINS0_14default_configENS1_38merge_sort_block_merge_config_selectorIiNS0_10empty_typeEEEZZNS1_27merge_sort_block_merge_implIS3_N6thrust23THRUST_200600_302600_NS6detail15normal_iteratorINS9_10device_ptrIiEEEEPS5_jNS1_19radix_merge_compareILb1ELb0EiNS0_19identity_decomposerEEEEE10hipError_tT0_T1_T2_jT3_P12ihipStream_tbPNSt15iterator_traitsISK_E10value_typeEPNSQ_ISL_E10value_typeEPSM_NS1_7vsmem_tEENKUlT_SK_SL_SM_E_clISE_PiSF_SF_EESJ_SZ_SK_SL_SM_EUlSZ_E0_NS1_11comp_targetILNS1_3genE0ELNS1_11target_archE4294967295ELNS1_3gpuE0ELNS1_3repE0EEENS1_38merge_mergepath_config_static_selectorELNS0_4arch9wavefront6targetE0EEEvSL_
    .private_segment_fixed_size: 0
    .sgpr_count:     0
    .sgpr_spill_count: 0
    .symbol:         _ZN7rocprim17ROCPRIM_400000_NS6detail17trampoline_kernelINS0_14default_configENS1_38merge_sort_block_merge_config_selectorIiNS0_10empty_typeEEEZZNS1_27merge_sort_block_merge_implIS3_N6thrust23THRUST_200600_302600_NS6detail15normal_iteratorINS9_10device_ptrIiEEEEPS5_jNS1_19radix_merge_compareILb1ELb0EiNS0_19identity_decomposerEEEEE10hipError_tT0_T1_T2_jT3_P12ihipStream_tbPNSt15iterator_traitsISK_E10value_typeEPNSQ_ISL_E10value_typeEPSM_NS1_7vsmem_tEENKUlT_SK_SL_SM_E_clISE_PiSF_SF_EESJ_SZ_SK_SL_SM_EUlSZ_E0_NS1_11comp_targetILNS1_3genE0ELNS1_11target_archE4294967295ELNS1_3gpuE0ELNS1_3repE0EEENS1_38merge_mergepath_config_static_selectorELNS0_4arch9wavefront6targetE0EEEvSL_.kd
    .uniform_work_group_size: 1
    .uses_dynamic_stack: false
    .vgpr_count:     0
    .vgpr_spill_count: 0
    .wavefront_size: 32
    .workgroup_processor_mode: 1
  - .args:
      - .offset:         0
        .size:           64
        .value_kind:     by_value
    .group_segment_fixed_size: 0
    .kernarg_segment_align: 8
    .kernarg_segment_size: 64
    .language:       OpenCL C
    .language_version:
      - 2
      - 0
    .max_flat_workgroup_size: 256
    .name:           _ZN7rocprim17ROCPRIM_400000_NS6detail17trampoline_kernelINS0_14default_configENS1_38merge_sort_block_merge_config_selectorIiNS0_10empty_typeEEEZZNS1_27merge_sort_block_merge_implIS3_N6thrust23THRUST_200600_302600_NS6detail15normal_iteratorINS9_10device_ptrIiEEEEPS5_jNS1_19radix_merge_compareILb1ELb0EiNS0_19identity_decomposerEEEEE10hipError_tT0_T1_T2_jT3_P12ihipStream_tbPNSt15iterator_traitsISK_E10value_typeEPNSQ_ISL_E10value_typeEPSM_NS1_7vsmem_tEENKUlT_SK_SL_SM_E_clISE_PiSF_SF_EESJ_SZ_SK_SL_SM_EUlSZ_E0_NS1_11comp_targetILNS1_3genE10ELNS1_11target_archE1201ELNS1_3gpuE5ELNS1_3repE0EEENS1_38merge_mergepath_config_static_selectorELNS0_4arch9wavefront6targetE0EEEvSL_
    .private_segment_fixed_size: 0
    .sgpr_count:     0
    .sgpr_spill_count: 0
    .symbol:         _ZN7rocprim17ROCPRIM_400000_NS6detail17trampoline_kernelINS0_14default_configENS1_38merge_sort_block_merge_config_selectorIiNS0_10empty_typeEEEZZNS1_27merge_sort_block_merge_implIS3_N6thrust23THRUST_200600_302600_NS6detail15normal_iteratorINS9_10device_ptrIiEEEEPS5_jNS1_19radix_merge_compareILb1ELb0EiNS0_19identity_decomposerEEEEE10hipError_tT0_T1_T2_jT3_P12ihipStream_tbPNSt15iterator_traitsISK_E10value_typeEPNSQ_ISL_E10value_typeEPSM_NS1_7vsmem_tEENKUlT_SK_SL_SM_E_clISE_PiSF_SF_EESJ_SZ_SK_SL_SM_EUlSZ_E0_NS1_11comp_targetILNS1_3genE10ELNS1_11target_archE1201ELNS1_3gpuE5ELNS1_3repE0EEENS1_38merge_mergepath_config_static_selectorELNS0_4arch9wavefront6targetE0EEEvSL_.kd
    .uniform_work_group_size: 1
    .uses_dynamic_stack: false
    .vgpr_count:     0
    .vgpr_spill_count: 0
    .wavefront_size: 32
    .workgroup_processor_mode: 1
  - .args:
      - .offset:         0
        .size:           64
        .value_kind:     by_value
    .group_segment_fixed_size: 0
    .kernarg_segment_align: 8
    .kernarg_segment_size: 64
    .language:       OpenCL C
    .language_version:
      - 2
      - 0
    .max_flat_workgroup_size: 128
    .name:           _ZN7rocprim17ROCPRIM_400000_NS6detail17trampoline_kernelINS0_14default_configENS1_38merge_sort_block_merge_config_selectorIiNS0_10empty_typeEEEZZNS1_27merge_sort_block_merge_implIS3_N6thrust23THRUST_200600_302600_NS6detail15normal_iteratorINS9_10device_ptrIiEEEEPS5_jNS1_19radix_merge_compareILb1ELb0EiNS0_19identity_decomposerEEEEE10hipError_tT0_T1_T2_jT3_P12ihipStream_tbPNSt15iterator_traitsISK_E10value_typeEPNSQ_ISL_E10value_typeEPSM_NS1_7vsmem_tEENKUlT_SK_SL_SM_E_clISE_PiSF_SF_EESJ_SZ_SK_SL_SM_EUlSZ_E0_NS1_11comp_targetILNS1_3genE5ELNS1_11target_archE942ELNS1_3gpuE9ELNS1_3repE0EEENS1_38merge_mergepath_config_static_selectorELNS0_4arch9wavefront6targetE0EEEvSL_
    .private_segment_fixed_size: 0
    .sgpr_count:     0
    .sgpr_spill_count: 0
    .symbol:         _ZN7rocprim17ROCPRIM_400000_NS6detail17trampoline_kernelINS0_14default_configENS1_38merge_sort_block_merge_config_selectorIiNS0_10empty_typeEEEZZNS1_27merge_sort_block_merge_implIS3_N6thrust23THRUST_200600_302600_NS6detail15normal_iteratorINS9_10device_ptrIiEEEEPS5_jNS1_19radix_merge_compareILb1ELb0EiNS0_19identity_decomposerEEEEE10hipError_tT0_T1_T2_jT3_P12ihipStream_tbPNSt15iterator_traitsISK_E10value_typeEPNSQ_ISL_E10value_typeEPSM_NS1_7vsmem_tEENKUlT_SK_SL_SM_E_clISE_PiSF_SF_EESJ_SZ_SK_SL_SM_EUlSZ_E0_NS1_11comp_targetILNS1_3genE5ELNS1_11target_archE942ELNS1_3gpuE9ELNS1_3repE0EEENS1_38merge_mergepath_config_static_selectorELNS0_4arch9wavefront6targetE0EEEvSL_.kd
    .uniform_work_group_size: 1
    .uses_dynamic_stack: false
    .vgpr_count:     0
    .vgpr_spill_count: 0
    .wavefront_size: 32
    .workgroup_processor_mode: 1
  - .args:
      - .offset:         0
        .size:           64
        .value_kind:     by_value
    .group_segment_fixed_size: 0
    .kernarg_segment_align: 8
    .kernarg_segment_size: 64
    .language:       OpenCL C
    .language_version:
      - 2
      - 0
    .max_flat_workgroup_size: 128
    .name:           _ZN7rocprim17ROCPRIM_400000_NS6detail17trampoline_kernelINS0_14default_configENS1_38merge_sort_block_merge_config_selectorIiNS0_10empty_typeEEEZZNS1_27merge_sort_block_merge_implIS3_N6thrust23THRUST_200600_302600_NS6detail15normal_iteratorINS9_10device_ptrIiEEEEPS5_jNS1_19radix_merge_compareILb1ELb0EiNS0_19identity_decomposerEEEEE10hipError_tT0_T1_T2_jT3_P12ihipStream_tbPNSt15iterator_traitsISK_E10value_typeEPNSQ_ISL_E10value_typeEPSM_NS1_7vsmem_tEENKUlT_SK_SL_SM_E_clISE_PiSF_SF_EESJ_SZ_SK_SL_SM_EUlSZ_E0_NS1_11comp_targetILNS1_3genE4ELNS1_11target_archE910ELNS1_3gpuE8ELNS1_3repE0EEENS1_38merge_mergepath_config_static_selectorELNS0_4arch9wavefront6targetE0EEEvSL_
    .private_segment_fixed_size: 0
    .sgpr_count:     0
    .sgpr_spill_count: 0
    .symbol:         _ZN7rocprim17ROCPRIM_400000_NS6detail17trampoline_kernelINS0_14default_configENS1_38merge_sort_block_merge_config_selectorIiNS0_10empty_typeEEEZZNS1_27merge_sort_block_merge_implIS3_N6thrust23THRUST_200600_302600_NS6detail15normal_iteratorINS9_10device_ptrIiEEEEPS5_jNS1_19radix_merge_compareILb1ELb0EiNS0_19identity_decomposerEEEEE10hipError_tT0_T1_T2_jT3_P12ihipStream_tbPNSt15iterator_traitsISK_E10value_typeEPNSQ_ISL_E10value_typeEPSM_NS1_7vsmem_tEENKUlT_SK_SL_SM_E_clISE_PiSF_SF_EESJ_SZ_SK_SL_SM_EUlSZ_E0_NS1_11comp_targetILNS1_3genE4ELNS1_11target_archE910ELNS1_3gpuE8ELNS1_3repE0EEENS1_38merge_mergepath_config_static_selectorELNS0_4arch9wavefront6targetE0EEEvSL_.kd
    .uniform_work_group_size: 1
    .uses_dynamic_stack: false
    .vgpr_count:     0
    .vgpr_spill_count: 0
    .wavefront_size: 32
    .workgroup_processor_mode: 1
  - .args:
      - .offset:         0
        .size:           64
        .value_kind:     by_value
    .group_segment_fixed_size: 0
    .kernarg_segment_align: 8
    .kernarg_segment_size: 64
    .language:       OpenCL C
    .language_version:
      - 2
      - 0
    .max_flat_workgroup_size: 128
    .name:           _ZN7rocprim17ROCPRIM_400000_NS6detail17trampoline_kernelINS0_14default_configENS1_38merge_sort_block_merge_config_selectorIiNS0_10empty_typeEEEZZNS1_27merge_sort_block_merge_implIS3_N6thrust23THRUST_200600_302600_NS6detail15normal_iteratorINS9_10device_ptrIiEEEEPS5_jNS1_19radix_merge_compareILb1ELb0EiNS0_19identity_decomposerEEEEE10hipError_tT0_T1_T2_jT3_P12ihipStream_tbPNSt15iterator_traitsISK_E10value_typeEPNSQ_ISL_E10value_typeEPSM_NS1_7vsmem_tEENKUlT_SK_SL_SM_E_clISE_PiSF_SF_EESJ_SZ_SK_SL_SM_EUlSZ_E0_NS1_11comp_targetILNS1_3genE3ELNS1_11target_archE908ELNS1_3gpuE7ELNS1_3repE0EEENS1_38merge_mergepath_config_static_selectorELNS0_4arch9wavefront6targetE0EEEvSL_
    .private_segment_fixed_size: 0
    .sgpr_count:     0
    .sgpr_spill_count: 0
    .symbol:         _ZN7rocprim17ROCPRIM_400000_NS6detail17trampoline_kernelINS0_14default_configENS1_38merge_sort_block_merge_config_selectorIiNS0_10empty_typeEEEZZNS1_27merge_sort_block_merge_implIS3_N6thrust23THRUST_200600_302600_NS6detail15normal_iteratorINS9_10device_ptrIiEEEEPS5_jNS1_19radix_merge_compareILb1ELb0EiNS0_19identity_decomposerEEEEE10hipError_tT0_T1_T2_jT3_P12ihipStream_tbPNSt15iterator_traitsISK_E10value_typeEPNSQ_ISL_E10value_typeEPSM_NS1_7vsmem_tEENKUlT_SK_SL_SM_E_clISE_PiSF_SF_EESJ_SZ_SK_SL_SM_EUlSZ_E0_NS1_11comp_targetILNS1_3genE3ELNS1_11target_archE908ELNS1_3gpuE7ELNS1_3repE0EEENS1_38merge_mergepath_config_static_selectorELNS0_4arch9wavefront6targetE0EEEvSL_.kd
    .uniform_work_group_size: 1
    .uses_dynamic_stack: false
    .vgpr_count:     0
    .vgpr_spill_count: 0
    .wavefront_size: 32
    .workgroup_processor_mode: 1
  - .args:
      - .offset:         0
        .size:           64
        .value_kind:     by_value
    .group_segment_fixed_size: 0
    .kernarg_segment_align: 8
    .kernarg_segment_size: 64
    .language:       OpenCL C
    .language_version:
      - 2
      - 0
    .max_flat_workgroup_size: 128
    .name:           _ZN7rocprim17ROCPRIM_400000_NS6detail17trampoline_kernelINS0_14default_configENS1_38merge_sort_block_merge_config_selectorIiNS0_10empty_typeEEEZZNS1_27merge_sort_block_merge_implIS3_N6thrust23THRUST_200600_302600_NS6detail15normal_iteratorINS9_10device_ptrIiEEEEPS5_jNS1_19radix_merge_compareILb1ELb0EiNS0_19identity_decomposerEEEEE10hipError_tT0_T1_T2_jT3_P12ihipStream_tbPNSt15iterator_traitsISK_E10value_typeEPNSQ_ISL_E10value_typeEPSM_NS1_7vsmem_tEENKUlT_SK_SL_SM_E_clISE_PiSF_SF_EESJ_SZ_SK_SL_SM_EUlSZ_E0_NS1_11comp_targetILNS1_3genE2ELNS1_11target_archE906ELNS1_3gpuE6ELNS1_3repE0EEENS1_38merge_mergepath_config_static_selectorELNS0_4arch9wavefront6targetE0EEEvSL_
    .private_segment_fixed_size: 0
    .sgpr_count:     0
    .sgpr_spill_count: 0
    .symbol:         _ZN7rocprim17ROCPRIM_400000_NS6detail17trampoline_kernelINS0_14default_configENS1_38merge_sort_block_merge_config_selectorIiNS0_10empty_typeEEEZZNS1_27merge_sort_block_merge_implIS3_N6thrust23THRUST_200600_302600_NS6detail15normal_iteratorINS9_10device_ptrIiEEEEPS5_jNS1_19radix_merge_compareILb1ELb0EiNS0_19identity_decomposerEEEEE10hipError_tT0_T1_T2_jT3_P12ihipStream_tbPNSt15iterator_traitsISK_E10value_typeEPNSQ_ISL_E10value_typeEPSM_NS1_7vsmem_tEENKUlT_SK_SL_SM_E_clISE_PiSF_SF_EESJ_SZ_SK_SL_SM_EUlSZ_E0_NS1_11comp_targetILNS1_3genE2ELNS1_11target_archE906ELNS1_3gpuE6ELNS1_3repE0EEENS1_38merge_mergepath_config_static_selectorELNS0_4arch9wavefront6targetE0EEEvSL_.kd
    .uniform_work_group_size: 1
    .uses_dynamic_stack: false
    .vgpr_count:     0
    .vgpr_spill_count: 0
    .wavefront_size: 32
    .workgroup_processor_mode: 1
  - .args:
      - .offset:         0
        .size:           64
        .value_kind:     by_value
    .group_segment_fixed_size: 0
    .kernarg_segment_align: 8
    .kernarg_segment_size: 64
    .language:       OpenCL C
    .language_version:
      - 2
      - 0
    .max_flat_workgroup_size: 256
    .name:           _ZN7rocprim17ROCPRIM_400000_NS6detail17trampoline_kernelINS0_14default_configENS1_38merge_sort_block_merge_config_selectorIiNS0_10empty_typeEEEZZNS1_27merge_sort_block_merge_implIS3_N6thrust23THRUST_200600_302600_NS6detail15normal_iteratorINS9_10device_ptrIiEEEEPS5_jNS1_19radix_merge_compareILb1ELb0EiNS0_19identity_decomposerEEEEE10hipError_tT0_T1_T2_jT3_P12ihipStream_tbPNSt15iterator_traitsISK_E10value_typeEPNSQ_ISL_E10value_typeEPSM_NS1_7vsmem_tEENKUlT_SK_SL_SM_E_clISE_PiSF_SF_EESJ_SZ_SK_SL_SM_EUlSZ_E0_NS1_11comp_targetILNS1_3genE9ELNS1_11target_archE1100ELNS1_3gpuE3ELNS1_3repE0EEENS1_38merge_mergepath_config_static_selectorELNS0_4arch9wavefront6targetE0EEEvSL_
    .private_segment_fixed_size: 0
    .sgpr_count:     0
    .sgpr_spill_count: 0
    .symbol:         _ZN7rocprim17ROCPRIM_400000_NS6detail17trampoline_kernelINS0_14default_configENS1_38merge_sort_block_merge_config_selectorIiNS0_10empty_typeEEEZZNS1_27merge_sort_block_merge_implIS3_N6thrust23THRUST_200600_302600_NS6detail15normal_iteratorINS9_10device_ptrIiEEEEPS5_jNS1_19radix_merge_compareILb1ELb0EiNS0_19identity_decomposerEEEEE10hipError_tT0_T1_T2_jT3_P12ihipStream_tbPNSt15iterator_traitsISK_E10value_typeEPNSQ_ISL_E10value_typeEPSM_NS1_7vsmem_tEENKUlT_SK_SL_SM_E_clISE_PiSF_SF_EESJ_SZ_SK_SL_SM_EUlSZ_E0_NS1_11comp_targetILNS1_3genE9ELNS1_11target_archE1100ELNS1_3gpuE3ELNS1_3repE0EEENS1_38merge_mergepath_config_static_selectorELNS0_4arch9wavefront6targetE0EEEvSL_.kd
    .uniform_work_group_size: 1
    .uses_dynamic_stack: false
    .vgpr_count:     0
    .vgpr_spill_count: 0
    .wavefront_size: 32
    .workgroup_processor_mode: 1
  - .args:
      - .offset:         0
        .size:           64
        .value_kind:     by_value
      - .offset:         64
        .size:           4
        .value_kind:     hidden_block_count_x
      - .offset:         68
        .size:           4
        .value_kind:     hidden_block_count_y
      - .offset:         72
        .size:           4
        .value_kind:     hidden_block_count_z
      - .offset:         76
        .size:           2
        .value_kind:     hidden_group_size_x
      - .offset:         78
        .size:           2
        .value_kind:     hidden_group_size_y
      - .offset:         80
        .size:           2
        .value_kind:     hidden_group_size_z
      - .offset:         82
        .size:           2
        .value_kind:     hidden_remainder_x
      - .offset:         84
        .size:           2
        .value_kind:     hidden_remainder_y
      - .offset:         86
        .size:           2
        .value_kind:     hidden_remainder_z
      - .offset:         104
        .size:           8
        .value_kind:     hidden_global_offset_x
      - .offset:         112
        .size:           8
        .value_kind:     hidden_global_offset_y
      - .offset:         120
        .size:           8
        .value_kind:     hidden_global_offset_z
      - .offset:         128
        .size:           2
        .value_kind:     hidden_grid_dims
    .group_segment_fixed_size: 4224
    .kernarg_segment_align: 8
    .kernarg_segment_size: 320
    .language:       OpenCL C
    .language_version:
      - 2
      - 0
    .max_flat_workgroup_size: 512
    .name:           _ZN7rocprim17ROCPRIM_400000_NS6detail17trampoline_kernelINS0_14default_configENS1_38merge_sort_block_merge_config_selectorIiNS0_10empty_typeEEEZZNS1_27merge_sort_block_merge_implIS3_N6thrust23THRUST_200600_302600_NS6detail15normal_iteratorINS9_10device_ptrIiEEEEPS5_jNS1_19radix_merge_compareILb1ELb0EiNS0_19identity_decomposerEEEEE10hipError_tT0_T1_T2_jT3_P12ihipStream_tbPNSt15iterator_traitsISK_E10value_typeEPNSQ_ISL_E10value_typeEPSM_NS1_7vsmem_tEENKUlT_SK_SL_SM_E_clISE_PiSF_SF_EESJ_SZ_SK_SL_SM_EUlSZ_E0_NS1_11comp_targetILNS1_3genE8ELNS1_11target_archE1030ELNS1_3gpuE2ELNS1_3repE0EEENS1_38merge_mergepath_config_static_selectorELNS0_4arch9wavefront6targetE0EEEvSL_
    .private_segment_fixed_size: 0
    .sgpr_count:     25
    .sgpr_spill_count: 0
    .symbol:         _ZN7rocprim17ROCPRIM_400000_NS6detail17trampoline_kernelINS0_14default_configENS1_38merge_sort_block_merge_config_selectorIiNS0_10empty_typeEEEZZNS1_27merge_sort_block_merge_implIS3_N6thrust23THRUST_200600_302600_NS6detail15normal_iteratorINS9_10device_ptrIiEEEEPS5_jNS1_19radix_merge_compareILb1ELb0EiNS0_19identity_decomposerEEEEE10hipError_tT0_T1_T2_jT3_P12ihipStream_tbPNSt15iterator_traitsISK_E10value_typeEPNSQ_ISL_E10value_typeEPSM_NS1_7vsmem_tEENKUlT_SK_SL_SM_E_clISE_PiSF_SF_EESJ_SZ_SK_SL_SM_EUlSZ_E0_NS1_11comp_targetILNS1_3genE8ELNS1_11target_archE1030ELNS1_3gpuE2ELNS1_3repE0EEENS1_38merge_mergepath_config_static_selectorELNS0_4arch9wavefront6targetE0EEEvSL_.kd
    .uniform_work_group_size: 1
    .uses_dynamic_stack: false
    .vgpr_count:     14
    .vgpr_spill_count: 0
    .wavefront_size: 32
    .workgroup_processor_mode: 1
  - .args:
      - .offset:         0
        .size:           48
        .value_kind:     by_value
    .group_segment_fixed_size: 0
    .kernarg_segment_align: 8
    .kernarg_segment_size: 48
    .language:       OpenCL C
    .language_version:
      - 2
      - 0
    .max_flat_workgroup_size: 256
    .name:           _ZN7rocprim17ROCPRIM_400000_NS6detail17trampoline_kernelINS0_14default_configENS1_38merge_sort_block_merge_config_selectorIiNS0_10empty_typeEEEZZNS1_27merge_sort_block_merge_implIS3_N6thrust23THRUST_200600_302600_NS6detail15normal_iteratorINS9_10device_ptrIiEEEEPS5_jNS1_19radix_merge_compareILb1ELb0EiNS0_19identity_decomposerEEEEE10hipError_tT0_T1_T2_jT3_P12ihipStream_tbPNSt15iterator_traitsISK_E10value_typeEPNSQ_ISL_E10value_typeEPSM_NS1_7vsmem_tEENKUlT_SK_SL_SM_E_clISE_PiSF_SF_EESJ_SZ_SK_SL_SM_EUlSZ_E1_NS1_11comp_targetILNS1_3genE0ELNS1_11target_archE4294967295ELNS1_3gpuE0ELNS1_3repE0EEENS1_36merge_oddeven_config_static_selectorELNS0_4arch9wavefront6targetE0EEEvSL_
    .private_segment_fixed_size: 0
    .sgpr_count:     0
    .sgpr_spill_count: 0
    .symbol:         _ZN7rocprim17ROCPRIM_400000_NS6detail17trampoline_kernelINS0_14default_configENS1_38merge_sort_block_merge_config_selectorIiNS0_10empty_typeEEEZZNS1_27merge_sort_block_merge_implIS3_N6thrust23THRUST_200600_302600_NS6detail15normal_iteratorINS9_10device_ptrIiEEEEPS5_jNS1_19radix_merge_compareILb1ELb0EiNS0_19identity_decomposerEEEEE10hipError_tT0_T1_T2_jT3_P12ihipStream_tbPNSt15iterator_traitsISK_E10value_typeEPNSQ_ISL_E10value_typeEPSM_NS1_7vsmem_tEENKUlT_SK_SL_SM_E_clISE_PiSF_SF_EESJ_SZ_SK_SL_SM_EUlSZ_E1_NS1_11comp_targetILNS1_3genE0ELNS1_11target_archE4294967295ELNS1_3gpuE0ELNS1_3repE0EEENS1_36merge_oddeven_config_static_selectorELNS0_4arch9wavefront6targetE0EEEvSL_.kd
    .uniform_work_group_size: 1
    .uses_dynamic_stack: false
    .vgpr_count:     0
    .vgpr_spill_count: 0
    .wavefront_size: 32
    .workgroup_processor_mode: 1
  - .args:
      - .offset:         0
        .size:           48
        .value_kind:     by_value
    .group_segment_fixed_size: 0
    .kernarg_segment_align: 8
    .kernarg_segment_size: 48
    .language:       OpenCL C
    .language_version:
      - 2
      - 0
    .max_flat_workgroup_size: 256
    .name:           _ZN7rocprim17ROCPRIM_400000_NS6detail17trampoline_kernelINS0_14default_configENS1_38merge_sort_block_merge_config_selectorIiNS0_10empty_typeEEEZZNS1_27merge_sort_block_merge_implIS3_N6thrust23THRUST_200600_302600_NS6detail15normal_iteratorINS9_10device_ptrIiEEEEPS5_jNS1_19radix_merge_compareILb1ELb0EiNS0_19identity_decomposerEEEEE10hipError_tT0_T1_T2_jT3_P12ihipStream_tbPNSt15iterator_traitsISK_E10value_typeEPNSQ_ISL_E10value_typeEPSM_NS1_7vsmem_tEENKUlT_SK_SL_SM_E_clISE_PiSF_SF_EESJ_SZ_SK_SL_SM_EUlSZ_E1_NS1_11comp_targetILNS1_3genE10ELNS1_11target_archE1201ELNS1_3gpuE5ELNS1_3repE0EEENS1_36merge_oddeven_config_static_selectorELNS0_4arch9wavefront6targetE0EEEvSL_
    .private_segment_fixed_size: 0
    .sgpr_count:     0
    .sgpr_spill_count: 0
    .symbol:         _ZN7rocprim17ROCPRIM_400000_NS6detail17trampoline_kernelINS0_14default_configENS1_38merge_sort_block_merge_config_selectorIiNS0_10empty_typeEEEZZNS1_27merge_sort_block_merge_implIS3_N6thrust23THRUST_200600_302600_NS6detail15normal_iteratorINS9_10device_ptrIiEEEEPS5_jNS1_19radix_merge_compareILb1ELb0EiNS0_19identity_decomposerEEEEE10hipError_tT0_T1_T2_jT3_P12ihipStream_tbPNSt15iterator_traitsISK_E10value_typeEPNSQ_ISL_E10value_typeEPSM_NS1_7vsmem_tEENKUlT_SK_SL_SM_E_clISE_PiSF_SF_EESJ_SZ_SK_SL_SM_EUlSZ_E1_NS1_11comp_targetILNS1_3genE10ELNS1_11target_archE1201ELNS1_3gpuE5ELNS1_3repE0EEENS1_36merge_oddeven_config_static_selectorELNS0_4arch9wavefront6targetE0EEEvSL_.kd
    .uniform_work_group_size: 1
    .uses_dynamic_stack: false
    .vgpr_count:     0
    .vgpr_spill_count: 0
    .wavefront_size: 32
    .workgroup_processor_mode: 1
  - .args:
      - .offset:         0
        .size:           48
        .value_kind:     by_value
    .group_segment_fixed_size: 0
    .kernarg_segment_align: 8
    .kernarg_segment_size: 48
    .language:       OpenCL C
    .language_version:
      - 2
      - 0
    .max_flat_workgroup_size: 256
    .name:           _ZN7rocprim17ROCPRIM_400000_NS6detail17trampoline_kernelINS0_14default_configENS1_38merge_sort_block_merge_config_selectorIiNS0_10empty_typeEEEZZNS1_27merge_sort_block_merge_implIS3_N6thrust23THRUST_200600_302600_NS6detail15normal_iteratorINS9_10device_ptrIiEEEEPS5_jNS1_19radix_merge_compareILb1ELb0EiNS0_19identity_decomposerEEEEE10hipError_tT0_T1_T2_jT3_P12ihipStream_tbPNSt15iterator_traitsISK_E10value_typeEPNSQ_ISL_E10value_typeEPSM_NS1_7vsmem_tEENKUlT_SK_SL_SM_E_clISE_PiSF_SF_EESJ_SZ_SK_SL_SM_EUlSZ_E1_NS1_11comp_targetILNS1_3genE5ELNS1_11target_archE942ELNS1_3gpuE9ELNS1_3repE0EEENS1_36merge_oddeven_config_static_selectorELNS0_4arch9wavefront6targetE0EEEvSL_
    .private_segment_fixed_size: 0
    .sgpr_count:     0
    .sgpr_spill_count: 0
    .symbol:         _ZN7rocprim17ROCPRIM_400000_NS6detail17trampoline_kernelINS0_14default_configENS1_38merge_sort_block_merge_config_selectorIiNS0_10empty_typeEEEZZNS1_27merge_sort_block_merge_implIS3_N6thrust23THRUST_200600_302600_NS6detail15normal_iteratorINS9_10device_ptrIiEEEEPS5_jNS1_19radix_merge_compareILb1ELb0EiNS0_19identity_decomposerEEEEE10hipError_tT0_T1_T2_jT3_P12ihipStream_tbPNSt15iterator_traitsISK_E10value_typeEPNSQ_ISL_E10value_typeEPSM_NS1_7vsmem_tEENKUlT_SK_SL_SM_E_clISE_PiSF_SF_EESJ_SZ_SK_SL_SM_EUlSZ_E1_NS1_11comp_targetILNS1_3genE5ELNS1_11target_archE942ELNS1_3gpuE9ELNS1_3repE0EEENS1_36merge_oddeven_config_static_selectorELNS0_4arch9wavefront6targetE0EEEvSL_.kd
    .uniform_work_group_size: 1
    .uses_dynamic_stack: false
    .vgpr_count:     0
    .vgpr_spill_count: 0
    .wavefront_size: 32
    .workgroup_processor_mode: 1
  - .args:
      - .offset:         0
        .size:           48
        .value_kind:     by_value
    .group_segment_fixed_size: 0
    .kernarg_segment_align: 8
    .kernarg_segment_size: 48
    .language:       OpenCL C
    .language_version:
      - 2
      - 0
    .max_flat_workgroup_size: 256
    .name:           _ZN7rocprim17ROCPRIM_400000_NS6detail17trampoline_kernelINS0_14default_configENS1_38merge_sort_block_merge_config_selectorIiNS0_10empty_typeEEEZZNS1_27merge_sort_block_merge_implIS3_N6thrust23THRUST_200600_302600_NS6detail15normal_iteratorINS9_10device_ptrIiEEEEPS5_jNS1_19radix_merge_compareILb1ELb0EiNS0_19identity_decomposerEEEEE10hipError_tT0_T1_T2_jT3_P12ihipStream_tbPNSt15iterator_traitsISK_E10value_typeEPNSQ_ISL_E10value_typeEPSM_NS1_7vsmem_tEENKUlT_SK_SL_SM_E_clISE_PiSF_SF_EESJ_SZ_SK_SL_SM_EUlSZ_E1_NS1_11comp_targetILNS1_3genE4ELNS1_11target_archE910ELNS1_3gpuE8ELNS1_3repE0EEENS1_36merge_oddeven_config_static_selectorELNS0_4arch9wavefront6targetE0EEEvSL_
    .private_segment_fixed_size: 0
    .sgpr_count:     0
    .sgpr_spill_count: 0
    .symbol:         _ZN7rocprim17ROCPRIM_400000_NS6detail17trampoline_kernelINS0_14default_configENS1_38merge_sort_block_merge_config_selectorIiNS0_10empty_typeEEEZZNS1_27merge_sort_block_merge_implIS3_N6thrust23THRUST_200600_302600_NS6detail15normal_iteratorINS9_10device_ptrIiEEEEPS5_jNS1_19radix_merge_compareILb1ELb0EiNS0_19identity_decomposerEEEEE10hipError_tT0_T1_T2_jT3_P12ihipStream_tbPNSt15iterator_traitsISK_E10value_typeEPNSQ_ISL_E10value_typeEPSM_NS1_7vsmem_tEENKUlT_SK_SL_SM_E_clISE_PiSF_SF_EESJ_SZ_SK_SL_SM_EUlSZ_E1_NS1_11comp_targetILNS1_3genE4ELNS1_11target_archE910ELNS1_3gpuE8ELNS1_3repE0EEENS1_36merge_oddeven_config_static_selectorELNS0_4arch9wavefront6targetE0EEEvSL_.kd
    .uniform_work_group_size: 1
    .uses_dynamic_stack: false
    .vgpr_count:     0
    .vgpr_spill_count: 0
    .wavefront_size: 32
    .workgroup_processor_mode: 1
  - .args:
      - .offset:         0
        .size:           48
        .value_kind:     by_value
    .group_segment_fixed_size: 0
    .kernarg_segment_align: 8
    .kernarg_segment_size: 48
    .language:       OpenCL C
    .language_version:
      - 2
      - 0
    .max_flat_workgroup_size: 256
    .name:           _ZN7rocprim17ROCPRIM_400000_NS6detail17trampoline_kernelINS0_14default_configENS1_38merge_sort_block_merge_config_selectorIiNS0_10empty_typeEEEZZNS1_27merge_sort_block_merge_implIS3_N6thrust23THRUST_200600_302600_NS6detail15normal_iteratorINS9_10device_ptrIiEEEEPS5_jNS1_19radix_merge_compareILb1ELb0EiNS0_19identity_decomposerEEEEE10hipError_tT0_T1_T2_jT3_P12ihipStream_tbPNSt15iterator_traitsISK_E10value_typeEPNSQ_ISL_E10value_typeEPSM_NS1_7vsmem_tEENKUlT_SK_SL_SM_E_clISE_PiSF_SF_EESJ_SZ_SK_SL_SM_EUlSZ_E1_NS1_11comp_targetILNS1_3genE3ELNS1_11target_archE908ELNS1_3gpuE7ELNS1_3repE0EEENS1_36merge_oddeven_config_static_selectorELNS0_4arch9wavefront6targetE0EEEvSL_
    .private_segment_fixed_size: 0
    .sgpr_count:     0
    .sgpr_spill_count: 0
    .symbol:         _ZN7rocprim17ROCPRIM_400000_NS6detail17trampoline_kernelINS0_14default_configENS1_38merge_sort_block_merge_config_selectorIiNS0_10empty_typeEEEZZNS1_27merge_sort_block_merge_implIS3_N6thrust23THRUST_200600_302600_NS6detail15normal_iteratorINS9_10device_ptrIiEEEEPS5_jNS1_19radix_merge_compareILb1ELb0EiNS0_19identity_decomposerEEEEE10hipError_tT0_T1_T2_jT3_P12ihipStream_tbPNSt15iterator_traitsISK_E10value_typeEPNSQ_ISL_E10value_typeEPSM_NS1_7vsmem_tEENKUlT_SK_SL_SM_E_clISE_PiSF_SF_EESJ_SZ_SK_SL_SM_EUlSZ_E1_NS1_11comp_targetILNS1_3genE3ELNS1_11target_archE908ELNS1_3gpuE7ELNS1_3repE0EEENS1_36merge_oddeven_config_static_selectorELNS0_4arch9wavefront6targetE0EEEvSL_.kd
    .uniform_work_group_size: 1
    .uses_dynamic_stack: false
    .vgpr_count:     0
    .vgpr_spill_count: 0
    .wavefront_size: 32
    .workgroup_processor_mode: 1
  - .args:
      - .offset:         0
        .size:           48
        .value_kind:     by_value
    .group_segment_fixed_size: 0
    .kernarg_segment_align: 8
    .kernarg_segment_size: 48
    .language:       OpenCL C
    .language_version:
      - 2
      - 0
    .max_flat_workgroup_size: 256
    .name:           _ZN7rocprim17ROCPRIM_400000_NS6detail17trampoline_kernelINS0_14default_configENS1_38merge_sort_block_merge_config_selectorIiNS0_10empty_typeEEEZZNS1_27merge_sort_block_merge_implIS3_N6thrust23THRUST_200600_302600_NS6detail15normal_iteratorINS9_10device_ptrIiEEEEPS5_jNS1_19radix_merge_compareILb1ELb0EiNS0_19identity_decomposerEEEEE10hipError_tT0_T1_T2_jT3_P12ihipStream_tbPNSt15iterator_traitsISK_E10value_typeEPNSQ_ISL_E10value_typeEPSM_NS1_7vsmem_tEENKUlT_SK_SL_SM_E_clISE_PiSF_SF_EESJ_SZ_SK_SL_SM_EUlSZ_E1_NS1_11comp_targetILNS1_3genE2ELNS1_11target_archE906ELNS1_3gpuE6ELNS1_3repE0EEENS1_36merge_oddeven_config_static_selectorELNS0_4arch9wavefront6targetE0EEEvSL_
    .private_segment_fixed_size: 0
    .sgpr_count:     0
    .sgpr_spill_count: 0
    .symbol:         _ZN7rocprim17ROCPRIM_400000_NS6detail17trampoline_kernelINS0_14default_configENS1_38merge_sort_block_merge_config_selectorIiNS0_10empty_typeEEEZZNS1_27merge_sort_block_merge_implIS3_N6thrust23THRUST_200600_302600_NS6detail15normal_iteratorINS9_10device_ptrIiEEEEPS5_jNS1_19radix_merge_compareILb1ELb0EiNS0_19identity_decomposerEEEEE10hipError_tT0_T1_T2_jT3_P12ihipStream_tbPNSt15iterator_traitsISK_E10value_typeEPNSQ_ISL_E10value_typeEPSM_NS1_7vsmem_tEENKUlT_SK_SL_SM_E_clISE_PiSF_SF_EESJ_SZ_SK_SL_SM_EUlSZ_E1_NS1_11comp_targetILNS1_3genE2ELNS1_11target_archE906ELNS1_3gpuE6ELNS1_3repE0EEENS1_36merge_oddeven_config_static_selectorELNS0_4arch9wavefront6targetE0EEEvSL_.kd
    .uniform_work_group_size: 1
    .uses_dynamic_stack: false
    .vgpr_count:     0
    .vgpr_spill_count: 0
    .wavefront_size: 32
    .workgroup_processor_mode: 1
  - .args:
      - .offset:         0
        .size:           48
        .value_kind:     by_value
    .group_segment_fixed_size: 0
    .kernarg_segment_align: 8
    .kernarg_segment_size: 48
    .language:       OpenCL C
    .language_version:
      - 2
      - 0
    .max_flat_workgroup_size: 256
    .name:           _ZN7rocprim17ROCPRIM_400000_NS6detail17trampoline_kernelINS0_14default_configENS1_38merge_sort_block_merge_config_selectorIiNS0_10empty_typeEEEZZNS1_27merge_sort_block_merge_implIS3_N6thrust23THRUST_200600_302600_NS6detail15normal_iteratorINS9_10device_ptrIiEEEEPS5_jNS1_19radix_merge_compareILb1ELb0EiNS0_19identity_decomposerEEEEE10hipError_tT0_T1_T2_jT3_P12ihipStream_tbPNSt15iterator_traitsISK_E10value_typeEPNSQ_ISL_E10value_typeEPSM_NS1_7vsmem_tEENKUlT_SK_SL_SM_E_clISE_PiSF_SF_EESJ_SZ_SK_SL_SM_EUlSZ_E1_NS1_11comp_targetILNS1_3genE9ELNS1_11target_archE1100ELNS1_3gpuE3ELNS1_3repE0EEENS1_36merge_oddeven_config_static_selectorELNS0_4arch9wavefront6targetE0EEEvSL_
    .private_segment_fixed_size: 0
    .sgpr_count:     0
    .sgpr_spill_count: 0
    .symbol:         _ZN7rocprim17ROCPRIM_400000_NS6detail17trampoline_kernelINS0_14default_configENS1_38merge_sort_block_merge_config_selectorIiNS0_10empty_typeEEEZZNS1_27merge_sort_block_merge_implIS3_N6thrust23THRUST_200600_302600_NS6detail15normal_iteratorINS9_10device_ptrIiEEEEPS5_jNS1_19radix_merge_compareILb1ELb0EiNS0_19identity_decomposerEEEEE10hipError_tT0_T1_T2_jT3_P12ihipStream_tbPNSt15iterator_traitsISK_E10value_typeEPNSQ_ISL_E10value_typeEPSM_NS1_7vsmem_tEENKUlT_SK_SL_SM_E_clISE_PiSF_SF_EESJ_SZ_SK_SL_SM_EUlSZ_E1_NS1_11comp_targetILNS1_3genE9ELNS1_11target_archE1100ELNS1_3gpuE3ELNS1_3repE0EEENS1_36merge_oddeven_config_static_selectorELNS0_4arch9wavefront6targetE0EEEvSL_.kd
    .uniform_work_group_size: 1
    .uses_dynamic_stack: false
    .vgpr_count:     0
    .vgpr_spill_count: 0
    .wavefront_size: 32
    .workgroup_processor_mode: 1
  - .args:
      - .offset:         0
        .size:           48
        .value_kind:     by_value
    .group_segment_fixed_size: 0
    .kernarg_segment_align: 8
    .kernarg_segment_size: 48
    .language:       OpenCL C
    .language_version:
      - 2
      - 0
    .max_flat_workgroup_size: 256
    .name:           _ZN7rocprim17ROCPRIM_400000_NS6detail17trampoline_kernelINS0_14default_configENS1_38merge_sort_block_merge_config_selectorIiNS0_10empty_typeEEEZZNS1_27merge_sort_block_merge_implIS3_N6thrust23THRUST_200600_302600_NS6detail15normal_iteratorINS9_10device_ptrIiEEEEPS5_jNS1_19radix_merge_compareILb1ELb0EiNS0_19identity_decomposerEEEEE10hipError_tT0_T1_T2_jT3_P12ihipStream_tbPNSt15iterator_traitsISK_E10value_typeEPNSQ_ISL_E10value_typeEPSM_NS1_7vsmem_tEENKUlT_SK_SL_SM_E_clISE_PiSF_SF_EESJ_SZ_SK_SL_SM_EUlSZ_E1_NS1_11comp_targetILNS1_3genE8ELNS1_11target_archE1030ELNS1_3gpuE2ELNS1_3repE0EEENS1_36merge_oddeven_config_static_selectorELNS0_4arch9wavefront6targetE0EEEvSL_
    .private_segment_fixed_size: 0
    .sgpr_count:     18
    .sgpr_spill_count: 0
    .symbol:         _ZN7rocprim17ROCPRIM_400000_NS6detail17trampoline_kernelINS0_14default_configENS1_38merge_sort_block_merge_config_selectorIiNS0_10empty_typeEEEZZNS1_27merge_sort_block_merge_implIS3_N6thrust23THRUST_200600_302600_NS6detail15normal_iteratorINS9_10device_ptrIiEEEEPS5_jNS1_19radix_merge_compareILb1ELb0EiNS0_19identity_decomposerEEEEE10hipError_tT0_T1_T2_jT3_P12ihipStream_tbPNSt15iterator_traitsISK_E10value_typeEPNSQ_ISL_E10value_typeEPSM_NS1_7vsmem_tEENKUlT_SK_SL_SM_E_clISE_PiSF_SF_EESJ_SZ_SK_SL_SM_EUlSZ_E1_NS1_11comp_targetILNS1_3genE8ELNS1_11target_archE1030ELNS1_3gpuE2ELNS1_3repE0EEENS1_36merge_oddeven_config_static_selectorELNS0_4arch9wavefront6targetE0EEEvSL_.kd
    .uniform_work_group_size: 1
    .uses_dynamic_stack: false
    .vgpr_count:     8
    .vgpr_spill_count: 0
    .wavefront_size: 32
    .workgroup_processor_mode: 1
  - .args:
      - .offset:         0
        .size:           40
        .value_kind:     by_value
    .group_segment_fixed_size: 0
    .kernarg_segment_align: 8
    .kernarg_segment_size: 40
    .language:       OpenCL C
    .language_version:
      - 2
      - 0
    .max_flat_workgroup_size: 128
    .name:           _ZN7rocprim17ROCPRIM_400000_NS6detail17trampoline_kernelINS0_14default_configENS1_38merge_sort_block_merge_config_selectorIiNS0_10empty_typeEEEZZNS1_27merge_sort_block_merge_implIS3_N6thrust23THRUST_200600_302600_NS6detail15normal_iteratorINS9_10device_ptrIiEEEEPS5_jNS1_19radix_merge_compareILb1ELb1EiNS0_19identity_decomposerEEEEE10hipError_tT0_T1_T2_jT3_P12ihipStream_tbPNSt15iterator_traitsISK_E10value_typeEPNSQ_ISL_E10value_typeEPSM_NS1_7vsmem_tEENKUlT_SK_SL_SM_E_clIPiSE_SF_SF_EESJ_SZ_SK_SL_SM_EUlSZ_E_NS1_11comp_targetILNS1_3genE0ELNS1_11target_archE4294967295ELNS1_3gpuE0ELNS1_3repE0EEENS1_48merge_mergepath_partition_config_static_selectorELNS0_4arch9wavefront6targetE0EEEvSL_
    .private_segment_fixed_size: 0
    .sgpr_count:     0
    .sgpr_spill_count: 0
    .symbol:         _ZN7rocprim17ROCPRIM_400000_NS6detail17trampoline_kernelINS0_14default_configENS1_38merge_sort_block_merge_config_selectorIiNS0_10empty_typeEEEZZNS1_27merge_sort_block_merge_implIS3_N6thrust23THRUST_200600_302600_NS6detail15normal_iteratorINS9_10device_ptrIiEEEEPS5_jNS1_19radix_merge_compareILb1ELb1EiNS0_19identity_decomposerEEEEE10hipError_tT0_T1_T2_jT3_P12ihipStream_tbPNSt15iterator_traitsISK_E10value_typeEPNSQ_ISL_E10value_typeEPSM_NS1_7vsmem_tEENKUlT_SK_SL_SM_E_clIPiSE_SF_SF_EESJ_SZ_SK_SL_SM_EUlSZ_E_NS1_11comp_targetILNS1_3genE0ELNS1_11target_archE4294967295ELNS1_3gpuE0ELNS1_3repE0EEENS1_48merge_mergepath_partition_config_static_selectorELNS0_4arch9wavefront6targetE0EEEvSL_.kd
    .uniform_work_group_size: 1
    .uses_dynamic_stack: false
    .vgpr_count:     0
    .vgpr_spill_count: 0
    .wavefront_size: 32
    .workgroup_processor_mode: 1
  - .args:
      - .offset:         0
        .size:           40
        .value_kind:     by_value
    .group_segment_fixed_size: 0
    .kernarg_segment_align: 8
    .kernarg_segment_size: 40
    .language:       OpenCL C
    .language_version:
      - 2
      - 0
    .max_flat_workgroup_size: 128
    .name:           _ZN7rocprim17ROCPRIM_400000_NS6detail17trampoline_kernelINS0_14default_configENS1_38merge_sort_block_merge_config_selectorIiNS0_10empty_typeEEEZZNS1_27merge_sort_block_merge_implIS3_N6thrust23THRUST_200600_302600_NS6detail15normal_iteratorINS9_10device_ptrIiEEEEPS5_jNS1_19radix_merge_compareILb1ELb1EiNS0_19identity_decomposerEEEEE10hipError_tT0_T1_T2_jT3_P12ihipStream_tbPNSt15iterator_traitsISK_E10value_typeEPNSQ_ISL_E10value_typeEPSM_NS1_7vsmem_tEENKUlT_SK_SL_SM_E_clIPiSE_SF_SF_EESJ_SZ_SK_SL_SM_EUlSZ_E_NS1_11comp_targetILNS1_3genE10ELNS1_11target_archE1201ELNS1_3gpuE5ELNS1_3repE0EEENS1_48merge_mergepath_partition_config_static_selectorELNS0_4arch9wavefront6targetE0EEEvSL_
    .private_segment_fixed_size: 0
    .sgpr_count:     0
    .sgpr_spill_count: 0
    .symbol:         _ZN7rocprim17ROCPRIM_400000_NS6detail17trampoline_kernelINS0_14default_configENS1_38merge_sort_block_merge_config_selectorIiNS0_10empty_typeEEEZZNS1_27merge_sort_block_merge_implIS3_N6thrust23THRUST_200600_302600_NS6detail15normal_iteratorINS9_10device_ptrIiEEEEPS5_jNS1_19radix_merge_compareILb1ELb1EiNS0_19identity_decomposerEEEEE10hipError_tT0_T1_T2_jT3_P12ihipStream_tbPNSt15iterator_traitsISK_E10value_typeEPNSQ_ISL_E10value_typeEPSM_NS1_7vsmem_tEENKUlT_SK_SL_SM_E_clIPiSE_SF_SF_EESJ_SZ_SK_SL_SM_EUlSZ_E_NS1_11comp_targetILNS1_3genE10ELNS1_11target_archE1201ELNS1_3gpuE5ELNS1_3repE0EEENS1_48merge_mergepath_partition_config_static_selectorELNS0_4arch9wavefront6targetE0EEEvSL_.kd
    .uniform_work_group_size: 1
    .uses_dynamic_stack: false
    .vgpr_count:     0
    .vgpr_spill_count: 0
    .wavefront_size: 32
    .workgroup_processor_mode: 1
  - .args:
      - .offset:         0
        .size:           40
        .value_kind:     by_value
    .group_segment_fixed_size: 0
    .kernarg_segment_align: 8
    .kernarg_segment_size: 40
    .language:       OpenCL C
    .language_version:
      - 2
      - 0
    .max_flat_workgroup_size: 128
    .name:           _ZN7rocprim17ROCPRIM_400000_NS6detail17trampoline_kernelINS0_14default_configENS1_38merge_sort_block_merge_config_selectorIiNS0_10empty_typeEEEZZNS1_27merge_sort_block_merge_implIS3_N6thrust23THRUST_200600_302600_NS6detail15normal_iteratorINS9_10device_ptrIiEEEEPS5_jNS1_19radix_merge_compareILb1ELb1EiNS0_19identity_decomposerEEEEE10hipError_tT0_T1_T2_jT3_P12ihipStream_tbPNSt15iterator_traitsISK_E10value_typeEPNSQ_ISL_E10value_typeEPSM_NS1_7vsmem_tEENKUlT_SK_SL_SM_E_clIPiSE_SF_SF_EESJ_SZ_SK_SL_SM_EUlSZ_E_NS1_11comp_targetILNS1_3genE5ELNS1_11target_archE942ELNS1_3gpuE9ELNS1_3repE0EEENS1_48merge_mergepath_partition_config_static_selectorELNS0_4arch9wavefront6targetE0EEEvSL_
    .private_segment_fixed_size: 0
    .sgpr_count:     0
    .sgpr_spill_count: 0
    .symbol:         _ZN7rocprim17ROCPRIM_400000_NS6detail17trampoline_kernelINS0_14default_configENS1_38merge_sort_block_merge_config_selectorIiNS0_10empty_typeEEEZZNS1_27merge_sort_block_merge_implIS3_N6thrust23THRUST_200600_302600_NS6detail15normal_iteratorINS9_10device_ptrIiEEEEPS5_jNS1_19radix_merge_compareILb1ELb1EiNS0_19identity_decomposerEEEEE10hipError_tT0_T1_T2_jT3_P12ihipStream_tbPNSt15iterator_traitsISK_E10value_typeEPNSQ_ISL_E10value_typeEPSM_NS1_7vsmem_tEENKUlT_SK_SL_SM_E_clIPiSE_SF_SF_EESJ_SZ_SK_SL_SM_EUlSZ_E_NS1_11comp_targetILNS1_3genE5ELNS1_11target_archE942ELNS1_3gpuE9ELNS1_3repE0EEENS1_48merge_mergepath_partition_config_static_selectorELNS0_4arch9wavefront6targetE0EEEvSL_.kd
    .uniform_work_group_size: 1
    .uses_dynamic_stack: false
    .vgpr_count:     0
    .vgpr_spill_count: 0
    .wavefront_size: 32
    .workgroup_processor_mode: 1
  - .args:
      - .offset:         0
        .size:           40
        .value_kind:     by_value
    .group_segment_fixed_size: 0
    .kernarg_segment_align: 8
    .kernarg_segment_size: 40
    .language:       OpenCL C
    .language_version:
      - 2
      - 0
    .max_flat_workgroup_size: 128
    .name:           _ZN7rocprim17ROCPRIM_400000_NS6detail17trampoline_kernelINS0_14default_configENS1_38merge_sort_block_merge_config_selectorIiNS0_10empty_typeEEEZZNS1_27merge_sort_block_merge_implIS3_N6thrust23THRUST_200600_302600_NS6detail15normal_iteratorINS9_10device_ptrIiEEEEPS5_jNS1_19radix_merge_compareILb1ELb1EiNS0_19identity_decomposerEEEEE10hipError_tT0_T1_T2_jT3_P12ihipStream_tbPNSt15iterator_traitsISK_E10value_typeEPNSQ_ISL_E10value_typeEPSM_NS1_7vsmem_tEENKUlT_SK_SL_SM_E_clIPiSE_SF_SF_EESJ_SZ_SK_SL_SM_EUlSZ_E_NS1_11comp_targetILNS1_3genE4ELNS1_11target_archE910ELNS1_3gpuE8ELNS1_3repE0EEENS1_48merge_mergepath_partition_config_static_selectorELNS0_4arch9wavefront6targetE0EEEvSL_
    .private_segment_fixed_size: 0
    .sgpr_count:     0
    .sgpr_spill_count: 0
    .symbol:         _ZN7rocprim17ROCPRIM_400000_NS6detail17trampoline_kernelINS0_14default_configENS1_38merge_sort_block_merge_config_selectorIiNS0_10empty_typeEEEZZNS1_27merge_sort_block_merge_implIS3_N6thrust23THRUST_200600_302600_NS6detail15normal_iteratorINS9_10device_ptrIiEEEEPS5_jNS1_19radix_merge_compareILb1ELb1EiNS0_19identity_decomposerEEEEE10hipError_tT0_T1_T2_jT3_P12ihipStream_tbPNSt15iterator_traitsISK_E10value_typeEPNSQ_ISL_E10value_typeEPSM_NS1_7vsmem_tEENKUlT_SK_SL_SM_E_clIPiSE_SF_SF_EESJ_SZ_SK_SL_SM_EUlSZ_E_NS1_11comp_targetILNS1_3genE4ELNS1_11target_archE910ELNS1_3gpuE8ELNS1_3repE0EEENS1_48merge_mergepath_partition_config_static_selectorELNS0_4arch9wavefront6targetE0EEEvSL_.kd
    .uniform_work_group_size: 1
    .uses_dynamic_stack: false
    .vgpr_count:     0
    .vgpr_spill_count: 0
    .wavefront_size: 32
    .workgroup_processor_mode: 1
  - .args:
      - .offset:         0
        .size:           40
        .value_kind:     by_value
    .group_segment_fixed_size: 0
    .kernarg_segment_align: 8
    .kernarg_segment_size: 40
    .language:       OpenCL C
    .language_version:
      - 2
      - 0
    .max_flat_workgroup_size: 128
    .name:           _ZN7rocprim17ROCPRIM_400000_NS6detail17trampoline_kernelINS0_14default_configENS1_38merge_sort_block_merge_config_selectorIiNS0_10empty_typeEEEZZNS1_27merge_sort_block_merge_implIS3_N6thrust23THRUST_200600_302600_NS6detail15normal_iteratorINS9_10device_ptrIiEEEEPS5_jNS1_19radix_merge_compareILb1ELb1EiNS0_19identity_decomposerEEEEE10hipError_tT0_T1_T2_jT3_P12ihipStream_tbPNSt15iterator_traitsISK_E10value_typeEPNSQ_ISL_E10value_typeEPSM_NS1_7vsmem_tEENKUlT_SK_SL_SM_E_clIPiSE_SF_SF_EESJ_SZ_SK_SL_SM_EUlSZ_E_NS1_11comp_targetILNS1_3genE3ELNS1_11target_archE908ELNS1_3gpuE7ELNS1_3repE0EEENS1_48merge_mergepath_partition_config_static_selectorELNS0_4arch9wavefront6targetE0EEEvSL_
    .private_segment_fixed_size: 0
    .sgpr_count:     0
    .sgpr_spill_count: 0
    .symbol:         _ZN7rocprim17ROCPRIM_400000_NS6detail17trampoline_kernelINS0_14default_configENS1_38merge_sort_block_merge_config_selectorIiNS0_10empty_typeEEEZZNS1_27merge_sort_block_merge_implIS3_N6thrust23THRUST_200600_302600_NS6detail15normal_iteratorINS9_10device_ptrIiEEEEPS5_jNS1_19radix_merge_compareILb1ELb1EiNS0_19identity_decomposerEEEEE10hipError_tT0_T1_T2_jT3_P12ihipStream_tbPNSt15iterator_traitsISK_E10value_typeEPNSQ_ISL_E10value_typeEPSM_NS1_7vsmem_tEENKUlT_SK_SL_SM_E_clIPiSE_SF_SF_EESJ_SZ_SK_SL_SM_EUlSZ_E_NS1_11comp_targetILNS1_3genE3ELNS1_11target_archE908ELNS1_3gpuE7ELNS1_3repE0EEENS1_48merge_mergepath_partition_config_static_selectorELNS0_4arch9wavefront6targetE0EEEvSL_.kd
    .uniform_work_group_size: 1
    .uses_dynamic_stack: false
    .vgpr_count:     0
    .vgpr_spill_count: 0
    .wavefront_size: 32
    .workgroup_processor_mode: 1
  - .args:
      - .offset:         0
        .size:           40
        .value_kind:     by_value
    .group_segment_fixed_size: 0
    .kernarg_segment_align: 8
    .kernarg_segment_size: 40
    .language:       OpenCL C
    .language_version:
      - 2
      - 0
    .max_flat_workgroup_size: 128
    .name:           _ZN7rocprim17ROCPRIM_400000_NS6detail17trampoline_kernelINS0_14default_configENS1_38merge_sort_block_merge_config_selectorIiNS0_10empty_typeEEEZZNS1_27merge_sort_block_merge_implIS3_N6thrust23THRUST_200600_302600_NS6detail15normal_iteratorINS9_10device_ptrIiEEEEPS5_jNS1_19radix_merge_compareILb1ELb1EiNS0_19identity_decomposerEEEEE10hipError_tT0_T1_T2_jT3_P12ihipStream_tbPNSt15iterator_traitsISK_E10value_typeEPNSQ_ISL_E10value_typeEPSM_NS1_7vsmem_tEENKUlT_SK_SL_SM_E_clIPiSE_SF_SF_EESJ_SZ_SK_SL_SM_EUlSZ_E_NS1_11comp_targetILNS1_3genE2ELNS1_11target_archE906ELNS1_3gpuE6ELNS1_3repE0EEENS1_48merge_mergepath_partition_config_static_selectorELNS0_4arch9wavefront6targetE0EEEvSL_
    .private_segment_fixed_size: 0
    .sgpr_count:     0
    .sgpr_spill_count: 0
    .symbol:         _ZN7rocprim17ROCPRIM_400000_NS6detail17trampoline_kernelINS0_14default_configENS1_38merge_sort_block_merge_config_selectorIiNS0_10empty_typeEEEZZNS1_27merge_sort_block_merge_implIS3_N6thrust23THRUST_200600_302600_NS6detail15normal_iteratorINS9_10device_ptrIiEEEEPS5_jNS1_19radix_merge_compareILb1ELb1EiNS0_19identity_decomposerEEEEE10hipError_tT0_T1_T2_jT3_P12ihipStream_tbPNSt15iterator_traitsISK_E10value_typeEPNSQ_ISL_E10value_typeEPSM_NS1_7vsmem_tEENKUlT_SK_SL_SM_E_clIPiSE_SF_SF_EESJ_SZ_SK_SL_SM_EUlSZ_E_NS1_11comp_targetILNS1_3genE2ELNS1_11target_archE906ELNS1_3gpuE6ELNS1_3repE0EEENS1_48merge_mergepath_partition_config_static_selectorELNS0_4arch9wavefront6targetE0EEEvSL_.kd
    .uniform_work_group_size: 1
    .uses_dynamic_stack: false
    .vgpr_count:     0
    .vgpr_spill_count: 0
    .wavefront_size: 32
    .workgroup_processor_mode: 1
  - .args:
      - .offset:         0
        .size:           40
        .value_kind:     by_value
    .group_segment_fixed_size: 0
    .kernarg_segment_align: 8
    .kernarg_segment_size: 40
    .language:       OpenCL C
    .language_version:
      - 2
      - 0
    .max_flat_workgroup_size: 128
    .name:           _ZN7rocprim17ROCPRIM_400000_NS6detail17trampoline_kernelINS0_14default_configENS1_38merge_sort_block_merge_config_selectorIiNS0_10empty_typeEEEZZNS1_27merge_sort_block_merge_implIS3_N6thrust23THRUST_200600_302600_NS6detail15normal_iteratorINS9_10device_ptrIiEEEEPS5_jNS1_19radix_merge_compareILb1ELb1EiNS0_19identity_decomposerEEEEE10hipError_tT0_T1_T2_jT3_P12ihipStream_tbPNSt15iterator_traitsISK_E10value_typeEPNSQ_ISL_E10value_typeEPSM_NS1_7vsmem_tEENKUlT_SK_SL_SM_E_clIPiSE_SF_SF_EESJ_SZ_SK_SL_SM_EUlSZ_E_NS1_11comp_targetILNS1_3genE9ELNS1_11target_archE1100ELNS1_3gpuE3ELNS1_3repE0EEENS1_48merge_mergepath_partition_config_static_selectorELNS0_4arch9wavefront6targetE0EEEvSL_
    .private_segment_fixed_size: 0
    .sgpr_count:     0
    .sgpr_spill_count: 0
    .symbol:         _ZN7rocprim17ROCPRIM_400000_NS6detail17trampoline_kernelINS0_14default_configENS1_38merge_sort_block_merge_config_selectorIiNS0_10empty_typeEEEZZNS1_27merge_sort_block_merge_implIS3_N6thrust23THRUST_200600_302600_NS6detail15normal_iteratorINS9_10device_ptrIiEEEEPS5_jNS1_19radix_merge_compareILb1ELb1EiNS0_19identity_decomposerEEEEE10hipError_tT0_T1_T2_jT3_P12ihipStream_tbPNSt15iterator_traitsISK_E10value_typeEPNSQ_ISL_E10value_typeEPSM_NS1_7vsmem_tEENKUlT_SK_SL_SM_E_clIPiSE_SF_SF_EESJ_SZ_SK_SL_SM_EUlSZ_E_NS1_11comp_targetILNS1_3genE9ELNS1_11target_archE1100ELNS1_3gpuE3ELNS1_3repE0EEENS1_48merge_mergepath_partition_config_static_selectorELNS0_4arch9wavefront6targetE0EEEvSL_.kd
    .uniform_work_group_size: 1
    .uses_dynamic_stack: false
    .vgpr_count:     0
    .vgpr_spill_count: 0
    .wavefront_size: 32
    .workgroup_processor_mode: 1
  - .args:
      - .offset:         0
        .size:           40
        .value_kind:     by_value
    .group_segment_fixed_size: 0
    .kernarg_segment_align: 8
    .kernarg_segment_size: 40
    .language:       OpenCL C
    .language_version:
      - 2
      - 0
    .max_flat_workgroup_size: 128
    .name:           _ZN7rocprim17ROCPRIM_400000_NS6detail17trampoline_kernelINS0_14default_configENS1_38merge_sort_block_merge_config_selectorIiNS0_10empty_typeEEEZZNS1_27merge_sort_block_merge_implIS3_N6thrust23THRUST_200600_302600_NS6detail15normal_iteratorINS9_10device_ptrIiEEEEPS5_jNS1_19radix_merge_compareILb1ELb1EiNS0_19identity_decomposerEEEEE10hipError_tT0_T1_T2_jT3_P12ihipStream_tbPNSt15iterator_traitsISK_E10value_typeEPNSQ_ISL_E10value_typeEPSM_NS1_7vsmem_tEENKUlT_SK_SL_SM_E_clIPiSE_SF_SF_EESJ_SZ_SK_SL_SM_EUlSZ_E_NS1_11comp_targetILNS1_3genE8ELNS1_11target_archE1030ELNS1_3gpuE2ELNS1_3repE0EEENS1_48merge_mergepath_partition_config_static_selectorELNS0_4arch9wavefront6targetE0EEEvSL_
    .private_segment_fixed_size: 0
    .sgpr_count:     10
    .sgpr_spill_count: 0
    .symbol:         _ZN7rocprim17ROCPRIM_400000_NS6detail17trampoline_kernelINS0_14default_configENS1_38merge_sort_block_merge_config_selectorIiNS0_10empty_typeEEEZZNS1_27merge_sort_block_merge_implIS3_N6thrust23THRUST_200600_302600_NS6detail15normal_iteratorINS9_10device_ptrIiEEEEPS5_jNS1_19radix_merge_compareILb1ELb1EiNS0_19identity_decomposerEEEEE10hipError_tT0_T1_T2_jT3_P12ihipStream_tbPNSt15iterator_traitsISK_E10value_typeEPNSQ_ISL_E10value_typeEPSM_NS1_7vsmem_tEENKUlT_SK_SL_SM_E_clIPiSE_SF_SF_EESJ_SZ_SK_SL_SM_EUlSZ_E_NS1_11comp_targetILNS1_3genE8ELNS1_11target_archE1030ELNS1_3gpuE2ELNS1_3repE0EEENS1_48merge_mergepath_partition_config_static_selectorELNS0_4arch9wavefront6targetE0EEEvSL_.kd
    .uniform_work_group_size: 1
    .uses_dynamic_stack: false
    .vgpr_count:     15
    .vgpr_spill_count: 0
    .wavefront_size: 32
    .workgroup_processor_mode: 1
  - .args:
      - .offset:         0
        .size:           64
        .value_kind:     by_value
    .group_segment_fixed_size: 0
    .kernarg_segment_align: 8
    .kernarg_segment_size: 64
    .language:       OpenCL C
    .language_version:
      - 2
      - 0
    .max_flat_workgroup_size: 128
    .name:           _ZN7rocprim17ROCPRIM_400000_NS6detail17trampoline_kernelINS0_14default_configENS1_38merge_sort_block_merge_config_selectorIiNS0_10empty_typeEEEZZNS1_27merge_sort_block_merge_implIS3_N6thrust23THRUST_200600_302600_NS6detail15normal_iteratorINS9_10device_ptrIiEEEEPS5_jNS1_19radix_merge_compareILb1ELb1EiNS0_19identity_decomposerEEEEE10hipError_tT0_T1_T2_jT3_P12ihipStream_tbPNSt15iterator_traitsISK_E10value_typeEPNSQ_ISL_E10value_typeEPSM_NS1_7vsmem_tEENKUlT_SK_SL_SM_E_clIPiSE_SF_SF_EESJ_SZ_SK_SL_SM_EUlSZ_E0_NS1_11comp_targetILNS1_3genE0ELNS1_11target_archE4294967295ELNS1_3gpuE0ELNS1_3repE0EEENS1_38merge_mergepath_config_static_selectorELNS0_4arch9wavefront6targetE0EEEvSL_
    .private_segment_fixed_size: 0
    .sgpr_count:     0
    .sgpr_spill_count: 0
    .symbol:         _ZN7rocprim17ROCPRIM_400000_NS6detail17trampoline_kernelINS0_14default_configENS1_38merge_sort_block_merge_config_selectorIiNS0_10empty_typeEEEZZNS1_27merge_sort_block_merge_implIS3_N6thrust23THRUST_200600_302600_NS6detail15normal_iteratorINS9_10device_ptrIiEEEEPS5_jNS1_19radix_merge_compareILb1ELb1EiNS0_19identity_decomposerEEEEE10hipError_tT0_T1_T2_jT3_P12ihipStream_tbPNSt15iterator_traitsISK_E10value_typeEPNSQ_ISL_E10value_typeEPSM_NS1_7vsmem_tEENKUlT_SK_SL_SM_E_clIPiSE_SF_SF_EESJ_SZ_SK_SL_SM_EUlSZ_E0_NS1_11comp_targetILNS1_3genE0ELNS1_11target_archE4294967295ELNS1_3gpuE0ELNS1_3repE0EEENS1_38merge_mergepath_config_static_selectorELNS0_4arch9wavefront6targetE0EEEvSL_.kd
    .uniform_work_group_size: 1
    .uses_dynamic_stack: false
    .vgpr_count:     0
    .vgpr_spill_count: 0
    .wavefront_size: 32
    .workgroup_processor_mode: 1
  - .args:
      - .offset:         0
        .size:           64
        .value_kind:     by_value
    .group_segment_fixed_size: 0
    .kernarg_segment_align: 8
    .kernarg_segment_size: 64
    .language:       OpenCL C
    .language_version:
      - 2
      - 0
    .max_flat_workgroup_size: 256
    .name:           _ZN7rocprim17ROCPRIM_400000_NS6detail17trampoline_kernelINS0_14default_configENS1_38merge_sort_block_merge_config_selectorIiNS0_10empty_typeEEEZZNS1_27merge_sort_block_merge_implIS3_N6thrust23THRUST_200600_302600_NS6detail15normal_iteratorINS9_10device_ptrIiEEEEPS5_jNS1_19radix_merge_compareILb1ELb1EiNS0_19identity_decomposerEEEEE10hipError_tT0_T1_T2_jT3_P12ihipStream_tbPNSt15iterator_traitsISK_E10value_typeEPNSQ_ISL_E10value_typeEPSM_NS1_7vsmem_tEENKUlT_SK_SL_SM_E_clIPiSE_SF_SF_EESJ_SZ_SK_SL_SM_EUlSZ_E0_NS1_11comp_targetILNS1_3genE10ELNS1_11target_archE1201ELNS1_3gpuE5ELNS1_3repE0EEENS1_38merge_mergepath_config_static_selectorELNS0_4arch9wavefront6targetE0EEEvSL_
    .private_segment_fixed_size: 0
    .sgpr_count:     0
    .sgpr_spill_count: 0
    .symbol:         _ZN7rocprim17ROCPRIM_400000_NS6detail17trampoline_kernelINS0_14default_configENS1_38merge_sort_block_merge_config_selectorIiNS0_10empty_typeEEEZZNS1_27merge_sort_block_merge_implIS3_N6thrust23THRUST_200600_302600_NS6detail15normal_iteratorINS9_10device_ptrIiEEEEPS5_jNS1_19radix_merge_compareILb1ELb1EiNS0_19identity_decomposerEEEEE10hipError_tT0_T1_T2_jT3_P12ihipStream_tbPNSt15iterator_traitsISK_E10value_typeEPNSQ_ISL_E10value_typeEPSM_NS1_7vsmem_tEENKUlT_SK_SL_SM_E_clIPiSE_SF_SF_EESJ_SZ_SK_SL_SM_EUlSZ_E0_NS1_11comp_targetILNS1_3genE10ELNS1_11target_archE1201ELNS1_3gpuE5ELNS1_3repE0EEENS1_38merge_mergepath_config_static_selectorELNS0_4arch9wavefront6targetE0EEEvSL_.kd
    .uniform_work_group_size: 1
    .uses_dynamic_stack: false
    .vgpr_count:     0
    .vgpr_spill_count: 0
    .wavefront_size: 32
    .workgroup_processor_mode: 1
  - .args:
      - .offset:         0
        .size:           64
        .value_kind:     by_value
    .group_segment_fixed_size: 0
    .kernarg_segment_align: 8
    .kernarg_segment_size: 64
    .language:       OpenCL C
    .language_version:
      - 2
      - 0
    .max_flat_workgroup_size: 128
    .name:           _ZN7rocprim17ROCPRIM_400000_NS6detail17trampoline_kernelINS0_14default_configENS1_38merge_sort_block_merge_config_selectorIiNS0_10empty_typeEEEZZNS1_27merge_sort_block_merge_implIS3_N6thrust23THRUST_200600_302600_NS6detail15normal_iteratorINS9_10device_ptrIiEEEEPS5_jNS1_19radix_merge_compareILb1ELb1EiNS0_19identity_decomposerEEEEE10hipError_tT0_T1_T2_jT3_P12ihipStream_tbPNSt15iterator_traitsISK_E10value_typeEPNSQ_ISL_E10value_typeEPSM_NS1_7vsmem_tEENKUlT_SK_SL_SM_E_clIPiSE_SF_SF_EESJ_SZ_SK_SL_SM_EUlSZ_E0_NS1_11comp_targetILNS1_3genE5ELNS1_11target_archE942ELNS1_3gpuE9ELNS1_3repE0EEENS1_38merge_mergepath_config_static_selectorELNS0_4arch9wavefront6targetE0EEEvSL_
    .private_segment_fixed_size: 0
    .sgpr_count:     0
    .sgpr_spill_count: 0
    .symbol:         _ZN7rocprim17ROCPRIM_400000_NS6detail17trampoline_kernelINS0_14default_configENS1_38merge_sort_block_merge_config_selectorIiNS0_10empty_typeEEEZZNS1_27merge_sort_block_merge_implIS3_N6thrust23THRUST_200600_302600_NS6detail15normal_iteratorINS9_10device_ptrIiEEEEPS5_jNS1_19radix_merge_compareILb1ELb1EiNS0_19identity_decomposerEEEEE10hipError_tT0_T1_T2_jT3_P12ihipStream_tbPNSt15iterator_traitsISK_E10value_typeEPNSQ_ISL_E10value_typeEPSM_NS1_7vsmem_tEENKUlT_SK_SL_SM_E_clIPiSE_SF_SF_EESJ_SZ_SK_SL_SM_EUlSZ_E0_NS1_11comp_targetILNS1_3genE5ELNS1_11target_archE942ELNS1_3gpuE9ELNS1_3repE0EEENS1_38merge_mergepath_config_static_selectorELNS0_4arch9wavefront6targetE0EEEvSL_.kd
    .uniform_work_group_size: 1
    .uses_dynamic_stack: false
    .vgpr_count:     0
    .vgpr_spill_count: 0
    .wavefront_size: 32
    .workgroup_processor_mode: 1
  - .args:
      - .offset:         0
        .size:           64
        .value_kind:     by_value
    .group_segment_fixed_size: 0
    .kernarg_segment_align: 8
    .kernarg_segment_size: 64
    .language:       OpenCL C
    .language_version:
      - 2
      - 0
    .max_flat_workgroup_size: 128
    .name:           _ZN7rocprim17ROCPRIM_400000_NS6detail17trampoline_kernelINS0_14default_configENS1_38merge_sort_block_merge_config_selectorIiNS0_10empty_typeEEEZZNS1_27merge_sort_block_merge_implIS3_N6thrust23THRUST_200600_302600_NS6detail15normal_iteratorINS9_10device_ptrIiEEEEPS5_jNS1_19radix_merge_compareILb1ELb1EiNS0_19identity_decomposerEEEEE10hipError_tT0_T1_T2_jT3_P12ihipStream_tbPNSt15iterator_traitsISK_E10value_typeEPNSQ_ISL_E10value_typeEPSM_NS1_7vsmem_tEENKUlT_SK_SL_SM_E_clIPiSE_SF_SF_EESJ_SZ_SK_SL_SM_EUlSZ_E0_NS1_11comp_targetILNS1_3genE4ELNS1_11target_archE910ELNS1_3gpuE8ELNS1_3repE0EEENS1_38merge_mergepath_config_static_selectorELNS0_4arch9wavefront6targetE0EEEvSL_
    .private_segment_fixed_size: 0
    .sgpr_count:     0
    .sgpr_spill_count: 0
    .symbol:         _ZN7rocprim17ROCPRIM_400000_NS6detail17trampoline_kernelINS0_14default_configENS1_38merge_sort_block_merge_config_selectorIiNS0_10empty_typeEEEZZNS1_27merge_sort_block_merge_implIS3_N6thrust23THRUST_200600_302600_NS6detail15normal_iteratorINS9_10device_ptrIiEEEEPS5_jNS1_19radix_merge_compareILb1ELb1EiNS0_19identity_decomposerEEEEE10hipError_tT0_T1_T2_jT3_P12ihipStream_tbPNSt15iterator_traitsISK_E10value_typeEPNSQ_ISL_E10value_typeEPSM_NS1_7vsmem_tEENKUlT_SK_SL_SM_E_clIPiSE_SF_SF_EESJ_SZ_SK_SL_SM_EUlSZ_E0_NS1_11comp_targetILNS1_3genE4ELNS1_11target_archE910ELNS1_3gpuE8ELNS1_3repE0EEENS1_38merge_mergepath_config_static_selectorELNS0_4arch9wavefront6targetE0EEEvSL_.kd
    .uniform_work_group_size: 1
    .uses_dynamic_stack: false
    .vgpr_count:     0
    .vgpr_spill_count: 0
    .wavefront_size: 32
    .workgroup_processor_mode: 1
  - .args:
      - .offset:         0
        .size:           64
        .value_kind:     by_value
    .group_segment_fixed_size: 0
    .kernarg_segment_align: 8
    .kernarg_segment_size: 64
    .language:       OpenCL C
    .language_version:
      - 2
      - 0
    .max_flat_workgroup_size: 128
    .name:           _ZN7rocprim17ROCPRIM_400000_NS6detail17trampoline_kernelINS0_14default_configENS1_38merge_sort_block_merge_config_selectorIiNS0_10empty_typeEEEZZNS1_27merge_sort_block_merge_implIS3_N6thrust23THRUST_200600_302600_NS6detail15normal_iteratorINS9_10device_ptrIiEEEEPS5_jNS1_19radix_merge_compareILb1ELb1EiNS0_19identity_decomposerEEEEE10hipError_tT0_T1_T2_jT3_P12ihipStream_tbPNSt15iterator_traitsISK_E10value_typeEPNSQ_ISL_E10value_typeEPSM_NS1_7vsmem_tEENKUlT_SK_SL_SM_E_clIPiSE_SF_SF_EESJ_SZ_SK_SL_SM_EUlSZ_E0_NS1_11comp_targetILNS1_3genE3ELNS1_11target_archE908ELNS1_3gpuE7ELNS1_3repE0EEENS1_38merge_mergepath_config_static_selectorELNS0_4arch9wavefront6targetE0EEEvSL_
    .private_segment_fixed_size: 0
    .sgpr_count:     0
    .sgpr_spill_count: 0
    .symbol:         _ZN7rocprim17ROCPRIM_400000_NS6detail17trampoline_kernelINS0_14default_configENS1_38merge_sort_block_merge_config_selectorIiNS0_10empty_typeEEEZZNS1_27merge_sort_block_merge_implIS3_N6thrust23THRUST_200600_302600_NS6detail15normal_iteratorINS9_10device_ptrIiEEEEPS5_jNS1_19radix_merge_compareILb1ELb1EiNS0_19identity_decomposerEEEEE10hipError_tT0_T1_T2_jT3_P12ihipStream_tbPNSt15iterator_traitsISK_E10value_typeEPNSQ_ISL_E10value_typeEPSM_NS1_7vsmem_tEENKUlT_SK_SL_SM_E_clIPiSE_SF_SF_EESJ_SZ_SK_SL_SM_EUlSZ_E0_NS1_11comp_targetILNS1_3genE3ELNS1_11target_archE908ELNS1_3gpuE7ELNS1_3repE0EEENS1_38merge_mergepath_config_static_selectorELNS0_4arch9wavefront6targetE0EEEvSL_.kd
    .uniform_work_group_size: 1
    .uses_dynamic_stack: false
    .vgpr_count:     0
    .vgpr_spill_count: 0
    .wavefront_size: 32
    .workgroup_processor_mode: 1
  - .args:
      - .offset:         0
        .size:           64
        .value_kind:     by_value
    .group_segment_fixed_size: 0
    .kernarg_segment_align: 8
    .kernarg_segment_size: 64
    .language:       OpenCL C
    .language_version:
      - 2
      - 0
    .max_flat_workgroup_size: 128
    .name:           _ZN7rocprim17ROCPRIM_400000_NS6detail17trampoline_kernelINS0_14default_configENS1_38merge_sort_block_merge_config_selectorIiNS0_10empty_typeEEEZZNS1_27merge_sort_block_merge_implIS3_N6thrust23THRUST_200600_302600_NS6detail15normal_iteratorINS9_10device_ptrIiEEEEPS5_jNS1_19radix_merge_compareILb1ELb1EiNS0_19identity_decomposerEEEEE10hipError_tT0_T1_T2_jT3_P12ihipStream_tbPNSt15iterator_traitsISK_E10value_typeEPNSQ_ISL_E10value_typeEPSM_NS1_7vsmem_tEENKUlT_SK_SL_SM_E_clIPiSE_SF_SF_EESJ_SZ_SK_SL_SM_EUlSZ_E0_NS1_11comp_targetILNS1_3genE2ELNS1_11target_archE906ELNS1_3gpuE6ELNS1_3repE0EEENS1_38merge_mergepath_config_static_selectorELNS0_4arch9wavefront6targetE0EEEvSL_
    .private_segment_fixed_size: 0
    .sgpr_count:     0
    .sgpr_spill_count: 0
    .symbol:         _ZN7rocprim17ROCPRIM_400000_NS6detail17trampoline_kernelINS0_14default_configENS1_38merge_sort_block_merge_config_selectorIiNS0_10empty_typeEEEZZNS1_27merge_sort_block_merge_implIS3_N6thrust23THRUST_200600_302600_NS6detail15normal_iteratorINS9_10device_ptrIiEEEEPS5_jNS1_19radix_merge_compareILb1ELb1EiNS0_19identity_decomposerEEEEE10hipError_tT0_T1_T2_jT3_P12ihipStream_tbPNSt15iterator_traitsISK_E10value_typeEPNSQ_ISL_E10value_typeEPSM_NS1_7vsmem_tEENKUlT_SK_SL_SM_E_clIPiSE_SF_SF_EESJ_SZ_SK_SL_SM_EUlSZ_E0_NS1_11comp_targetILNS1_3genE2ELNS1_11target_archE906ELNS1_3gpuE6ELNS1_3repE0EEENS1_38merge_mergepath_config_static_selectorELNS0_4arch9wavefront6targetE0EEEvSL_.kd
    .uniform_work_group_size: 1
    .uses_dynamic_stack: false
    .vgpr_count:     0
    .vgpr_spill_count: 0
    .wavefront_size: 32
    .workgroup_processor_mode: 1
  - .args:
      - .offset:         0
        .size:           64
        .value_kind:     by_value
    .group_segment_fixed_size: 0
    .kernarg_segment_align: 8
    .kernarg_segment_size: 64
    .language:       OpenCL C
    .language_version:
      - 2
      - 0
    .max_flat_workgroup_size: 256
    .name:           _ZN7rocprim17ROCPRIM_400000_NS6detail17trampoline_kernelINS0_14default_configENS1_38merge_sort_block_merge_config_selectorIiNS0_10empty_typeEEEZZNS1_27merge_sort_block_merge_implIS3_N6thrust23THRUST_200600_302600_NS6detail15normal_iteratorINS9_10device_ptrIiEEEEPS5_jNS1_19radix_merge_compareILb1ELb1EiNS0_19identity_decomposerEEEEE10hipError_tT0_T1_T2_jT3_P12ihipStream_tbPNSt15iterator_traitsISK_E10value_typeEPNSQ_ISL_E10value_typeEPSM_NS1_7vsmem_tEENKUlT_SK_SL_SM_E_clIPiSE_SF_SF_EESJ_SZ_SK_SL_SM_EUlSZ_E0_NS1_11comp_targetILNS1_3genE9ELNS1_11target_archE1100ELNS1_3gpuE3ELNS1_3repE0EEENS1_38merge_mergepath_config_static_selectorELNS0_4arch9wavefront6targetE0EEEvSL_
    .private_segment_fixed_size: 0
    .sgpr_count:     0
    .sgpr_spill_count: 0
    .symbol:         _ZN7rocprim17ROCPRIM_400000_NS6detail17trampoline_kernelINS0_14default_configENS1_38merge_sort_block_merge_config_selectorIiNS0_10empty_typeEEEZZNS1_27merge_sort_block_merge_implIS3_N6thrust23THRUST_200600_302600_NS6detail15normal_iteratorINS9_10device_ptrIiEEEEPS5_jNS1_19radix_merge_compareILb1ELb1EiNS0_19identity_decomposerEEEEE10hipError_tT0_T1_T2_jT3_P12ihipStream_tbPNSt15iterator_traitsISK_E10value_typeEPNSQ_ISL_E10value_typeEPSM_NS1_7vsmem_tEENKUlT_SK_SL_SM_E_clIPiSE_SF_SF_EESJ_SZ_SK_SL_SM_EUlSZ_E0_NS1_11comp_targetILNS1_3genE9ELNS1_11target_archE1100ELNS1_3gpuE3ELNS1_3repE0EEENS1_38merge_mergepath_config_static_selectorELNS0_4arch9wavefront6targetE0EEEvSL_.kd
    .uniform_work_group_size: 1
    .uses_dynamic_stack: false
    .vgpr_count:     0
    .vgpr_spill_count: 0
    .wavefront_size: 32
    .workgroup_processor_mode: 1
  - .args:
      - .offset:         0
        .size:           64
        .value_kind:     by_value
      - .offset:         64
        .size:           4
        .value_kind:     hidden_block_count_x
      - .offset:         68
        .size:           4
        .value_kind:     hidden_block_count_y
      - .offset:         72
        .size:           4
        .value_kind:     hidden_block_count_z
      - .offset:         76
        .size:           2
        .value_kind:     hidden_group_size_x
      - .offset:         78
        .size:           2
        .value_kind:     hidden_group_size_y
      - .offset:         80
        .size:           2
        .value_kind:     hidden_group_size_z
      - .offset:         82
        .size:           2
        .value_kind:     hidden_remainder_x
      - .offset:         84
        .size:           2
        .value_kind:     hidden_remainder_y
      - .offset:         86
        .size:           2
        .value_kind:     hidden_remainder_z
      - .offset:         104
        .size:           8
        .value_kind:     hidden_global_offset_x
      - .offset:         112
        .size:           8
        .value_kind:     hidden_global_offset_y
      - .offset:         120
        .size:           8
        .value_kind:     hidden_global_offset_z
      - .offset:         128
        .size:           2
        .value_kind:     hidden_grid_dims
    .group_segment_fixed_size: 4224
    .kernarg_segment_align: 8
    .kernarg_segment_size: 320
    .language:       OpenCL C
    .language_version:
      - 2
      - 0
    .max_flat_workgroup_size: 512
    .name:           _ZN7rocprim17ROCPRIM_400000_NS6detail17trampoline_kernelINS0_14default_configENS1_38merge_sort_block_merge_config_selectorIiNS0_10empty_typeEEEZZNS1_27merge_sort_block_merge_implIS3_N6thrust23THRUST_200600_302600_NS6detail15normal_iteratorINS9_10device_ptrIiEEEEPS5_jNS1_19radix_merge_compareILb1ELb1EiNS0_19identity_decomposerEEEEE10hipError_tT0_T1_T2_jT3_P12ihipStream_tbPNSt15iterator_traitsISK_E10value_typeEPNSQ_ISL_E10value_typeEPSM_NS1_7vsmem_tEENKUlT_SK_SL_SM_E_clIPiSE_SF_SF_EESJ_SZ_SK_SL_SM_EUlSZ_E0_NS1_11comp_targetILNS1_3genE8ELNS1_11target_archE1030ELNS1_3gpuE2ELNS1_3repE0EEENS1_38merge_mergepath_config_static_selectorELNS0_4arch9wavefront6targetE0EEEvSL_
    .private_segment_fixed_size: 0
    .sgpr_count:     26
    .sgpr_spill_count: 0
    .symbol:         _ZN7rocprim17ROCPRIM_400000_NS6detail17trampoline_kernelINS0_14default_configENS1_38merge_sort_block_merge_config_selectorIiNS0_10empty_typeEEEZZNS1_27merge_sort_block_merge_implIS3_N6thrust23THRUST_200600_302600_NS6detail15normal_iteratorINS9_10device_ptrIiEEEEPS5_jNS1_19radix_merge_compareILb1ELb1EiNS0_19identity_decomposerEEEEE10hipError_tT0_T1_T2_jT3_P12ihipStream_tbPNSt15iterator_traitsISK_E10value_typeEPNSQ_ISL_E10value_typeEPSM_NS1_7vsmem_tEENKUlT_SK_SL_SM_E_clIPiSE_SF_SF_EESJ_SZ_SK_SL_SM_EUlSZ_E0_NS1_11comp_targetILNS1_3genE8ELNS1_11target_archE1030ELNS1_3gpuE2ELNS1_3repE0EEENS1_38merge_mergepath_config_static_selectorELNS0_4arch9wavefront6targetE0EEEvSL_.kd
    .uniform_work_group_size: 1
    .uses_dynamic_stack: false
    .vgpr_count:     14
    .vgpr_spill_count: 0
    .wavefront_size: 32
    .workgroup_processor_mode: 1
  - .args:
      - .offset:         0
        .size:           48
        .value_kind:     by_value
    .group_segment_fixed_size: 0
    .kernarg_segment_align: 8
    .kernarg_segment_size: 48
    .language:       OpenCL C
    .language_version:
      - 2
      - 0
    .max_flat_workgroup_size: 256
    .name:           _ZN7rocprim17ROCPRIM_400000_NS6detail17trampoline_kernelINS0_14default_configENS1_38merge_sort_block_merge_config_selectorIiNS0_10empty_typeEEEZZNS1_27merge_sort_block_merge_implIS3_N6thrust23THRUST_200600_302600_NS6detail15normal_iteratorINS9_10device_ptrIiEEEEPS5_jNS1_19radix_merge_compareILb1ELb1EiNS0_19identity_decomposerEEEEE10hipError_tT0_T1_T2_jT3_P12ihipStream_tbPNSt15iterator_traitsISK_E10value_typeEPNSQ_ISL_E10value_typeEPSM_NS1_7vsmem_tEENKUlT_SK_SL_SM_E_clIPiSE_SF_SF_EESJ_SZ_SK_SL_SM_EUlSZ_E1_NS1_11comp_targetILNS1_3genE0ELNS1_11target_archE4294967295ELNS1_3gpuE0ELNS1_3repE0EEENS1_36merge_oddeven_config_static_selectorELNS0_4arch9wavefront6targetE0EEEvSL_
    .private_segment_fixed_size: 0
    .sgpr_count:     0
    .sgpr_spill_count: 0
    .symbol:         _ZN7rocprim17ROCPRIM_400000_NS6detail17trampoline_kernelINS0_14default_configENS1_38merge_sort_block_merge_config_selectorIiNS0_10empty_typeEEEZZNS1_27merge_sort_block_merge_implIS3_N6thrust23THRUST_200600_302600_NS6detail15normal_iteratorINS9_10device_ptrIiEEEEPS5_jNS1_19radix_merge_compareILb1ELb1EiNS0_19identity_decomposerEEEEE10hipError_tT0_T1_T2_jT3_P12ihipStream_tbPNSt15iterator_traitsISK_E10value_typeEPNSQ_ISL_E10value_typeEPSM_NS1_7vsmem_tEENKUlT_SK_SL_SM_E_clIPiSE_SF_SF_EESJ_SZ_SK_SL_SM_EUlSZ_E1_NS1_11comp_targetILNS1_3genE0ELNS1_11target_archE4294967295ELNS1_3gpuE0ELNS1_3repE0EEENS1_36merge_oddeven_config_static_selectorELNS0_4arch9wavefront6targetE0EEEvSL_.kd
    .uniform_work_group_size: 1
    .uses_dynamic_stack: false
    .vgpr_count:     0
    .vgpr_spill_count: 0
    .wavefront_size: 32
    .workgroup_processor_mode: 1
  - .args:
      - .offset:         0
        .size:           48
        .value_kind:     by_value
    .group_segment_fixed_size: 0
    .kernarg_segment_align: 8
    .kernarg_segment_size: 48
    .language:       OpenCL C
    .language_version:
      - 2
      - 0
    .max_flat_workgroup_size: 256
    .name:           _ZN7rocprim17ROCPRIM_400000_NS6detail17trampoline_kernelINS0_14default_configENS1_38merge_sort_block_merge_config_selectorIiNS0_10empty_typeEEEZZNS1_27merge_sort_block_merge_implIS3_N6thrust23THRUST_200600_302600_NS6detail15normal_iteratorINS9_10device_ptrIiEEEEPS5_jNS1_19radix_merge_compareILb1ELb1EiNS0_19identity_decomposerEEEEE10hipError_tT0_T1_T2_jT3_P12ihipStream_tbPNSt15iterator_traitsISK_E10value_typeEPNSQ_ISL_E10value_typeEPSM_NS1_7vsmem_tEENKUlT_SK_SL_SM_E_clIPiSE_SF_SF_EESJ_SZ_SK_SL_SM_EUlSZ_E1_NS1_11comp_targetILNS1_3genE10ELNS1_11target_archE1201ELNS1_3gpuE5ELNS1_3repE0EEENS1_36merge_oddeven_config_static_selectorELNS0_4arch9wavefront6targetE0EEEvSL_
    .private_segment_fixed_size: 0
    .sgpr_count:     0
    .sgpr_spill_count: 0
    .symbol:         _ZN7rocprim17ROCPRIM_400000_NS6detail17trampoline_kernelINS0_14default_configENS1_38merge_sort_block_merge_config_selectorIiNS0_10empty_typeEEEZZNS1_27merge_sort_block_merge_implIS3_N6thrust23THRUST_200600_302600_NS6detail15normal_iteratorINS9_10device_ptrIiEEEEPS5_jNS1_19radix_merge_compareILb1ELb1EiNS0_19identity_decomposerEEEEE10hipError_tT0_T1_T2_jT3_P12ihipStream_tbPNSt15iterator_traitsISK_E10value_typeEPNSQ_ISL_E10value_typeEPSM_NS1_7vsmem_tEENKUlT_SK_SL_SM_E_clIPiSE_SF_SF_EESJ_SZ_SK_SL_SM_EUlSZ_E1_NS1_11comp_targetILNS1_3genE10ELNS1_11target_archE1201ELNS1_3gpuE5ELNS1_3repE0EEENS1_36merge_oddeven_config_static_selectorELNS0_4arch9wavefront6targetE0EEEvSL_.kd
    .uniform_work_group_size: 1
    .uses_dynamic_stack: false
    .vgpr_count:     0
    .vgpr_spill_count: 0
    .wavefront_size: 32
    .workgroup_processor_mode: 1
  - .args:
      - .offset:         0
        .size:           48
        .value_kind:     by_value
    .group_segment_fixed_size: 0
    .kernarg_segment_align: 8
    .kernarg_segment_size: 48
    .language:       OpenCL C
    .language_version:
      - 2
      - 0
    .max_flat_workgroup_size: 256
    .name:           _ZN7rocprim17ROCPRIM_400000_NS6detail17trampoline_kernelINS0_14default_configENS1_38merge_sort_block_merge_config_selectorIiNS0_10empty_typeEEEZZNS1_27merge_sort_block_merge_implIS3_N6thrust23THRUST_200600_302600_NS6detail15normal_iteratorINS9_10device_ptrIiEEEEPS5_jNS1_19radix_merge_compareILb1ELb1EiNS0_19identity_decomposerEEEEE10hipError_tT0_T1_T2_jT3_P12ihipStream_tbPNSt15iterator_traitsISK_E10value_typeEPNSQ_ISL_E10value_typeEPSM_NS1_7vsmem_tEENKUlT_SK_SL_SM_E_clIPiSE_SF_SF_EESJ_SZ_SK_SL_SM_EUlSZ_E1_NS1_11comp_targetILNS1_3genE5ELNS1_11target_archE942ELNS1_3gpuE9ELNS1_3repE0EEENS1_36merge_oddeven_config_static_selectorELNS0_4arch9wavefront6targetE0EEEvSL_
    .private_segment_fixed_size: 0
    .sgpr_count:     0
    .sgpr_spill_count: 0
    .symbol:         _ZN7rocprim17ROCPRIM_400000_NS6detail17trampoline_kernelINS0_14default_configENS1_38merge_sort_block_merge_config_selectorIiNS0_10empty_typeEEEZZNS1_27merge_sort_block_merge_implIS3_N6thrust23THRUST_200600_302600_NS6detail15normal_iteratorINS9_10device_ptrIiEEEEPS5_jNS1_19radix_merge_compareILb1ELb1EiNS0_19identity_decomposerEEEEE10hipError_tT0_T1_T2_jT3_P12ihipStream_tbPNSt15iterator_traitsISK_E10value_typeEPNSQ_ISL_E10value_typeEPSM_NS1_7vsmem_tEENKUlT_SK_SL_SM_E_clIPiSE_SF_SF_EESJ_SZ_SK_SL_SM_EUlSZ_E1_NS1_11comp_targetILNS1_3genE5ELNS1_11target_archE942ELNS1_3gpuE9ELNS1_3repE0EEENS1_36merge_oddeven_config_static_selectorELNS0_4arch9wavefront6targetE0EEEvSL_.kd
    .uniform_work_group_size: 1
    .uses_dynamic_stack: false
    .vgpr_count:     0
    .vgpr_spill_count: 0
    .wavefront_size: 32
    .workgroup_processor_mode: 1
  - .args:
      - .offset:         0
        .size:           48
        .value_kind:     by_value
    .group_segment_fixed_size: 0
    .kernarg_segment_align: 8
    .kernarg_segment_size: 48
    .language:       OpenCL C
    .language_version:
      - 2
      - 0
    .max_flat_workgroup_size: 256
    .name:           _ZN7rocprim17ROCPRIM_400000_NS6detail17trampoline_kernelINS0_14default_configENS1_38merge_sort_block_merge_config_selectorIiNS0_10empty_typeEEEZZNS1_27merge_sort_block_merge_implIS3_N6thrust23THRUST_200600_302600_NS6detail15normal_iteratorINS9_10device_ptrIiEEEEPS5_jNS1_19radix_merge_compareILb1ELb1EiNS0_19identity_decomposerEEEEE10hipError_tT0_T1_T2_jT3_P12ihipStream_tbPNSt15iterator_traitsISK_E10value_typeEPNSQ_ISL_E10value_typeEPSM_NS1_7vsmem_tEENKUlT_SK_SL_SM_E_clIPiSE_SF_SF_EESJ_SZ_SK_SL_SM_EUlSZ_E1_NS1_11comp_targetILNS1_3genE4ELNS1_11target_archE910ELNS1_3gpuE8ELNS1_3repE0EEENS1_36merge_oddeven_config_static_selectorELNS0_4arch9wavefront6targetE0EEEvSL_
    .private_segment_fixed_size: 0
    .sgpr_count:     0
    .sgpr_spill_count: 0
    .symbol:         _ZN7rocprim17ROCPRIM_400000_NS6detail17trampoline_kernelINS0_14default_configENS1_38merge_sort_block_merge_config_selectorIiNS0_10empty_typeEEEZZNS1_27merge_sort_block_merge_implIS3_N6thrust23THRUST_200600_302600_NS6detail15normal_iteratorINS9_10device_ptrIiEEEEPS5_jNS1_19radix_merge_compareILb1ELb1EiNS0_19identity_decomposerEEEEE10hipError_tT0_T1_T2_jT3_P12ihipStream_tbPNSt15iterator_traitsISK_E10value_typeEPNSQ_ISL_E10value_typeEPSM_NS1_7vsmem_tEENKUlT_SK_SL_SM_E_clIPiSE_SF_SF_EESJ_SZ_SK_SL_SM_EUlSZ_E1_NS1_11comp_targetILNS1_3genE4ELNS1_11target_archE910ELNS1_3gpuE8ELNS1_3repE0EEENS1_36merge_oddeven_config_static_selectorELNS0_4arch9wavefront6targetE0EEEvSL_.kd
    .uniform_work_group_size: 1
    .uses_dynamic_stack: false
    .vgpr_count:     0
    .vgpr_spill_count: 0
    .wavefront_size: 32
    .workgroup_processor_mode: 1
  - .args:
      - .offset:         0
        .size:           48
        .value_kind:     by_value
    .group_segment_fixed_size: 0
    .kernarg_segment_align: 8
    .kernarg_segment_size: 48
    .language:       OpenCL C
    .language_version:
      - 2
      - 0
    .max_flat_workgroup_size: 256
    .name:           _ZN7rocprim17ROCPRIM_400000_NS6detail17trampoline_kernelINS0_14default_configENS1_38merge_sort_block_merge_config_selectorIiNS0_10empty_typeEEEZZNS1_27merge_sort_block_merge_implIS3_N6thrust23THRUST_200600_302600_NS6detail15normal_iteratorINS9_10device_ptrIiEEEEPS5_jNS1_19radix_merge_compareILb1ELb1EiNS0_19identity_decomposerEEEEE10hipError_tT0_T1_T2_jT3_P12ihipStream_tbPNSt15iterator_traitsISK_E10value_typeEPNSQ_ISL_E10value_typeEPSM_NS1_7vsmem_tEENKUlT_SK_SL_SM_E_clIPiSE_SF_SF_EESJ_SZ_SK_SL_SM_EUlSZ_E1_NS1_11comp_targetILNS1_3genE3ELNS1_11target_archE908ELNS1_3gpuE7ELNS1_3repE0EEENS1_36merge_oddeven_config_static_selectorELNS0_4arch9wavefront6targetE0EEEvSL_
    .private_segment_fixed_size: 0
    .sgpr_count:     0
    .sgpr_spill_count: 0
    .symbol:         _ZN7rocprim17ROCPRIM_400000_NS6detail17trampoline_kernelINS0_14default_configENS1_38merge_sort_block_merge_config_selectorIiNS0_10empty_typeEEEZZNS1_27merge_sort_block_merge_implIS3_N6thrust23THRUST_200600_302600_NS6detail15normal_iteratorINS9_10device_ptrIiEEEEPS5_jNS1_19radix_merge_compareILb1ELb1EiNS0_19identity_decomposerEEEEE10hipError_tT0_T1_T2_jT3_P12ihipStream_tbPNSt15iterator_traitsISK_E10value_typeEPNSQ_ISL_E10value_typeEPSM_NS1_7vsmem_tEENKUlT_SK_SL_SM_E_clIPiSE_SF_SF_EESJ_SZ_SK_SL_SM_EUlSZ_E1_NS1_11comp_targetILNS1_3genE3ELNS1_11target_archE908ELNS1_3gpuE7ELNS1_3repE0EEENS1_36merge_oddeven_config_static_selectorELNS0_4arch9wavefront6targetE0EEEvSL_.kd
    .uniform_work_group_size: 1
    .uses_dynamic_stack: false
    .vgpr_count:     0
    .vgpr_spill_count: 0
    .wavefront_size: 32
    .workgroup_processor_mode: 1
  - .args:
      - .offset:         0
        .size:           48
        .value_kind:     by_value
    .group_segment_fixed_size: 0
    .kernarg_segment_align: 8
    .kernarg_segment_size: 48
    .language:       OpenCL C
    .language_version:
      - 2
      - 0
    .max_flat_workgroup_size: 256
    .name:           _ZN7rocprim17ROCPRIM_400000_NS6detail17trampoline_kernelINS0_14default_configENS1_38merge_sort_block_merge_config_selectorIiNS0_10empty_typeEEEZZNS1_27merge_sort_block_merge_implIS3_N6thrust23THRUST_200600_302600_NS6detail15normal_iteratorINS9_10device_ptrIiEEEEPS5_jNS1_19radix_merge_compareILb1ELb1EiNS0_19identity_decomposerEEEEE10hipError_tT0_T1_T2_jT3_P12ihipStream_tbPNSt15iterator_traitsISK_E10value_typeEPNSQ_ISL_E10value_typeEPSM_NS1_7vsmem_tEENKUlT_SK_SL_SM_E_clIPiSE_SF_SF_EESJ_SZ_SK_SL_SM_EUlSZ_E1_NS1_11comp_targetILNS1_3genE2ELNS1_11target_archE906ELNS1_3gpuE6ELNS1_3repE0EEENS1_36merge_oddeven_config_static_selectorELNS0_4arch9wavefront6targetE0EEEvSL_
    .private_segment_fixed_size: 0
    .sgpr_count:     0
    .sgpr_spill_count: 0
    .symbol:         _ZN7rocprim17ROCPRIM_400000_NS6detail17trampoline_kernelINS0_14default_configENS1_38merge_sort_block_merge_config_selectorIiNS0_10empty_typeEEEZZNS1_27merge_sort_block_merge_implIS3_N6thrust23THRUST_200600_302600_NS6detail15normal_iteratorINS9_10device_ptrIiEEEEPS5_jNS1_19radix_merge_compareILb1ELb1EiNS0_19identity_decomposerEEEEE10hipError_tT0_T1_T2_jT3_P12ihipStream_tbPNSt15iterator_traitsISK_E10value_typeEPNSQ_ISL_E10value_typeEPSM_NS1_7vsmem_tEENKUlT_SK_SL_SM_E_clIPiSE_SF_SF_EESJ_SZ_SK_SL_SM_EUlSZ_E1_NS1_11comp_targetILNS1_3genE2ELNS1_11target_archE906ELNS1_3gpuE6ELNS1_3repE0EEENS1_36merge_oddeven_config_static_selectorELNS0_4arch9wavefront6targetE0EEEvSL_.kd
    .uniform_work_group_size: 1
    .uses_dynamic_stack: false
    .vgpr_count:     0
    .vgpr_spill_count: 0
    .wavefront_size: 32
    .workgroup_processor_mode: 1
  - .args:
      - .offset:         0
        .size:           48
        .value_kind:     by_value
    .group_segment_fixed_size: 0
    .kernarg_segment_align: 8
    .kernarg_segment_size: 48
    .language:       OpenCL C
    .language_version:
      - 2
      - 0
    .max_flat_workgroup_size: 256
    .name:           _ZN7rocprim17ROCPRIM_400000_NS6detail17trampoline_kernelINS0_14default_configENS1_38merge_sort_block_merge_config_selectorIiNS0_10empty_typeEEEZZNS1_27merge_sort_block_merge_implIS3_N6thrust23THRUST_200600_302600_NS6detail15normal_iteratorINS9_10device_ptrIiEEEEPS5_jNS1_19radix_merge_compareILb1ELb1EiNS0_19identity_decomposerEEEEE10hipError_tT0_T1_T2_jT3_P12ihipStream_tbPNSt15iterator_traitsISK_E10value_typeEPNSQ_ISL_E10value_typeEPSM_NS1_7vsmem_tEENKUlT_SK_SL_SM_E_clIPiSE_SF_SF_EESJ_SZ_SK_SL_SM_EUlSZ_E1_NS1_11comp_targetILNS1_3genE9ELNS1_11target_archE1100ELNS1_3gpuE3ELNS1_3repE0EEENS1_36merge_oddeven_config_static_selectorELNS0_4arch9wavefront6targetE0EEEvSL_
    .private_segment_fixed_size: 0
    .sgpr_count:     0
    .sgpr_spill_count: 0
    .symbol:         _ZN7rocprim17ROCPRIM_400000_NS6detail17trampoline_kernelINS0_14default_configENS1_38merge_sort_block_merge_config_selectorIiNS0_10empty_typeEEEZZNS1_27merge_sort_block_merge_implIS3_N6thrust23THRUST_200600_302600_NS6detail15normal_iteratorINS9_10device_ptrIiEEEEPS5_jNS1_19radix_merge_compareILb1ELb1EiNS0_19identity_decomposerEEEEE10hipError_tT0_T1_T2_jT3_P12ihipStream_tbPNSt15iterator_traitsISK_E10value_typeEPNSQ_ISL_E10value_typeEPSM_NS1_7vsmem_tEENKUlT_SK_SL_SM_E_clIPiSE_SF_SF_EESJ_SZ_SK_SL_SM_EUlSZ_E1_NS1_11comp_targetILNS1_3genE9ELNS1_11target_archE1100ELNS1_3gpuE3ELNS1_3repE0EEENS1_36merge_oddeven_config_static_selectorELNS0_4arch9wavefront6targetE0EEEvSL_.kd
    .uniform_work_group_size: 1
    .uses_dynamic_stack: false
    .vgpr_count:     0
    .vgpr_spill_count: 0
    .wavefront_size: 32
    .workgroup_processor_mode: 1
  - .args:
      - .offset:         0
        .size:           48
        .value_kind:     by_value
    .group_segment_fixed_size: 0
    .kernarg_segment_align: 8
    .kernarg_segment_size: 48
    .language:       OpenCL C
    .language_version:
      - 2
      - 0
    .max_flat_workgroup_size: 256
    .name:           _ZN7rocprim17ROCPRIM_400000_NS6detail17trampoline_kernelINS0_14default_configENS1_38merge_sort_block_merge_config_selectorIiNS0_10empty_typeEEEZZNS1_27merge_sort_block_merge_implIS3_N6thrust23THRUST_200600_302600_NS6detail15normal_iteratorINS9_10device_ptrIiEEEEPS5_jNS1_19radix_merge_compareILb1ELb1EiNS0_19identity_decomposerEEEEE10hipError_tT0_T1_T2_jT3_P12ihipStream_tbPNSt15iterator_traitsISK_E10value_typeEPNSQ_ISL_E10value_typeEPSM_NS1_7vsmem_tEENKUlT_SK_SL_SM_E_clIPiSE_SF_SF_EESJ_SZ_SK_SL_SM_EUlSZ_E1_NS1_11comp_targetILNS1_3genE8ELNS1_11target_archE1030ELNS1_3gpuE2ELNS1_3repE0EEENS1_36merge_oddeven_config_static_selectorELNS0_4arch9wavefront6targetE0EEEvSL_
    .private_segment_fixed_size: 0
    .sgpr_count:     20
    .sgpr_spill_count: 0
    .symbol:         _ZN7rocprim17ROCPRIM_400000_NS6detail17trampoline_kernelINS0_14default_configENS1_38merge_sort_block_merge_config_selectorIiNS0_10empty_typeEEEZZNS1_27merge_sort_block_merge_implIS3_N6thrust23THRUST_200600_302600_NS6detail15normal_iteratorINS9_10device_ptrIiEEEEPS5_jNS1_19radix_merge_compareILb1ELb1EiNS0_19identity_decomposerEEEEE10hipError_tT0_T1_T2_jT3_P12ihipStream_tbPNSt15iterator_traitsISK_E10value_typeEPNSQ_ISL_E10value_typeEPSM_NS1_7vsmem_tEENKUlT_SK_SL_SM_E_clIPiSE_SF_SF_EESJ_SZ_SK_SL_SM_EUlSZ_E1_NS1_11comp_targetILNS1_3genE8ELNS1_11target_archE1030ELNS1_3gpuE2ELNS1_3repE0EEENS1_36merge_oddeven_config_static_selectorELNS0_4arch9wavefront6targetE0EEEvSL_.kd
    .uniform_work_group_size: 1
    .uses_dynamic_stack: false
    .vgpr_count:     9
    .vgpr_spill_count: 0
    .wavefront_size: 32
    .workgroup_processor_mode: 1
  - .args:
      - .offset:         0
        .size:           40
        .value_kind:     by_value
    .group_segment_fixed_size: 0
    .kernarg_segment_align: 8
    .kernarg_segment_size: 40
    .language:       OpenCL C
    .language_version:
      - 2
      - 0
    .max_flat_workgroup_size: 128
    .name:           _ZN7rocprim17ROCPRIM_400000_NS6detail17trampoline_kernelINS0_14default_configENS1_38merge_sort_block_merge_config_selectorIiNS0_10empty_typeEEEZZNS1_27merge_sort_block_merge_implIS3_N6thrust23THRUST_200600_302600_NS6detail15normal_iteratorINS9_10device_ptrIiEEEEPS5_jNS1_19radix_merge_compareILb1ELb1EiNS0_19identity_decomposerEEEEE10hipError_tT0_T1_T2_jT3_P12ihipStream_tbPNSt15iterator_traitsISK_E10value_typeEPNSQ_ISL_E10value_typeEPSM_NS1_7vsmem_tEENKUlT_SK_SL_SM_E_clISE_PiSF_SF_EESJ_SZ_SK_SL_SM_EUlSZ_E_NS1_11comp_targetILNS1_3genE0ELNS1_11target_archE4294967295ELNS1_3gpuE0ELNS1_3repE0EEENS1_48merge_mergepath_partition_config_static_selectorELNS0_4arch9wavefront6targetE0EEEvSL_
    .private_segment_fixed_size: 0
    .sgpr_count:     0
    .sgpr_spill_count: 0
    .symbol:         _ZN7rocprim17ROCPRIM_400000_NS6detail17trampoline_kernelINS0_14default_configENS1_38merge_sort_block_merge_config_selectorIiNS0_10empty_typeEEEZZNS1_27merge_sort_block_merge_implIS3_N6thrust23THRUST_200600_302600_NS6detail15normal_iteratorINS9_10device_ptrIiEEEEPS5_jNS1_19radix_merge_compareILb1ELb1EiNS0_19identity_decomposerEEEEE10hipError_tT0_T1_T2_jT3_P12ihipStream_tbPNSt15iterator_traitsISK_E10value_typeEPNSQ_ISL_E10value_typeEPSM_NS1_7vsmem_tEENKUlT_SK_SL_SM_E_clISE_PiSF_SF_EESJ_SZ_SK_SL_SM_EUlSZ_E_NS1_11comp_targetILNS1_3genE0ELNS1_11target_archE4294967295ELNS1_3gpuE0ELNS1_3repE0EEENS1_48merge_mergepath_partition_config_static_selectorELNS0_4arch9wavefront6targetE0EEEvSL_.kd
    .uniform_work_group_size: 1
    .uses_dynamic_stack: false
    .vgpr_count:     0
    .vgpr_spill_count: 0
    .wavefront_size: 32
    .workgroup_processor_mode: 1
  - .args:
      - .offset:         0
        .size:           40
        .value_kind:     by_value
    .group_segment_fixed_size: 0
    .kernarg_segment_align: 8
    .kernarg_segment_size: 40
    .language:       OpenCL C
    .language_version:
      - 2
      - 0
    .max_flat_workgroup_size: 128
    .name:           _ZN7rocprim17ROCPRIM_400000_NS6detail17trampoline_kernelINS0_14default_configENS1_38merge_sort_block_merge_config_selectorIiNS0_10empty_typeEEEZZNS1_27merge_sort_block_merge_implIS3_N6thrust23THRUST_200600_302600_NS6detail15normal_iteratorINS9_10device_ptrIiEEEEPS5_jNS1_19radix_merge_compareILb1ELb1EiNS0_19identity_decomposerEEEEE10hipError_tT0_T1_T2_jT3_P12ihipStream_tbPNSt15iterator_traitsISK_E10value_typeEPNSQ_ISL_E10value_typeEPSM_NS1_7vsmem_tEENKUlT_SK_SL_SM_E_clISE_PiSF_SF_EESJ_SZ_SK_SL_SM_EUlSZ_E_NS1_11comp_targetILNS1_3genE10ELNS1_11target_archE1201ELNS1_3gpuE5ELNS1_3repE0EEENS1_48merge_mergepath_partition_config_static_selectorELNS0_4arch9wavefront6targetE0EEEvSL_
    .private_segment_fixed_size: 0
    .sgpr_count:     0
    .sgpr_spill_count: 0
    .symbol:         _ZN7rocprim17ROCPRIM_400000_NS6detail17trampoline_kernelINS0_14default_configENS1_38merge_sort_block_merge_config_selectorIiNS0_10empty_typeEEEZZNS1_27merge_sort_block_merge_implIS3_N6thrust23THRUST_200600_302600_NS6detail15normal_iteratorINS9_10device_ptrIiEEEEPS5_jNS1_19radix_merge_compareILb1ELb1EiNS0_19identity_decomposerEEEEE10hipError_tT0_T1_T2_jT3_P12ihipStream_tbPNSt15iterator_traitsISK_E10value_typeEPNSQ_ISL_E10value_typeEPSM_NS1_7vsmem_tEENKUlT_SK_SL_SM_E_clISE_PiSF_SF_EESJ_SZ_SK_SL_SM_EUlSZ_E_NS1_11comp_targetILNS1_3genE10ELNS1_11target_archE1201ELNS1_3gpuE5ELNS1_3repE0EEENS1_48merge_mergepath_partition_config_static_selectorELNS0_4arch9wavefront6targetE0EEEvSL_.kd
    .uniform_work_group_size: 1
    .uses_dynamic_stack: false
    .vgpr_count:     0
    .vgpr_spill_count: 0
    .wavefront_size: 32
    .workgroup_processor_mode: 1
  - .args:
      - .offset:         0
        .size:           40
        .value_kind:     by_value
    .group_segment_fixed_size: 0
    .kernarg_segment_align: 8
    .kernarg_segment_size: 40
    .language:       OpenCL C
    .language_version:
      - 2
      - 0
    .max_flat_workgroup_size: 128
    .name:           _ZN7rocprim17ROCPRIM_400000_NS6detail17trampoline_kernelINS0_14default_configENS1_38merge_sort_block_merge_config_selectorIiNS0_10empty_typeEEEZZNS1_27merge_sort_block_merge_implIS3_N6thrust23THRUST_200600_302600_NS6detail15normal_iteratorINS9_10device_ptrIiEEEEPS5_jNS1_19radix_merge_compareILb1ELb1EiNS0_19identity_decomposerEEEEE10hipError_tT0_T1_T2_jT3_P12ihipStream_tbPNSt15iterator_traitsISK_E10value_typeEPNSQ_ISL_E10value_typeEPSM_NS1_7vsmem_tEENKUlT_SK_SL_SM_E_clISE_PiSF_SF_EESJ_SZ_SK_SL_SM_EUlSZ_E_NS1_11comp_targetILNS1_3genE5ELNS1_11target_archE942ELNS1_3gpuE9ELNS1_3repE0EEENS1_48merge_mergepath_partition_config_static_selectorELNS0_4arch9wavefront6targetE0EEEvSL_
    .private_segment_fixed_size: 0
    .sgpr_count:     0
    .sgpr_spill_count: 0
    .symbol:         _ZN7rocprim17ROCPRIM_400000_NS6detail17trampoline_kernelINS0_14default_configENS1_38merge_sort_block_merge_config_selectorIiNS0_10empty_typeEEEZZNS1_27merge_sort_block_merge_implIS3_N6thrust23THRUST_200600_302600_NS6detail15normal_iteratorINS9_10device_ptrIiEEEEPS5_jNS1_19radix_merge_compareILb1ELb1EiNS0_19identity_decomposerEEEEE10hipError_tT0_T1_T2_jT3_P12ihipStream_tbPNSt15iterator_traitsISK_E10value_typeEPNSQ_ISL_E10value_typeEPSM_NS1_7vsmem_tEENKUlT_SK_SL_SM_E_clISE_PiSF_SF_EESJ_SZ_SK_SL_SM_EUlSZ_E_NS1_11comp_targetILNS1_3genE5ELNS1_11target_archE942ELNS1_3gpuE9ELNS1_3repE0EEENS1_48merge_mergepath_partition_config_static_selectorELNS0_4arch9wavefront6targetE0EEEvSL_.kd
    .uniform_work_group_size: 1
    .uses_dynamic_stack: false
    .vgpr_count:     0
    .vgpr_spill_count: 0
    .wavefront_size: 32
    .workgroup_processor_mode: 1
  - .args:
      - .offset:         0
        .size:           40
        .value_kind:     by_value
    .group_segment_fixed_size: 0
    .kernarg_segment_align: 8
    .kernarg_segment_size: 40
    .language:       OpenCL C
    .language_version:
      - 2
      - 0
    .max_flat_workgroup_size: 128
    .name:           _ZN7rocprim17ROCPRIM_400000_NS6detail17trampoline_kernelINS0_14default_configENS1_38merge_sort_block_merge_config_selectorIiNS0_10empty_typeEEEZZNS1_27merge_sort_block_merge_implIS3_N6thrust23THRUST_200600_302600_NS6detail15normal_iteratorINS9_10device_ptrIiEEEEPS5_jNS1_19radix_merge_compareILb1ELb1EiNS0_19identity_decomposerEEEEE10hipError_tT0_T1_T2_jT3_P12ihipStream_tbPNSt15iterator_traitsISK_E10value_typeEPNSQ_ISL_E10value_typeEPSM_NS1_7vsmem_tEENKUlT_SK_SL_SM_E_clISE_PiSF_SF_EESJ_SZ_SK_SL_SM_EUlSZ_E_NS1_11comp_targetILNS1_3genE4ELNS1_11target_archE910ELNS1_3gpuE8ELNS1_3repE0EEENS1_48merge_mergepath_partition_config_static_selectorELNS0_4arch9wavefront6targetE0EEEvSL_
    .private_segment_fixed_size: 0
    .sgpr_count:     0
    .sgpr_spill_count: 0
    .symbol:         _ZN7rocprim17ROCPRIM_400000_NS6detail17trampoline_kernelINS0_14default_configENS1_38merge_sort_block_merge_config_selectorIiNS0_10empty_typeEEEZZNS1_27merge_sort_block_merge_implIS3_N6thrust23THRUST_200600_302600_NS6detail15normal_iteratorINS9_10device_ptrIiEEEEPS5_jNS1_19radix_merge_compareILb1ELb1EiNS0_19identity_decomposerEEEEE10hipError_tT0_T1_T2_jT3_P12ihipStream_tbPNSt15iterator_traitsISK_E10value_typeEPNSQ_ISL_E10value_typeEPSM_NS1_7vsmem_tEENKUlT_SK_SL_SM_E_clISE_PiSF_SF_EESJ_SZ_SK_SL_SM_EUlSZ_E_NS1_11comp_targetILNS1_3genE4ELNS1_11target_archE910ELNS1_3gpuE8ELNS1_3repE0EEENS1_48merge_mergepath_partition_config_static_selectorELNS0_4arch9wavefront6targetE0EEEvSL_.kd
    .uniform_work_group_size: 1
    .uses_dynamic_stack: false
    .vgpr_count:     0
    .vgpr_spill_count: 0
    .wavefront_size: 32
    .workgroup_processor_mode: 1
  - .args:
      - .offset:         0
        .size:           40
        .value_kind:     by_value
    .group_segment_fixed_size: 0
    .kernarg_segment_align: 8
    .kernarg_segment_size: 40
    .language:       OpenCL C
    .language_version:
      - 2
      - 0
    .max_flat_workgroup_size: 128
    .name:           _ZN7rocprim17ROCPRIM_400000_NS6detail17trampoline_kernelINS0_14default_configENS1_38merge_sort_block_merge_config_selectorIiNS0_10empty_typeEEEZZNS1_27merge_sort_block_merge_implIS3_N6thrust23THRUST_200600_302600_NS6detail15normal_iteratorINS9_10device_ptrIiEEEEPS5_jNS1_19radix_merge_compareILb1ELb1EiNS0_19identity_decomposerEEEEE10hipError_tT0_T1_T2_jT3_P12ihipStream_tbPNSt15iterator_traitsISK_E10value_typeEPNSQ_ISL_E10value_typeEPSM_NS1_7vsmem_tEENKUlT_SK_SL_SM_E_clISE_PiSF_SF_EESJ_SZ_SK_SL_SM_EUlSZ_E_NS1_11comp_targetILNS1_3genE3ELNS1_11target_archE908ELNS1_3gpuE7ELNS1_3repE0EEENS1_48merge_mergepath_partition_config_static_selectorELNS0_4arch9wavefront6targetE0EEEvSL_
    .private_segment_fixed_size: 0
    .sgpr_count:     0
    .sgpr_spill_count: 0
    .symbol:         _ZN7rocprim17ROCPRIM_400000_NS6detail17trampoline_kernelINS0_14default_configENS1_38merge_sort_block_merge_config_selectorIiNS0_10empty_typeEEEZZNS1_27merge_sort_block_merge_implIS3_N6thrust23THRUST_200600_302600_NS6detail15normal_iteratorINS9_10device_ptrIiEEEEPS5_jNS1_19radix_merge_compareILb1ELb1EiNS0_19identity_decomposerEEEEE10hipError_tT0_T1_T2_jT3_P12ihipStream_tbPNSt15iterator_traitsISK_E10value_typeEPNSQ_ISL_E10value_typeEPSM_NS1_7vsmem_tEENKUlT_SK_SL_SM_E_clISE_PiSF_SF_EESJ_SZ_SK_SL_SM_EUlSZ_E_NS1_11comp_targetILNS1_3genE3ELNS1_11target_archE908ELNS1_3gpuE7ELNS1_3repE0EEENS1_48merge_mergepath_partition_config_static_selectorELNS0_4arch9wavefront6targetE0EEEvSL_.kd
    .uniform_work_group_size: 1
    .uses_dynamic_stack: false
    .vgpr_count:     0
    .vgpr_spill_count: 0
    .wavefront_size: 32
    .workgroup_processor_mode: 1
  - .args:
      - .offset:         0
        .size:           40
        .value_kind:     by_value
    .group_segment_fixed_size: 0
    .kernarg_segment_align: 8
    .kernarg_segment_size: 40
    .language:       OpenCL C
    .language_version:
      - 2
      - 0
    .max_flat_workgroup_size: 128
    .name:           _ZN7rocprim17ROCPRIM_400000_NS6detail17trampoline_kernelINS0_14default_configENS1_38merge_sort_block_merge_config_selectorIiNS0_10empty_typeEEEZZNS1_27merge_sort_block_merge_implIS3_N6thrust23THRUST_200600_302600_NS6detail15normal_iteratorINS9_10device_ptrIiEEEEPS5_jNS1_19radix_merge_compareILb1ELb1EiNS0_19identity_decomposerEEEEE10hipError_tT0_T1_T2_jT3_P12ihipStream_tbPNSt15iterator_traitsISK_E10value_typeEPNSQ_ISL_E10value_typeEPSM_NS1_7vsmem_tEENKUlT_SK_SL_SM_E_clISE_PiSF_SF_EESJ_SZ_SK_SL_SM_EUlSZ_E_NS1_11comp_targetILNS1_3genE2ELNS1_11target_archE906ELNS1_3gpuE6ELNS1_3repE0EEENS1_48merge_mergepath_partition_config_static_selectorELNS0_4arch9wavefront6targetE0EEEvSL_
    .private_segment_fixed_size: 0
    .sgpr_count:     0
    .sgpr_spill_count: 0
    .symbol:         _ZN7rocprim17ROCPRIM_400000_NS6detail17trampoline_kernelINS0_14default_configENS1_38merge_sort_block_merge_config_selectorIiNS0_10empty_typeEEEZZNS1_27merge_sort_block_merge_implIS3_N6thrust23THRUST_200600_302600_NS6detail15normal_iteratorINS9_10device_ptrIiEEEEPS5_jNS1_19radix_merge_compareILb1ELb1EiNS0_19identity_decomposerEEEEE10hipError_tT0_T1_T2_jT3_P12ihipStream_tbPNSt15iterator_traitsISK_E10value_typeEPNSQ_ISL_E10value_typeEPSM_NS1_7vsmem_tEENKUlT_SK_SL_SM_E_clISE_PiSF_SF_EESJ_SZ_SK_SL_SM_EUlSZ_E_NS1_11comp_targetILNS1_3genE2ELNS1_11target_archE906ELNS1_3gpuE6ELNS1_3repE0EEENS1_48merge_mergepath_partition_config_static_selectorELNS0_4arch9wavefront6targetE0EEEvSL_.kd
    .uniform_work_group_size: 1
    .uses_dynamic_stack: false
    .vgpr_count:     0
    .vgpr_spill_count: 0
    .wavefront_size: 32
    .workgroup_processor_mode: 1
  - .args:
      - .offset:         0
        .size:           40
        .value_kind:     by_value
    .group_segment_fixed_size: 0
    .kernarg_segment_align: 8
    .kernarg_segment_size: 40
    .language:       OpenCL C
    .language_version:
      - 2
      - 0
    .max_flat_workgroup_size: 128
    .name:           _ZN7rocprim17ROCPRIM_400000_NS6detail17trampoline_kernelINS0_14default_configENS1_38merge_sort_block_merge_config_selectorIiNS0_10empty_typeEEEZZNS1_27merge_sort_block_merge_implIS3_N6thrust23THRUST_200600_302600_NS6detail15normal_iteratorINS9_10device_ptrIiEEEEPS5_jNS1_19radix_merge_compareILb1ELb1EiNS0_19identity_decomposerEEEEE10hipError_tT0_T1_T2_jT3_P12ihipStream_tbPNSt15iterator_traitsISK_E10value_typeEPNSQ_ISL_E10value_typeEPSM_NS1_7vsmem_tEENKUlT_SK_SL_SM_E_clISE_PiSF_SF_EESJ_SZ_SK_SL_SM_EUlSZ_E_NS1_11comp_targetILNS1_3genE9ELNS1_11target_archE1100ELNS1_3gpuE3ELNS1_3repE0EEENS1_48merge_mergepath_partition_config_static_selectorELNS0_4arch9wavefront6targetE0EEEvSL_
    .private_segment_fixed_size: 0
    .sgpr_count:     0
    .sgpr_spill_count: 0
    .symbol:         _ZN7rocprim17ROCPRIM_400000_NS6detail17trampoline_kernelINS0_14default_configENS1_38merge_sort_block_merge_config_selectorIiNS0_10empty_typeEEEZZNS1_27merge_sort_block_merge_implIS3_N6thrust23THRUST_200600_302600_NS6detail15normal_iteratorINS9_10device_ptrIiEEEEPS5_jNS1_19radix_merge_compareILb1ELb1EiNS0_19identity_decomposerEEEEE10hipError_tT0_T1_T2_jT3_P12ihipStream_tbPNSt15iterator_traitsISK_E10value_typeEPNSQ_ISL_E10value_typeEPSM_NS1_7vsmem_tEENKUlT_SK_SL_SM_E_clISE_PiSF_SF_EESJ_SZ_SK_SL_SM_EUlSZ_E_NS1_11comp_targetILNS1_3genE9ELNS1_11target_archE1100ELNS1_3gpuE3ELNS1_3repE0EEENS1_48merge_mergepath_partition_config_static_selectorELNS0_4arch9wavefront6targetE0EEEvSL_.kd
    .uniform_work_group_size: 1
    .uses_dynamic_stack: false
    .vgpr_count:     0
    .vgpr_spill_count: 0
    .wavefront_size: 32
    .workgroup_processor_mode: 1
  - .args:
      - .offset:         0
        .size:           40
        .value_kind:     by_value
    .group_segment_fixed_size: 0
    .kernarg_segment_align: 8
    .kernarg_segment_size: 40
    .language:       OpenCL C
    .language_version:
      - 2
      - 0
    .max_flat_workgroup_size: 128
    .name:           _ZN7rocprim17ROCPRIM_400000_NS6detail17trampoline_kernelINS0_14default_configENS1_38merge_sort_block_merge_config_selectorIiNS0_10empty_typeEEEZZNS1_27merge_sort_block_merge_implIS3_N6thrust23THRUST_200600_302600_NS6detail15normal_iteratorINS9_10device_ptrIiEEEEPS5_jNS1_19radix_merge_compareILb1ELb1EiNS0_19identity_decomposerEEEEE10hipError_tT0_T1_T2_jT3_P12ihipStream_tbPNSt15iterator_traitsISK_E10value_typeEPNSQ_ISL_E10value_typeEPSM_NS1_7vsmem_tEENKUlT_SK_SL_SM_E_clISE_PiSF_SF_EESJ_SZ_SK_SL_SM_EUlSZ_E_NS1_11comp_targetILNS1_3genE8ELNS1_11target_archE1030ELNS1_3gpuE2ELNS1_3repE0EEENS1_48merge_mergepath_partition_config_static_selectorELNS0_4arch9wavefront6targetE0EEEvSL_
    .private_segment_fixed_size: 0
    .sgpr_count:     10
    .sgpr_spill_count: 0
    .symbol:         _ZN7rocprim17ROCPRIM_400000_NS6detail17trampoline_kernelINS0_14default_configENS1_38merge_sort_block_merge_config_selectorIiNS0_10empty_typeEEEZZNS1_27merge_sort_block_merge_implIS3_N6thrust23THRUST_200600_302600_NS6detail15normal_iteratorINS9_10device_ptrIiEEEEPS5_jNS1_19radix_merge_compareILb1ELb1EiNS0_19identity_decomposerEEEEE10hipError_tT0_T1_T2_jT3_P12ihipStream_tbPNSt15iterator_traitsISK_E10value_typeEPNSQ_ISL_E10value_typeEPSM_NS1_7vsmem_tEENKUlT_SK_SL_SM_E_clISE_PiSF_SF_EESJ_SZ_SK_SL_SM_EUlSZ_E_NS1_11comp_targetILNS1_3genE8ELNS1_11target_archE1030ELNS1_3gpuE2ELNS1_3repE0EEENS1_48merge_mergepath_partition_config_static_selectorELNS0_4arch9wavefront6targetE0EEEvSL_.kd
    .uniform_work_group_size: 1
    .uses_dynamic_stack: false
    .vgpr_count:     15
    .vgpr_spill_count: 0
    .wavefront_size: 32
    .workgroup_processor_mode: 1
  - .args:
      - .offset:         0
        .size:           64
        .value_kind:     by_value
    .group_segment_fixed_size: 0
    .kernarg_segment_align: 8
    .kernarg_segment_size: 64
    .language:       OpenCL C
    .language_version:
      - 2
      - 0
    .max_flat_workgroup_size: 128
    .name:           _ZN7rocprim17ROCPRIM_400000_NS6detail17trampoline_kernelINS0_14default_configENS1_38merge_sort_block_merge_config_selectorIiNS0_10empty_typeEEEZZNS1_27merge_sort_block_merge_implIS3_N6thrust23THRUST_200600_302600_NS6detail15normal_iteratorINS9_10device_ptrIiEEEEPS5_jNS1_19radix_merge_compareILb1ELb1EiNS0_19identity_decomposerEEEEE10hipError_tT0_T1_T2_jT3_P12ihipStream_tbPNSt15iterator_traitsISK_E10value_typeEPNSQ_ISL_E10value_typeEPSM_NS1_7vsmem_tEENKUlT_SK_SL_SM_E_clISE_PiSF_SF_EESJ_SZ_SK_SL_SM_EUlSZ_E0_NS1_11comp_targetILNS1_3genE0ELNS1_11target_archE4294967295ELNS1_3gpuE0ELNS1_3repE0EEENS1_38merge_mergepath_config_static_selectorELNS0_4arch9wavefront6targetE0EEEvSL_
    .private_segment_fixed_size: 0
    .sgpr_count:     0
    .sgpr_spill_count: 0
    .symbol:         _ZN7rocprim17ROCPRIM_400000_NS6detail17trampoline_kernelINS0_14default_configENS1_38merge_sort_block_merge_config_selectorIiNS0_10empty_typeEEEZZNS1_27merge_sort_block_merge_implIS3_N6thrust23THRUST_200600_302600_NS6detail15normal_iteratorINS9_10device_ptrIiEEEEPS5_jNS1_19radix_merge_compareILb1ELb1EiNS0_19identity_decomposerEEEEE10hipError_tT0_T1_T2_jT3_P12ihipStream_tbPNSt15iterator_traitsISK_E10value_typeEPNSQ_ISL_E10value_typeEPSM_NS1_7vsmem_tEENKUlT_SK_SL_SM_E_clISE_PiSF_SF_EESJ_SZ_SK_SL_SM_EUlSZ_E0_NS1_11comp_targetILNS1_3genE0ELNS1_11target_archE4294967295ELNS1_3gpuE0ELNS1_3repE0EEENS1_38merge_mergepath_config_static_selectorELNS0_4arch9wavefront6targetE0EEEvSL_.kd
    .uniform_work_group_size: 1
    .uses_dynamic_stack: false
    .vgpr_count:     0
    .vgpr_spill_count: 0
    .wavefront_size: 32
    .workgroup_processor_mode: 1
  - .args:
      - .offset:         0
        .size:           64
        .value_kind:     by_value
    .group_segment_fixed_size: 0
    .kernarg_segment_align: 8
    .kernarg_segment_size: 64
    .language:       OpenCL C
    .language_version:
      - 2
      - 0
    .max_flat_workgroup_size: 256
    .name:           _ZN7rocprim17ROCPRIM_400000_NS6detail17trampoline_kernelINS0_14default_configENS1_38merge_sort_block_merge_config_selectorIiNS0_10empty_typeEEEZZNS1_27merge_sort_block_merge_implIS3_N6thrust23THRUST_200600_302600_NS6detail15normal_iteratorINS9_10device_ptrIiEEEEPS5_jNS1_19radix_merge_compareILb1ELb1EiNS0_19identity_decomposerEEEEE10hipError_tT0_T1_T2_jT3_P12ihipStream_tbPNSt15iterator_traitsISK_E10value_typeEPNSQ_ISL_E10value_typeEPSM_NS1_7vsmem_tEENKUlT_SK_SL_SM_E_clISE_PiSF_SF_EESJ_SZ_SK_SL_SM_EUlSZ_E0_NS1_11comp_targetILNS1_3genE10ELNS1_11target_archE1201ELNS1_3gpuE5ELNS1_3repE0EEENS1_38merge_mergepath_config_static_selectorELNS0_4arch9wavefront6targetE0EEEvSL_
    .private_segment_fixed_size: 0
    .sgpr_count:     0
    .sgpr_spill_count: 0
    .symbol:         _ZN7rocprim17ROCPRIM_400000_NS6detail17trampoline_kernelINS0_14default_configENS1_38merge_sort_block_merge_config_selectorIiNS0_10empty_typeEEEZZNS1_27merge_sort_block_merge_implIS3_N6thrust23THRUST_200600_302600_NS6detail15normal_iteratorINS9_10device_ptrIiEEEEPS5_jNS1_19radix_merge_compareILb1ELb1EiNS0_19identity_decomposerEEEEE10hipError_tT0_T1_T2_jT3_P12ihipStream_tbPNSt15iterator_traitsISK_E10value_typeEPNSQ_ISL_E10value_typeEPSM_NS1_7vsmem_tEENKUlT_SK_SL_SM_E_clISE_PiSF_SF_EESJ_SZ_SK_SL_SM_EUlSZ_E0_NS1_11comp_targetILNS1_3genE10ELNS1_11target_archE1201ELNS1_3gpuE5ELNS1_3repE0EEENS1_38merge_mergepath_config_static_selectorELNS0_4arch9wavefront6targetE0EEEvSL_.kd
    .uniform_work_group_size: 1
    .uses_dynamic_stack: false
    .vgpr_count:     0
    .vgpr_spill_count: 0
    .wavefront_size: 32
    .workgroup_processor_mode: 1
  - .args:
      - .offset:         0
        .size:           64
        .value_kind:     by_value
    .group_segment_fixed_size: 0
    .kernarg_segment_align: 8
    .kernarg_segment_size: 64
    .language:       OpenCL C
    .language_version:
      - 2
      - 0
    .max_flat_workgroup_size: 128
    .name:           _ZN7rocprim17ROCPRIM_400000_NS6detail17trampoline_kernelINS0_14default_configENS1_38merge_sort_block_merge_config_selectorIiNS0_10empty_typeEEEZZNS1_27merge_sort_block_merge_implIS3_N6thrust23THRUST_200600_302600_NS6detail15normal_iteratorINS9_10device_ptrIiEEEEPS5_jNS1_19radix_merge_compareILb1ELb1EiNS0_19identity_decomposerEEEEE10hipError_tT0_T1_T2_jT3_P12ihipStream_tbPNSt15iterator_traitsISK_E10value_typeEPNSQ_ISL_E10value_typeEPSM_NS1_7vsmem_tEENKUlT_SK_SL_SM_E_clISE_PiSF_SF_EESJ_SZ_SK_SL_SM_EUlSZ_E0_NS1_11comp_targetILNS1_3genE5ELNS1_11target_archE942ELNS1_3gpuE9ELNS1_3repE0EEENS1_38merge_mergepath_config_static_selectorELNS0_4arch9wavefront6targetE0EEEvSL_
    .private_segment_fixed_size: 0
    .sgpr_count:     0
    .sgpr_spill_count: 0
    .symbol:         _ZN7rocprim17ROCPRIM_400000_NS6detail17trampoline_kernelINS0_14default_configENS1_38merge_sort_block_merge_config_selectorIiNS0_10empty_typeEEEZZNS1_27merge_sort_block_merge_implIS3_N6thrust23THRUST_200600_302600_NS6detail15normal_iteratorINS9_10device_ptrIiEEEEPS5_jNS1_19radix_merge_compareILb1ELb1EiNS0_19identity_decomposerEEEEE10hipError_tT0_T1_T2_jT3_P12ihipStream_tbPNSt15iterator_traitsISK_E10value_typeEPNSQ_ISL_E10value_typeEPSM_NS1_7vsmem_tEENKUlT_SK_SL_SM_E_clISE_PiSF_SF_EESJ_SZ_SK_SL_SM_EUlSZ_E0_NS1_11comp_targetILNS1_3genE5ELNS1_11target_archE942ELNS1_3gpuE9ELNS1_3repE0EEENS1_38merge_mergepath_config_static_selectorELNS0_4arch9wavefront6targetE0EEEvSL_.kd
    .uniform_work_group_size: 1
    .uses_dynamic_stack: false
    .vgpr_count:     0
    .vgpr_spill_count: 0
    .wavefront_size: 32
    .workgroup_processor_mode: 1
  - .args:
      - .offset:         0
        .size:           64
        .value_kind:     by_value
    .group_segment_fixed_size: 0
    .kernarg_segment_align: 8
    .kernarg_segment_size: 64
    .language:       OpenCL C
    .language_version:
      - 2
      - 0
    .max_flat_workgroup_size: 128
    .name:           _ZN7rocprim17ROCPRIM_400000_NS6detail17trampoline_kernelINS0_14default_configENS1_38merge_sort_block_merge_config_selectorIiNS0_10empty_typeEEEZZNS1_27merge_sort_block_merge_implIS3_N6thrust23THRUST_200600_302600_NS6detail15normal_iteratorINS9_10device_ptrIiEEEEPS5_jNS1_19radix_merge_compareILb1ELb1EiNS0_19identity_decomposerEEEEE10hipError_tT0_T1_T2_jT3_P12ihipStream_tbPNSt15iterator_traitsISK_E10value_typeEPNSQ_ISL_E10value_typeEPSM_NS1_7vsmem_tEENKUlT_SK_SL_SM_E_clISE_PiSF_SF_EESJ_SZ_SK_SL_SM_EUlSZ_E0_NS1_11comp_targetILNS1_3genE4ELNS1_11target_archE910ELNS1_3gpuE8ELNS1_3repE0EEENS1_38merge_mergepath_config_static_selectorELNS0_4arch9wavefront6targetE0EEEvSL_
    .private_segment_fixed_size: 0
    .sgpr_count:     0
    .sgpr_spill_count: 0
    .symbol:         _ZN7rocprim17ROCPRIM_400000_NS6detail17trampoline_kernelINS0_14default_configENS1_38merge_sort_block_merge_config_selectorIiNS0_10empty_typeEEEZZNS1_27merge_sort_block_merge_implIS3_N6thrust23THRUST_200600_302600_NS6detail15normal_iteratorINS9_10device_ptrIiEEEEPS5_jNS1_19radix_merge_compareILb1ELb1EiNS0_19identity_decomposerEEEEE10hipError_tT0_T1_T2_jT3_P12ihipStream_tbPNSt15iterator_traitsISK_E10value_typeEPNSQ_ISL_E10value_typeEPSM_NS1_7vsmem_tEENKUlT_SK_SL_SM_E_clISE_PiSF_SF_EESJ_SZ_SK_SL_SM_EUlSZ_E0_NS1_11comp_targetILNS1_3genE4ELNS1_11target_archE910ELNS1_3gpuE8ELNS1_3repE0EEENS1_38merge_mergepath_config_static_selectorELNS0_4arch9wavefront6targetE0EEEvSL_.kd
    .uniform_work_group_size: 1
    .uses_dynamic_stack: false
    .vgpr_count:     0
    .vgpr_spill_count: 0
    .wavefront_size: 32
    .workgroup_processor_mode: 1
  - .args:
      - .offset:         0
        .size:           64
        .value_kind:     by_value
    .group_segment_fixed_size: 0
    .kernarg_segment_align: 8
    .kernarg_segment_size: 64
    .language:       OpenCL C
    .language_version:
      - 2
      - 0
    .max_flat_workgroup_size: 128
    .name:           _ZN7rocprim17ROCPRIM_400000_NS6detail17trampoline_kernelINS0_14default_configENS1_38merge_sort_block_merge_config_selectorIiNS0_10empty_typeEEEZZNS1_27merge_sort_block_merge_implIS3_N6thrust23THRUST_200600_302600_NS6detail15normal_iteratorINS9_10device_ptrIiEEEEPS5_jNS1_19radix_merge_compareILb1ELb1EiNS0_19identity_decomposerEEEEE10hipError_tT0_T1_T2_jT3_P12ihipStream_tbPNSt15iterator_traitsISK_E10value_typeEPNSQ_ISL_E10value_typeEPSM_NS1_7vsmem_tEENKUlT_SK_SL_SM_E_clISE_PiSF_SF_EESJ_SZ_SK_SL_SM_EUlSZ_E0_NS1_11comp_targetILNS1_3genE3ELNS1_11target_archE908ELNS1_3gpuE7ELNS1_3repE0EEENS1_38merge_mergepath_config_static_selectorELNS0_4arch9wavefront6targetE0EEEvSL_
    .private_segment_fixed_size: 0
    .sgpr_count:     0
    .sgpr_spill_count: 0
    .symbol:         _ZN7rocprim17ROCPRIM_400000_NS6detail17trampoline_kernelINS0_14default_configENS1_38merge_sort_block_merge_config_selectorIiNS0_10empty_typeEEEZZNS1_27merge_sort_block_merge_implIS3_N6thrust23THRUST_200600_302600_NS6detail15normal_iteratorINS9_10device_ptrIiEEEEPS5_jNS1_19radix_merge_compareILb1ELb1EiNS0_19identity_decomposerEEEEE10hipError_tT0_T1_T2_jT3_P12ihipStream_tbPNSt15iterator_traitsISK_E10value_typeEPNSQ_ISL_E10value_typeEPSM_NS1_7vsmem_tEENKUlT_SK_SL_SM_E_clISE_PiSF_SF_EESJ_SZ_SK_SL_SM_EUlSZ_E0_NS1_11comp_targetILNS1_3genE3ELNS1_11target_archE908ELNS1_3gpuE7ELNS1_3repE0EEENS1_38merge_mergepath_config_static_selectorELNS0_4arch9wavefront6targetE0EEEvSL_.kd
    .uniform_work_group_size: 1
    .uses_dynamic_stack: false
    .vgpr_count:     0
    .vgpr_spill_count: 0
    .wavefront_size: 32
    .workgroup_processor_mode: 1
  - .args:
      - .offset:         0
        .size:           64
        .value_kind:     by_value
    .group_segment_fixed_size: 0
    .kernarg_segment_align: 8
    .kernarg_segment_size: 64
    .language:       OpenCL C
    .language_version:
      - 2
      - 0
    .max_flat_workgroup_size: 128
    .name:           _ZN7rocprim17ROCPRIM_400000_NS6detail17trampoline_kernelINS0_14default_configENS1_38merge_sort_block_merge_config_selectorIiNS0_10empty_typeEEEZZNS1_27merge_sort_block_merge_implIS3_N6thrust23THRUST_200600_302600_NS6detail15normal_iteratorINS9_10device_ptrIiEEEEPS5_jNS1_19radix_merge_compareILb1ELb1EiNS0_19identity_decomposerEEEEE10hipError_tT0_T1_T2_jT3_P12ihipStream_tbPNSt15iterator_traitsISK_E10value_typeEPNSQ_ISL_E10value_typeEPSM_NS1_7vsmem_tEENKUlT_SK_SL_SM_E_clISE_PiSF_SF_EESJ_SZ_SK_SL_SM_EUlSZ_E0_NS1_11comp_targetILNS1_3genE2ELNS1_11target_archE906ELNS1_3gpuE6ELNS1_3repE0EEENS1_38merge_mergepath_config_static_selectorELNS0_4arch9wavefront6targetE0EEEvSL_
    .private_segment_fixed_size: 0
    .sgpr_count:     0
    .sgpr_spill_count: 0
    .symbol:         _ZN7rocprim17ROCPRIM_400000_NS6detail17trampoline_kernelINS0_14default_configENS1_38merge_sort_block_merge_config_selectorIiNS0_10empty_typeEEEZZNS1_27merge_sort_block_merge_implIS3_N6thrust23THRUST_200600_302600_NS6detail15normal_iteratorINS9_10device_ptrIiEEEEPS5_jNS1_19radix_merge_compareILb1ELb1EiNS0_19identity_decomposerEEEEE10hipError_tT0_T1_T2_jT3_P12ihipStream_tbPNSt15iterator_traitsISK_E10value_typeEPNSQ_ISL_E10value_typeEPSM_NS1_7vsmem_tEENKUlT_SK_SL_SM_E_clISE_PiSF_SF_EESJ_SZ_SK_SL_SM_EUlSZ_E0_NS1_11comp_targetILNS1_3genE2ELNS1_11target_archE906ELNS1_3gpuE6ELNS1_3repE0EEENS1_38merge_mergepath_config_static_selectorELNS0_4arch9wavefront6targetE0EEEvSL_.kd
    .uniform_work_group_size: 1
    .uses_dynamic_stack: false
    .vgpr_count:     0
    .vgpr_spill_count: 0
    .wavefront_size: 32
    .workgroup_processor_mode: 1
  - .args:
      - .offset:         0
        .size:           64
        .value_kind:     by_value
    .group_segment_fixed_size: 0
    .kernarg_segment_align: 8
    .kernarg_segment_size: 64
    .language:       OpenCL C
    .language_version:
      - 2
      - 0
    .max_flat_workgroup_size: 256
    .name:           _ZN7rocprim17ROCPRIM_400000_NS6detail17trampoline_kernelINS0_14default_configENS1_38merge_sort_block_merge_config_selectorIiNS0_10empty_typeEEEZZNS1_27merge_sort_block_merge_implIS3_N6thrust23THRUST_200600_302600_NS6detail15normal_iteratorINS9_10device_ptrIiEEEEPS5_jNS1_19radix_merge_compareILb1ELb1EiNS0_19identity_decomposerEEEEE10hipError_tT0_T1_T2_jT3_P12ihipStream_tbPNSt15iterator_traitsISK_E10value_typeEPNSQ_ISL_E10value_typeEPSM_NS1_7vsmem_tEENKUlT_SK_SL_SM_E_clISE_PiSF_SF_EESJ_SZ_SK_SL_SM_EUlSZ_E0_NS1_11comp_targetILNS1_3genE9ELNS1_11target_archE1100ELNS1_3gpuE3ELNS1_3repE0EEENS1_38merge_mergepath_config_static_selectorELNS0_4arch9wavefront6targetE0EEEvSL_
    .private_segment_fixed_size: 0
    .sgpr_count:     0
    .sgpr_spill_count: 0
    .symbol:         _ZN7rocprim17ROCPRIM_400000_NS6detail17trampoline_kernelINS0_14default_configENS1_38merge_sort_block_merge_config_selectorIiNS0_10empty_typeEEEZZNS1_27merge_sort_block_merge_implIS3_N6thrust23THRUST_200600_302600_NS6detail15normal_iteratorINS9_10device_ptrIiEEEEPS5_jNS1_19radix_merge_compareILb1ELb1EiNS0_19identity_decomposerEEEEE10hipError_tT0_T1_T2_jT3_P12ihipStream_tbPNSt15iterator_traitsISK_E10value_typeEPNSQ_ISL_E10value_typeEPSM_NS1_7vsmem_tEENKUlT_SK_SL_SM_E_clISE_PiSF_SF_EESJ_SZ_SK_SL_SM_EUlSZ_E0_NS1_11comp_targetILNS1_3genE9ELNS1_11target_archE1100ELNS1_3gpuE3ELNS1_3repE0EEENS1_38merge_mergepath_config_static_selectorELNS0_4arch9wavefront6targetE0EEEvSL_.kd
    .uniform_work_group_size: 1
    .uses_dynamic_stack: false
    .vgpr_count:     0
    .vgpr_spill_count: 0
    .wavefront_size: 32
    .workgroup_processor_mode: 1
  - .args:
      - .offset:         0
        .size:           64
        .value_kind:     by_value
      - .offset:         64
        .size:           4
        .value_kind:     hidden_block_count_x
      - .offset:         68
        .size:           4
        .value_kind:     hidden_block_count_y
      - .offset:         72
        .size:           4
        .value_kind:     hidden_block_count_z
      - .offset:         76
        .size:           2
        .value_kind:     hidden_group_size_x
      - .offset:         78
        .size:           2
        .value_kind:     hidden_group_size_y
      - .offset:         80
        .size:           2
        .value_kind:     hidden_group_size_z
      - .offset:         82
        .size:           2
        .value_kind:     hidden_remainder_x
      - .offset:         84
        .size:           2
        .value_kind:     hidden_remainder_y
      - .offset:         86
        .size:           2
        .value_kind:     hidden_remainder_z
      - .offset:         104
        .size:           8
        .value_kind:     hidden_global_offset_x
      - .offset:         112
        .size:           8
        .value_kind:     hidden_global_offset_y
      - .offset:         120
        .size:           8
        .value_kind:     hidden_global_offset_z
      - .offset:         128
        .size:           2
        .value_kind:     hidden_grid_dims
    .group_segment_fixed_size: 4224
    .kernarg_segment_align: 8
    .kernarg_segment_size: 320
    .language:       OpenCL C
    .language_version:
      - 2
      - 0
    .max_flat_workgroup_size: 512
    .name:           _ZN7rocprim17ROCPRIM_400000_NS6detail17trampoline_kernelINS0_14default_configENS1_38merge_sort_block_merge_config_selectorIiNS0_10empty_typeEEEZZNS1_27merge_sort_block_merge_implIS3_N6thrust23THRUST_200600_302600_NS6detail15normal_iteratorINS9_10device_ptrIiEEEEPS5_jNS1_19radix_merge_compareILb1ELb1EiNS0_19identity_decomposerEEEEE10hipError_tT0_T1_T2_jT3_P12ihipStream_tbPNSt15iterator_traitsISK_E10value_typeEPNSQ_ISL_E10value_typeEPSM_NS1_7vsmem_tEENKUlT_SK_SL_SM_E_clISE_PiSF_SF_EESJ_SZ_SK_SL_SM_EUlSZ_E0_NS1_11comp_targetILNS1_3genE8ELNS1_11target_archE1030ELNS1_3gpuE2ELNS1_3repE0EEENS1_38merge_mergepath_config_static_selectorELNS0_4arch9wavefront6targetE0EEEvSL_
    .private_segment_fixed_size: 0
    .sgpr_count:     26
    .sgpr_spill_count: 0
    .symbol:         _ZN7rocprim17ROCPRIM_400000_NS6detail17trampoline_kernelINS0_14default_configENS1_38merge_sort_block_merge_config_selectorIiNS0_10empty_typeEEEZZNS1_27merge_sort_block_merge_implIS3_N6thrust23THRUST_200600_302600_NS6detail15normal_iteratorINS9_10device_ptrIiEEEEPS5_jNS1_19radix_merge_compareILb1ELb1EiNS0_19identity_decomposerEEEEE10hipError_tT0_T1_T2_jT3_P12ihipStream_tbPNSt15iterator_traitsISK_E10value_typeEPNSQ_ISL_E10value_typeEPSM_NS1_7vsmem_tEENKUlT_SK_SL_SM_E_clISE_PiSF_SF_EESJ_SZ_SK_SL_SM_EUlSZ_E0_NS1_11comp_targetILNS1_3genE8ELNS1_11target_archE1030ELNS1_3gpuE2ELNS1_3repE0EEENS1_38merge_mergepath_config_static_selectorELNS0_4arch9wavefront6targetE0EEEvSL_.kd
    .uniform_work_group_size: 1
    .uses_dynamic_stack: false
    .vgpr_count:     14
    .vgpr_spill_count: 0
    .wavefront_size: 32
    .workgroup_processor_mode: 1
  - .args:
      - .offset:         0
        .size:           48
        .value_kind:     by_value
    .group_segment_fixed_size: 0
    .kernarg_segment_align: 8
    .kernarg_segment_size: 48
    .language:       OpenCL C
    .language_version:
      - 2
      - 0
    .max_flat_workgroup_size: 256
    .name:           _ZN7rocprim17ROCPRIM_400000_NS6detail17trampoline_kernelINS0_14default_configENS1_38merge_sort_block_merge_config_selectorIiNS0_10empty_typeEEEZZNS1_27merge_sort_block_merge_implIS3_N6thrust23THRUST_200600_302600_NS6detail15normal_iteratorINS9_10device_ptrIiEEEEPS5_jNS1_19radix_merge_compareILb1ELb1EiNS0_19identity_decomposerEEEEE10hipError_tT0_T1_T2_jT3_P12ihipStream_tbPNSt15iterator_traitsISK_E10value_typeEPNSQ_ISL_E10value_typeEPSM_NS1_7vsmem_tEENKUlT_SK_SL_SM_E_clISE_PiSF_SF_EESJ_SZ_SK_SL_SM_EUlSZ_E1_NS1_11comp_targetILNS1_3genE0ELNS1_11target_archE4294967295ELNS1_3gpuE0ELNS1_3repE0EEENS1_36merge_oddeven_config_static_selectorELNS0_4arch9wavefront6targetE0EEEvSL_
    .private_segment_fixed_size: 0
    .sgpr_count:     0
    .sgpr_spill_count: 0
    .symbol:         _ZN7rocprim17ROCPRIM_400000_NS6detail17trampoline_kernelINS0_14default_configENS1_38merge_sort_block_merge_config_selectorIiNS0_10empty_typeEEEZZNS1_27merge_sort_block_merge_implIS3_N6thrust23THRUST_200600_302600_NS6detail15normal_iteratorINS9_10device_ptrIiEEEEPS5_jNS1_19radix_merge_compareILb1ELb1EiNS0_19identity_decomposerEEEEE10hipError_tT0_T1_T2_jT3_P12ihipStream_tbPNSt15iterator_traitsISK_E10value_typeEPNSQ_ISL_E10value_typeEPSM_NS1_7vsmem_tEENKUlT_SK_SL_SM_E_clISE_PiSF_SF_EESJ_SZ_SK_SL_SM_EUlSZ_E1_NS1_11comp_targetILNS1_3genE0ELNS1_11target_archE4294967295ELNS1_3gpuE0ELNS1_3repE0EEENS1_36merge_oddeven_config_static_selectorELNS0_4arch9wavefront6targetE0EEEvSL_.kd
    .uniform_work_group_size: 1
    .uses_dynamic_stack: false
    .vgpr_count:     0
    .vgpr_spill_count: 0
    .wavefront_size: 32
    .workgroup_processor_mode: 1
  - .args:
      - .offset:         0
        .size:           48
        .value_kind:     by_value
    .group_segment_fixed_size: 0
    .kernarg_segment_align: 8
    .kernarg_segment_size: 48
    .language:       OpenCL C
    .language_version:
      - 2
      - 0
    .max_flat_workgroup_size: 256
    .name:           _ZN7rocprim17ROCPRIM_400000_NS6detail17trampoline_kernelINS0_14default_configENS1_38merge_sort_block_merge_config_selectorIiNS0_10empty_typeEEEZZNS1_27merge_sort_block_merge_implIS3_N6thrust23THRUST_200600_302600_NS6detail15normal_iteratorINS9_10device_ptrIiEEEEPS5_jNS1_19radix_merge_compareILb1ELb1EiNS0_19identity_decomposerEEEEE10hipError_tT0_T1_T2_jT3_P12ihipStream_tbPNSt15iterator_traitsISK_E10value_typeEPNSQ_ISL_E10value_typeEPSM_NS1_7vsmem_tEENKUlT_SK_SL_SM_E_clISE_PiSF_SF_EESJ_SZ_SK_SL_SM_EUlSZ_E1_NS1_11comp_targetILNS1_3genE10ELNS1_11target_archE1201ELNS1_3gpuE5ELNS1_3repE0EEENS1_36merge_oddeven_config_static_selectorELNS0_4arch9wavefront6targetE0EEEvSL_
    .private_segment_fixed_size: 0
    .sgpr_count:     0
    .sgpr_spill_count: 0
    .symbol:         _ZN7rocprim17ROCPRIM_400000_NS6detail17trampoline_kernelINS0_14default_configENS1_38merge_sort_block_merge_config_selectorIiNS0_10empty_typeEEEZZNS1_27merge_sort_block_merge_implIS3_N6thrust23THRUST_200600_302600_NS6detail15normal_iteratorINS9_10device_ptrIiEEEEPS5_jNS1_19radix_merge_compareILb1ELb1EiNS0_19identity_decomposerEEEEE10hipError_tT0_T1_T2_jT3_P12ihipStream_tbPNSt15iterator_traitsISK_E10value_typeEPNSQ_ISL_E10value_typeEPSM_NS1_7vsmem_tEENKUlT_SK_SL_SM_E_clISE_PiSF_SF_EESJ_SZ_SK_SL_SM_EUlSZ_E1_NS1_11comp_targetILNS1_3genE10ELNS1_11target_archE1201ELNS1_3gpuE5ELNS1_3repE0EEENS1_36merge_oddeven_config_static_selectorELNS0_4arch9wavefront6targetE0EEEvSL_.kd
    .uniform_work_group_size: 1
    .uses_dynamic_stack: false
    .vgpr_count:     0
    .vgpr_spill_count: 0
    .wavefront_size: 32
    .workgroup_processor_mode: 1
  - .args:
      - .offset:         0
        .size:           48
        .value_kind:     by_value
    .group_segment_fixed_size: 0
    .kernarg_segment_align: 8
    .kernarg_segment_size: 48
    .language:       OpenCL C
    .language_version:
      - 2
      - 0
    .max_flat_workgroup_size: 256
    .name:           _ZN7rocprim17ROCPRIM_400000_NS6detail17trampoline_kernelINS0_14default_configENS1_38merge_sort_block_merge_config_selectorIiNS0_10empty_typeEEEZZNS1_27merge_sort_block_merge_implIS3_N6thrust23THRUST_200600_302600_NS6detail15normal_iteratorINS9_10device_ptrIiEEEEPS5_jNS1_19radix_merge_compareILb1ELb1EiNS0_19identity_decomposerEEEEE10hipError_tT0_T1_T2_jT3_P12ihipStream_tbPNSt15iterator_traitsISK_E10value_typeEPNSQ_ISL_E10value_typeEPSM_NS1_7vsmem_tEENKUlT_SK_SL_SM_E_clISE_PiSF_SF_EESJ_SZ_SK_SL_SM_EUlSZ_E1_NS1_11comp_targetILNS1_3genE5ELNS1_11target_archE942ELNS1_3gpuE9ELNS1_3repE0EEENS1_36merge_oddeven_config_static_selectorELNS0_4arch9wavefront6targetE0EEEvSL_
    .private_segment_fixed_size: 0
    .sgpr_count:     0
    .sgpr_spill_count: 0
    .symbol:         _ZN7rocprim17ROCPRIM_400000_NS6detail17trampoline_kernelINS0_14default_configENS1_38merge_sort_block_merge_config_selectorIiNS0_10empty_typeEEEZZNS1_27merge_sort_block_merge_implIS3_N6thrust23THRUST_200600_302600_NS6detail15normal_iteratorINS9_10device_ptrIiEEEEPS5_jNS1_19radix_merge_compareILb1ELb1EiNS0_19identity_decomposerEEEEE10hipError_tT0_T1_T2_jT3_P12ihipStream_tbPNSt15iterator_traitsISK_E10value_typeEPNSQ_ISL_E10value_typeEPSM_NS1_7vsmem_tEENKUlT_SK_SL_SM_E_clISE_PiSF_SF_EESJ_SZ_SK_SL_SM_EUlSZ_E1_NS1_11comp_targetILNS1_3genE5ELNS1_11target_archE942ELNS1_3gpuE9ELNS1_3repE0EEENS1_36merge_oddeven_config_static_selectorELNS0_4arch9wavefront6targetE0EEEvSL_.kd
    .uniform_work_group_size: 1
    .uses_dynamic_stack: false
    .vgpr_count:     0
    .vgpr_spill_count: 0
    .wavefront_size: 32
    .workgroup_processor_mode: 1
  - .args:
      - .offset:         0
        .size:           48
        .value_kind:     by_value
    .group_segment_fixed_size: 0
    .kernarg_segment_align: 8
    .kernarg_segment_size: 48
    .language:       OpenCL C
    .language_version:
      - 2
      - 0
    .max_flat_workgroup_size: 256
    .name:           _ZN7rocprim17ROCPRIM_400000_NS6detail17trampoline_kernelINS0_14default_configENS1_38merge_sort_block_merge_config_selectorIiNS0_10empty_typeEEEZZNS1_27merge_sort_block_merge_implIS3_N6thrust23THRUST_200600_302600_NS6detail15normal_iteratorINS9_10device_ptrIiEEEEPS5_jNS1_19radix_merge_compareILb1ELb1EiNS0_19identity_decomposerEEEEE10hipError_tT0_T1_T2_jT3_P12ihipStream_tbPNSt15iterator_traitsISK_E10value_typeEPNSQ_ISL_E10value_typeEPSM_NS1_7vsmem_tEENKUlT_SK_SL_SM_E_clISE_PiSF_SF_EESJ_SZ_SK_SL_SM_EUlSZ_E1_NS1_11comp_targetILNS1_3genE4ELNS1_11target_archE910ELNS1_3gpuE8ELNS1_3repE0EEENS1_36merge_oddeven_config_static_selectorELNS0_4arch9wavefront6targetE0EEEvSL_
    .private_segment_fixed_size: 0
    .sgpr_count:     0
    .sgpr_spill_count: 0
    .symbol:         _ZN7rocprim17ROCPRIM_400000_NS6detail17trampoline_kernelINS0_14default_configENS1_38merge_sort_block_merge_config_selectorIiNS0_10empty_typeEEEZZNS1_27merge_sort_block_merge_implIS3_N6thrust23THRUST_200600_302600_NS6detail15normal_iteratorINS9_10device_ptrIiEEEEPS5_jNS1_19radix_merge_compareILb1ELb1EiNS0_19identity_decomposerEEEEE10hipError_tT0_T1_T2_jT3_P12ihipStream_tbPNSt15iterator_traitsISK_E10value_typeEPNSQ_ISL_E10value_typeEPSM_NS1_7vsmem_tEENKUlT_SK_SL_SM_E_clISE_PiSF_SF_EESJ_SZ_SK_SL_SM_EUlSZ_E1_NS1_11comp_targetILNS1_3genE4ELNS1_11target_archE910ELNS1_3gpuE8ELNS1_3repE0EEENS1_36merge_oddeven_config_static_selectorELNS0_4arch9wavefront6targetE0EEEvSL_.kd
    .uniform_work_group_size: 1
    .uses_dynamic_stack: false
    .vgpr_count:     0
    .vgpr_spill_count: 0
    .wavefront_size: 32
    .workgroup_processor_mode: 1
  - .args:
      - .offset:         0
        .size:           48
        .value_kind:     by_value
    .group_segment_fixed_size: 0
    .kernarg_segment_align: 8
    .kernarg_segment_size: 48
    .language:       OpenCL C
    .language_version:
      - 2
      - 0
    .max_flat_workgroup_size: 256
    .name:           _ZN7rocprim17ROCPRIM_400000_NS6detail17trampoline_kernelINS0_14default_configENS1_38merge_sort_block_merge_config_selectorIiNS0_10empty_typeEEEZZNS1_27merge_sort_block_merge_implIS3_N6thrust23THRUST_200600_302600_NS6detail15normal_iteratorINS9_10device_ptrIiEEEEPS5_jNS1_19radix_merge_compareILb1ELb1EiNS0_19identity_decomposerEEEEE10hipError_tT0_T1_T2_jT3_P12ihipStream_tbPNSt15iterator_traitsISK_E10value_typeEPNSQ_ISL_E10value_typeEPSM_NS1_7vsmem_tEENKUlT_SK_SL_SM_E_clISE_PiSF_SF_EESJ_SZ_SK_SL_SM_EUlSZ_E1_NS1_11comp_targetILNS1_3genE3ELNS1_11target_archE908ELNS1_3gpuE7ELNS1_3repE0EEENS1_36merge_oddeven_config_static_selectorELNS0_4arch9wavefront6targetE0EEEvSL_
    .private_segment_fixed_size: 0
    .sgpr_count:     0
    .sgpr_spill_count: 0
    .symbol:         _ZN7rocprim17ROCPRIM_400000_NS6detail17trampoline_kernelINS0_14default_configENS1_38merge_sort_block_merge_config_selectorIiNS0_10empty_typeEEEZZNS1_27merge_sort_block_merge_implIS3_N6thrust23THRUST_200600_302600_NS6detail15normal_iteratorINS9_10device_ptrIiEEEEPS5_jNS1_19radix_merge_compareILb1ELb1EiNS0_19identity_decomposerEEEEE10hipError_tT0_T1_T2_jT3_P12ihipStream_tbPNSt15iterator_traitsISK_E10value_typeEPNSQ_ISL_E10value_typeEPSM_NS1_7vsmem_tEENKUlT_SK_SL_SM_E_clISE_PiSF_SF_EESJ_SZ_SK_SL_SM_EUlSZ_E1_NS1_11comp_targetILNS1_3genE3ELNS1_11target_archE908ELNS1_3gpuE7ELNS1_3repE0EEENS1_36merge_oddeven_config_static_selectorELNS0_4arch9wavefront6targetE0EEEvSL_.kd
    .uniform_work_group_size: 1
    .uses_dynamic_stack: false
    .vgpr_count:     0
    .vgpr_spill_count: 0
    .wavefront_size: 32
    .workgroup_processor_mode: 1
  - .args:
      - .offset:         0
        .size:           48
        .value_kind:     by_value
    .group_segment_fixed_size: 0
    .kernarg_segment_align: 8
    .kernarg_segment_size: 48
    .language:       OpenCL C
    .language_version:
      - 2
      - 0
    .max_flat_workgroup_size: 256
    .name:           _ZN7rocprim17ROCPRIM_400000_NS6detail17trampoline_kernelINS0_14default_configENS1_38merge_sort_block_merge_config_selectorIiNS0_10empty_typeEEEZZNS1_27merge_sort_block_merge_implIS3_N6thrust23THRUST_200600_302600_NS6detail15normal_iteratorINS9_10device_ptrIiEEEEPS5_jNS1_19radix_merge_compareILb1ELb1EiNS0_19identity_decomposerEEEEE10hipError_tT0_T1_T2_jT3_P12ihipStream_tbPNSt15iterator_traitsISK_E10value_typeEPNSQ_ISL_E10value_typeEPSM_NS1_7vsmem_tEENKUlT_SK_SL_SM_E_clISE_PiSF_SF_EESJ_SZ_SK_SL_SM_EUlSZ_E1_NS1_11comp_targetILNS1_3genE2ELNS1_11target_archE906ELNS1_3gpuE6ELNS1_3repE0EEENS1_36merge_oddeven_config_static_selectorELNS0_4arch9wavefront6targetE0EEEvSL_
    .private_segment_fixed_size: 0
    .sgpr_count:     0
    .sgpr_spill_count: 0
    .symbol:         _ZN7rocprim17ROCPRIM_400000_NS6detail17trampoline_kernelINS0_14default_configENS1_38merge_sort_block_merge_config_selectorIiNS0_10empty_typeEEEZZNS1_27merge_sort_block_merge_implIS3_N6thrust23THRUST_200600_302600_NS6detail15normal_iteratorINS9_10device_ptrIiEEEEPS5_jNS1_19radix_merge_compareILb1ELb1EiNS0_19identity_decomposerEEEEE10hipError_tT0_T1_T2_jT3_P12ihipStream_tbPNSt15iterator_traitsISK_E10value_typeEPNSQ_ISL_E10value_typeEPSM_NS1_7vsmem_tEENKUlT_SK_SL_SM_E_clISE_PiSF_SF_EESJ_SZ_SK_SL_SM_EUlSZ_E1_NS1_11comp_targetILNS1_3genE2ELNS1_11target_archE906ELNS1_3gpuE6ELNS1_3repE0EEENS1_36merge_oddeven_config_static_selectorELNS0_4arch9wavefront6targetE0EEEvSL_.kd
    .uniform_work_group_size: 1
    .uses_dynamic_stack: false
    .vgpr_count:     0
    .vgpr_spill_count: 0
    .wavefront_size: 32
    .workgroup_processor_mode: 1
  - .args:
      - .offset:         0
        .size:           48
        .value_kind:     by_value
    .group_segment_fixed_size: 0
    .kernarg_segment_align: 8
    .kernarg_segment_size: 48
    .language:       OpenCL C
    .language_version:
      - 2
      - 0
    .max_flat_workgroup_size: 256
    .name:           _ZN7rocprim17ROCPRIM_400000_NS6detail17trampoline_kernelINS0_14default_configENS1_38merge_sort_block_merge_config_selectorIiNS0_10empty_typeEEEZZNS1_27merge_sort_block_merge_implIS3_N6thrust23THRUST_200600_302600_NS6detail15normal_iteratorINS9_10device_ptrIiEEEEPS5_jNS1_19radix_merge_compareILb1ELb1EiNS0_19identity_decomposerEEEEE10hipError_tT0_T1_T2_jT3_P12ihipStream_tbPNSt15iterator_traitsISK_E10value_typeEPNSQ_ISL_E10value_typeEPSM_NS1_7vsmem_tEENKUlT_SK_SL_SM_E_clISE_PiSF_SF_EESJ_SZ_SK_SL_SM_EUlSZ_E1_NS1_11comp_targetILNS1_3genE9ELNS1_11target_archE1100ELNS1_3gpuE3ELNS1_3repE0EEENS1_36merge_oddeven_config_static_selectorELNS0_4arch9wavefront6targetE0EEEvSL_
    .private_segment_fixed_size: 0
    .sgpr_count:     0
    .sgpr_spill_count: 0
    .symbol:         _ZN7rocprim17ROCPRIM_400000_NS6detail17trampoline_kernelINS0_14default_configENS1_38merge_sort_block_merge_config_selectorIiNS0_10empty_typeEEEZZNS1_27merge_sort_block_merge_implIS3_N6thrust23THRUST_200600_302600_NS6detail15normal_iteratorINS9_10device_ptrIiEEEEPS5_jNS1_19radix_merge_compareILb1ELb1EiNS0_19identity_decomposerEEEEE10hipError_tT0_T1_T2_jT3_P12ihipStream_tbPNSt15iterator_traitsISK_E10value_typeEPNSQ_ISL_E10value_typeEPSM_NS1_7vsmem_tEENKUlT_SK_SL_SM_E_clISE_PiSF_SF_EESJ_SZ_SK_SL_SM_EUlSZ_E1_NS1_11comp_targetILNS1_3genE9ELNS1_11target_archE1100ELNS1_3gpuE3ELNS1_3repE0EEENS1_36merge_oddeven_config_static_selectorELNS0_4arch9wavefront6targetE0EEEvSL_.kd
    .uniform_work_group_size: 1
    .uses_dynamic_stack: false
    .vgpr_count:     0
    .vgpr_spill_count: 0
    .wavefront_size: 32
    .workgroup_processor_mode: 1
  - .args:
      - .offset:         0
        .size:           48
        .value_kind:     by_value
    .group_segment_fixed_size: 0
    .kernarg_segment_align: 8
    .kernarg_segment_size: 48
    .language:       OpenCL C
    .language_version:
      - 2
      - 0
    .max_flat_workgroup_size: 256
    .name:           _ZN7rocprim17ROCPRIM_400000_NS6detail17trampoline_kernelINS0_14default_configENS1_38merge_sort_block_merge_config_selectorIiNS0_10empty_typeEEEZZNS1_27merge_sort_block_merge_implIS3_N6thrust23THRUST_200600_302600_NS6detail15normal_iteratorINS9_10device_ptrIiEEEEPS5_jNS1_19radix_merge_compareILb1ELb1EiNS0_19identity_decomposerEEEEE10hipError_tT0_T1_T2_jT3_P12ihipStream_tbPNSt15iterator_traitsISK_E10value_typeEPNSQ_ISL_E10value_typeEPSM_NS1_7vsmem_tEENKUlT_SK_SL_SM_E_clISE_PiSF_SF_EESJ_SZ_SK_SL_SM_EUlSZ_E1_NS1_11comp_targetILNS1_3genE8ELNS1_11target_archE1030ELNS1_3gpuE2ELNS1_3repE0EEENS1_36merge_oddeven_config_static_selectorELNS0_4arch9wavefront6targetE0EEEvSL_
    .private_segment_fixed_size: 0
    .sgpr_count:     20
    .sgpr_spill_count: 0
    .symbol:         _ZN7rocprim17ROCPRIM_400000_NS6detail17trampoline_kernelINS0_14default_configENS1_38merge_sort_block_merge_config_selectorIiNS0_10empty_typeEEEZZNS1_27merge_sort_block_merge_implIS3_N6thrust23THRUST_200600_302600_NS6detail15normal_iteratorINS9_10device_ptrIiEEEEPS5_jNS1_19radix_merge_compareILb1ELb1EiNS0_19identity_decomposerEEEEE10hipError_tT0_T1_T2_jT3_P12ihipStream_tbPNSt15iterator_traitsISK_E10value_typeEPNSQ_ISL_E10value_typeEPSM_NS1_7vsmem_tEENKUlT_SK_SL_SM_E_clISE_PiSF_SF_EESJ_SZ_SK_SL_SM_EUlSZ_E1_NS1_11comp_targetILNS1_3genE8ELNS1_11target_archE1030ELNS1_3gpuE2ELNS1_3repE0EEENS1_36merge_oddeven_config_static_selectorELNS0_4arch9wavefront6targetE0EEEvSL_.kd
    .uniform_work_group_size: 1
    .uses_dynamic_stack: false
    .vgpr_count:     9
    .vgpr_spill_count: 0
    .wavefront_size: 32
    .workgroup_processor_mode: 1
  - .args:
      - .offset:         0
        .size:           40
        .value_kind:     by_value
    .group_segment_fixed_size: 0
    .kernarg_segment_align: 8
    .kernarg_segment_size: 40
    .language:       OpenCL C
    .language_version:
      - 2
      - 0
    .max_flat_workgroup_size: 512
    .name:           _ZN7rocprim17ROCPRIM_400000_NS6detail17trampoline_kernelINS0_14default_configENS1_35radix_sort_onesweep_config_selectorIiNS0_10empty_typeEEEZNS1_34radix_sort_onesweep_global_offsetsIS3_Lb1EN6thrust23THRUST_200600_302600_NS6detail15normal_iteratorINS9_10device_ptrIiEEEEPS5_jNS0_19identity_decomposerEEE10hipError_tT1_T2_PT3_SK_jT4_jjP12ihipStream_tbEUlT_E_NS1_11comp_targetILNS1_3genE0ELNS1_11target_archE4294967295ELNS1_3gpuE0ELNS1_3repE0EEENS1_52radix_sort_onesweep_histogram_config_static_selectorELNS0_4arch9wavefront6targetE0EEEvSI_
    .private_segment_fixed_size: 0
    .sgpr_count:     0
    .sgpr_spill_count: 0
    .symbol:         _ZN7rocprim17ROCPRIM_400000_NS6detail17trampoline_kernelINS0_14default_configENS1_35radix_sort_onesweep_config_selectorIiNS0_10empty_typeEEEZNS1_34radix_sort_onesweep_global_offsetsIS3_Lb1EN6thrust23THRUST_200600_302600_NS6detail15normal_iteratorINS9_10device_ptrIiEEEEPS5_jNS0_19identity_decomposerEEE10hipError_tT1_T2_PT3_SK_jT4_jjP12ihipStream_tbEUlT_E_NS1_11comp_targetILNS1_3genE0ELNS1_11target_archE4294967295ELNS1_3gpuE0ELNS1_3repE0EEENS1_52radix_sort_onesweep_histogram_config_static_selectorELNS0_4arch9wavefront6targetE0EEEvSI_.kd
    .uniform_work_group_size: 1
    .uses_dynamic_stack: false
    .vgpr_count:     0
    .vgpr_spill_count: 0
    .wavefront_size: 32
    .workgroup_processor_mode: 1
  - .args:
      - .offset:         0
        .size:           40
        .value_kind:     by_value
    .group_segment_fixed_size: 0
    .kernarg_segment_align: 8
    .kernarg_segment_size: 40
    .language:       OpenCL C
    .language_version:
      - 2
      - 0
    .max_flat_workgroup_size: 1024
    .name:           _ZN7rocprim17ROCPRIM_400000_NS6detail17trampoline_kernelINS0_14default_configENS1_35radix_sort_onesweep_config_selectorIiNS0_10empty_typeEEEZNS1_34radix_sort_onesweep_global_offsetsIS3_Lb1EN6thrust23THRUST_200600_302600_NS6detail15normal_iteratorINS9_10device_ptrIiEEEEPS5_jNS0_19identity_decomposerEEE10hipError_tT1_T2_PT3_SK_jT4_jjP12ihipStream_tbEUlT_E_NS1_11comp_targetILNS1_3genE6ELNS1_11target_archE950ELNS1_3gpuE13ELNS1_3repE0EEENS1_52radix_sort_onesweep_histogram_config_static_selectorELNS0_4arch9wavefront6targetE0EEEvSI_
    .private_segment_fixed_size: 0
    .sgpr_count:     0
    .sgpr_spill_count: 0
    .symbol:         _ZN7rocprim17ROCPRIM_400000_NS6detail17trampoline_kernelINS0_14default_configENS1_35radix_sort_onesweep_config_selectorIiNS0_10empty_typeEEEZNS1_34radix_sort_onesweep_global_offsetsIS3_Lb1EN6thrust23THRUST_200600_302600_NS6detail15normal_iteratorINS9_10device_ptrIiEEEEPS5_jNS0_19identity_decomposerEEE10hipError_tT1_T2_PT3_SK_jT4_jjP12ihipStream_tbEUlT_E_NS1_11comp_targetILNS1_3genE6ELNS1_11target_archE950ELNS1_3gpuE13ELNS1_3repE0EEENS1_52radix_sort_onesweep_histogram_config_static_selectorELNS0_4arch9wavefront6targetE0EEEvSI_.kd
    .uniform_work_group_size: 1
    .uses_dynamic_stack: false
    .vgpr_count:     0
    .vgpr_spill_count: 0
    .wavefront_size: 32
    .workgroup_processor_mode: 1
  - .args:
      - .offset:         0
        .size:           40
        .value_kind:     by_value
    .group_segment_fixed_size: 0
    .kernarg_segment_align: 8
    .kernarg_segment_size: 40
    .language:       OpenCL C
    .language_version:
      - 2
      - 0
    .max_flat_workgroup_size: 1024
    .name:           _ZN7rocprim17ROCPRIM_400000_NS6detail17trampoline_kernelINS0_14default_configENS1_35radix_sort_onesweep_config_selectorIiNS0_10empty_typeEEEZNS1_34radix_sort_onesweep_global_offsetsIS3_Lb1EN6thrust23THRUST_200600_302600_NS6detail15normal_iteratorINS9_10device_ptrIiEEEEPS5_jNS0_19identity_decomposerEEE10hipError_tT1_T2_PT3_SK_jT4_jjP12ihipStream_tbEUlT_E_NS1_11comp_targetILNS1_3genE5ELNS1_11target_archE942ELNS1_3gpuE9ELNS1_3repE0EEENS1_52radix_sort_onesweep_histogram_config_static_selectorELNS0_4arch9wavefront6targetE0EEEvSI_
    .private_segment_fixed_size: 0
    .sgpr_count:     0
    .sgpr_spill_count: 0
    .symbol:         _ZN7rocprim17ROCPRIM_400000_NS6detail17trampoline_kernelINS0_14default_configENS1_35radix_sort_onesweep_config_selectorIiNS0_10empty_typeEEEZNS1_34radix_sort_onesweep_global_offsetsIS3_Lb1EN6thrust23THRUST_200600_302600_NS6detail15normal_iteratorINS9_10device_ptrIiEEEEPS5_jNS0_19identity_decomposerEEE10hipError_tT1_T2_PT3_SK_jT4_jjP12ihipStream_tbEUlT_E_NS1_11comp_targetILNS1_3genE5ELNS1_11target_archE942ELNS1_3gpuE9ELNS1_3repE0EEENS1_52radix_sort_onesweep_histogram_config_static_selectorELNS0_4arch9wavefront6targetE0EEEvSI_.kd
    .uniform_work_group_size: 1
    .uses_dynamic_stack: false
    .vgpr_count:     0
    .vgpr_spill_count: 0
    .wavefront_size: 32
    .workgroup_processor_mode: 1
  - .args:
      - .offset:         0
        .size:           40
        .value_kind:     by_value
    .group_segment_fixed_size: 0
    .kernarg_segment_align: 8
    .kernarg_segment_size: 40
    .language:       OpenCL C
    .language_version:
      - 2
      - 0
    .max_flat_workgroup_size: 1024
    .name:           _ZN7rocprim17ROCPRIM_400000_NS6detail17trampoline_kernelINS0_14default_configENS1_35radix_sort_onesweep_config_selectorIiNS0_10empty_typeEEEZNS1_34radix_sort_onesweep_global_offsetsIS3_Lb1EN6thrust23THRUST_200600_302600_NS6detail15normal_iteratorINS9_10device_ptrIiEEEEPS5_jNS0_19identity_decomposerEEE10hipError_tT1_T2_PT3_SK_jT4_jjP12ihipStream_tbEUlT_E_NS1_11comp_targetILNS1_3genE2ELNS1_11target_archE906ELNS1_3gpuE6ELNS1_3repE0EEENS1_52radix_sort_onesweep_histogram_config_static_selectorELNS0_4arch9wavefront6targetE0EEEvSI_
    .private_segment_fixed_size: 0
    .sgpr_count:     0
    .sgpr_spill_count: 0
    .symbol:         _ZN7rocprim17ROCPRIM_400000_NS6detail17trampoline_kernelINS0_14default_configENS1_35radix_sort_onesweep_config_selectorIiNS0_10empty_typeEEEZNS1_34radix_sort_onesweep_global_offsetsIS3_Lb1EN6thrust23THRUST_200600_302600_NS6detail15normal_iteratorINS9_10device_ptrIiEEEEPS5_jNS0_19identity_decomposerEEE10hipError_tT1_T2_PT3_SK_jT4_jjP12ihipStream_tbEUlT_E_NS1_11comp_targetILNS1_3genE2ELNS1_11target_archE906ELNS1_3gpuE6ELNS1_3repE0EEENS1_52radix_sort_onesweep_histogram_config_static_selectorELNS0_4arch9wavefront6targetE0EEEvSI_.kd
    .uniform_work_group_size: 1
    .uses_dynamic_stack: false
    .vgpr_count:     0
    .vgpr_spill_count: 0
    .wavefront_size: 32
    .workgroup_processor_mode: 1
  - .args:
      - .offset:         0
        .size:           40
        .value_kind:     by_value
    .group_segment_fixed_size: 0
    .kernarg_segment_align: 8
    .kernarg_segment_size: 40
    .language:       OpenCL C
    .language_version:
      - 2
      - 0
    .max_flat_workgroup_size: 1024
    .name:           _ZN7rocprim17ROCPRIM_400000_NS6detail17trampoline_kernelINS0_14default_configENS1_35radix_sort_onesweep_config_selectorIiNS0_10empty_typeEEEZNS1_34radix_sort_onesweep_global_offsetsIS3_Lb1EN6thrust23THRUST_200600_302600_NS6detail15normal_iteratorINS9_10device_ptrIiEEEEPS5_jNS0_19identity_decomposerEEE10hipError_tT1_T2_PT3_SK_jT4_jjP12ihipStream_tbEUlT_E_NS1_11comp_targetILNS1_3genE4ELNS1_11target_archE910ELNS1_3gpuE8ELNS1_3repE0EEENS1_52radix_sort_onesweep_histogram_config_static_selectorELNS0_4arch9wavefront6targetE0EEEvSI_
    .private_segment_fixed_size: 0
    .sgpr_count:     0
    .sgpr_spill_count: 0
    .symbol:         _ZN7rocprim17ROCPRIM_400000_NS6detail17trampoline_kernelINS0_14default_configENS1_35radix_sort_onesweep_config_selectorIiNS0_10empty_typeEEEZNS1_34radix_sort_onesweep_global_offsetsIS3_Lb1EN6thrust23THRUST_200600_302600_NS6detail15normal_iteratorINS9_10device_ptrIiEEEEPS5_jNS0_19identity_decomposerEEE10hipError_tT1_T2_PT3_SK_jT4_jjP12ihipStream_tbEUlT_E_NS1_11comp_targetILNS1_3genE4ELNS1_11target_archE910ELNS1_3gpuE8ELNS1_3repE0EEENS1_52radix_sort_onesweep_histogram_config_static_selectorELNS0_4arch9wavefront6targetE0EEEvSI_.kd
    .uniform_work_group_size: 1
    .uses_dynamic_stack: false
    .vgpr_count:     0
    .vgpr_spill_count: 0
    .wavefront_size: 32
    .workgroup_processor_mode: 1
  - .args:
      - .offset:         0
        .size:           40
        .value_kind:     by_value
    .group_segment_fixed_size: 0
    .kernarg_segment_align: 8
    .kernarg_segment_size: 40
    .language:       OpenCL C
    .language_version:
      - 2
      - 0
    .max_flat_workgroup_size: 512
    .name:           _ZN7rocprim17ROCPRIM_400000_NS6detail17trampoline_kernelINS0_14default_configENS1_35radix_sort_onesweep_config_selectorIiNS0_10empty_typeEEEZNS1_34radix_sort_onesweep_global_offsetsIS3_Lb1EN6thrust23THRUST_200600_302600_NS6detail15normal_iteratorINS9_10device_ptrIiEEEEPS5_jNS0_19identity_decomposerEEE10hipError_tT1_T2_PT3_SK_jT4_jjP12ihipStream_tbEUlT_E_NS1_11comp_targetILNS1_3genE3ELNS1_11target_archE908ELNS1_3gpuE7ELNS1_3repE0EEENS1_52radix_sort_onesweep_histogram_config_static_selectorELNS0_4arch9wavefront6targetE0EEEvSI_
    .private_segment_fixed_size: 0
    .sgpr_count:     0
    .sgpr_spill_count: 0
    .symbol:         _ZN7rocprim17ROCPRIM_400000_NS6detail17trampoline_kernelINS0_14default_configENS1_35radix_sort_onesweep_config_selectorIiNS0_10empty_typeEEEZNS1_34radix_sort_onesweep_global_offsetsIS3_Lb1EN6thrust23THRUST_200600_302600_NS6detail15normal_iteratorINS9_10device_ptrIiEEEEPS5_jNS0_19identity_decomposerEEE10hipError_tT1_T2_PT3_SK_jT4_jjP12ihipStream_tbEUlT_E_NS1_11comp_targetILNS1_3genE3ELNS1_11target_archE908ELNS1_3gpuE7ELNS1_3repE0EEENS1_52radix_sort_onesweep_histogram_config_static_selectorELNS0_4arch9wavefront6targetE0EEEvSI_.kd
    .uniform_work_group_size: 1
    .uses_dynamic_stack: false
    .vgpr_count:     0
    .vgpr_spill_count: 0
    .wavefront_size: 32
    .workgroup_processor_mode: 1
  - .args:
      - .offset:         0
        .size:           40
        .value_kind:     by_value
    .group_segment_fixed_size: 0
    .kernarg_segment_align: 8
    .kernarg_segment_size: 40
    .language:       OpenCL C
    .language_version:
      - 2
      - 0
    .max_flat_workgroup_size: 1024
    .name:           _ZN7rocprim17ROCPRIM_400000_NS6detail17trampoline_kernelINS0_14default_configENS1_35radix_sort_onesweep_config_selectorIiNS0_10empty_typeEEEZNS1_34radix_sort_onesweep_global_offsetsIS3_Lb1EN6thrust23THRUST_200600_302600_NS6detail15normal_iteratorINS9_10device_ptrIiEEEEPS5_jNS0_19identity_decomposerEEE10hipError_tT1_T2_PT3_SK_jT4_jjP12ihipStream_tbEUlT_E_NS1_11comp_targetILNS1_3genE10ELNS1_11target_archE1201ELNS1_3gpuE5ELNS1_3repE0EEENS1_52radix_sort_onesweep_histogram_config_static_selectorELNS0_4arch9wavefront6targetE0EEEvSI_
    .private_segment_fixed_size: 0
    .sgpr_count:     0
    .sgpr_spill_count: 0
    .symbol:         _ZN7rocprim17ROCPRIM_400000_NS6detail17trampoline_kernelINS0_14default_configENS1_35radix_sort_onesweep_config_selectorIiNS0_10empty_typeEEEZNS1_34radix_sort_onesweep_global_offsetsIS3_Lb1EN6thrust23THRUST_200600_302600_NS6detail15normal_iteratorINS9_10device_ptrIiEEEEPS5_jNS0_19identity_decomposerEEE10hipError_tT1_T2_PT3_SK_jT4_jjP12ihipStream_tbEUlT_E_NS1_11comp_targetILNS1_3genE10ELNS1_11target_archE1201ELNS1_3gpuE5ELNS1_3repE0EEENS1_52radix_sort_onesweep_histogram_config_static_selectorELNS0_4arch9wavefront6targetE0EEEvSI_.kd
    .uniform_work_group_size: 1
    .uses_dynamic_stack: false
    .vgpr_count:     0
    .vgpr_spill_count: 0
    .wavefront_size: 32
    .workgroup_processor_mode: 1
  - .args:
      - .offset:         0
        .size:           40
        .value_kind:     by_value
    .group_segment_fixed_size: 0
    .kernarg_segment_align: 8
    .kernarg_segment_size: 40
    .language:       OpenCL C
    .language_version:
      - 2
      - 0
    .max_flat_workgroup_size: 1024
    .name:           _ZN7rocprim17ROCPRIM_400000_NS6detail17trampoline_kernelINS0_14default_configENS1_35radix_sort_onesweep_config_selectorIiNS0_10empty_typeEEEZNS1_34radix_sort_onesweep_global_offsetsIS3_Lb1EN6thrust23THRUST_200600_302600_NS6detail15normal_iteratorINS9_10device_ptrIiEEEEPS5_jNS0_19identity_decomposerEEE10hipError_tT1_T2_PT3_SK_jT4_jjP12ihipStream_tbEUlT_E_NS1_11comp_targetILNS1_3genE9ELNS1_11target_archE1100ELNS1_3gpuE3ELNS1_3repE0EEENS1_52radix_sort_onesweep_histogram_config_static_selectorELNS0_4arch9wavefront6targetE0EEEvSI_
    .private_segment_fixed_size: 0
    .sgpr_count:     0
    .sgpr_spill_count: 0
    .symbol:         _ZN7rocprim17ROCPRIM_400000_NS6detail17trampoline_kernelINS0_14default_configENS1_35radix_sort_onesweep_config_selectorIiNS0_10empty_typeEEEZNS1_34radix_sort_onesweep_global_offsetsIS3_Lb1EN6thrust23THRUST_200600_302600_NS6detail15normal_iteratorINS9_10device_ptrIiEEEEPS5_jNS0_19identity_decomposerEEE10hipError_tT1_T2_PT3_SK_jT4_jjP12ihipStream_tbEUlT_E_NS1_11comp_targetILNS1_3genE9ELNS1_11target_archE1100ELNS1_3gpuE3ELNS1_3repE0EEENS1_52radix_sort_onesweep_histogram_config_static_selectorELNS0_4arch9wavefront6targetE0EEEvSI_.kd
    .uniform_work_group_size: 1
    .uses_dynamic_stack: false
    .vgpr_count:     0
    .vgpr_spill_count: 0
    .wavefront_size: 32
    .workgroup_processor_mode: 1
  - .args:
      - .offset:         0
        .size:           40
        .value_kind:     by_value
    .group_segment_fixed_size: 16384
    .kernarg_segment_align: 8
    .kernarg_segment_size: 40
    .language:       OpenCL C
    .language_version:
      - 2
      - 0
    .max_flat_workgroup_size: 1024
    .name:           _ZN7rocprim17ROCPRIM_400000_NS6detail17trampoline_kernelINS0_14default_configENS1_35radix_sort_onesweep_config_selectorIiNS0_10empty_typeEEEZNS1_34radix_sort_onesweep_global_offsetsIS3_Lb1EN6thrust23THRUST_200600_302600_NS6detail15normal_iteratorINS9_10device_ptrIiEEEEPS5_jNS0_19identity_decomposerEEE10hipError_tT1_T2_PT3_SK_jT4_jjP12ihipStream_tbEUlT_E_NS1_11comp_targetILNS1_3genE8ELNS1_11target_archE1030ELNS1_3gpuE2ELNS1_3repE0EEENS1_52radix_sort_onesweep_histogram_config_static_selectorELNS0_4arch9wavefront6targetE0EEEvSI_
    .private_segment_fixed_size: 0
    .sgpr_count:     16
    .sgpr_spill_count: 0
    .symbol:         _ZN7rocprim17ROCPRIM_400000_NS6detail17trampoline_kernelINS0_14default_configENS1_35radix_sort_onesweep_config_selectorIiNS0_10empty_typeEEEZNS1_34radix_sort_onesweep_global_offsetsIS3_Lb1EN6thrust23THRUST_200600_302600_NS6detail15normal_iteratorINS9_10device_ptrIiEEEEPS5_jNS0_19identity_decomposerEEE10hipError_tT1_T2_PT3_SK_jT4_jjP12ihipStream_tbEUlT_E_NS1_11comp_targetILNS1_3genE8ELNS1_11target_archE1030ELNS1_3gpuE2ELNS1_3repE0EEENS1_52radix_sort_onesweep_histogram_config_static_selectorELNS0_4arch9wavefront6targetE0EEEvSI_.kd
    .uniform_work_group_size: 1
    .uses_dynamic_stack: false
    .vgpr_count:     14
    .vgpr_spill_count: 0
    .wavefront_size: 32
    .workgroup_processor_mode: 1
  - .args:
      - .address_space:  global
        .offset:         0
        .size:           8
        .value_kind:     global_buffer
    .group_segment_fixed_size: 0
    .kernarg_segment_align: 8
    .kernarg_segment_size: 8
    .language:       OpenCL C
    .language_version:
      - 2
      - 0
    .max_flat_workgroup_size: 512
    .name:           _ZN7rocprim17ROCPRIM_400000_NS6detail17trampoline_kernelINS0_14default_configENS1_35radix_sort_onesweep_config_selectorIiNS0_10empty_typeEEEZNS1_34radix_sort_onesweep_global_offsetsIS3_Lb1EN6thrust23THRUST_200600_302600_NS6detail15normal_iteratorINS9_10device_ptrIiEEEEPS5_jNS0_19identity_decomposerEEE10hipError_tT1_T2_PT3_SK_jT4_jjP12ihipStream_tbEUlT_E0_NS1_11comp_targetILNS1_3genE0ELNS1_11target_archE4294967295ELNS1_3gpuE0ELNS1_3repE0EEENS1_52radix_sort_onesweep_histogram_config_static_selectorELNS0_4arch9wavefront6targetE0EEEvSI_
    .private_segment_fixed_size: 0
    .sgpr_count:     0
    .sgpr_spill_count: 0
    .symbol:         _ZN7rocprim17ROCPRIM_400000_NS6detail17trampoline_kernelINS0_14default_configENS1_35radix_sort_onesweep_config_selectorIiNS0_10empty_typeEEEZNS1_34radix_sort_onesweep_global_offsetsIS3_Lb1EN6thrust23THRUST_200600_302600_NS6detail15normal_iteratorINS9_10device_ptrIiEEEEPS5_jNS0_19identity_decomposerEEE10hipError_tT1_T2_PT3_SK_jT4_jjP12ihipStream_tbEUlT_E0_NS1_11comp_targetILNS1_3genE0ELNS1_11target_archE4294967295ELNS1_3gpuE0ELNS1_3repE0EEENS1_52radix_sort_onesweep_histogram_config_static_selectorELNS0_4arch9wavefront6targetE0EEEvSI_.kd
    .uniform_work_group_size: 1
    .uses_dynamic_stack: false
    .vgpr_count:     0
    .vgpr_spill_count: 0
    .wavefront_size: 32
    .workgroup_processor_mode: 1
  - .args:
      - .address_space:  global
        .offset:         0
        .size:           8
        .value_kind:     global_buffer
    .group_segment_fixed_size: 0
    .kernarg_segment_align: 8
    .kernarg_segment_size: 8
    .language:       OpenCL C
    .language_version:
      - 2
      - 0
    .max_flat_workgroup_size: 1024
    .name:           _ZN7rocprim17ROCPRIM_400000_NS6detail17trampoline_kernelINS0_14default_configENS1_35radix_sort_onesweep_config_selectorIiNS0_10empty_typeEEEZNS1_34radix_sort_onesweep_global_offsetsIS3_Lb1EN6thrust23THRUST_200600_302600_NS6detail15normal_iteratorINS9_10device_ptrIiEEEEPS5_jNS0_19identity_decomposerEEE10hipError_tT1_T2_PT3_SK_jT4_jjP12ihipStream_tbEUlT_E0_NS1_11comp_targetILNS1_3genE6ELNS1_11target_archE950ELNS1_3gpuE13ELNS1_3repE0EEENS1_52radix_sort_onesweep_histogram_config_static_selectorELNS0_4arch9wavefront6targetE0EEEvSI_
    .private_segment_fixed_size: 0
    .sgpr_count:     0
    .sgpr_spill_count: 0
    .symbol:         _ZN7rocprim17ROCPRIM_400000_NS6detail17trampoline_kernelINS0_14default_configENS1_35radix_sort_onesweep_config_selectorIiNS0_10empty_typeEEEZNS1_34radix_sort_onesweep_global_offsetsIS3_Lb1EN6thrust23THRUST_200600_302600_NS6detail15normal_iteratorINS9_10device_ptrIiEEEEPS5_jNS0_19identity_decomposerEEE10hipError_tT1_T2_PT3_SK_jT4_jjP12ihipStream_tbEUlT_E0_NS1_11comp_targetILNS1_3genE6ELNS1_11target_archE950ELNS1_3gpuE13ELNS1_3repE0EEENS1_52radix_sort_onesweep_histogram_config_static_selectorELNS0_4arch9wavefront6targetE0EEEvSI_.kd
    .uniform_work_group_size: 1
    .uses_dynamic_stack: false
    .vgpr_count:     0
    .vgpr_spill_count: 0
    .wavefront_size: 32
    .workgroup_processor_mode: 1
  - .args:
      - .address_space:  global
        .offset:         0
        .size:           8
        .value_kind:     global_buffer
    .group_segment_fixed_size: 0
    .kernarg_segment_align: 8
    .kernarg_segment_size: 8
    .language:       OpenCL C
    .language_version:
      - 2
      - 0
    .max_flat_workgroup_size: 1024
    .name:           _ZN7rocprim17ROCPRIM_400000_NS6detail17trampoline_kernelINS0_14default_configENS1_35radix_sort_onesweep_config_selectorIiNS0_10empty_typeEEEZNS1_34radix_sort_onesweep_global_offsetsIS3_Lb1EN6thrust23THRUST_200600_302600_NS6detail15normal_iteratorINS9_10device_ptrIiEEEEPS5_jNS0_19identity_decomposerEEE10hipError_tT1_T2_PT3_SK_jT4_jjP12ihipStream_tbEUlT_E0_NS1_11comp_targetILNS1_3genE5ELNS1_11target_archE942ELNS1_3gpuE9ELNS1_3repE0EEENS1_52radix_sort_onesweep_histogram_config_static_selectorELNS0_4arch9wavefront6targetE0EEEvSI_
    .private_segment_fixed_size: 0
    .sgpr_count:     0
    .sgpr_spill_count: 0
    .symbol:         _ZN7rocprim17ROCPRIM_400000_NS6detail17trampoline_kernelINS0_14default_configENS1_35radix_sort_onesweep_config_selectorIiNS0_10empty_typeEEEZNS1_34radix_sort_onesweep_global_offsetsIS3_Lb1EN6thrust23THRUST_200600_302600_NS6detail15normal_iteratorINS9_10device_ptrIiEEEEPS5_jNS0_19identity_decomposerEEE10hipError_tT1_T2_PT3_SK_jT4_jjP12ihipStream_tbEUlT_E0_NS1_11comp_targetILNS1_3genE5ELNS1_11target_archE942ELNS1_3gpuE9ELNS1_3repE0EEENS1_52radix_sort_onesweep_histogram_config_static_selectorELNS0_4arch9wavefront6targetE0EEEvSI_.kd
    .uniform_work_group_size: 1
    .uses_dynamic_stack: false
    .vgpr_count:     0
    .vgpr_spill_count: 0
    .wavefront_size: 32
    .workgroup_processor_mode: 1
  - .args:
      - .address_space:  global
        .offset:         0
        .size:           8
        .value_kind:     global_buffer
    .group_segment_fixed_size: 0
    .kernarg_segment_align: 8
    .kernarg_segment_size: 8
    .language:       OpenCL C
    .language_version:
      - 2
      - 0
    .max_flat_workgroup_size: 1024
    .name:           _ZN7rocprim17ROCPRIM_400000_NS6detail17trampoline_kernelINS0_14default_configENS1_35radix_sort_onesweep_config_selectorIiNS0_10empty_typeEEEZNS1_34radix_sort_onesweep_global_offsetsIS3_Lb1EN6thrust23THRUST_200600_302600_NS6detail15normal_iteratorINS9_10device_ptrIiEEEEPS5_jNS0_19identity_decomposerEEE10hipError_tT1_T2_PT3_SK_jT4_jjP12ihipStream_tbEUlT_E0_NS1_11comp_targetILNS1_3genE2ELNS1_11target_archE906ELNS1_3gpuE6ELNS1_3repE0EEENS1_52radix_sort_onesweep_histogram_config_static_selectorELNS0_4arch9wavefront6targetE0EEEvSI_
    .private_segment_fixed_size: 0
    .sgpr_count:     0
    .sgpr_spill_count: 0
    .symbol:         _ZN7rocprim17ROCPRIM_400000_NS6detail17trampoline_kernelINS0_14default_configENS1_35radix_sort_onesweep_config_selectorIiNS0_10empty_typeEEEZNS1_34radix_sort_onesweep_global_offsetsIS3_Lb1EN6thrust23THRUST_200600_302600_NS6detail15normal_iteratorINS9_10device_ptrIiEEEEPS5_jNS0_19identity_decomposerEEE10hipError_tT1_T2_PT3_SK_jT4_jjP12ihipStream_tbEUlT_E0_NS1_11comp_targetILNS1_3genE2ELNS1_11target_archE906ELNS1_3gpuE6ELNS1_3repE0EEENS1_52radix_sort_onesweep_histogram_config_static_selectorELNS0_4arch9wavefront6targetE0EEEvSI_.kd
    .uniform_work_group_size: 1
    .uses_dynamic_stack: false
    .vgpr_count:     0
    .vgpr_spill_count: 0
    .wavefront_size: 32
    .workgroup_processor_mode: 1
  - .args:
      - .address_space:  global
        .offset:         0
        .size:           8
        .value_kind:     global_buffer
    .group_segment_fixed_size: 0
    .kernarg_segment_align: 8
    .kernarg_segment_size: 8
    .language:       OpenCL C
    .language_version:
      - 2
      - 0
    .max_flat_workgroup_size: 1024
    .name:           _ZN7rocprim17ROCPRIM_400000_NS6detail17trampoline_kernelINS0_14default_configENS1_35radix_sort_onesweep_config_selectorIiNS0_10empty_typeEEEZNS1_34radix_sort_onesweep_global_offsetsIS3_Lb1EN6thrust23THRUST_200600_302600_NS6detail15normal_iteratorINS9_10device_ptrIiEEEEPS5_jNS0_19identity_decomposerEEE10hipError_tT1_T2_PT3_SK_jT4_jjP12ihipStream_tbEUlT_E0_NS1_11comp_targetILNS1_3genE4ELNS1_11target_archE910ELNS1_3gpuE8ELNS1_3repE0EEENS1_52radix_sort_onesweep_histogram_config_static_selectorELNS0_4arch9wavefront6targetE0EEEvSI_
    .private_segment_fixed_size: 0
    .sgpr_count:     0
    .sgpr_spill_count: 0
    .symbol:         _ZN7rocprim17ROCPRIM_400000_NS6detail17trampoline_kernelINS0_14default_configENS1_35radix_sort_onesweep_config_selectorIiNS0_10empty_typeEEEZNS1_34radix_sort_onesweep_global_offsetsIS3_Lb1EN6thrust23THRUST_200600_302600_NS6detail15normal_iteratorINS9_10device_ptrIiEEEEPS5_jNS0_19identity_decomposerEEE10hipError_tT1_T2_PT3_SK_jT4_jjP12ihipStream_tbEUlT_E0_NS1_11comp_targetILNS1_3genE4ELNS1_11target_archE910ELNS1_3gpuE8ELNS1_3repE0EEENS1_52radix_sort_onesweep_histogram_config_static_selectorELNS0_4arch9wavefront6targetE0EEEvSI_.kd
    .uniform_work_group_size: 1
    .uses_dynamic_stack: false
    .vgpr_count:     0
    .vgpr_spill_count: 0
    .wavefront_size: 32
    .workgroup_processor_mode: 1
  - .args:
      - .address_space:  global
        .offset:         0
        .size:           8
        .value_kind:     global_buffer
    .group_segment_fixed_size: 0
    .kernarg_segment_align: 8
    .kernarg_segment_size: 8
    .language:       OpenCL C
    .language_version:
      - 2
      - 0
    .max_flat_workgroup_size: 512
    .name:           _ZN7rocprim17ROCPRIM_400000_NS6detail17trampoline_kernelINS0_14default_configENS1_35radix_sort_onesweep_config_selectorIiNS0_10empty_typeEEEZNS1_34radix_sort_onesweep_global_offsetsIS3_Lb1EN6thrust23THRUST_200600_302600_NS6detail15normal_iteratorINS9_10device_ptrIiEEEEPS5_jNS0_19identity_decomposerEEE10hipError_tT1_T2_PT3_SK_jT4_jjP12ihipStream_tbEUlT_E0_NS1_11comp_targetILNS1_3genE3ELNS1_11target_archE908ELNS1_3gpuE7ELNS1_3repE0EEENS1_52radix_sort_onesweep_histogram_config_static_selectorELNS0_4arch9wavefront6targetE0EEEvSI_
    .private_segment_fixed_size: 0
    .sgpr_count:     0
    .sgpr_spill_count: 0
    .symbol:         _ZN7rocprim17ROCPRIM_400000_NS6detail17trampoline_kernelINS0_14default_configENS1_35radix_sort_onesweep_config_selectorIiNS0_10empty_typeEEEZNS1_34radix_sort_onesweep_global_offsetsIS3_Lb1EN6thrust23THRUST_200600_302600_NS6detail15normal_iteratorINS9_10device_ptrIiEEEEPS5_jNS0_19identity_decomposerEEE10hipError_tT1_T2_PT3_SK_jT4_jjP12ihipStream_tbEUlT_E0_NS1_11comp_targetILNS1_3genE3ELNS1_11target_archE908ELNS1_3gpuE7ELNS1_3repE0EEENS1_52radix_sort_onesweep_histogram_config_static_selectorELNS0_4arch9wavefront6targetE0EEEvSI_.kd
    .uniform_work_group_size: 1
    .uses_dynamic_stack: false
    .vgpr_count:     0
    .vgpr_spill_count: 0
    .wavefront_size: 32
    .workgroup_processor_mode: 1
  - .args:
      - .address_space:  global
        .offset:         0
        .size:           8
        .value_kind:     global_buffer
    .group_segment_fixed_size: 0
    .kernarg_segment_align: 8
    .kernarg_segment_size: 8
    .language:       OpenCL C
    .language_version:
      - 2
      - 0
    .max_flat_workgroup_size: 1024
    .name:           _ZN7rocprim17ROCPRIM_400000_NS6detail17trampoline_kernelINS0_14default_configENS1_35radix_sort_onesweep_config_selectorIiNS0_10empty_typeEEEZNS1_34radix_sort_onesweep_global_offsetsIS3_Lb1EN6thrust23THRUST_200600_302600_NS6detail15normal_iteratorINS9_10device_ptrIiEEEEPS5_jNS0_19identity_decomposerEEE10hipError_tT1_T2_PT3_SK_jT4_jjP12ihipStream_tbEUlT_E0_NS1_11comp_targetILNS1_3genE10ELNS1_11target_archE1201ELNS1_3gpuE5ELNS1_3repE0EEENS1_52radix_sort_onesweep_histogram_config_static_selectorELNS0_4arch9wavefront6targetE0EEEvSI_
    .private_segment_fixed_size: 0
    .sgpr_count:     0
    .sgpr_spill_count: 0
    .symbol:         _ZN7rocprim17ROCPRIM_400000_NS6detail17trampoline_kernelINS0_14default_configENS1_35radix_sort_onesweep_config_selectorIiNS0_10empty_typeEEEZNS1_34radix_sort_onesweep_global_offsetsIS3_Lb1EN6thrust23THRUST_200600_302600_NS6detail15normal_iteratorINS9_10device_ptrIiEEEEPS5_jNS0_19identity_decomposerEEE10hipError_tT1_T2_PT3_SK_jT4_jjP12ihipStream_tbEUlT_E0_NS1_11comp_targetILNS1_3genE10ELNS1_11target_archE1201ELNS1_3gpuE5ELNS1_3repE0EEENS1_52radix_sort_onesweep_histogram_config_static_selectorELNS0_4arch9wavefront6targetE0EEEvSI_.kd
    .uniform_work_group_size: 1
    .uses_dynamic_stack: false
    .vgpr_count:     0
    .vgpr_spill_count: 0
    .wavefront_size: 32
    .workgroup_processor_mode: 1
  - .args:
      - .address_space:  global
        .offset:         0
        .size:           8
        .value_kind:     global_buffer
    .group_segment_fixed_size: 0
    .kernarg_segment_align: 8
    .kernarg_segment_size: 8
    .language:       OpenCL C
    .language_version:
      - 2
      - 0
    .max_flat_workgroup_size: 1024
    .name:           _ZN7rocprim17ROCPRIM_400000_NS6detail17trampoline_kernelINS0_14default_configENS1_35radix_sort_onesweep_config_selectorIiNS0_10empty_typeEEEZNS1_34radix_sort_onesweep_global_offsetsIS3_Lb1EN6thrust23THRUST_200600_302600_NS6detail15normal_iteratorINS9_10device_ptrIiEEEEPS5_jNS0_19identity_decomposerEEE10hipError_tT1_T2_PT3_SK_jT4_jjP12ihipStream_tbEUlT_E0_NS1_11comp_targetILNS1_3genE9ELNS1_11target_archE1100ELNS1_3gpuE3ELNS1_3repE0EEENS1_52radix_sort_onesweep_histogram_config_static_selectorELNS0_4arch9wavefront6targetE0EEEvSI_
    .private_segment_fixed_size: 0
    .sgpr_count:     0
    .sgpr_spill_count: 0
    .symbol:         _ZN7rocprim17ROCPRIM_400000_NS6detail17trampoline_kernelINS0_14default_configENS1_35radix_sort_onesweep_config_selectorIiNS0_10empty_typeEEEZNS1_34radix_sort_onesweep_global_offsetsIS3_Lb1EN6thrust23THRUST_200600_302600_NS6detail15normal_iteratorINS9_10device_ptrIiEEEEPS5_jNS0_19identity_decomposerEEE10hipError_tT1_T2_PT3_SK_jT4_jjP12ihipStream_tbEUlT_E0_NS1_11comp_targetILNS1_3genE9ELNS1_11target_archE1100ELNS1_3gpuE3ELNS1_3repE0EEENS1_52radix_sort_onesweep_histogram_config_static_selectorELNS0_4arch9wavefront6targetE0EEEvSI_.kd
    .uniform_work_group_size: 1
    .uses_dynamic_stack: false
    .vgpr_count:     0
    .vgpr_spill_count: 0
    .wavefront_size: 32
    .workgroup_processor_mode: 1
  - .args:
      - .address_space:  global
        .offset:         0
        .size:           8
        .value_kind:     global_buffer
    .group_segment_fixed_size: 128
    .kernarg_segment_align: 8
    .kernarg_segment_size: 8
    .language:       OpenCL C
    .language_version:
      - 2
      - 0
    .max_flat_workgroup_size: 1024
    .name:           _ZN7rocprim17ROCPRIM_400000_NS6detail17trampoline_kernelINS0_14default_configENS1_35radix_sort_onesweep_config_selectorIiNS0_10empty_typeEEEZNS1_34radix_sort_onesweep_global_offsetsIS3_Lb1EN6thrust23THRUST_200600_302600_NS6detail15normal_iteratorINS9_10device_ptrIiEEEEPS5_jNS0_19identity_decomposerEEE10hipError_tT1_T2_PT3_SK_jT4_jjP12ihipStream_tbEUlT_E0_NS1_11comp_targetILNS1_3genE8ELNS1_11target_archE1030ELNS1_3gpuE2ELNS1_3repE0EEENS1_52radix_sort_onesweep_histogram_config_static_selectorELNS0_4arch9wavefront6targetE0EEEvSI_
    .private_segment_fixed_size: 0
    .sgpr_count:     12
    .sgpr_spill_count: 0
    .symbol:         _ZN7rocprim17ROCPRIM_400000_NS6detail17trampoline_kernelINS0_14default_configENS1_35radix_sort_onesweep_config_selectorIiNS0_10empty_typeEEEZNS1_34radix_sort_onesweep_global_offsetsIS3_Lb1EN6thrust23THRUST_200600_302600_NS6detail15normal_iteratorINS9_10device_ptrIiEEEEPS5_jNS0_19identity_decomposerEEE10hipError_tT1_T2_PT3_SK_jT4_jjP12ihipStream_tbEUlT_E0_NS1_11comp_targetILNS1_3genE8ELNS1_11target_archE1030ELNS1_3gpuE2ELNS1_3repE0EEENS1_52radix_sort_onesweep_histogram_config_static_selectorELNS0_4arch9wavefront6targetE0EEEvSI_.kd
    .uniform_work_group_size: 1
    .uses_dynamic_stack: false
    .vgpr_count:     8
    .vgpr_spill_count: 0
    .wavefront_size: 32
    .workgroup_processor_mode: 1
  - .args:
      - .offset:         0
        .size:           88
        .value_kind:     by_value
    .group_segment_fixed_size: 0
    .kernarg_segment_align: 8
    .kernarg_segment_size: 88
    .language:       OpenCL C
    .language_version:
      - 2
      - 0
    .max_flat_workgroup_size: 512
    .name:           _ZN7rocprim17ROCPRIM_400000_NS6detail17trampoline_kernelINS0_14default_configENS1_35radix_sort_onesweep_config_selectorIiNS0_10empty_typeEEEZZNS1_29radix_sort_onesweep_iterationIS3_Lb1EN6thrust23THRUST_200600_302600_NS6detail15normal_iteratorINS9_10device_ptrIiEEEESE_PS5_SF_jNS0_19identity_decomposerENS1_16block_id_wrapperIjLb1EEEEE10hipError_tT1_PNSt15iterator_traitsISK_E10value_typeET2_T3_PNSL_ISQ_E10value_typeET4_T5_PSV_SW_PNS1_23onesweep_lookback_stateEbbT6_jjT7_P12ihipStream_tbENKUlT_T0_SK_SP_E_clISE_SE_SF_SF_EEDaS13_S14_SK_SP_EUlS13_E_NS1_11comp_targetILNS1_3genE0ELNS1_11target_archE4294967295ELNS1_3gpuE0ELNS1_3repE0EEENS1_47radix_sort_onesweep_sort_config_static_selectorELNS0_4arch9wavefront6targetE0EEEvSK_
    .private_segment_fixed_size: 0
    .sgpr_count:     0
    .sgpr_spill_count: 0
    .symbol:         _ZN7rocprim17ROCPRIM_400000_NS6detail17trampoline_kernelINS0_14default_configENS1_35radix_sort_onesweep_config_selectorIiNS0_10empty_typeEEEZZNS1_29radix_sort_onesweep_iterationIS3_Lb1EN6thrust23THRUST_200600_302600_NS6detail15normal_iteratorINS9_10device_ptrIiEEEESE_PS5_SF_jNS0_19identity_decomposerENS1_16block_id_wrapperIjLb1EEEEE10hipError_tT1_PNSt15iterator_traitsISK_E10value_typeET2_T3_PNSL_ISQ_E10value_typeET4_T5_PSV_SW_PNS1_23onesweep_lookback_stateEbbT6_jjT7_P12ihipStream_tbENKUlT_T0_SK_SP_E_clISE_SE_SF_SF_EEDaS13_S14_SK_SP_EUlS13_E_NS1_11comp_targetILNS1_3genE0ELNS1_11target_archE4294967295ELNS1_3gpuE0ELNS1_3repE0EEENS1_47radix_sort_onesweep_sort_config_static_selectorELNS0_4arch9wavefront6targetE0EEEvSK_.kd
    .uniform_work_group_size: 1
    .uses_dynamic_stack: false
    .vgpr_count:     0
    .vgpr_spill_count: 0
    .wavefront_size: 32
    .workgroup_processor_mode: 1
  - .args:
      - .offset:         0
        .size:           88
        .value_kind:     by_value
    .group_segment_fixed_size: 0
    .kernarg_segment_align: 8
    .kernarg_segment_size: 88
    .language:       OpenCL C
    .language_version:
      - 2
      - 0
    .max_flat_workgroup_size: 1024
    .name:           _ZN7rocprim17ROCPRIM_400000_NS6detail17trampoline_kernelINS0_14default_configENS1_35radix_sort_onesweep_config_selectorIiNS0_10empty_typeEEEZZNS1_29radix_sort_onesweep_iterationIS3_Lb1EN6thrust23THRUST_200600_302600_NS6detail15normal_iteratorINS9_10device_ptrIiEEEESE_PS5_SF_jNS0_19identity_decomposerENS1_16block_id_wrapperIjLb1EEEEE10hipError_tT1_PNSt15iterator_traitsISK_E10value_typeET2_T3_PNSL_ISQ_E10value_typeET4_T5_PSV_SW_PNS1_23onesweep_lookback_stateEbbT6_jjT7_P12ihipStream_tbENKUlT_T0_SK_SP_E_clISE_SE_SF_SF_EEDaS13_S14_SK_SP_EUlS13_E_NS1_11comp_targetILNS1_3genE6ELNS1_11target_archE950ELNS1_3gpuE13ELNS1_3repE0EEENS1_47radix_sort_onesweep_sort_config_static_selectorELNS0_4arch9wavefront6targetE0EEEvSK_
    .private_segment_fixed_size: 0
    .sgpr_count:     0
    .sgpr_spill_count: 0
    .symbol:         _ZN7rocprim17ROCPRIM_400000_NS6detail17trampoline_kernelINS0_14default_configENS1_35radix_sort_onesweep_config_selectorIiNS0_10empty_typeEEEZZNS1_29radix_sort_onesweep_iterationIS3_Lb1EN6thrust23THRUST_200600_302600_NS6detail15normal_iteratorINS9_10device_ptrIiEEEESE_PS5_SF_jNS0_19identity_decomposerENS1_16block_id_wrapperIjLb1EEEEE10hipError_tT1_PNSt15iterator_traitsISK_E10value_typeET2_T3_PNSL_ISQ_E10value_typeET4_T5_PSV_SW_PNS1_23onesweep_lookback_stateEbbT6_jjT7_P12ihipStream_tbENKUlT_T0_SK_SP_E_clISE_SE_SF_SF_EEDaS13_S14_SK_SP_EUlS13_E_NS1_11comp_targetILNS1_3genE6ELNS1_11target_archE950ELNS1_3gpuE13ELNS1_3repE0EEENS1_47radix_sort_onesweep_sort_config_static_selectorELNS0_4arch9wavefront6targetE0EEEvSK_.kd
    .uniform_work_group_size: 1
    .uses_dynamic_stack: false
    .vgpr_count:     0
    .vgpr_spill_count: 0
    .wavefront_size: 32
    .workgroup_processor_mode: 1
  - .args:
      - .offset:         0
        .size:           88
        .value_kind:     by_value
    .group_segment_fixed_size: 0
    .kernarg_segment_align: 8
    .kernarg_segment_size: 88
    .language:       OpenCL C
    .language_version:
      - 2
      - 0
    .max_flat_workgroup_size: 1024
    .name:           _ZN7rocprim17ROCPRIM_400000_NS6detail17trampoline_kernelINS0_14default_configENS1_35radix_sort_onesweep_config_selectorIiNS0_10empty_typeEEEZZNS1_29radix_sort_onesweep_iterationIS3_Lb1EN6thrust23THRUST_200600_302600_NS6detail15normal_iteratorINS9_10device_ptrIiEEEESE_PS5_SF_jNS0_19identity_decomposerENS1_16block_id_wrapperIjLb1EEEEE10hipError_tT1_PNSt15iterator_traitsISK_E10value_typeET2_T3_PNSL_ISQ_E10value_typeET4_T5_PSV_SW_PNS1_23onesweep_lookback_stateEbbT6_jjT7_P12ihipStream_tbENKUlT_T0_SK_SP_E_clISE_SE_SF_SF_EEDaS13_S14_SK_SP_EUlS13_E_NS1_11comp_targetILNS1_3genE5ELNS1_11target_archE942ELNS1_3gpuE9ELNS1_3repE0EEENS1_47radix_sort_onesweep_sort_config_static_selectorELNS0_4arch9wavefront6targetE0EEEvSK_
    .private_segment_fixed_size: 0
    .sgpr_count:     0
    .sgpr_spill_count: 0
    .symbol:         _ZN7rocprim17ROCPRIM_400000_NS6detail17trampoline_kernelINS0_14default_configENS1_35radix_sort_onesweep_config_selectorIiNS0_10empty_typeEEEZZNS1_29radix_sort_onesweep_iterationIS3_Lb1EN6thrust23THRUST_200600_302600_NS6detail15normal_iteratorINS9_10device_ptrIiEEEESE_PS5_SF_jNS0_19identity_decomposerENS1_16block_id_wrapperIjLb1EEEEE10hipError_tT1_PNSt15iterator_traitsISK_E10value_typeET2_T3_PNSL_ISQ_E10value_typeET4_T5_PSV_SW_PNS1_23onesweep_lookback_stateEbbT6_jjT7_P12ihipStream_tbENKUlT_T0_SK_SP_E_clISE_SE_SF_SF_EEDaS13_S14_SK_SP_EUlS13_E_NS1_11comp_targetILNS1_3genE5ELNS1_11target_archE942ELNS1_3gpuE9ELNS1_3repE0EEENS1_47radix_sort_onesweep_sort_config_static_selectorELNS0_4arch9wavefront6targetE0EEEvSK_.kd
    .uniform_work_group_size: 1
    .uses_dynamic_stack: false
    .vgpr_count:     0
    .vgpr_spill_count: 0
    .wavefront_size: 32
    .workgroup_processor_mode: 1
  - .args:
      - .offset:         0
        .size:           88
        .value_kind:     by_value
    .group_segment_fixed_size: 0
    .kernarg_segment_align: 8
    .kernarg_segment_size: 88
    .language:       OpenCL C
    .language_version:
      - 2
      - 0
    .max_flat_workgroup_size: 1024
    .name:           _ZN7rocprim17ROCPRIM_400000_NS6detail17trampoline_kernelINS0_14default_configENS1_35radix_sort_onesweep_config_selectorIiNS0_10empty_typeEEEZZNS1_29radix_sort_onesweep_iterationIS3_Lb1EN6thrust23THRUST_200600_302600_NS6detail15normal_iteratorINS9_10device_ptrIiEEEESE_PS5_SF_jNS0_19identity_decomposerENS1_16block_id_wrapperIjLb1EEEEE10hipError_tT1_PNSt15iterator_traitsISK_E10value_typeET2_T3_PNSL_ISQ_E10value_typeET4_T5_PSV_SW_PNS1_23onesweep_lookback_stateEbbT6_jjT7_P12ihipStream_tbENKUlT_T0_SK_SP_E_clISE_SE_SF_SF_EEDaS13_S14_SK_SP_EUlS13_E_NS1_11comp_targetILNS1_3genE2ELNS1_11target_archE906ELNS1_3gpuE6ELNS1_3repE0EEENS1_47radix_sort_onesweep_sort_config_static_selectorELNS0_4arch9wavefront6targetE0EEEvSK_
    .private_segment_fixed_size: 0
    .sgpr_count:     0
    .sgpr_spill_count: 0
    .symbol:         _ZN7rocprim17ROCPRIM_400000_NS6detail17trampoline_kernelINS0_14default_configENS1_35radix_sort_onesweep_config_selectorIiNS0_10empty_typeEEEZZNS1_29radix_sort_onesweep_iterationIS3_Lb1EN6thrust23THRUST_200600_302600_NS6detail15normal_iteratorINS9_10device_ptrIiEEEESE_PS5_SF_jNS0_19identity_decomposerENS1_16block_id_wrapperIjLb1EEEEE10hipError_tT1_PNSt15iterator_traitsISK_E10value_typeET2_T3_PNSL_ISQ_E10value_typeET4_T5_PSV_SW_PNS1_23onesweep_lookback_stateEbbT6_jjT7_P12ihipStream_tbENKUlT_T0_SK_SP_E_clISE_SE_SF_SF_EEDaS13_S14_SK_SP_EUlS13_E_NS1_11comp_targetILNS1_3genE2ELNS1_11target_archE906ELNS1_3gpuE6ELNS1_3repE0EEENS1_47radix_sort_onesweep_sort_config_static_selectorELNS0_4arch9wavefront6targetE0EEEvSK_.kd
    .uniform_work_group_size: 1
    .uses_dynamic_stack: false
    .vgpr_count:     0
    .vgpr_spill_count: 0
    .wavefront_size: 32
    .workgroup_processor_mode: 1
  - .args:
      - .offset:         0
        .size:           88
        .value_kind:     by_value
    .group_segment_fixed_size: 0
    .kernarg_segment_align: 8
    .kernarg_segment_size: 88
    .language:       OpenCL C
    .language_version:
      - 2
      - 0
    .max_flat_workgroup_size: 1024
    .name:           _ZN7rocprim17ROCPRIM_400000_NS6detail17trampoline_kernelINS0_14default_configENS1_35radix_sort_onesweep_config_selectorIiNS0_10empty_typeEEEZZNS1_29radix_sort_onesweep_iterationIS3_Lb1EN6thrust23THRUST_200600_302600_NS6detail15normal_iteratorINS9_10device_ptrIiEEEESE_PS5_SF_jNS0_19identity_decomposerENS1_16block_id_wrapperIjLb1EEEEE10hipError_tT1_PNSt15iterator_traitsISK_E10value_typeET2_T3_PNSL_ISQ_E10value_typeET4_T5_PSV_SW_PNS1_23onesweep_lookback_stateEbbT6_jjT7_P12ihipStream_tbENKUlT_T0_SK_SP_E_clISE_SE_SF_SF_EEDaS13_S14_SK_SP_EUlS13_E_NS1_11comp_targetILNS1_3genE4ELNS1_11target_archE910ELNS1_3gpuE8ELNS1_3repE0EEENS1_47radix_sort_onesweep_sort_config_static_selectorELNS0_4arch9wavefront6targetE0EEEvSK_
    .private_segment_fixed_size: 0
    .sgpr_count:     0
    .sgpr_spill_count: 0
    .symbol:         _ZN7rocprim17ROCPRIM_400000_NS6detail17trampoline_kernelINS0_14default_configENS1_35radix_sort_onesweep_config_selectorIiNS0_10empty_typeEEEZZNS1_29radix_sort_onesweep_iterationIS3_Lb1EN6thrust23THRUST_200600_302600_NS6detail15normal_iteratorINS9_10device_ptrIiEEEESE_PS5_SF_jNS0_19identity_decomposerENS1_16block_id_wrapperIjLb1EEEEE10hipError_tT1_PNSt15iterator_traitsISK_E10value_typeET2_T3_PNSL_ISQ_E10value_typeET4_T5_PSV_SW_PNS1_23onesweep_lookback_stateEbbT6_jjT7_P12ihipStream_tbENKUlT_T0_SK_SP_E_clISE_SE_SF_SF_EEDaS13_S14_SK_SP_EUlS13_E_NS1_11comp_targetILNS1_3genE4ELNS1_11target_archE910ELNS1_3gpuE8ELNS1_3repE0EEENS1_47radix_sort_onesweep_sort_config_static_selectorELNS0_4arch9wavefront6targetE0EEEvSK_.kd
    .uniform_work_group_size: 1
    .uses_dynamic_stack: false
    .vgpr_count:     0
    .vgpr_spill_count: 0
    .wavefront_size: 32
    .workgroup_processor_mode: 1
  - .args:
      - .offset:         0
        .size:           88
        .value_kind:     by_value
    .group_segment_fixed_size: 0
    .kernarg_segment_align: 8
    .kernarg_segment_size: 88
    .language:       OpenCL C
    .language_version:
      - 2
      - 0
    .max_flat_workgroup_size: 512
    .name:           _ZN7rocprim17ROCPRIM_400000_NS6detail17trampoline_kernelINS0_14default_configENS1_35radix_sort_onesweep_config_selectorIiNS0_10empty_typeEEEZZNS1_29radix_sort_onesweep_iterationIS3_Lb1EN6thrust23THRUST_200600_302600_NS6detail15normal_iteratorINS9_10device_ptrIiEEEESE_PS5_SF_jNS0_19identity_decomposerENS1_16block_id_wrapperIjLb1EEEEE10hipError_tT1_PNSt15iterator_traitsISK_E10value_typeET2_T3_PNSL_ISQ_E10value_typeET4_T5_PSV_SW_PNS1_23onesweep_lookback_stateEbbT6_jjT7_P12ihipStream_tbENKUlT_T0_SK_SP_E_clISE_SE_SF_SF_EEDaS13_S14_SK_SP_EUlS13_E_NS1_11comp_targetILNS1_3genE3ELNS1_11target_archE908ELNS1_3gpuE7ELNS1_3repE0EEENS1_47radix_sort_onesweep_sort_config_static_selectorELNS0_4arch9wavefront6targetE0EEEvSK_
    .private_segment_fixed_size: 0
    .sgpr_count:     0
    .sgpr_spill_count: 0
    .symbol:         _ZN7rocprim17ROCPRIM_400000_NS6detail17trampoline_kernelINS0_14default_configENS1_35radix_sort_onesweep_config_selectorIiNS0_10empty_typeEEEZZNS1_29radix_sort_onesweep_iterationIS3_Lb1EN6thrust23THRUST_200600_302600_NS6detail15normal_iteratorINS9_10device_ptrIiEEEESE_PS5_SF_jNS0_19identity_decomposerENS1_16block_id_wrapperIjLb1EEEEE10hipError_tT1_PNSt15iterator_traitsISK_E10value_typeET2_T3_PNSL_ISQ_E10value_typeET4_T5_PSV_SW_PNS1_23onesweep_lookback_stateEbbT6_jjT7_P12ihipStream_tbENKUlT_T0_SK_SP_E_clISE_SE_SF_SF_EEDaS13_S14_SK_SP_EUlS13_E_NS1_11comp_targetILNS1_3genE3ELNS1_11target_archE908ELNS1_3gpuE7ELNS1_3repE0EEENS1_47radix_sort_onesweep_sort_config_static_selectorELNS0_4arch9wavefront6targetE0EEEvSK_.kd
    .uniform_work_group_size: 1
    .uses_dynamic_stack: false
    .vgpr_count:     0
    .vgpr_spill_count: 0
    .wavefront_size: 32
    .workgroup_processor_mode: 1
  - .args:
      - .offset:         0
        .size:           88
        .value_kind:     by_value
    .group_segment_fixed_size: 0
    .kernarg_segment_align: 8
    .kernarg_segment_size: 88
    .language:       OpenCL C
    .language_version:
      - 2
      - 0
    .max_flat_workgroup_size: 1024
    .name:           _ZN7rocprim17ROCPRIM_400000_NS6detail17trampoline_kernelINS0_14default_configENS1_35radix_sort_onesweep_config_selectorIiNS0_10empty_typeEEEZZNS1_29radix_sort_onesweep_iterationIS3_Lb1EN6thrust23THRUST_200600_302600_NS6detail15normal_iteratorINS9_10device_ptrIiEEEESE_PS5_SF_jNS0_19identity_decomposerENS1_16block_id_wrapperIjLb1EEEEE10hipError_tT1_PNSt15iterator_traitsISK_E10value_typeET2_T3_PNSL_ISQ_E10value_typeET4_T5_PSV_SW_PNS1_23onesweep_lookback_stateEbbT6_jjT7_P12ihipStream_tbENKUlT_T0_SK_SP_E_clISE_SE_SF_SF_EEDaS13_S14_SK_SP_EUlS13_E_NS1_11comp_targetILNS1_3genE10ELNS1_11target_archE1201ELNS1_3gpuE5ELNS1_3repE0EEENS1_47radix_sort_onesweep_sort_config_static_selectorELNS0_4arch9wavefront6targetE0EEEvSK_
    .private_segment_fixed_size: 0
    .sgpr_count:     0
    .sgpr_spill_count: 0
    .symbol:         _ZN7rocprim17ROCPRIM_400000_NS6detail17trampoline_kernelINS0_14default_configENS1_35radix_sort_onesweep_config_selectorIiNS0_10empty_typeEEEZZNS1_29radix_sort_onesweep_iterationIS3_Lb1EN6thrust23THRUST_200600_302600_NS6detail15normal_iteratorINS9_10device_ptrIiEEEESE_PS5_SF_jNS0_19identity_decomposerENS1_16block_id_wrapperIjLb1EEEEE10hipError_tT1_PNSt15iterator_traitsISK_E10value_typeET2_T3_PNSL_ISQ_E10value_typeET4_T5_PSV_SW_PNS1_23onesweep_lookback_stateEbbT6_jjT7_P12ihipStream_tbENKUlT_T0_SK_SP_E_clISE_SE_SF_SF_EEDaS13_S14_SK_SP_EUlS13_E_NS1_11comp_targetILNS1_3genE10ELNS1_11target_archE1201ELNS1_3gpuE5ELNS1_3repE0EEENS1_47radix_sort_onesweep_sort_config_static_selectorELNS0_4arch9wavefront6targetE0EEEvSK_.kd
    .uniform_work_group_size: 1
    .uses_dynamic_stack: false
    .vgpr_count:     0
    .vgpr_spill_count: 0
    .wavefront_size: 32
    .workgroup_processor_mode: 1
  - .args:
      - .offset:         0
        .size:           88
        .value_kind:     by_value
    .group_segment_fixed_size: 0
    .kernarg_segment_align: 8
    .kernarg_segment_size: 88
    .language:       OpenCL C
    .language_version:
      - 2
      - 0
    .max_flat_workgroup_size: 1024
    .name:           _ZN7rocprim17ROCPRIM_400000_NS6detail17trampoline_kernelINS0_14default_configENS1_35radix_sort_onesweep_config_selectorIiNS0_10empty_typeEEEZZNS1_29radix_sort_onesweep_iterationIS3_Lb1EN6thrust23THRUST_200600_302600_NS6detail15normal_iteratorINS9_10device_ptrIiEEEESE_PS5_SF_jNS0_19identity_decomposerENS1_16block_id_wrapperIjLb1EEEEE10hipError_tT1_PNSt15iterator_traitsISK_E10value_typeET2_T3_PNSL_ISQ_E10value_typeET4_T5_PSV_SW_PNS1_23onesweep_lookback_stateEbbT6_jjT7_P12ihipStream_tbENKUlT_T0_SK_SP_E_clISE_SE_SF_SF_EEDaS13_S14_SK_SP_EUlS13_E_NS1_11comp_targetILNS1_3genE9ELNS1_11target_archE1100ELNS1_3gpuE3ELNS1_3repE0EEENS1_47radix_sort_onesweep_sort_config_static_selectorELNS0_4arch9wavefront6targetE0EEEvSK_
    .private_segment_fixed_size: 0
    .sgpr_count:     0
    .sgpr_spill_count: 0
    .symbol:         _ZN7rocprim17ROCPRIM_400000_NS6detail17trampoline_kernelINS0_14default_configENS1_35radix_sort_onesweep_config_selectorIiNS0_10empty_typeEEEZZNS1_29radix_sort_onesweep_iterationIS3_Lb1EN6thrust23THRUST_200600_302600_NS6detail15normal_iteratorINS9_10device_ptrIiEEEESE_PS5_SF_jNS0_19identity_decomposerENS1_16block_id_wrapperIjLb1EEEEE10hipError_tT1_PNSt15iterator_traitsISK_E10value_typeET2_T3_PNSL_ISQ_E10value_typeET4_T5_PSV_SW_PNS1_23onesweep_lookback_stateEbbT6_jjT7_P12ihipStream_tbENKUlT_T0_SK_SP_E_clISE_SE_SF_SF_EEDaS13_S14_SK_SP_EUlS13_E_NS1_11comp_targetILNS1_3genE9ELNS1_11target_archE1100ELNS1_3gpuE3ELNS1_3repE0EEENS1_47radix_sort_onesweep_sort_config_static_selectorELNS0_4arch9wavefront6targetE0EEEvSK_.kd
    .uniform_work_group_size: 1
    .uses_dynamic_stack: false
    .vgpr_count:     0
    .vgpr_spill_count: 0
    .wavefront_size: 32
    .workgroup_processor_mode: 1
  - .args:
      - .offset:         0
        .size:           88
        .value_kind:     by_value
      - .offset:         88
        .size:           4
        .value_kind:     hidden_block_count_x
      - .offset:         92
        .size:           4
        .value_kind:     hidden_block_count_y
      - .offset:         96
        .size:           4
        .value_kind:     hidden_block_count_z
      - .offset:         100
        .size:           2
        .value_kind:     hidden_group_size_x
      - .offset:         102
        .size:           2
        .value_kind:     hidden_group_size_y
      - .offset:         104
        .size:           2
        .value_kind:     hidden_group_size_z
      - .offset:         106
        .size:           2
        .value_kind:     hidden_remainder_x
      - .offset:         108
        .size:           2
        .value_kind:     hidden_remainder_y
      - .offset:         110
        .size:           2
        .value_kind:     hidden_remainder_z
      - .offset:         128
        .size:           8
        .value_kind:     hidden_global_offset_x
      - .offset:         136
        .size:           8
        .value_kind:     hidden_global_offset_y
      - .offset:         144
        .size:           8
        .value_kind:     hidden_global_offset_z
      - .offset:         152
        .size:           2
        .value_kind:     hidden_grid_dims
    .group_segment_fixed_size: 37000
    .kernarg_segment_align: 8
    .kernarg_segment_size: 344
    .language:       OpenCL C
    .language_version:
      - 2
      - 0
    .max_flat_workgroup_size: 1024
    .name:           _ZN7rocprim17ROCPRIM_400000_NS6detail17trampoline_kernelINS0_14default_configENS1_35radix_sort_onesweep_config_selectorIiNS0_10empty_typeEEEZZNS1_29radix_sort_onesweep_iterationIS3_Lb1EN6thrust23THRUST_200600_302600_NS6detail15normal_iteratorINS9_10device_ptrIiEEEESE_PS5_SF_jNS0_19identity_decomposerENS1_16block_id_wrapperIjLb1EEEEE10hipError_tT1_PNSt15iterator_traitsISK_E10value_typeET2_T3_PNSL_ISQ_E10value_typeET4_T5_PSV_SW_PNS1_23onesweep_lookback_stateEbbT6_jjT7_P12ihipStream_tbENKUlT_T0_SK_SP_E_clISE_SE_SF_SF_EEDaS13_S14_SK_SP_EUlS13_E_NS1_11comp_targetILNS1_3genE8ELNS1_11target_archE1030ELNS1_3gpuE2ELNS1_3repE0EEENS1_47radix_sort_onesweep_sort_config_static_selectorELNS0_4arch9wavefront6targetE0EEEvSK_
    .private_segment_fixed_size: 0
    .sgpr_count:     29
    .sgpr_spill_count: 0
    .symbol:         _ZN7rocprim17ROCPRIM_400000_NS6detail17trampoline_kernelINS0_14default_configENS1_35radix_sort_onesweep_config_selectorIiNS0_10empty_typeEEEZZNS1_29radix_sort_onesweep_iterationIS3_Lb1EN6thrust23THRUST_200600_302600_NS6detail15normal_iteratorINS9_10device_ptrIiEEEESE_PS5_SF_jNS0_19identity_decomposerENS1_16block_id_wrapperIjLb1EEEEE10hipError_tT1_PNSt15iterator_traitsISK_E10value_typeET2_T3_PNSL_ISQ_E10value_typeET4_T5_PSV_SW_PNS1_23onesweep_lookback_stateEbbT6_jjT7_P12ihipStream_tbENKUlT_T0_SK_SP_E_clISE_SE_SF_SF_EEDaS13_S14_SK_SP_EUlS13_E_NS1_11comp_targetILNS1_3genE8ELNS1_11target_archE1030ELNS1_3gpuE2ELNS1_3repE0EEENS1_47radix_sort_onesweep_sort_config_static_selectorELNS0_4arch9wavefront6targetE0EEEvSK_.kd
    .uniform_work_group_size: 1
    .uses_dynamic_stack: false
    .vgpr_count:     34
    .vgpr_spill_count: 0
    .wavefront_size: 32
    .workgroup_processor_mode: 1
  - .args:
      - .offset:         0
        .size:           88
        .value_kind:     by_value
    .group_segment_fixed_size: 0
    .kernarg_segment_align: 8
    .kernarg_segment_size: 88
    .language:       OpenCL C
    .language_version:
      - 2
      - 0
    .max_flat_workgroup_size: 512
    .name:           _ZN7rocprim17ROCPRIM_400000_NS6detail17trampoline_kernelINS0_14default_configENS1_35radix_sort_onesweep_config_selectorIiNS0_10empty_typeEEEZZNS1_29radix_sort_onesweep_iterationIS3_Lb1EN6thrust23THRUST_200600_302600_NS6detail15normal_iteratorINS9_10device_ptrIiEEEESE_PS5_SF_jNS0_19identity_decomposerENS1_16block_id_wrapperIjLb1EEEEE10hipError_tT1_PNSt15iterator_traitsISK_E10value_typeET2_T3_PNSL_ISQ_E10value_typeET4_T5_PSV_SW_PNS1_23onesweep_lookback_stateEbbT6_jjT7_P12ihipStream_tbENKUlT_T0_SK_SP_E_clISE_PiSF_SF_EEDaS13_S14_SK_SP_EUlS13_E_NS1_11comp_targetILNS1_3genE0ELNS1_11target_archE4294967295ELNS1_3gpuE0ELNS1_3repE0EEENS1_47radix_sort_onesweep_sort_config_static_selectorELNS0_4arch9wavefront6targetE0EEEvSK_
    .private_segment_fixed_size: 0
    .sgpr_count:     0
    .sgpr_spill_count: 0
    .symbol:         _ZN7rocprim17ROCPRIM_400000_NS6detail17trampoline_kernelINS0_14default_configENS1_35radix_sort_onesweep_config_selectorIiNS0_10empty_typeEEEZZNS1_29radix_sort_onesweep_iterationIS3_Lb1EN6thrust23THRUST_200600_302600_NS6detail15normal_iteratorINS9_10device_ptrIiEEEESE_PS5_SF_jNS0_19identity_decomposerENS1_16block_id_wrapperIjLb1EEEEE10hipError_tT1_PNSt15iterator_traitsISK_E10value_typeET2_T3_PNSL_ISQ_E10value_typeET4_T5_PSV_SW_PNS1_23onesweep_lookback_stateEbbT6_jjT7_P12ihipStream_tbENKUlT_T0_SK_SP_E_clISE_PiSF_SF_EEDaS13_S14_SK_SP_EUlS13_E_NS1_11comp_targetILNS1_3genE0ELNS1_11target_archE4294967295ELNS1_3gpuE0ELNS1_3repE0EEENS1_47radix_sort_onesweep_sort_config_static_selectorELNS0_4arch9wavefront6targetE0EEEvSK_.kd
    .uniform_work_group_size: 1
    .uses_dynamic_stack: false
    .vgpr_count:     0
    .vgpr_spill_count: 0
    .wavefront_size: 32
    .workgroup_processor_mode: 1
  - .args:
      - .offset:         0
        .size:           88
        .value_kind:     by_value
    .group_segment_fixed_size: 0
    .kernarg_segment_align: 8
    .kernarg_segment_size: 88
    .language:       OpenCL C
    .language_version:
      - 2
      - 0
    .max_flat_workgroup_size: 1024
    .name:           _ZN7rocprim17ROCPRIM_400000_NS6detail17trampoline_kernelINS0_14default_configENS1_35radix_sort_onesweep_config_selectorIiNS0_10empty_typeEEEZZNS1_29radix_sort_onesweep_iterationIS3_Lb1EN6thrust23THRUST_200600_302600_NS6detail15normal_iteratorINS9_10device_ptrIiEEEESE_PS5_SF_jNS0_19identity_decomposerENS1_16block_id_wrapperIjLb1EEEEE10hipError_tT1_PNSt15iterator_traitsISK_E10value_typeET2_T3_PNSL_ISQ_E10value_typeET4_T5_PSV_SW_PNS1_23onesweep_lookback_stateEbbT6_jjT7_P12ihipStream_tbENKUlT_T0_SK_SP_E_clISE_PiSF_SF_EEDaS13_S14_SK_SP_EUlS13_E_NS1_11comp_targetILNS1_3genE6ELNS1_11target_archE950ELNS1_3gpuE13ELNS1_3repE0EEENS1_47radix_sort_onesweep_sort_config_static_selectorELNS0_4arch9wavefront6targetE0EEEvSK_
    .private_segment_fixed_size: 0
    .sgpr_count:     0
    .sgpr_spill_count: 0
    .symbol:         _ZN7rocprim17ROCPRIM_400000_NS6detail17trampoline_kernelINS0_14default_configENS1_35radix_sort_onesweep_config_selectorIiNS0_10empty_typeEEEZZNS1_29radix_sort_onesweep_iterationIS3_Lb1EN6thrust23THRUST_200600_302600_NS6detail15normal_iteratorINS9_10device_ptrIiEEEESE_PS5_SF_jNS0_19identity_decomposerENS1_16block_id_wrapperIjLb1EEEEE10hipError_tT1_PNSt15iterator_traitsISK_E10value_typeET2_T3_PNSL_ISQ_E10value_typeET4_T5_PSV_SW_PNS1_23onesweep_lookback_stateEbbT6_jjT7_P12ihipStream_tbENKUlT_T0_SK_SP_E_clISE_PiSF_SF_EEDaS13_S14_SK_SP_EUlS13_E_NS1_11comp_targetILNS1_3genE6ELNS1_11target_archE950ELNS1_3gpuE13ELNS1_3repE0EEENS1_47radix_sort_onesweep_sort_config_static_selectorELNS0_4arch9wavefront6targetE0EEEvSK_.kd
    .uniform_work_group_size: 1
    .uses_dynamic_stack: false
    .vgpr_count:     0
    .vgpr_spill_count: 0
    .wavefront_size: 32
    .workgroup_processor_mode: 1
  - .args:
      - .offset:         0
        .size:           88
        .value_kind:     by_value
    .group_segment_fixed_size: 0
    .kernarg_segment_align: 8
    .kernarg_segment_size: 88
    .language:       OpenCL C
    .language_version:
      - 2
      - 0
    .max_flat_workgroup_size: 1024
    .name:           _ZN7rocprim17ROCPRIM_400000_NS6detail17trampoline_kernelINS0_14default_configENS1_35radix_sort_onesweep_config_selectorIiNS0_10empty_typeEEEZZNS1_29radix_sort_onesweep_iterationIS3_Lb1EN6thrust23THRUST_200600_302600_NS6detail15normal_iteratorINS9_10device_ptrIiEEEESE_PS5_SF_jNS0_19identity_decomposerENS1_16block_id_wrapperIjLb1EEEEE10hipError_tT1_PNSt15iterator_traitsISK_E10value_typeET2_T3_PNSL_ISQ_E10value_typeET4_T5_PSV_SW_PNS1_23onesweep_lookback_stateEbbT6_jjT7_P12ihipStream_tbENKUlT_T0_SK_SP_E_clISE_PiSF_SF_EEDaS13_S14_SK_SP_EUlS13_E_NS1_11comp_targetILNS1_3genE5ELNS1_11target_archE942ELNS1_3gpuE9ELNS1_3repE0EEENS1_47radix_sort_onesweep_sort_config_static_selectorELNS0_4arch9wavefront6targetE0EEEvSK_
    .private_segment_fixed_size: 0
    .sgpr_count:     0
    .sgpr_spill_count: 0
    .symbol:         _ZN7rocprim17ROCPRIM_400000_NS6detail17trampoline_kernelINS0_14default_configENS1_35radix_sort_onesweep_config_selectorIiNS0_10empty_typeEEEZZNS1_29radix_sort_onesweep_iterationIS3_Lb1EN6thrust23THRUST_200600_302600_NS6detail15normal_iteratorINS9_10device_ptrIiEEEESE_PS5_SF_jNS0_19identity_decomposerENS1_16block_id_wrapperIjLb1EEEEE10hipError_tT1_PNSt15iterator_traitsISK_E10value_typeET2_T3_PNSL_ISQ_E10value_typeET4_T5_PSV_SW_PNS1_23onesweep_lookback_stateEbbT6_jjT7_P12ihipStream_tbENKUlT_T0_SK_SP_E_clISE_PiSF_SF_EEDaS13_S14_SK_SP_EUlS13_E_NS1_11comp_targetILNS1_3genE5ELNS1_11target_archE942ELNS1_3gpuE9ELNS1_3repE0EEENS1_47radix_sort_onesweep_sort_config_static_selectorELNS0_4arch9wavefront6targetE0EEEvSK_.kd
    .uniform_work_group_size: 1
    .uses_dynamic_stack: false
    .vgpr_count:     0
    .vgpr_spill_count: 0
    .wavefront_size: 32
    .workgroup_processor_mode: 1
  - .args:
      - .offset:         0
        .size:           88
        .value_kind:     by_value
    .group_segment_fixed_size: 0
    .kernarg_segment_align: 8
    .kernarg_segment_size: 88
    .language:       OpenCL C
    .language_version:
      - 2
      - 0
    .max_flat_workgroup_size: 1024
    .name:           _ZN7rocprim17ROCPRIM_400000_NS6detail17trampoline_kernelINS0_14default_configENS1_35radix_sort_onesweep_config_selectorIiNS0_10empty_typeEEEZZNS1_29radix_sort_onesweep_iterationIS3_Lb1EN6thrust23THRUST_200600_302600_NS6detail15normal_iteratorINS9_10device_ptrIiEEEESE_PS5_SF_jNS0_19identity_decomposerENS1_16block_id_wrapperIjLb1EEEEE10hipError_tT1_PNSt15iterator_traitsISK_E10value_typeET2_T3_PNSL_ISQ_E10value_typeET4_T5_PSV_SW_PNS1_23onesweep_lookback_stateEbbT6_jjT7_P12ihipStream_tbENKUlT_T0_SK_SP_E_clISE_PiSF_SF_EEDaS13_S14_SK_SP_EUlS13_E_NS1_11comp_targetILNS1_3genE2ELNS1_11target_archE906ELNS1_3gpuE6ELNS1_3repE0EEENS1_47radix_sort_onesweep_sort_config_static_selectorELNS0_4arch9wavefront6targetE0EEEvSK_
    .private_segment_fixed_size: 0
    .sgpr_count:     0
    .sgpr_spill_count: 0
    .symbol:         _ZN7rocprim17ROCPRIM_400000_NS6detail17trampoline_kernelINS0_14default_configENS1_35radix_sort_onesweep_config_selectorIiNS0_10empty_typeEEEZZNS1_29radix_sort_onesweep_iterationIS3_Lb1EN6thrust23THRUST_200600_302600_NS6detail15normal_iteratorINS9_10device_ptrIiEEEESE_PS5_SF_jNS0_19identity_decomposerENS1_16block_id_wrapperIjLb1EEEEE10hipError_tT1_PNSt15iterator_traitsISK_E10value_typeET2_T3_PNSL_ISQ_E10value_typeET4_T5_PSV_SW_PNS1_23onesweep_lookback_stateEbbT6_jjT7_P12ihipStream_tbENKUlT_T0_SK_SP_E_clISE_PiSF_SF_EEDaS13_S14_SK_SP_EUlS13_E_NS1_11comp_targetILNS1_3genE2ELNS1_11target_archE906ELNS1_3gpuE6ELNS1_3repE0EEENS1_47radix_sort_onesweep_sort_config_static_selectorELNS0_4arch9wavefront6targetE0EEEvSK_.kd
    .uniform_work_group_size: 1
    .uses_dynamic_stack: false
    .vgpr_count:     0
    .vgpr_spill_count: 0
    .wavefront_size: 32
    .workgroup_processor_mode: 1
  - .args:
      - .offset:         0
        .size:           88
        .value_kind:     by_value
    .group_segment_fixed_size: 0
    .kernarg_segment_align: 8
    .kernarg_segment_size: 88
    .language:       OpenCL C
    .language_version:
      - 2
      - 0
    .max_flat_workgroup_size: 1024
    .name:           _ZN7rocprim17ROCPRIM_400000_NS6detail17trampoline_kernelINS0_14default_configENS1_35radix_sort_onesweep_config_selectorIiNS0_10empty_typeEEEZZNS1_29radix_sort_onesweep_iterationIS3_Lb1EN6thrust23THRUST_200600_302600_NS6detail15normal_iteratorINS9_10device_ptrIiEEEESE_PS5_SF_jNS0_19identity_decomposerENS1_16block_id_wrapperIjLb1EEEEE10hipError_tT1_PNSt15iterator_traitsISK_E10value_typeET2_T3_PNSL_ISQ_E10value_typeET4_T5_PSV_SW_PNS1_23onesweep_lookback_stateEbbT6_jjT7_P12ihipStream_tbENKUlT_T0_SK_SP_E_clISE_PiSF_SF_EEDaS13_S14_SK_SP_EUlS13_E_NS1_11comp_targetILNS1_3genE4ELNS1_11target_archE910ELNS1_3gpuE8ELNS1_3repE0EEENS1_47radix_sort_onesweep_sort_config_static_selectorELNS0_4arch9wavefront6targetE0EEEvSK_
    .private_segment_fixed_size: 0
    .sgpr_count:     0
    .sgpr_spill_count: 0
    .symbol:         _ZN7rocprim17ROCPRIM_400000_NS6detail17trampoline_kernelINS0_14default_configENS1_35radix_sort_onesweep_config_selectorIiNS0_10empty_typeEEEZZNS1_29radix_sort_onesweep_iterationIS3_Lb1EN6thrust23THRUST_200600_302600_NS6detail15normal_iteratorINS9_10device_ptrIiEEEESE_PS5_SF_jNS0_19identity_decomposerENS1_16block_id_wrapperIjLb1EEEEE10hipError_tT1_PNSt15iterator_traitsISK_E10value_typeET2_T3_PNSL_ISQ_E10value_typeET4_T5_PSV_SW_PNS1_23onesweep_lookback_stateEbbT6_jjT7_P12ihipStream_tbENKUlT_T0_SK_SP_E_clISE_PiSF_SF_EEDaS13_S14_SK_SP_EUlS13_E_NS1_11comp_targetILNS1_3genE4ELNS1_11target_archE910ELNS1_3gpuE8ELNS1_3repE0EEENS1_47radix_sort_onesweep_sort_config_static_selectorELNS0_4arch9wavefront6targetE0EEEvSK_.kd
    .uniform_work_group_size: 1
    .uses_dynamic_stack: false
    .vgpr_count:     0
    .vgpr_spill_count: 0
    .wavefront_size: 32
    .workgroup_processor_mode: 1
  - .args:
      - .offset:         0
        .size:           88
        .value_kind:     by_value
    .group_segment_fixed_size: 0
    .kernarg_segment_align: 8
    .kernarg_segment_size: 88
    .language:       OpenCL C
    .language_version:
      - 2
      - 0
    .max_flat_workgroup_size: 512
    .name:           _ZN7rocprim17ROCPRIM_400000_NS6detail17trampoline_kernelINS0_14default_configENS1_35radix_sort_onesweep_config_selectorIiNS0_10empty_typeEEEZZNS1_29radix_sort_onesweep_iterationIS3_Lb1EN6thrust23THRUST_200600_302600_NS6detail15normal_iteratorINS9_10device_ptrIiEEEESE_PS5_SF_jNS0_19identity_decomposerENS1_16block_id_wrapperIjLb1EEEEE10hipError_tT1_PNSt15iterator_traitsISK_E10value_typeET2_T3_PNSL_ISQ_E10value_typeET4_T5_PSV_SW_PNS1_23onesweep_lookback_stateEbbT6_jjT7_P12ihipStream_tbENKUlT_T0_SK_SP_E_clISE_PiSF_SF_EEDaS13_S14_SK_SP_EUlS13_E_NS1_11comp_targetILNS1_3genE3ELNS1_11target_archE908ELNS1_3gpuE7ELNS1_3repE0EEENS1_47radix_sort_onesweep_sort_config_static_selectorELNS0_4arch9wavefront6targetE0EEEvSK_
    .private_segment_fixed_size: 0
    .sgpr_count:     0
    .sgpr_spill_count: 0
    .symbol:         _ZN7rocprim17ROCPRIM_400000_NS6detail17trampoline_kernelINS0_14default_configENS1_35radix_sort_onesweep_config_selectorIiNS0_10empty_typeEEEZZNS1_29radix_sort_onesweep_iterationIS3_Lb1EN6thrust23THRUST_200600_302600_NS6detail15normal_iteratorINS9_10device_ptrIiEEEESE_PS5_SF_jNS0_19identity_decomposerENS1_16block_id_wrapperIjLb1EEEEE10hipError_tT1_PNSt15iterator_traitsISK_E10value_typeET2_T3_PNSL_ISQ_E10value_typeET4_T5_PSV_SW_PNS1_23onesweep_lookback_stateEbbT6_jjT7_P12ihipStream_tbENKUlT_T0_SK_SP_E_clISE_PiSF_SF_EEDaS13_S14_SK_SP_EUlS13_E_NS1_11comp_targetILNS1_3genE3ELNS1_11target_archE908ELNS1_3gpuE7ELNS1_3repE0EEENS1_47radix_sort_onesweep_sort_config_static_selectorELNS0_4arch9wavefront6targetE0EEEvSK_.kd
    .uniform_work_group_size: 1
    .uses_dynamic_stack: false
    .vgpr_count:     0
    .vgpr_spill_count: 0
    .wavefront_size: 32
    .workgroup_processor_mode: 1
  - .args:
      - .offset:         0
        .size:           88
        .value_kind:     by_value
    .group_segment_fixed_size: 0
    .kernarg_segment_align: 8
    .kernarg_segment_size: 88
    .language:       OpenCL C
    .language_version:
      - 2
      - 0
    .max_flat_workgroup_size: 1024
    .name:           _ZN7rocprim17ROCPRIM_400000_NS6detail17trampoline_kernelINS0_14default_configENS1_35radix_sort_onesweep_config_selectorIiNS0_10empty_typeEEEZZNS1_29radix_sort_onesweep_iterationIS3_Lb1EN6thrust23THRUST_200600_302600_NS6detail15normal_iteratorINS9_10device_ptrIiEEEESE_PS5_SF_jNS0_19identity_decomposerENS1_16block_id_wrapperIjLb1EEEEE10hipError_tT1_PNSt15iterator_traitsISK_E10value_typeET2_T3_PNSL_ISQ_E10value_typeET4_T5_PSV_SW_PNS1_23onesweep_lookback_stateEbbT6_jjT7_P12ihipStream_tbENKUlT_T0_SK_SP_E_clISE_PiSF_SF_EEDaS13_S14_SK_SP_EUlS13_E_NS1_11comp_targetILNS1_3genE10ELNS1_11target_archE1201ELNS1_3gpuE5ELNS1_3repE0EEENS1_47radix_sort_onesweep_sort_config_static_selectorELNS0_4arch9wavefront6targetE0EEEvSK_
    .private_segment_fixed_size: 0
    .sgpr_count:     0
    .sgpr_spill_count: 0
    .symbol:         _ZN7rocprim17ROCPRIM_400000_NS6detail17trampoline_kernelINS0_14default_configENS1_35radix_sort_onesweep_config_selectorIiNS0_10empty_typeEEEZZNS1_29radix_sort_onesweep_iterationIS3_Lb1EN6thrust23THRUST_200600_302600_NS6detail15normal_iteratorINS9_10device_ptrIiEEEESE_PS5_SF_jNS0_19identity_decomposerENS1_16block_id_wrapperIjLb1EEEEE10hipError_tT1_PNSt15iterator_traitsISK_E10value_typeET2_T3_PNSL_ISQ_E10value_typeET4_T5_PSV_SW_PNS1_23onesweep_lookback_stateEbbT6_jjT7_P12ihipStream_tbENKUlT_T0_SK_SP_E_clISE_PiSF_SF_EEDaS13_S14_SK_SP_EUlS13_E_NS1_11comp_targetILNS1_3genE10ELNS1_11target_archE1201ELNS1_3gpuE5ELNS1_3repE0EEENS1_47radix_sort_onesweep_sort_config_static_selectorELNS0_4arch9wavefront6targetE0EEEvSK_.kd
    .uniform_work_group_size: 1
    .uses_dynamic_stack: false
    .vgpr_count:     0
    .vgpr_spill_count: 0
    .wavefront_size: 32
    .workgroup_processor_mode: 1
  - .args:
      - .offset:         0
        .size:           88
        .value_kind:     by_value
    .group_segment_fixed_size: 0
    .kernarg_segment_align: 8
    .kernarg_segment_size: 88
    .language:       OpenCL C
    .language_version:
      - 2
      - 0
    .max_flat_workgroup_size: 1024
    .name:           _ZN7rocprim17ROCPRIM_400000_NS6detail17trampoline_kernelINS0_14default_configENS1_35radix_sort_onesweep_config_selectorIiNS0_10empty_typeEEEZZNS1_29radix_sort_onesweep_iterationIS3_Lb1EN6thrust23THRUST_200600_302600_NS6detail15normal_iteratorINS9_10device_ptrIiEEEESE_PS5_SF_jNS0_19identity_decomposerENS1_16block_id_wrapperIjLb1EEEEE10hipError_tT1_PNSt15iterator_traitsISK_E10value_typeET2_T3_PNSL_ISQ_E10value_typeET4_T5_PSV_SW_PNS1_23onesweep_lookback_stateEbbT6_jjT7_P12ihipStream_tbENKUlT_T0_SK_SP_E_clISE_PiSF_SF_EEDaS13_S14_SK_SP_EUlS13_E_NS1_11comp_targetILNS1_3genE9ELNS1_11target_archE1100ELNS1_3gpuE3ELNS1_3repE0EEENS1_47radix_sort_onesweep_sort_config_static_selectorELNS0_4arch9wavefront6targetE0EEEvSK_
    .private_segment_fixed_size: 0
    .sgpr_count:     0
    .sgpr_spill_count: 0
    .symbol:         _ZN7rocprim17ROCPRIM_400000_NS6detail17trampoline_kernelINS0_14default_configENS1_35radix_sort_onesweep_config_selectorIiNS0_10empty_typeEEEZZNS1_29radix_sort_onesweep_iterationIS3_Lb1EN6thrust23THRUST_200600_302600_NS6detail15normal_iteratorINS9_10device_ptrIiEEEESE_PS5_SF_jNS0_19identity_decomposerENS1_16block_id_wrapperIjLb1EEEEE10hipError_tT1_PNSt15iterator_traitsISK_E10value_typeET2_T3_PNSL_ISQ_E10value_typeET4_T5_PSV_SW_PNS1_23onesweep_lookback_stateEbbT6_jjT7_P12ihipStream_tbENKUlT_T0_SK_SP_E_clISE_PiSF_SF_EEDaS13_S14_SK_SP_EUlS13_E_NS1_11comp_targetILNS1_3genE9ELNS1_11target_archE1100ELNS1_3gpuE3ELNS1_3repE0EEENS1_47radix_sort_onesweep_sort_config_static_selectorELNS0_4arch9wavefront6targetE0EEEvSK_.kd
    .uniform_work_group_size: 1
    .uses_dynamic_stack: false
    .vgpr_count:     0
    .vgpr_spill_count: 0
    .wavefront_size: 32
    .workgroup_processor_mode: 1
  - .args:
      - .offset:         0
        .size:           88
        .value_kind:     by_value
      - .offset:         88
        .size:           4
        .value_kind:     hidden_block_count_x
      - .offset:         92
        .size:           4
        .value_kind:     hidden_block_count_y
      - .offset:         96
        .size:           4
        .value_kind:     hidden_block_count_z
      - .offset:         100
        .size:           2
        .value_kind:     hidden_group_size_x
      - .offset:         102
        .size:           2
        .value_kind:     hidden_group_size_y
      - .offset:         104
        .size:           2
        .value_kind:     hidden_group_size_z
      - .offset:         106
        .size:           2
        .value_kind:     hidden_remainder_x
      - .offset:         108
        .size:           2
        .value_kind:     hidden_remainder_y
      - .offset:         110
        .size:           2
        .value_kind:     hidden_remainder_z
      - .offset:         128
        .size:           8
        .value_kind:     hidden_global_offset_x
      - .offset:         136
        .size:           8
        .value_kind:     hidden_global_offset_y
      - .offset:         144
        .size:           8
        .value_kind:     hidden_global_offset_z
      - .offset:         152
        .size:           2
        .value_kind:     hidden_grid_dims
    .group_segment_fixed_size: 37000
    .kernarg_segment_align: 8
    .kernarg_segment_size: 344
    .language:       OpenCL C
    .language_version:
      - 2
      - 0
    .max_flat_workgroup_size: 1024
    .name:           _ZN7rocprim17ROCPRIM_400000_NS6detail17trampoline_kernelINS0_14default_configENS1_35radix_sort_onesweep_config_selectorIiNS0_10empty_typeEEEZZNS1_29radix_sort_onesweep_iterationIS3_Lb1EN6thrust23THRUST_200600_302600_NS6detail15normal_iteratorINS9_10device_ptrIiEEEESE_PS5_SF_jNS0_19identity_decomposerENS1_16block_id_wrapperIjLb1EEEEE10hipError_tT1_PNSt15iterator_traitsISK_E10value_typeET2_T3_PNSL_ISQ_E10value_typeET4_T5_PSV_SW_PNS1_23onesweep_lookback_stateEbbT6_jjT7_P12ihipStream_tbENKUlT_T0_SK_SP_E_clISE_PiSF_SF_EEDaS13_S14_SK_SP_EUlS13_E_NS1_11comp_targetILNS1_3genE8ELNS1_11target_archE1030ELNS1_3gpuE2ELNS1_3repE0EEENS1_47radix_sort_onesweep_sort_config_static_selectorELNS0_4arch9wavefront6targetE0EEEvSK_
    .private_segment_fixed_size: 0
    .sgpr_count:     29
    .sgpr_spill_count: 0
    .symbol:         _ZN7rocprim17ROCPRIM_400000_NS6detail17trampoline_kernelINS0_14default_configENS1_35radix_sort_onesweep_config_selectorIiNS0_10empty_typeEEEZZNS1_29radix_sort_onesweep_iterationIS3_Lb1EN6thrust23THRUST_200600_302600_NS6detail15normal_iteratorINS9_10device_ptrIiEEEESE_PS5_SF_jNS0_19identity_decomposerENS1_16block_id_wrapperIjLb1EEEEE10hipError_tT1_PNSt15iterator_traitsISK_E10value_typeET2_T3_PNSL_ISQ_E10value_typeET4_T5_PSV_SW_PNS1_23onesweep_lookback_stateEbbT6_jjT7_P12ihipStream_tbENKUlT_T0_SK_SP_E_clISE_PiSF_SF_EEDaS13_S14_SK_SP_EUlS13_E_NS1_11comp_targetILNS1_3genE8ELNS1_11target_archE1030ELNS1_3gpuE2ELNS1_3repE0EEENS1_47radix_sort_onesweep_sort_config_static_selectorELNS0_4arch9wavefront6targetE0EEEvSK_.kd
    .uniform_work_group_size: 1
    .uses_dynamic_stack: false
    .vgpr_count:     34
    .vgpr_spill_count: 0
    .wavefront_size: 32
    .workgroup_processor_mode: 1
  - .args:
      - .offset:         0
        .size:           88
        .value_kind:     by_value
    .group_segment_fixed_size: 0
    .kernarg_segment_align: 8
    .kernarg_segment_size: 88
    .language:       OpenCL C
    .language_version:
      - 2
      - 0
    .max_flat_workgroup_size: 512
    .name:           _ZN7rocprim17ROCPRIM_400000_NS6detail17trampoline_kernelINS0_14default_configENS1_35radix_sort_onesweep_config_selectorIiNS0_10empty_typeEEEZZNS1_29radix_sort_onesweep_iterationIS3_Lb1EN6thrust23THRUST_200600_302600_NS6detail15normal_iteratorINS9_10device_ptrIiEEEESE_PS5_SF_jNS0_19identity_decomposerENS1_16block_id_wrapperIjLb1EEEEE10hipError_tT1_PNSt15iterator_traitsISK_E10value_typeET2_T3_PNSL_ISQ_E10value_typeET4_T5_PSV_SW_PNS1_23onesweep_lookback_stateEbbT6_jjT7_P12ihipStream_tbENKUlT_T0_SK_SP_E_clIPiSE_SF_SF_EEDaS13_S14_SK_SP_EUlS13_E_NS1_11comp_targetILNS1_3genE0ELNS1_11target_archE4294967295ELNS1_3gpuE0ELNS1_3repE0EEENS1_47radix_sort_onesweep_sort_config_static_selectorELNS0_4arch9wavefront6targetE0EEEvSK_
    .private_segment_fixed_size: 0
    .sgpr_count:     0
    .sgpr_spill_count: 0
    .symbol:         _ZN7rocprim17ROCPRIM_400000_NS6detail17trampoline_kernelINS0_14default_configENS1_35radix_sort_onesweep_config_selectorIiNS0_10empty_typeEEEZZNS1_29radix_sort_onesweep_iterationIS3_Lb1EN6thrust23THRUST_200600_302600_NS6detail15normal_iteratorINS9_10device_ptrIiEEEESE_PS5_SF_jNS0_19identity_decomposerENS1_16block_id_wrapperIjLb1EEEEE10hipError_tT1_PNSt15iterator_traitsISK_E10value_typeET2_T3_PNSL_ISQ_E10value_typeET4_T5_PSV_SW_PNS1_23onesweep_lookback_stateEbbT6_jjT7_P12ihipStream_tbENKUlT_T0_SK_SP_E_clIPiSE_SF_SF_EEDaS13_S14_SK_SP_EUlS13_E_NS1_11comp_targetILNS1_3genE0ELNS1_11target_archE4294967295ELNS1_3gpuE0ELNS1_3repE0EEENS1_47radix_sort_onesweep_sort_config_static_selectorELNS0_4arch9wavefront6targetE0EEEvSK_.kd
    .uniform_work_group_size: 1
    .uses_dynamic_stack: false
    .vgpr_count:     0
    .vgpr_spill_count: 0
    .wavefront_size: 32
    .workgroup_processor_mode: 1
  - .args:
      - .offset:         0
        .size:           88
        .value_kind:     by_value
    .group_segment_fixed_size: 0
    .kernarg_segment_align: 8
    .kernarg_segment_size: 88
    .language:       OpenCL C
    .language_version:
      - 2
      - 0
    .max_flat_workgroup_size: 1024
    .name:           _ZN7rocprim17ROCPRIM_400000_NS6detail17trampoline_kernelINS0_14default_configENS1_35radix_sort_onesweep_config_selectorIiNS0_10empty_typeEEEZZNS1_29radix_sort_onesweep_iterationIS3_Lb1EN6thrust23THRUST_200600_302600_NS6detail15normal_iteratorINS9_10device_ptrIiEEEESE_PS5_SF_jNS0_19identity_decomposerENS1_16block_id_wrapperIjLb1EEEEE10hipError_tT1_PNSt15iterator_traitsISK_E10value_typeET2_T3_PNSL_ISQ_E10value_typeET4_T5_PSV_SW_PNS1_23onesweep_lookback_stateEbbT6_jjT7_P12ihipStream_tbENKUlT_T0_SK_SP_E_clIPiSE_SF_SF_EEDaS13_S14_SK_SP_EUlS13_E_NS1_11comp_targetILNS1_3genE6ELNS1_11target_archE950ELNS1_3gpuE13ELNS1_3repE0EEENS1_47radix_sort_onesweep_sort_config_static_selectorELNS0_4arch9wavefront6targetE0EEEvSK_
    .private_segment_fixed_size: 0
    .sgpr_count:     0
    .sgpr_spill_count: 0
    .symbol:         _ZN7rocprim17ROCPRIM_400000_NS6detail17trampoline_kernelINS0_14default_configENS1_35radix_sort_onesweep_config_selectorIiNS0_10empty_typeEEEZZNS1_29radix_sort_onesweep_iterationIS3_Lb1EN6thrust23THRUST_200600_302600_NS6detail15normal_iteratorINS9_10device_ptrIiEEEESE_PS5_SF_jNS0_19identity_decomposerENS1_16block_id_wrapperIjLb1EEEEE10hipError_tT1_PNSt15iterator_traitsISK_E10value_typeET2_T3_PNSL_ISQ_E10value_typeET4_T5_PSV_SW_PNS1_23onesweep_lookback_stateEbbT6_jjT7_P12ihipStream_tbENKUlT_T0_SK_SP_E_clIPiSE_SF_SF_EEDaS13_S14_SK_SP_EUlS13_E_NS1_11comp_targetILNS1_3genE6ELNS1_11target_archE950ELNS1_3gpuE13ELNS1_3repE0EEENS1_47radix_sort_onesweep_sort_config_static_selectorELNS0_4arch9wavefront6targetE0EEEvSK_.kd
    .uniform_work_group_size: 1
    .uses_dynamic_stack: false
    .vgpr_count:     0
    .vgpr_spill_count: 0
    .wavefront_size: 32
    .workgroup_processor_mode: 1
  - .args:
      - .offset:         0
        .size:           88
        .value_kind:     by_value
    .group_segment_fixed_size: 0
    .kernarg_segment_align: 8
    .kernarg_segment_size: 88
    .language:       OpenCL C
    .language_version:
      - 2
      - 0
    .max_flat_workgroup_size: 1024
    .name:           _ZN7rocprim17ROCPRIM_400000_NS6detail17trampoline_kernelINS0_14default_configENS1_35radix_sort_onesweep_config_selectorIiNS0_10empty_typeEEEZZNS1_29radix_sort_onesweep_iterationIS3_Lb1EN6thrust23THRUST_200600_302600_NS6detail15normal_iteratorINS9_10device_ptrIiEEEESE_PS5_SF_jNS0_19identity_decomposerENS1_16block_id_wrapperIjLb1EEEEE10hipError_tT1_PNSt15iterator_traitsISK_E10value_typeET2_T3_PNSL_ISQ_E10value_typeET4_T5_PSV_SW_PNS1_23onesweep_lookback_stateEbbT6_jjT7_P12ihipStream_tbENKUlT_T0_SK_SP_E_clIPiSE_SF_SF_EEDaS13_S14_SK_SP_EUlS13_E_NS1_11comp_targetILNS1_3genE5ELNS1_11target_archE942ELNS1_3gpuE9ELNS1_3repE0EEENS1_47radix_sort_onesweep_sort_config_static_selectorELNS0_4arch9wavefront6targetE0EEEvSK_
    .private_segment_fixed_size: 0
    .sgpr_count:     0
    .sgpr_spill_count: 0
    .symbol:         _ZN7rocprim17ROCPRIM_400000_NS6detail17trampoline_kernelINS0_14default_configENS1_35radix_sort_onesweep_config_selectorIiNS0_10empty_typeEEEZZNS1_29radix_sort_onesweep_iterationIS3_Lb1EN6thrust23THRUST_200600_302600_NS6detail15normal_iteratorINS9_10device_ptrIiEEEESE_PS5_SF_jNS0_19identity_decomposerENS1_16block_id_wrapperIjLb1EEEEE10hipError_tT1_PNSt15iterator_traitsISK_E10value_typeET2_T3_PNSL_ISQ_E10value_typeET4_T5_PSV_SW_PNS1_23onesweep_lookback_stateEbbT6_jjT7_P12ihipStream_tbENKUlT_T0_SK_SP_E_clIPiSE_SF_SF_EEDaS13_S14_SK_SP_EUlS13_E_NS1_11comp_targetILNS1_3genE5ELNS1_11target_archE942ELNS1_3gpuE9ELNS1_3repE0EEENS1_47radix_sort_onesweep_sort_config_static_selectorELNS0_4arch9wavefront6targetE0EEEvSK_.kd
    .uniform_work_group_size: 1
    .uses_dynamic_stack: false
    .vgpr_count:     0
    .vgpr_spill_count: 0
    .wavefront_size: 32
    .workgroup_processor_mode: 1
  - .args:
      - .offset:         0
        .size:           88
        .value_kind:     by_value
    .group_segment_fixed_size: 0
    .kernarg_segment_align: 8
    .kernarg_segment_size: 88
    .language:       OpenCL C
    .language_version:
      - 2
      - 0
    .max_flat_workgroup_size: 1024
    .name:           _ZN7rocprim17ROCPRIM_400000_NS6detail17trampoline_kernelINS0_14default_configENS1_35radix_sort_onesweep_config_selectorIiNS0_10empty_typeEEEZZNS1_29radix_sort_onesweep_iterationIS3_Lb1EN6thrust23THRUST_200600_302600_NS6detail15normal_iteratorINS9_10device_ptrIiEEEESE_PS5_SF_jNS0_19identity_decomposerENS1_16block_id_wrapperIjLb1EEEEE10hipError_tT1_PNSt15iterator_traitsISK_E10value_typeET2_T3_PNSL_ISQ_E10value_typeET4_T5_PSV_SW_PNS1_23onesweep_lookback_stateEbbT6_jjT7_P12ihipStream_tbENKUlT_T0_SK_SP_E_clIPiSE_SF_SF_EEDaS13_S14_SK_SP_EUlS13_E_NS1_11comp_targetILNS1_3genE2ELNS1_11target_archE906ELNS1_3gpuE6ELNS1_3repE0EEENS1_47radix_sort_onesweep_sort_config_static_selectorELNS0_4arch9wavefront6targetE0EEEvSK_
    .private_segment_fixed_size: 0
    .sgpr_count:     0
    .sgpr_spill_count: 0
    .symbol:         _ZN7rocprim17ROCPRIM_400000_NS6detail17trampoline_kernelINS0_14default_configENS1_35radix_sort_onesweep_config_selectorIiNS0_10empty_typeEEEZZNS1_29radix_sort_onesweep_iterationIS3_Lb1EN6thrust23THRUST_200600_302600_NS6detail15normal_iteratorINS9_10device_ptrIiEEEESE_PS5_SF_jNS0_19identity_decomposerENS1_16block_id_wrapperIjLb1EEEEE10hipError_tT1_PNSt15iterator_traitsISK_E10value_typeET2_T3_PNSL_ISQ_E10value_typeET4_T5_PSV_SW_PNS1_23onesweep_lookback_stateEbbT6_jjT7_P12ihipStream_tbENKUlT_T0_SK_SP_E_clIPiSE_SF_SF_EEDaS13_S14_SK_SP_EUlS13_E_NS1_11comp_targetILNS1_3genE2ELNS1_11target_archE906ELNS1_3gpuE6ELNS1_3repE0EEENS1_47radix_sort_onesweep_sort_config_static_selectorELNS0_4arch9wavefront6targetE0EEEvSK_.kd
    .uniform_work_group_size: 1
    .uses_dynamic_stack: false
    .vgpr_count:     0
    .vgpr_spill_count: 0
    .wavefront_size: 32
    .workgroup_processor_mode: 1
  - .args:
      - .offset:         0
        .size:           88
        .value_kind:     by_value
    .group_segment_fixed_size: 0
    .kernarg_segment_align: 8
    .kernarg_segment_size: 88
    .language:       OpenCL C
    .language_version:
      - 2
      - 0
    .max_flat_workgroup_size: 1024
    .name:           _ZN7rocprim17ROCPRIM_400000_NS6detail17trampoline_kernelINS0_14default_configENS1_35radix_sort_onesweep_config_selectorIiNS0_10empty_typeEEEZZNS1_29radix_sort_onesweep_iterationIS3_Lb1EN6thrust23THRUST_200600_302600_NS6detail15normal_iteratorINS9_10device_ptrIiEEEESE_PS5_SF_jNS0_19identity_decomposerENS1_16block_id_wrapperIjLb1EEEEE10hipError_tT1_PNSt15iterator_traitsISK_E10value_typeET2_T3_PNSL_ISQ_E10value_typeET4_T5_PSV_SW_PNS1_23onesweep_lookback_stateEbbT6_jjT7_P12ihipStream_tbENKUlT_T0_SK_SP_E_clIPiSE_SF_SF_EEDaS13_S14_SK_SP_EUlS13_E_NS1_11comp_targetILNS1_3genE4ELNS1_11target_archE910ELNS1_3gpuE8ELNS1_3repE0EEENS1_47radix_sort_onesweep_sort_config_static_selectorELNS0_4arch9wavefront6targetE0EEEvSK_
    .private_segment_fixed_size: 0
    .sgpr_count:     0
    .sgpr_spill_count: 0
    .symbol:         _ZN7rocprim17ROCPRIM_400000_NS6detail17trampoline_kernelINS0_14default_configENS1_35radix_sort_onesweep_config_selectorIiNS0_10empty_typeEEEZZNS1_29radix_sort_onesweep_iterationIS3_Lb1EN6thrust23THRUST_200600_302600_NS6detail15normal_iteratorINS9_10device_ptrIiEEEESE_PS5_SF_jNS0_19identity_decomposerENS1_16block_id_wrapperIjLb1EEEEE10hipError_tT1_PNSt15iterator_traitsISK_E10value_typeET2_T3_PNSL_ISQ_E10value_typeET4_T5_PSV_SW_PNS1_23onesweep_lookback_stateEbbT6_jjT7_P12ihipStream_tbENKUlT_T0_SK_SP_E_clIPiSE_SF_SF_EEDaS13_S14_SK_SP_EUlS13_E_NS1_11comp_targetILNS1_3genE4ELNS1_11target_archE910ELNS1_3gpuE8ELNS1_3repE0EEENS1_47radix_sort_onesweep_sort_config_static_selectorELNS0_4arch9wavefront6targetE0EEEvSK_.kd
    .uniform_work_group_size: 1
    .uses_dynamic_stack: false
    .vgpr_count:     0
    .vgpr_spill_count: 0
    .wavefront_size: 32
    .workgroup_processor_mode: 1
  - .args:
      - .offset:         0
        .size:           88
        .value_kind:     by_value
    .group_segment_fixed_size: 0
    .kernarg_segment_align: 8
    .kernarg_segment_size: 88
    .language:       OpenCL C
    .language_version:
      - 2
      - 0
    .max_flat_workgroup_size: 512
    .name:           _ZN7rocprim17ROCPRIM_400000_NS6detail17trampoline_kernelINS0_14default_configENS1_35radix_sort_onesweep_config_selectorIiNS0_10empty_typeEEEZZNS1_29radix_sort_onesweep_iterationIS3_Lb1EN6thrust23THRUST_200600_302600_NS6detail15normal_iteratorINS9_10device_ptrIiEEEESE_PS5_SF_jNS0_19identity_decomposerENS1_16block_id_wrapperIjLb1EEEEE10hipError_tT1_PNSt15iterator_traitsISK_E10value_typeET2_T3_PNSL_ISQ_E10value_typeET4_T5_PSV_SW_PNS1_23onesweep_lookback_stateEbbT6_jjT7_P12ihipStream_tbENKUlT_T0_SK_SP_E_clIPiSE_SF_SF_EEDaS13_S14_SK_SP_EUlS13_E_NS1_11comp_targetILNS1_3genE3ELNS1_11target_archE908ELNS1_3gpuE7ELNS1_3repE0EEENS1_47radix_sort_onesweep_sort_config_static_selectorELNS0_4arch9wavefront6targetE0EEEvSK_
    .private_segment_fixed_size: 0
    .sgpr_count:     0
    .sgpr_spill_count: 0
    .symbol:         _ZN7rocprim17ROCPRIM_400000_NS6detail17trampoline_kernelINS0_14default_configENS1_35radix_sort_onesweep_config_selectorIiNS0_10empty_typeEEEZZNS1_29radix_sort_onesweep_iterationIS3_Lb1EN6thrust23THRUST_200600_302600_NS6detail15normal_iteratorINS9_10device_ptrIiEEEESE_PS5_SF_jNS0_19identity_decomposerENS1_16block_id_wrapperIjLb1EEEEE10hipError_tT1_PNSt15iterator_traitsISK_E10value_typeET2_T3_PNSL_ISQ_E10value_typeET4_T5_PSV_SW_PNS1_23onesweep_lookback_stateEbbT6_jjT7_P12ihipStream_tbENKUlT_T0_SK_SP_E_clIPiSE_SF_SF_EEDaS13_S14_SK_SP_EUlS13_E_NS1_11comp_targetILNS1_3genE3ELNS1_11target_archE908ELNS1_3gpuE7ELNS1_3repE0EEENS1_47radix_sort_onesweep_sort_config_static_selectorELNS0_4arch9wavefront6targetE0EEEvSK_.kd
    .uniform_work_group_size: 1
    .uses_dynamic_stack: false
    .vgpr_count:     0
    .vgpr_spill_count: 0
    .wavefront_size: 32
    .workgroup_processor_mode: 1
  - .args:
      - .offset:         0
        .size:           88
        .value_kind:     by_value
    .group_segment_fixed_size: 0
    .kernarg_segment_align: 8
    .kernarg_segment_size: 88
    .language:       OpenCL C
    .language_version:
      - 2
      - 0
    .max_flat_workgroup_size: 1024
    .name:           _ZN7rocprim17ROCPRIM_400000_NS6detail17trampoline_kernelINS0_14default_configENS1_35radix_sort_onesweep_config_selectorIiNS0_10empty_typeEEEZZNS1_29radix_sort_onesweep_iterationIS3_Lb1EN6thrust23THRUST_200600_302600_NS6detail15normal_iteratorINS9_10device_ptrIiEEEESE_PS5_SF_jNS0_19identity_decomposerENS1_16block_id_wrapperIjLb1EEEEE10hipError_tT1_PNSt15iterator_traitsISK_E10value_typeET2_T3_PNSL_ISQ_E10value_typeET4_T5_PSV_SW_PNS1_23onesweep_lookback_stateEbbT6_jjT7_P12ihipStream_tbENKUlT_T0_SK_SP_E_clIPiSE_SF_SF_EEDaS13_S14_SK_SP_EUlS13_E_NS1_11comp_targetILNS1_3genE10ELNS1_11target_archE1201ELNS1_3gpuE5ELNS1_3repE0EEENS1_47radix_sort_onesweep_sort_config_static_selectorELNS0_4arch9wavefront6targetE0EEEvSK_
    .private_segment_fixed_size: 0
    .sgpr_count:     0
    .sgpr_spill_count: 0
    .symbol:         _ZN7rocprim17ROCPRIM_400000_NS6detail17trampoline_kernelINS0_14default_configENS1_35radix_sort_onesweep_config_selectorIiNS0_10empty_typeEEEZZNS1_29radix_sort_onesweep_iterationIS3_Lb1EN6thrust23THRUST_200600_302600_NS6detail15normal_iteratorINS9_10device_ptrIiEEEESE_PS5_SF_jNS0_19identity_decomposerENS1_16block_id_wrapperIjLb1EEEEE10hipError_tT1_PNSt15iterator_traitsISK_E10value_typeET2_T3_PNSL_ISQ_E10value_typeET4_T5_PSV_SW_PNS1_23onesweep_lookback_stateEbbT6_jjT7_P12ihipStream_tbENKUlT_T0_SK_SP_E_clIPiSE_SF_SF_EEDaS13_S14_SK_SP_EUlS13_E_NS1_11comp_targetILNS1_3genE10ELNS1_11target_archE1201ELNS1_3gpuE5ELNS1_3repE0EEENS1_47radix_sort_onesweep_sort_config_static_selectorELNS0_4arch9wavefront6targetE0EEEvSK_.kd
    .uniform_work_group_size: 1
    .uses_dynamic_stack: false
    .vgpr_count:     0
    .vgpr_spill_count: 0
    .wavefront_size: 32
    .workgroup_processor_mode: 1
  - .args:
      - .offset:         0
        .size:           88
        .value_kind:     by_value
    .group_segment_fixed_size: 0
    .kernarg_segment_align: 8
    .kernarg_segment_size: 88
    .language:       OpenCL C
    .language_version:
      - 2
      - 0
    .max_flat_workgroup_size: 1024
    .name:           _ZN7rocprim17ROCPRIM_400000_NS6detail17trampoline_kernelINS0_14default_configENS1_35radix_sort_onesweep_config_selectorIiNS0_10empty_typeEEEZZNS1_29radix_sort_onesweep_iterationIS3_Lb1EN6thrust23THRUST_200600_302600_NS6detail15normal_iteratorINS9_10device_ptrIiEEEESE_PS5_SF_jNS0_19identity_decomposerENS1_16block_id_wrapperIjLb1EEEEE10hipError_tT1_PNSt15iterator_traitsISK_E10value_typeET2_T3_PNSL_ISQ_E10value_typeET4_T5_PSV_SW_PNS1_23onesweep_lookback_stateEbbT6_jjT7_P12ihipStream_tbENKUlT_T0_SK_SP_E_clIPiSE_SF_SF_EEDaS13_S14_SK_SP_EUlS13_E_NS1_11comp_targetILNS1_3genE9ELNS1_11target_archE1100ELNS1_3gpuE3ELNS1_3repE0EEENS1_47radix_sort_onesweep_sort_config_static_selectorELNS0_4arch9wavefront6targetE0EEEvSK_
    .private_segment_fixed_size: 0
    .sgpr_count:     0
    .sgpr_spill_count: 0
    .symbol:         _ZN7rocprim17ROCPRIM_400000_NS6detail17trampoline_kernelINS0_14default_configENS1_35radix_sort_onesweep_config_selectorIiNS0_10empty_typeEEEZZNS1_29radix_sort_onesweep_iterationIS3_Lb1EN6thrust23THRUST_200600_302600_NS6detail15normal_iteratorINS9_10device_ptrIiEEEESE_PS5_SF_jNS0_19identity_decomposerENS1_16block_id_wrapperIjLb1EEEEE10hipError_tT1_PNSt15iterator_traitsISK_E10value_typeET2_T3_PNSL_ISQ_E10value_typeET4_T5_PSV_SW_PNS1_23onesweep_lookback_stateEbbT6_jjT7_P12ihipStream_tbENKUlT_T0_SK_SP_E_clIPiSE_SF_SF_EEDaS13_S14_SK_SP_EUlS13_E_NS1_11comp_targetILNS1_3genE9ELNS1_11target_archE1100ELNS1_3gpuE3ELNS1_3repE0EEENS1_47radix_sort_onesweep_sort_config_static_selectorELNS0_4arch9wavefront6targetE0EEEvSK_.kd
    .uniform_work_group_size: 1
    .uses_dynamic_stack: false
    .vgpr_count:     0
    .vgpr_spill_count: 0
    .wavefront_size: 32
    .workgroup_processor_mode: 1
  - .args:
      - .offset:         0
        .size:           88
        .value_kind:     by_value
      - .offset:         88
        .size:           4
        .value_kind:     hidden_block_count_x
      - .offset:         92
        .size:           4
        .value_kind:     hidden_block_count_y
      - .offset:         96
        .size:           4
        .value_kind:     hidden_block_count_z
      - .offset:         100
        .size:           2
        .value_kind:     hidden_group_size_x
      - .offset:         102
        .size:           2
        .value_kind:     hidden_group_size_y
      - .offset:         104
        .size:           2
        .value_kind:     hidden_group_size_z
      - .offset:         106
        .size:           2
        .value_kind:     hidden_remainder_x
      - .offset:         108
        .size:           2
        .value_kind:     hidden_remainder_y
      - .offset:         110
        .size:           2
        .value_kind:     hidden_remainder_z
      - .offset:         128
        .size:           8
        .value_kind:     hidden_global_offset_x
      - .offset:         136
        .size:           8
        .value_kind:     hidden_global_offset_y
      - .offset:         144
        .size:           8
        .value_kind:     hidden_global_offset_z
      - .offset:         152
        .size:           2
        .value_kind:     hidden_grid_dims
    .group_segment_fixed_size: 37000
    .kernarg_segment_align: 8
    .kernarg_segment_size: 344
    .language:       OpenCL C
    .language_version:
      - 2
      - 0
    .max_flat_workgroup_size: 1024
    .name:           _ZN7rocprim17ROCPRIM_400000_NS6detail17trampoline_kernelINS0_14default_configENS1_35radix_sort_onesweep_config_selectorIiNS0_10empty_typeEEEZZNS1_29radix_sort_onesweep_iterationIS3_Lb1EN6thrust23THRUST_200600_302600_NS6detail15normal_iteratorINS9_10device_ptrIiEEEESE_PS5_SF_jNS0_19identity_decomposerENS1_16block_id_wrapperIjLb1EEEEE10hipError_tT1_PNSt15iterator_traitsISK_E10value_typeET2_T3_PNSL_ISQ_E10value_typeET4_T5_PSV_SW_PNS1_23onesweep_lookback_stateEbbT6_jjT7_P12ihipStream_tbENKUlT_T0_SK_SP_E_clIPiSE_SF_SF_EEDaS13_S14_SK_SP_EUlS13_E_NS1_11comp_targetILNS1_3genE8ELNS1_11target_archE1030ELNS1_3gpuE2ELNS1_3repE0EEENS1_47radix_sort_onesweep_sort_config_static_selectorELNS0_4arch9wavefront6targetE0EEEvSK_
    .private_segment_fixed_size: 0
    .sgpr_count:     29
    .sgpr_spill_count: 0
    .symbol:         _ZN7rocprim17ROCPRIM_400000_NS6detail17trampoline_kernelINS0_14default_configENS1_35radix_sort_onesweep_config_selectorIiNS0_10empty_typeEEEZZNS1_29radix_sort_onesweep_iterationIS3_Lb1EN6thrust23THRUST_200600_302600_NS6detail15normal_iteratorINS9_10device_ptrIiEEEESE_PS5_SF_jNS0_19identity_decomposerENS1_16block_id_wrapperIjLb1EEEEE10hipError_tT1_PNSt15iterator_traitsISK_E10value_typeET2_T3_PNSL_ISQ_E10value_typeET4_T5_PSV_SW_PNS1_23onesweep_lookback_stateEbbT6_jjT7_P12ihipStream_tbENKUlT_T0_SK_SP_E_clIPiSE_SF_SF_EEDaS13_S14_SK_SP_EUlS13_E_NS1_11comp_targetILNS1_3genE8ELNS1_11target_archE1030ELNS1_3gpuE2ELNS1_3repE0EEENS1_47radix_sort_onesweep_sort_config_static_selectorELNS0_4arch9wavefront6targetE0EEEvSK_.kd
    .uniform_work_group_size: 1
    .uses_dynamic_stack: false
    .vgpr_count:     34
    .vgpr_spill_count: 0
    .wavefront_size: 32
    .workgroup_processor_mode: 1
  - .args:
      - .offset:         0
        .size:           88
        .value_kind:     by_value
    .group_segment_fixed_size: 0
    .kernarg_segment_align: 8
    .kernarg_segment_size: 88
    .language:       OpenCL C
    .language_version:
      - 2
      - 0
    .max_flat_workgroup_size: 512
    .name:           _ZN7rocprim17ROCPRIM_400000_NS6detail17trampoline_kernelINS0_14default_configENS1_35radix_sort_onesweep_config_selectorIiNS0_10empty_typeEEEZZNS1_29radix_sort_onesweep_iterationIS3_Lb1EN6thrust23THRUST_200600_302600_NS6detail15normal_iteratorINS9_10device_ptrIiEEEESE_PS5_SF_jNS0_19identity_decomposerENS1_16block_id_wrapperIjLb0EEEEE10hipError_tT1_PNSt15iterator_traitsISK_E10value_typeET2_T3_PNSL_ISQ_E10value_typeET4_T5_PSV_SW_PNS1_23onesweep_lookback_stateEbbT6_jjT7_P12ihipStream_tbENKUlT_T0_SK_SP_E_clISE_SE_SF_SF_EEDaS13_S14_SK_SP_EUlS13_E_NS1_11comp_targetILNS1_3genE0ELNS1_11target_archE4294967295ELNS1_3gpuE0ELNS1_3repE0EEENS1_47radix_sort_onesweep_sort_config_static_selectorELNS0_4arch9wavefront6targetE0EEEvSK_
    .private_segment_fixed_size: 0
    .sgpr_count:     0
    .sgpr_spill_count: 0
    .symbol:         _ZN7rocprim17ROCPRIM_400000_NS6detail17trampoline_kernelINS0_14default_configENS1_35radix_sort_onesweep_config_selectorIiNS0_10empty_typeEEEZZNS1_29radix_sort_onesweep_iterationIS3_Lb1EN6thrust23THRUST_200600_302600_NS6detail15normal_iteratorINS9_10device_ptrIiEEEESE_PS5_SF_jNS0_19identity_decomposerENS1_16block_id_wrapperIjLb0EEEEE10hipError_tT1_PNSt15iterator_traitsISK_E10value_typeET2_T3_PNSL_ISQ_E10value_typeET4_T5_PSV_SW_PNS1_23onesweep_lookback_stateEbbT6_jjT7_P12ihipStream_tbENKUlT_T0_SK_SP_E_clISE_SE_SF_SF_EEDaS13_S14_SK_SP_EUlS13_E_NS1_11comp_targetILNS1_3genE0ELNS1_11target_archE4294967295ELNS1_3gpuE0ELNS1_3repE0EEENS1_47radix_sort_onesweep_sort_config_static_selectorELNS0_4arch9wavefront6targetE0EEEvSK_.kd
    .uniform_work_group_size: 1
    .uses_dynamic_stack: false
    .vgpr_count:     0
    .vgpr_spill_count: 0
    .wavefront_size: 32
    .workgroup_processor_mode: 1
  - .args:
      - .offset:         0
        .size:           88
        .value_kind:     by_value
    .group_segment_fixed_size: 0
    .kernarg_segment_align: 8
    .kernarg_segment_size: 88
    .language:       OpenCL C
    .language_version:
      - 2
      - 0
    .max_flat_workgroup_size: 1024
    .name:           _ZN7rocprim17ROCPRIM_400000_NS6detail17trampoline_kernelINS0_14default_configENS1_35radix_sort_onesweep_config_selectorIiNS0_10empty_typeEEEZZNS1_29radix_sort_onesweep_iterationIS3_Lb1EN6thrust23THRUST_200600_302600_NS6detail15normal_iteratorINS9_10device_ptrIiEEEESE_PS5_SF_jNS0_19identity_decomposerENS1_16block_id_wrapperIjLb0EEEEE10hipError_tT1_PNSt15iterator_traitsISK_E10value_typeET2_T3_PNSL_ISQ_E10value_typeET4_T5_PSV_SW_PNS1_23onesweep_lookback_stateEbbT6_jjT7_P12ihipStream_tbENKUlT_T0_SK_SP_E_clISE_SE_SF_SF_EEDaS13_S14_SK_SP_EUlS13_E_NS1_11comp_targetILNS1_3genE6ELNS1_11target_archE950ELNS1_3gpuE13ELNS1_3repE0EEENS1_47radix_sort_onesweep_sort_config_static_selectorELNS0_4arch9wavefront6targetE0EEEvSK_
    .private_segment_fixed_size: 0
    .sgpr_count:     0
    .sgpr_spill_count: 0
    .symbol:         _ZN7rocprim17ROCPRIM_400000_NS6detail17trampoline_kernelINS0_14default_configENS1_35radix_sort_onesweep_config_selectorIiNS0_10empty_typeEEEZZNS1_29radix_sort_onesweep_iterationIS3_Lb1EN6thrust23THRUST_200600_302600_NS6detail15normal_iteratorINS9_10device_ptrIiEEEESE_PS5_SF_jNS0_19identity_decomposerENS1_16block_id_wrapperIjLb0EEEEE10hipError_tT1_PNSt15iterator_traitsISK_E10value_typeET2_T3_PNSL_ISQ_E10value_typeET4_T5_PSV_SW_PNS1_23onesweep_lookback_stateEbbT6_jjT7_P12ihipStream_tbENKUlT_T0_SK_SP_E_clISE_SE_SF_SF_EEDaS13_S14_SK_SP_EUlS13_E_NS1_11comp_targetILNS1_3genE6ELNS1_11target_archE950ELNS1_3gpuE13ELNS1_3repE0EEENS1_47radix_sort_onesweep_sort_config_static_selectorELNS0_4arch9wavefront6targetE0EEEvSK_.kd
    .uniform_work_group_size: 1
    .uses_dynamic_stack: false
    .vgpr_count:     0
    .vgpr_spill_count: 0
    .wavefront_size: 32
    .workgroup_processor_mode: 1
  - .args:
      - .offset:         0
        .size:           88
        .value_kind:     by_value
    .group_segment_fixed_size: 0
    .kernarg_segment_align: 8
    .kernarg_segment_size: 88
    .language:       OpenCL C
    .language_version:
      - 2
      - 0
    .max_flat_workgroup_size: 1024
    .name:           _ZN7rocprim17ROCPRIM_400000_NS6detail17trampoline_kernelINS0_14default_configENS1_35radix_sort_onesweep_config_selectorIiNS0_10empty_typeEEEZZNS1_29radix_sort_onesweep_iterationIS3_Lb1EN6thrust23THRUST_200600_302600_NS6detail15normal_iteratorINS9_10device_ptrIiEEEESE_PS5_SF_jNS0_19identity_decomposerENS1_16block_id_wrapperIjLb0EEEEE10hipError_tT1_PNSt15iterator_traitsISK_E10value_typeET2_T3_PNSL_ISQ_E10value_typeET4_T5_PSV_SW_PNS1_23onesweep_lookback_stateEbbT6_jjT7_P12ihipStream_tbENKUlT_T0_SK_SP_E_clISE_SE_SF_SF_EEDaS13_S14_SK_SP_EUlS13_E_NS1_11comp_targetILNS1_3genE5ELNS1_11target_archE942ELNS1_3gpuE9ELNS1_3repE0EEENS1_47radix_sort_onesweep_sort_config_static_selectorELNS0_4arch9wavefront6targetE0EEEvSK_
    .private_segment_fixed_size: 0
    .sgpr_count:     0
    .sgpr_spill_count: 0
    .symbol:         _ZN7rocprim17ROCPRIM_400000_NS6detail17trampoline_kernelINS0_14default_configENS1_35radix_sort_onesweep_config_selectorIiNS0_10empty_typeEEEZZNS1_29radix_sort_onesweep_iterationIS3_Lb1EN6thrust23THRUST_200600_302600_NS6detail15normal_iteratorINS9_10device_ptrIiEEEESE_PS5_SF_jNS0_19identity_decomposerENS1_16block_id_wrapperIjLb0EEEEE10hipError_tT1_PNSt15iterator_traitsISK_E10value_typeET2_T3_PNSL_ISQ_E10value_typeET4_T5_PSV_SW_PNS1_23onesweep_lookback_stateEbbT6_jjT7_P12ihipStream_tbENKUlT_T0_SK_SP_E_clISE_SE_SF_SF_EEDaS13_S14_SK_SP_EUlS13_E_NS1_11comp_targetILNS1_3genE5ELNS1_11target_archE942ELNS1_3gpuE9ELNS1_3repE0EEENS1_47radix_sort_onesweep_sort_config_static_selectorELNS0_4arch9wavefront6targetE0EEEvSK_.kd
    .uniform_work_group_size: 1
    .uses_dynamic_stack: false
    .vgpr_count:     0
    .vgpr_spill_count: 0
    .wavefront_size: 32
    .workgroup_processor_mode: 1
  - .args:
      - .offset:         0
        .size:           88
        .value_kind:     by_value
    .group_segment_fixed_size: 0
    .kernarg_segment_align: 8
    .kernarg_segment_size: 88
    .language:       OpenCL C
    .language_version:
      - 2
      - 0
    .max_flat_workgroup_size: 1024
    .name:           _ZN7rocprim17ROCPRIM_400000_NS6detail17trampoline_kernelINS0_14default_configENS1_35radix_sort_onesweep_config_selectorIiNS0_10empty_typeEEEZZNS1_29radix_sort_onesweep_iterationIS3_Lb1EN6thrust23THRUST_200600_302600_NS6detail15normal_iteratorINS9_10device_ptrIiEEEESE_PS5_SF_jNS0_19identity_decomposerENS1_16block_id_wrapperIjLb0EEEEE10hipError_tT1_PNSt15iterator_traitsISK_E10value_typeET2_T3_PNSL_ISQ_E10value_typeET4_T5_PSV_SW_PNS1_23onesweep_lookback_stateEbbT6_jjT7_P12ihipStream_tbENKUlT_T0_SK_SP_E_clISE_SE_SF_SF_EEDaS13_S14_SK_SP_EUlS13_E_NS1_11comp_targetILNS1_3genE2ELNS1_11target_archE906ELNS1_3gpuE6ELNS1_3repE0EEENS1_47radix_sort_onesweep_sort_config_static_selectorELNS0_4arch9wavefront6targetE0EEEvSK_
    .private_segment_fixed_size: 0
    .sgpr_count:     0
    .sgpr_spill_count: 0
    .symbol:         _ZN7rocprim17ROCPRIM_400000_NS6detail17trampoline_kernelINS0_14default_configENS1_35radix_sort_onesweep_config_selectorIiNS0_10empty_typeEEEZZNS1_29radix_sort_onesweep_iterationIS3_Lb1EN6thrust23THRUST_200600_302600_NS6detail15normal_iteratorINS9_10device_ptrIiEEEESE_PS5_SF_jNS0_19identity_decomposerENS1_16block_id_wrapperIjLb0EEEEE10hipError_tT1_PNSt15iterator_traitsISK_E10value_typeET2_T3_PNSL_ISQ_E10value_typeET4_T5_PSV_SW_PNS1_23onesweep_lookback_stateEbbT6_jjT7_P12ihipStream_tbENKUlT_T0_SK_SP_E_clISE_SE_SF_SF_EEDaS13_S14_SK_SP_EUlS13_E_NS1_11comp_targetILNS1_3genE2ELNS1_11target_archE906ELNS1_3gpuE6ELNS1_3repE0EEENS1_47radix_sort_onesweep_sort_config_static_selectorELNS0_4arch9wavefront6targetE0EEEvSK_.kd
    .uniform_work_group_size: 1
    .uses_dynamic_stack: false
    .vgpr_count:     0
    .vgpr_spill_count: 0
    .wavefront_size: 32
    .workgroup_processor_mode: 1
  - .args:
      - .offset:         0
        .size:           88
        .value_kind:     by_value
    .group_segment_fixed_size: 0
    .kernarg_segment_align: 8
    .kernarg_segment_size: 88
    .language:       OpenCL C
    .language_version:
      - 2
      - 0
    .max_flat_workgroup_size: 1024
    .name:           _ZN7rocprim17ROCPRIM_400000_NS6detail17trampoline_kernelINS0_14default_configENS1_35radix_sort_onesweep_config_selectorIiNS0_10empty_typeEEEZZNS1_29radix_sort_onesweep_iterationIS3_Lb1EN6thrust23THRUST_200600_302600_NS6detail15normal_iteratorINS9_10device_ptrIiEEEESE_PS5_SF_jNS0_19identity_decomposerENS1_16block_id_wrapperIjLb0EEEEE10hipError_tT1_PNSt15iterator_traitsISK_E10value_typeET2_T3_PNSL_ISQ_E10value_typeET4_T5_PSV_SW_PNS1_23onesweep_lookback_stateEbbT6_jjT7_P12ihipStream_tbENKUlT_T0_SK_SP_E_clISE_SE_SF_SF_EEDaS13_S14_SK_SP_EUlS13_E_NS1_11comp_targetILNS1_3genE4ELNS1_11target_archE910ELNS1_3gpuE8ELNS1_3repE0EEENS1_47radix_sort_onesweep_sort_config_static_selectorELNS0_4arch9wavefront6targetE0EEEvSK_
    .private_segment_fixed_size: 0
    .sgpr_count:     0
    .sgpr_spill_count: 0
    .symbol:         _ZN7rocprim17ROCPRIM_400000_NS6detail17trampoline_kernelINS0_14default_configENS1_35radix_sort_onesweep_config_selectorIiNS0_10empty_typeEEEZZNS1_29radix_sort_onesweep_iterationIS3_Lb1EN6thrust23THRUST_200600_302600_NS6detail15normal_iteratorINS9_10device_ptrIiEEEESE_PS5_SF_jNS0_19identity_decomposerENS1_16block_id_wrapperIjLb0EEEEE10hipError_tT1_PNSt15iterator_traitsISK_E10value_typeET2_T3_PNSL_ISQ_E10value_typeET4_T5_PSV_SW_PNS1_23onesweep_lookback_stateEbbT6_jjT7_P12ihipStream_tbENKUlT_T0_SK_SP_E_clISE_SE_SF_SF_EEDaS13_S14_SK_SP_EUlS13_E_NS1_11comp_targetILNS1_3genE4ELNS1_11target_archE910ELNS1_3gpuE8ELNS1_3repE0EEENS1_47radix_sort_onesweep_sort_config_static_selectorELNS0_4arch9wavefront6targetE0EEEvSK_.kd
    .uniform_work_group_size: 1
    .uses_dynamic_stack: false
    .vgpr_count:     0
    .vgpr_spill_count: 0
    .wavefront_size: 32
    .workgroup_processor_mode: 1
  - .args:
      - .offset:         0
        .size:           88
        .value_kind:     by_value
    .group_segment_fixed_size: 0
    .kernarg_segment_align: 8
    .kernarg_segment_size: 88
    .language:       OpenCL C
    .language_version:
      - 2
      - 0
    .max_flat_workgroup_size: 512
    .name:           _ZN7rocprim17ROCPRIM_400000_NS6detail17trampoline_kernelINS0_14default_configENS1_35radix_sort_onesweep_config_selectorIiNS0_10empty_typeEEEZZNS1_29radix_sort_onesweep_iterationIS3_Lb1EN6thrust23THRUST_200600_302600_NS6detail15normal_iteratorINS9_10device_ptrIiEEEESE_PS5_SF_jNS0_19identity_decomposerENS1_16block_id_wrapperIjLb0EEEEE10hipError_tT1_PNSt15iterator_traitsISK_E10value_typeET2_T3_PNSL_ISQ_E10value_typeET4_T5_PSV_SW_PNS1_23onesweep_lookback_stateEbbT6_jjT7_P12ihipStream_tbENKUlT_T0_SK_SP_E_clISE_SE_SF_SF_EEDaS13_S14_SK_SP_EUlS13_E_NS1_11comp_targetILNS1_3genE3ELNS1_11target_archE908ELNS1_3gpuE7ELNS1_3repE0EEENS1_47radix_sort_onesweep_sort_config_static_selectorELNS0_4arch9wavefront6targetE0EEEvSK_
    .private_segment_fixed_size: 0
    .sgpr_count:     0
    .sgpr_spill_count: 0
    .symbol:         _ZN7rocprim17ROCPRIM_400000_NS6detail17trampoline_kernelINS0_14default_configENS1_35radix_sort_onesweep_config_selectorIiNS0_10empty_typeEEEZZNS1_29radix_sort_onesweep_iterationIS3_Lb1EN6thrust23THRUST_200600_302600_NS6detail15normal_iteratorINS9_10device_ptrIiEEEESE_PS5_SF_jNS0_19identity_decomposerENS1_16block_id_wrapperIjLb0EEEEE10hipError_tT1_PNSt15iterator_traitsISK_E10value_typeET2_T3_PNSL_ISQ_E10value_typeET4_T5_PSV_SW_PNS1_23onesweep_lookback_stateEbbT6_jjT7_P12ihipStream_tbENKUlT_T0_SK_SP_E_clISE_SE_SF_SF_EEDaS13_S14_SK_SP_EUlS13_E_NS1_11comp_targetILNS1_3genE3ELNS1_11target_archE908ELNS1_3gpuE7ELNS1_3repE0EEENS1_47radix_sort_onesweep_sort_config_static_selectorELNS0_4arch9wavefront6targetE0EEEvSK_.kd
    .uniform_work_group_size: 1
    .uses_dynamic_stack: false
    .vgpr_count:     0
    .vgpr_spill_count: 0
    .wavefront_size: 32
    .workgroup_processor_mode: 1
  - .args:
      - .offset:         0
        .size:           88
        .value_kind:     by_value
    .group_segment_fixed_size: 0
    .kernarg_segment_align: 8
    .kernarg_segment_size: 88
    .language:       OpenCL C
    .language_version:
      - 2
      - 0
    .max_flat_workgroup_size: 1024
    .name:           _ZN7rocprim17ROCPRIM_400000_NS6detail17trampoline_kernelINS0_14default_configENS1_35radix_sort_onesweep_config_selectorIiNS0_10empty_typeEEEZZNS1_29radix_sort_onesweep_iterationIS3_Lb1EN6thrust23THRUST_200600_302600_NS6detail15normal_iteratorINS9_10device_ptrIiEEEESE_PS5_SF_jNS0_19identity_decomposerENS1_16block_id_wrapperIjLb0EEEEE10hipError_tT1_PNSt15iterator_traitsISK_E10value_typeET2_T3_PNSL_ISQ_E10value_typeET4_T5_PSV_SW_PNS1_23onesweep_lookback_stateEbbT6_jjT7_P12ihipStream_tbENKUlT_T0_SK_SP_E_clISE_SE_SF_SF_EEDaS13_S14_SK_SP_EUlS13_E_NS1_11comp_targetILNS1_3genE10ELNS1_11target_archE1201ELNS1_3gpuE5ELNS1_3repE0EEENS1_47radix_sort_onesweep_sort_config_static_selectorELNS0_4arch9wavefront6targetE0EEEvSK_
    .private_segment_fixed_size: 0
    .sgpr_count:     0
    .sgpr_spill_count: 0
    .symbol:         _ZN7rocprim17ROCPRIM_400000_NS6detail17trampoline_kernelINS0_14default_configENS1_35radix_sort_onesweep_config_selectorIiNS0_10empty_typeEEEZZNS1_29radix_sort_onesweep_iterationIS3_Lb1EN6thrust23THRUST_200600_302600_NS6detail15normal_iteratorINS9_10device_ptrIiEEEESE_PS5_SF_jNS0_19identity_decomposerENS1_16block_id_wrapperIjLb0EEEEE10hipError_tT1_PNSt15iterator_traitsISK_E10value_typeET2_T3_PNSL_ISQ_E10value_typeET4_T5_PSV_SW_PNS1_23onesweep_lookback_stateEbbT6_jjT7_P12ihipStream_tbENKUlT_T0_SK_SP_E_clISE_SE_SF_SF_EEDaS13_S14_SK_SP_EUlS13_E_NS1_11comp_targetILNS1_3genE10ELNS1_11target_archE1201ELNS1_3gpuE5ELNS1_3repE0EEENS1_47radix_sort_onesweep_sort_config_static_selectorELNS0_4arch9wavefront6targetE0EEEvSK_.kd
    .uniform_work_group_size: 1
    .uses_dynamic_stack: false
    .vgpr_count:     0
    .vgpr_spill_count: 0
    .wavefront_size: 32
    .workgroup_processor_mode: 1
  - .args:
      - .offset:         0
        .size:           88
        .value_kind:     by_value
    .group_segment_fixed_size: 0
    .kernarg_segment_align: 8
    .kernarg_segment_size: 88
    .language:       OpenCL C
    .language_version:
      - 2
      - 0
    .max_flat_workgroup_size: 1024
    .name:           _ZN7rocprim17ROCPRIM_400000_NS6detail17trampoline_kernelINS0_14default_configENS1_35radix_sort_onesweep_config_selectorIiNS0_10empty_typeEEEZZNS1_29radix_sort_onesweep_iterationIS3_Lb1EN6thrust23THRUST_200600_302600_NS6detail15normal_iteratorINS9_10device_ptrIiEEEESE_PS5_SF_jNS0_19identity_decomposerENS1_16block_id_wrapperIjLb0EEEEE10hipError_tT1_PNSt15iterator_traitsISK_E10value_typeET2_T3_PNSL_ISQ_E10value_typeET4_T5_PSV_SW_PNS1_23onesweep_lookback_stateEbbT6_jjT7_P12ihipStream_tbENKUlT_T0_SK_SP_E_clISE_SE_SF_SF_EEDaS13_S14_SK_SP_EUlS13_E_NS1_11comp_targetILNS1_3genE9ELNS1_11target_archE1100ELNS1_3gpuE3ELNS1_3repE0EEENS1_47radix_sort_onesweep_sort_config_static_selectorELNS0_4arch9wavefront6targetE0EEEvSK_
    .private_segment_fixed_size: 0
    .sgpr_count:     0
    .sgpr_spill_count: 0
    .symbol:         _ZN7rocprim17ROCPRIM_400000_NS6detail17trampoline_kernelINS0_14default_configENS1_35radix_sort_onesweep_config_selectorIiNS0_10empty_typeEEEZZNS1_29radix_sort_onesweep_iterationIS3_Lb1EN6thrust23THRUST_200600_302600_NS6detail15normal_iteratorINS9_10device_ptrIiEEEESE_PS5_SF_jNS0_19identity_decomposerENS1_16block_id_wrapperIjLb0EEEEE10hipError_tT1_PNSt15iterator_traitsISK_E10value_typeET2_T3_PNSL_ISQ_E10value_typeET4_T5_PSV_SW_PNS1_23onesweep_lookback_stateEbbT6_jjT7_P12ihipStream_tbENKUlT_T0_SK_SP_E_clISE_SE_SF_SF_EEDaS13_S14_SK_SP_EUlS13_E_NS1_11comp_targetILNS1_3genE9ELNS1_11target_archE1100ELNS1_3gpuE3ELNS1_3repE0EEENS1_47radix_sort_onesweep_sort_config_static_selectorELNS0_4arch9wavefront6targetE0EEEvSK_.kd
    .uniform_work_group_size: 1
    .uses_dynamic_stack: false
    .vgpr_count:     0
    .vgpr_spill_count: 0
    .wavefront_size: 32
    .workgroup_processor_mode: 1
  - .args:
      - .offset:         0
        .size:           88
        .value_kind:     by_value
      - .offset:         88
        .size:           4
        .value_kind:     hidden_block_count_x
      - .offset:         92
        .size:           4
        .value_kind:     hidden_block_count_y
      - .offset:         96
        .size:           4
        .value_kind:     hidden_block_count_z
      - .offset:         100
        .size:           2
        .value_kind:     hidden_group_size_x
      - .offset:         102
        .size:           2
        .value_kind:     hidden_group_size_y
      - .offset:         104
        .size:           2
        .value_kind:     hidden_group_size_z
      - .offset:         106
        .size:           2
        .value_kind:     hidden_remainder_x
      - .offset:         108
        .size:           2
        .value_kind:     hidden_remainder_y
      - .offset:         110
        .size:           2
        .value_kind:     hidden_remainder_z
      - .offset:         128
        .size:           8
        .value_kind:     hidden_global_offset_x
      - .offset:         136
        .size:           8
        .value_kind:     hidden_global_offset_y
      - .offset:         144
        .size:           8
        .value_kind:     hidden_global_offset_z
      - .offset:         152
        .size:           2
        .value_kind:     hidden_grid_dims
    .group_segment_fixed_size: 37000
    .kernarg_segment_align: 8
    .kernarg_segment_size: 344
    .language:       OpenCL C
    .language_version:
      - 2
      - 0
    .max_flat_workgroup_size: 1024
    .name:           _ZN7rocprim17ROCPRIM_400000_NS6detail17trampoline_kernelINS0_14default_configENS1_35radix_sort_onesweep_config_selectorIiNS0_10empty_typeEEEZZNS1_29radix_sort_onesweep_iterationIS3_Lb1EN6thrust23THRUST_200600_302600_NS6detail15normal_iteratorINS9_10device_ptrIiEEEESE_PS5_SF_jNS0_19identity_decomposerENS1_16block_id_wrapperIjLb0EEEEE10hipError_tT1_PNSt15iterator_traitsISK_E10value_typeET2_T3_PNSL_ISQ_E10value_typeET4_T5_PSV_SW_PNS1_23onesweep_lookback_stateEbbT6_jjT7_P12ihipStream_tbENKUlT_T0_SK_SP_E_clISE_SE_SF_SF_EEDaS13_S14_SK_SP_EUlS13_E_NS1_11comp_targetILNS1_3genE8ELNS1_11target_archE1030ELNS1_3gpuE2ELNS1_3repE0EEENS1_47radix_sort_onesweep_sort_config_static_selectorELNS0_4arch9wavefront6targetE0EEEvSK_
    .private_segment_fixed_size: 0
    .sgpr_count:     27
    .sgpr_spill_count: 0
    .symbol:         _ZN7rocprim17ROCPRIM_400000_NS6detail17trampoline_kernelINS0_14default_configENS1_35radix_sort_onesweep_config_selectorIiNS0_10empty_typeEEEZZNS1_29radix_sort_onesweep_iterationIS3_Lb1EN6thrust23THRUST_200600_302600_NS6detail15normal_iteratorINS9_10device_ptrIiEEEESE_PS5_SF_jNS0_19identity_decomposerENS1_16block_id_wrapperIjLb0EEEEE10hipError_tT1_PNSt15iterator_traitsISK_E10value_typeET2_T3_PNSL_ISQ_E10value_typeET4_T5_PSV_SW_PNS1_23onesweep_lookback_stateEbbT6_jjT7_P12ihipStream_tbENKUlT_T0_SK_SP_E_clISE_SE_SF_SF_EEDaS13_S14_SK_SP_EUlS13_E_NS1_11comp_targetILNS1_3genE8ELNS1_11target_archE1030ELNS1_3gpuE2ELNS1_3repE0EEENS1_47radix_sort_onesweep_sort_config_static_selectorELNS0_4arch9wavefront6targetE0EEEvSK_.kd
    .uniform_work_group_size: 1
    .uses_dynamic_stack: false
    .vgpr_count:     34
    .vgpr_spill_count: 0
    .wavefront_size: 32
    .workgroup_processor_mode: 1
  - .args:
      - .offset:         0
        .size:           88
        .value_kind:     by_value
    .group_segment_fixed_size: 0
    .kernarg_segment_align: 8
    .kernarg_segment_size: 88
    .language:       OpenCL C
    .language_version:
      - 2
      - 0
    .max_flat_workgroup_size: 512
    .name:           _ZN7rocprim17ROCPRIM_400000_NS6detail17trampoline_kernelINS0_14default_configENS1_35radix_sort_onesweep_config_selectorIiNS0_10empty_typeEEEZZNS1_29radix_sort_onesweep_iterationIS3_Lb1EN6thrust23THRUST_200600_302600_NS6detail15normal_iteratorINS9_10device_ptrIiEEEESE_PS5_SF_jNS0_19identity_decomposerENS1_16block_id_wrapperIjLb0EEEEE10hipError_tT1_PNSt15iterator_traitsISK_E10value_typeET2_T3_PNSL_ISQ_E10value_typeET4_T5_PSV_SW_PNS1_23onesweep_lookback_stateEbbT6_jjT7_P12ihipStream_tbENKUlT_T0_SK_SP_E_clISE_PiSF_SF_EEDaS13_S14_SK_SP_EUlS13_E_NS1_11comp_targetILNS1_3genE0ELNS1_11target_archE4294967295ELNS1_3gpuE0ELNS1_3repE0EEENS1_47radix_sort_onesweep_sort_config_static_selectorELNS0_4arch9wavefront6targetE0EEEvSK_
    .private_segment_fixed_size: 0
    .sgpr_count:     0
    .sgpr_spill_count: 0
    .symbol:         _ZN7rocprim17ROCPRIM_400000_NS6detail17trampoline_kernelINS0_14default_configENS1_35radix_sort_onesweep_config_selectorIiNS0_10empty_typeEEEZZNS1_29radix_sort_onesweep_iterationIS3_Lb1EN6thrust23THRUST_200600_302600_NS6detail15normal_iteratorINS9_10device_ptrIiEEEESE_PS5_SF_jNS0_19identity_decomposerENS1_16block_id_wrapperIjLb0EEEEE10hipError_tT1_PNSt15iterator_traitsISK_E10value_typeET2_T3_PNSL_ISQ_E10value_typeET4_T5_PSV_SW_PNS1_23onesweep_lookback_stateEbbT6_jjT7_P12ihipStream_tbENKUlT_T0_SK_SP_E_clISE_PiSF_SF_EEDaS13_S14_SK_SP_EUlS13_E_NS1_11comp_targetILNS1_3genE0ELNS1_11target_archE4294967295ELNS1_3gpuE0ELNS1_3repE0EEENS1_47radix_sort_onesweep_sort_config_static_selectorELNS0_4arch9wavefront6targetE0EEEvSK_.kd
    .uniform_work_group_size: 1
    .uses_dynamic_stack: false
    .vgpr_count:     0
    .vgpr_spill_count: 0
    .wavefront_size: 32
    .workgroup_processor_mode: 1
  - .args:
      - .offset:         0
        .size:           88
        .value_kind:     by_value
    .group_segment_fixed_size: 0
    .kernarg_segment_align: 8
    .kernarg_segment_size: 88
    .language:       OpenCL C
    .language_version:
      - 2
      - 0
    .max_flat_workgroup_size: 1024
    .name:           _ZN7rocprim17ROCPRIM_400000_NS6detail17trampoline_kernelINS0_14default_configENS1_35radix_sort_onesweep_config_selectorIiNS0_10empty_typeEEEZZNS1_29radix_sort_onesweep_iterationIS3_Lb1EN6thrust23THRUST_200600_302600_NS6detail15normal_iteratorINS9_10device_ptrIiEEEESE_PS5_SF_jNS0_19identity_decomposerENS1_16block_id_wrapperIjLb0EEEEE10hipError_tT1_PNSt15iterator_traitsISK_E10value_typeET2_T3_PNSL_ISQ_E10value_typeET4_T5_PSV_SW_PNS1_23onesweep_lookback_stateEbbT6_jjT7_P12ihipStream_tbENKUlT_T0_SK_SP_E_clISE_PiSF_SF_EEDaS13_S14_SK_SP_EUlS13_E_NS1_11comp_targetILNS1_3genE6ELNS1_11target_archE950ELNS1_3gpuE13ELNS1_3repE0EEENS1_47radix_sort_onesweep_sort_config_static_selectorELNS0_4arch9wavefront6targetE0EEEvSK_
    .private_segment_fixed_size: 0
    .sgpr_count:     0
    .sgpr_spill_count: 0
    .symbol:         _ZN7rocprim17ROCPRIM_400000_NS6detail17trampoline_kernelINS0_14default_configENS1_35radix_sort_onesweep_config_selectorIiNS0_10empty_typeEEEZZNS1_29radix_sort_onesweep_iterationIS3_Lb1EN6thrust23THRUST_200600_302600_NS6detail15normal_iteratorINS9_10device_ptrIiEEEESE_PS5_SF_jNS0_19identity_decomposerENS1_16block_id_wrapperIjLb0EEEEE10hipError_tT1_PNSt15iterator_traitsISK_E10value_typeET2_T3_PNSL_ISQ_E10value_typeET4_T5_PSV_SW_PNS1_23onesweep_lookback_stateEbbT6_jjT7_P12ihipStream_tbENKUlT_T0_SK_SP_E_clISE_PiSF_SF_EEDaS13_S14_SK_SP_EUlS13_E_NS1_11comp_targetILNS1_3genE6ELNS1_11target_archE950ELNS1_3gpuE13ELNS1_3repE0EEENS1_47radix_sort_onesweep_sort_config_static_selectorELNS0_4arch9wavefront6targetE0EEEvSK_.kd
    .uniform_work_group_size: 1
    .uses_dynamic_stack: false
    .vgpr_count:     0
    .vgpr_spill_count: 0
    .wavefront_size: 32
    .workgroup_processor_mode: 1
  - .args:
      - .offset:         0
        .size:           88
        .value_kind:     by_value
    .group_segment_fixed_size: 0
    .kernarg_segment_align: 8
    .kernarg_segment_size: 88
    .language:       OpenCL C
    .language_version:
      - 2
      - 0
    .max_flat_workgroup_size: 1024
    .name:           _ZN7rocprim17ROCPRIM_400000_NS6detail17trampoline_kernelINS0_14default_configENS1_35radix_sort_onesweep_config_selectorIiNS0_10empty_typeEEEZZNS1_29radix_sort_onesweep_iterationIS3_Lb1EN6thrust23THRUST_200600_302600_NS6detail15normal_iteratorINS9_10device_ptrIiEEEESE_PS5_SF_jNS0_19identity_decomposerENS1_16block_id_wrapperIjLb0EEEEE10hipError_tT1_PNSt15iterator_traitsISK_E10value_typeET2_T3_PNSL_ISQ_E10value_typeET4_T5_PSV_SW_PNS1_23onesweep_lookback_stateEbbT6_jjT7_P12ihipStream_tbENKUlT_T0_SK_SP_E_clISE_PiSF_SF_EEDaS13_S14_SK_SP_EUlS13_E_NS1_11comp_targetILNS1_3genE5ELNS1_11target_archE942ELNS1_3gpuE9ELNS1_3repE0EEENS1_47radix_sort_onesweep_sort_config_static_selectorELNS0_4arch9wavefront6targetE0EEEvSK_
    .private_segment_fixed_size: 0
    .sgpr_count:     0
    .sgpr_spill_count: 0
    .symbol:         _ZN7rocprim17ROCPRIM_400000_NS6detail17trampoline_kernelINS0_14default_configENS1_35radix_sort_onesweep_config_selectorIiNS0_10empty_typeEEEZZNS1_29radix_sort_onesweep_iterationIS3_Lb1EN6thrust23THRUST_200600_302600_NS6detail15normal_iteratorINS9_10device_ptrIiEEEESE_PS5_SF_jNS0_19identity_decomposerENS1_16block_id_wrapperIjLb0EEEEE10hipError_tT1_PNSt15iterator_traitsISK_E10value_typeET2_T3_PNSL_ISQ_E10value_typeET4_T5_PSV_SW_PNS1_23onesweep_lookback_stateEbbT6_jjT7_P12ihipStream_tbENKUlT_T0_SK_SP_E_clISE_PiSF_SF_EEDaS13_S14_SK_SP_EUlS13_E_NS1_11comp_targetILNS1_3genE5ELNS1_11target_archE942ELNS1_3gpuE9ELNS1_3repE0EEENS1_47radix_sort_onesweep_sort_config_static_selectorELNS0_4arch9wavefront6targetE0EEEvSK_.kd
    .uniform_work_group_size: 1
    .uses_dynamic_stack: false
    .vgpr_count:     0
    .vgpr_spill_count: 0
    .wavefront_size: 32
    .workgroup_processor_mode: 1
  - .args:
      - .offset:         0
        .size:           88
        .value_kind:     by_value
    .group_segment_fixed_size: 0
    .kernarg_segment_align: 8
    .kernarg_segment_size: 88
    .language:       OpenCL C
    .language_version:
      - 2
      - 0
    .max_flat_workgroup_size: 1024
    .name:           _ZN7rocprim17ROCPRIM_400000_NS6detail17trampoline_kernelINS0_14default_configENS1_35radix_sort_onesweep_config_selectorIiNS0_10empty_typeEEEZZNS1_29radix_sort_onesweep_iterationIS3_Lb1EN6thrust23THRUST_200600_302600_NS6detail15normal_iteratorINS9_10device_ptrIiEEEESE_PS5_SF_jNS0_19identity_decomposerENS1_16block_id_wrapperIjLb0EEEEE10hipError_tT1_PNSt15iterator_traitsISK_E10value_typeET2_T3_PNSL_ISQ_E10value_typeET4_T5_PSV_SW_PNS1_23onesweep_lookback_stateEbbT6_jjT7_P12ihipStream_tbENKUlT_T0_SK_SP_E_clISE_PiSF_SF_EEDaS13_S14_SK_SP_EUlS13_E_NS1_11comp_targetILNS1_3genE2ELNS1_11target_archE906ELNS1_3gpuE6ELNS1_3repE0EEENS1_47radix_sort_onesweep_sort_config_static_selectorELNS0_4arch9wavefront6targetE0EEEvSK_
    .private_segment_fixed_size: 0
    .sgpr_count:     0
    .sgpr_spill_count: 0
    .symbol:         _ZN7rocprim17ROCPRIM_400000_NS6detail17trampoline_kernelINS0_14default_configENS1_35radix_sort_onesweep_config_selectorIiNS0_10empty_typeEEEZZNS1_29radix_sort_onesweep_iterationIS3_Lb1EN6thrust23THRUST_200600_302600_NS6detail15normal_iteratorINS9_10device_ptrIiEEEESE_PS5_SF_jNS0_19identity_decomposerENS1_16block_id_wrapperIjLb0EEEEE10hipError_tT1_PNSt15iterator_traitsISK_E10value_typeET2_T3_PNSL_ISQ_E10value_typeET4_T5_PSV_SW_PNS1_23onesweep_lookback_stateEbbT6_jjT7_P12ihipStream_tbENKUlT_T0_SK_SP_E_clISE_PiSF_SF_EEDaS13_S14_SK_SP_EUlS13_E_NS1_11comp_targetILNS1_3genE2ELNS1_11target_archE906ELNS1_3gpuE6ELNS1_3repE0EEENS1_47radix_sort_onesweep_sort_config_static_selectorELNS0_4arch9wavefront6targetE0EEEvSK_.kd
    .uniform_work_group_size: 1
    .uses_dynamic_stack: false
    .vgpr_count:     0
    .vgpr_spill_count: 0
    .wavefront_size: 32
    .workgroup_processor_mode: 1
  - .args:
      - .offset:         0
        .size:           88
        .value_kind:     by_value
    .group_segment_fixed_size: 0
    .kernarg_segment_align: 8
    .kernarg_segment_size: 88
    .language:       OpenCL C
    .language_version:
      - 2
      - 0
    .max_flat_workgroup_size: 1024
    .name:           _ZN7rocprim17ROCPRIM_400000_NS6detail17trampoline_kernelINS0_14default_configENS1_35radix_sort_onesweep_config_selectorIiNS0_10empty_typeEEEZZNS1_29radix_sort_onesweep_iterationIS3_Lb1EN6thrust23THRUST_200600_302600_NS6detail15normal_iteratorINS9_10device_ptrIiEEEESE_PS5_SF_jNS0_19identity_decomposerENS1_16block_id_wrapperIjLb0EEEEE10hipError_tT1_PNSt15iterator_traitsISK_E10value_typeET2_T3_PNSL_ISQ_E10value_typeET4_T5_PSV_SW_PNS1_23onesweep_lookback_stateEbbT6_jjT7_P12ihipStream_tbENKUlT_T0_SK_SP_E_clISE_PiSF_SF_EEDaS13_S14_SK_SP_EUlS13_E_NS1_11comp_targetILNS1_3genE4ELNS1_11target_archE910ELNS1_3gpuE8ELNS1_3repE0EEENS1_47radix_sort_onesweep_sort_config_static_selectorELNS0_4arch9wavefront6targetE0EEEvSK_
    .private_segment_fixed_size: 0
    .sgpr_count:     0
    .sgpr_spill_count: 0
    .symbol:         _ZN7rocprim17ROCPRIM_400000_NS6detail17trampoline_kernelINS0_14default_configENS1_35radix_sort_onesweep_config_selectorIiNS0_10empty_typeEEEZZNS1_29radix_sort_onesweep_iterationIS3_Lb1EN6thrust23THRUST_200600_302600_NS6detail15normal_iteratorINS9_10device_ptrIiEEEESE_PS5_SF_jNS0_19identity_decomposerENS1_16block_id_wrapperIjLb0EEEEE10hipError_tT1_PNSt15iterator_traitsISK_E10value_typeET2_T3_PNSL_ISQ_E10value_typeET4_T5_PSV_SW_PNS1_23onesweep_lookback_stateEbbT6_jjT7_P12ihipStream_tbENKUlT_T0_SK_SP_E_clISE_PiSF_SF_EEDaS13_S14_SK_SP_EUlS13_E_NS1_11comp_targetILNS1_3genE4ELNS1_11target_archE910ELNS1_3gpuE8ELNS1_3repE0EEENS1_47radix_sort_onesweep_sort_config_static_selectorELNS0_4arch9wavefront6targetE0EEEvSK_.kd
    .uniform_work_group_size: 1
    .uses_dynamic_stack: false
    .vgpr_count:     0
    .vgpr_spill_count: 0
    .wavefront_size: 32
    .workgroup_processor_mode: 1
  - .args:
      - .offset:         0
        .size:           88
        .value_kind:     by_value
    .group_segment_fixed_size: 0
    .kernarg_segment_align: 8
    .kernarg_segment_size: 88
    .language:       OpenCL C
    .language_version:
      - 2
      - 0
    .max_flat_workgroup_size: 512
    .name:           _ZN7rocprim17ROCPRIM_400000_NS6detail17trampoline_kernelINS0_14default_configENS1_35radix_sort_onesweep_config_selectorIiNS0_10empty_typeEEEZZNS1_29radix_sort_onesweep_iterationIS3_Lb1EN6thrust23THRUST_200600_302600_NS6detail15normal_iteratorINS9_10device_ptrIiEEEESE_PS5_SF_jNS0_19identity_decomposerENS1_16block_id_wrapperIjLb0EEEEE10hipError_tT1_PNSt15iterator_traitsISK_E10value_typeET2_T3_PNSL_ISQ_E10value_typeET4_T5_PSV_SW_PNS1_23onesweep_lookback_stateEbbT6_jjT7_P12ihipStream_tbENKUlT_T0_SK_SP_E_clISE_PiSF_SF_EEDaS13_S14_SK_SP_EUlS13_E_NS1_11comp_targetILNS1_3genE3ELNS1_11target_archE908ELNS1_3gpuE7ELNS1_3repE0EEENS1_47radix_sort_onesweep_sort_config_static_selectorELNS0_4arch9wavefront6targetE0EEEvSK_
    .private_segment_fixed_size: 0
    .sgpr_count:     0
    .sgpr_spill_count: 0
    .symbol:         _ZN7rocprim17ROCPRIM_400000_NS6detail17trampoline_kernelINS0_14default_configENS1_35radix_sort_onesweep_config_selectorIiNS0_10empty_typeEEEZZNS1_29radix_sort_onesweep_iterationIS3_Lb1EN6thrust23THRUST_200600_302600_NS6detail15normal_iteratorINS9_10device_ptrIiEEEESE_PS5_SF_jNS0_19identity_decomposerENS1_16block_id_wrapperIjLb0EEEEE10hipError_tT1_PNSt15iterator_traitsISK_E10value_typeET2_T3_PNSL_ISQ_E10value_typeET4_T5_PSV_SW_PNS1_23onesweep_lookback_stateEbbT6_jjT7_P12ihipStream_tbENKUlT_T0_SK_SP_E_clISE_PiSF_SF_EEDaS13_S14_SK_SP_EUlS13_E_NS1_11comp_targetILNS1_3genE3ELNS1_11target_archE908ELNS1_3gpuE7ELNS1_3repE0EEENS1_47radix_sort_onesweep_sort_config_static_selectorELNS0_4arch9wavefront6targetE0EEEvSK_.kd
    .uniform_work_group_size: 1
    .uses_dynamic_stack: false
    .vgpr_count:     0
    .vgpr_spill_count: 0
    .wavefront_size: 32
    .workgroup_processor_mode: 1
  - .args:
      - .offset:         0
        .size:           88
        .value_kind:     by_value
    .group_segment_fixed_size: 0
    .kernarg_segment_align: 8
    .kernarg_segment_size: 88
    .language:       OpenCL C
    .language_version:
      - 2
      - 0
    .max_flat_workgroup_size: 1024
    .name:           _ZN7rocprim17ROCPRIM_400000_NS6detail17trampoline_kernelINS0_14default_configENS1_35radix_sort_onesweep_config_selectorIiNS0_10empty_typeEEEZZNS1_29radix_sort_onesweep_iterationIS3_Lb1EN6thrust23THRUST_200600_302600_NS6detail15normal_iteratorINS9_10device_ptrIiEEEESE_PS5_SF_jNS0_19identity_decomposerENS1_16block_id_wrapperIjLb0EEEEE10hipError_tT1_PNSt15iterator_traitsISK_E10value_typeET2_T3_PNSL_ISQ_E10value_typeET4_T5_PSV_SW_PNS1_23onesweep_lookback_stateEbbT6_jjT7_P12ihipStream_tbENKUlT_T0_SK_SP_E_clISE_PiSF_SF_EEDaS13_S14_SK_SP_EUlS13_E_NS1_11comp_targetILNS1_3genE10ELNS1_11target_archE1201ELNS1_3gpuE5ELNS1_3repE0EEENS1_47radix_sort_onesweep_sort_config_static_selectorELNS0_4arch9wavefront6targetE0EEEvSK_
    .private_segment_fixed_size: 0
    .sgpr_count:     0
    .sgpr_spill_count: 0
    .symbol:         _ZN7rocprim17ROCPRIM_400000_NS6detail17trampoline_kernelINS0_14default_configENS1_35radix_sort_onesweep_config_selectorIiNS0_10empty_typeEEEZZNS1_29radix_sort_onesweep_iterationIS3_Lb1EN6thrust23THRUST_200600_302600_NS6detail15normal_iteratorINS9_10device_ptrIiEEEESE_PS5_SF_jNS0_19identity_decomposerENS1_16block_id_wrapperIjLb0EEEEE10hipError_tT1_PNSt15iterator_traitsISK_E10value_typeET2_T3_PNSL_ISQ_E10value_typeET4_T5_PSV_SW_PNS1_23onesweep_lookback_stateEbbT6_jjT7_P12ihipStream_tbENKUlT_T0_SK_SP_E_clISE_PiSF_SF_EEDaS13_S14_SK_SP_EUlS13_E_NS1_11comp_targetILNS1_3genE10ELNS1_11target_archE1201ELNS1_3gpuE5ELNS1_3repE0EEENS1_47radix_sort_onesweep_sort_config_static_selectorELNS0_4arch9wavefront6targetE0EEEvSK_.kd
    .uniform_work_group_size: 1
    .uses_dynamic_stack: false
    .vgpr_count:     0
    .vgpr_spill_count: 0
    .wavefront_size: 32
    .workgroup_processor_mode: 1
  - .args:
      - .offset:         0
        .size:           88
        .value_kind:     by_value
    .group_segment_fixed_size: 0
    .kernarg_segment_align: 8
    .kernarg_segment_size: 88
    .language:       OpenCL C
    .language_version:
      - 2
      - 0
    .max_flat_workgroup_size: 1024
    .name:           _ZN7rocprim17ROCPRIM_400000_NS6detail17trampoline_kernelINS0_14default_configENS1_35radix_sort_onesweep_config_selectorIiNS0_10empty_typeEEEZZNS1_29radix_sort_onesweep_iterationIS3_Lb1EN6thrust23THRUST_200600_302600_NS6detail15normal_iteratorINS9_10device_ptrIiEEEESE_PS5_SF_jNS0_19identity_decomposerENS1_16block_id_wrapperIjLb0EEEEE10hipError_tT1_PNSt15iterator_traitsISK_E10value_typeET2_T3_PNSL_ISQ_E10value_typeET4_T5_PSV_SW_PNS1_23onesweep_lookback_stateEbbT6_jjT7_P12ihipStream_tbENKUlT_T0_SK_SP_E_clISE_PiSF_SF_EEDaS13_S14_SK_SP_EUlS13_E_NS1_11comp_targetILNS1_3genE9ELNS1_11target_archE1100ELNS1_3gpuE3ELNS1_3repE0EEENS1_47radix_sort_onesweep_sort_config_static_selectorELNS0_4arch9wavefront6targetE0EEEvSK_
    .private_segment_fixed_size: 0
    .sgpr_count:     0
    .sgpr_spill_count: 0
    .symbol:         _ZN7rocprim17ROCPRIM_400000_NS6detail17trampoline_kernelINS0_14default_configENS1_35radix_sort_onesweep_config_selectorIiNS0_10empty_typeEEEZZNS1_29radix_sort_onesweep_iterationIS3_Lb1EN6thrust23THRUST_200600_302600_NS6detail15normal_iteratorINS9_10device_ptrIiEEEESE_PS5_SF_jNS0_19identity_decomposerENS1_16block_id_wrapperIjLb0EEEEE10hipError_tT1_PNSt15iterator_traitsISK_E10value_typeET2_T3_PNSL_ISQ_E10value_typeET4_T5_PSV_SW_PNS1_23onesweep_lookback_stateEbbT6_jjT7_P12ihipStream_tbENKUlT_T0_SK_SP_E_clISE_PiSF_SF_EEDaS13_S14_SK_SP_EUlS13_E_NS1_11comp_targetILNS1_3genE9ELNS1_11target_archE1100ELNS1_3gpuE3ELNS1_3repE0EEENS1_47radix_sort_onesweep_sort_config_static_selectorELNS0_4arch9wavefront6targetE0EEEvSK_.kd
    .uniform_work_group_size: 1
    .uses_dynamic_stack: false
    .vgpr_count:     0
    .vgpr_spill_count: 0
    .wavefront_size: 32
    .workgroup_processor_mode: 1
  - .args:
      - .offset:         0
        .size:           88
        .value_kind:     by_value
      - .offset:         88
        .size:           4
        .value_kind:     hidden_block_count_x
      - .offset:         92
        .size:           4
        .value_kind:     hidden_block_count_y
      - .offset:         96
        .size:           4
        .value_kind:     hidden_block_count_z
      - .offset:         100
        .size:           2
        .value_kind:     hidden_group_size_x
      - .offset:         102
        .size:           2
        .value_kind:     hidden_group_size_y
      - .offset:         104
        .size:           2
        .value_kind:     hidden_group_size_z
      - .offset:         106
        .size:           2
        .value_kind:     hidden_remainder_x
      - .offset:         108
        .size:           2
        .value_kind:     hidden_remainder_y
      - .offset:         110
        .size:           2
        .value_kind:     hidden_remainder_z
      - .offset:         128
        .size:           8
        .value_kind:     hidden_global_offset_x
      - .offset:         136
        .size:           8
        .value_kind:     hidden_global_offset_y
      - .offset:         144
        .size:           8
        .value_kind:     hidden_global_offset_z
      - .offset:         152
        .size:           2
        .value_kind:     hidden_grid_dims
    .group_segment_fixed_size: 37000
    .kernarg_segment_align: 8
    .kernarg_segment_size: 344
    .language:       OpenCL C
    .language_version:
      - 2
      - 0
    .max_flat_workgroup_size: 1024
    .name:           _ZN7rocprim17ROCPRIM_400000_NS6detail17trampoline_kernelINS0_14default_configENS1_35radix_sort_onesweep_config_selectorIiNS0_10empty_typeEEEZZNS1_29radix_sort_onesweep_iterationIS3_Lb1EN6thrust23THRUST_200600_302600_NS6detail15normal_iteratorINS9_10device_ptrIiEEEESE_PS5_SF_jNS0_19identity_decomposerENS1_16block_id_wrapperIjLb0EEEEE10hipError_tT1_PNSt15iterator_traitsISK_E10value_typeET2_T3_PNSL_ISQ_E10value_typeET4_T5_PSV_SW_PNS1_23onesweep_lookback_stateEbbT6_jjT7_P12ihipStream_tbENKUlT_T0_SK_SP_E_clISE_PiSF_SF_EEDaS13_S14_SK_SP_EUlS13_E_NS1_11comp_targetILNS1_3genE8ELNS1_11target_archE1030ELNS1_3gpuE2ELNS1_3repE0EEENS1_47radix_sort_onesweep_sort_config_static_selectorELNS0_4arch9wavefront6targetE0EEEvSK_
    .private_segment_fixed_size: 0
    .sgpr_count:     27
    .sgpr_spill_count: 0
    .symbol:         _ZN7rocprim17ROCPRIM_400000_NS6detail17trampoline_kernelINS0_14default_configENS1_35radix_sort_onesweep_config_selectorIiNS0_10empty_typeEEEZZNS1_29radix_sort_onesweep_iterationIS3_Lb1EN6thrust23THRUST_200600_302600_NS6detail15normal_iteratorINS9_10device_ptrIiEEEESE_PS5_SF_jNS0_19identity_decomposerENS1_16block_id_wrapperIjLb0EEEEE10hipError_tT1_PNSt15iterator_traitsISK_E10value_typeET2_T3_PNSL_ISQ_E10value_typeET4_T5_PSV_SW_PNS1_23onesweep_lookback_stateEbbT6_jjT7_P12ihipStream_tbENKUlT_T0_SK_SP_E_clISE_PiSF_SF_EEDaS13_S14_SK_SP_EUlS13_E_NS1_11comp_targetILNS1_3genE8ELNS1_11target_archE1030ELNS1_3gpuE2ELNS1_3repE0EEENS1_47radix_sort_onesweep_sort_config_static_selectorELNS0_4arch9wavefront6targetE0EEEvSK_.kd
    .uniform_work_group_size: 1
    .uses_dynamic_stack: false
    .vgpr_count:     34
    .vgpr_spill_count: 0
    .wavefront_size: 32
    .workgroup_processor_mode: 1
  - .args:
      - .offset:         0
        .size:           88
        .value_kind:     by_value
    .group_segment_fixed_size: 0
    .kernarg_segment_align: 8
    .kernarg_segment_size: 88
    .language:       OpenCL C
    .language_version:
      - 2
      - 0
    .max_flat_workgroup_size: 512
    .name:           _ZN7rocprim17ROCPRIM_400000_NS6detail17trampoline_kernelINS0_14default_configENS1_35radix_sort_onesweep_config_selectorIiNS0_10empty_typeEEEZZNS1_29radix_sort_onesweep_iterationIS3_Lb1EN6thrust23THRUST_200600_302600_NS6detail15normal_iteratorINS9_10device_ptrIiEEEESE_PS5_SF_jNS0_19identity_decomposerENS1_16block_id_wrapperIjLb0EEEEE10hipError_tT1_PNSt15iterator_traitsISK_E10value_typeET2_T3_PNSL_ISQ_E10value_typeET4_T5_PSV_SW_PNS1_23onesweep_lookback_stateEbbT6_jjT7_P12ihipStream_tbENKUlT_T0_SK_SP_E_clIPiSE_SF_SF_EEDaS13_S14_SK_SP_EUlS13_E_NS1_11comp_targetILNS1_3genE0ELNS1_11target_archE4294967295ELNS1_3gpuE0ELNS1_3repE0EEENS1_47radix_sort_onesweep_sort_config_static_selectorELNS0_4arch9wavefront6targetE0EEEvSK_
    .private_segment_fixed_size: 0
    .sgpr_count:     0
    .sgpr_spill_count: 0
    .symbol:         _ZN7rocprim17ROCPRIM_400000_NS6detail17trampoline_kernelINS0_14default_configENS1_35radix_sort_onesweep_config_selectorIiNS0_10empty_typeEEEZZNS1_29radix_sort_onesweep_iterationIS3_Lb1EN6thrust23THRUST_200600_302600_NS6detail15normal_iteratorINS9_10device_ptrIiEEEESE_PS5_SF_jNS0_19identity_decomposerENS1_16block_id_wrapperIjLb0EEEEE10hipError_tT1_PNSt15iterator_traitsISK_E10value_typeET2_T3_PNSL_ISQ_E10value_typeET4_T5_PSV_SW_PNS1_23onesweep_lookback_stateEbbT6_jjT7_P12ihipStream_tbENKUlT_T0_SK_SP_E_clIPiSE_SF_SF_EEDaS13_S14_SK_SP_EUlS13_E_NS1_11comp_targetILNS1_3genE0ELNS1_11target_archE4294967295ELNS1_3gpuE0ELNS1_3repE0EEENS1_47radix_sort_onesweep_sort_config_static_selectorELNS0_4arch9wavefront6targetE0EEEvSK_.kd
    .uniform_work_group_size: 1
    .uses_dynamic_stack: false
    .vgpr_count:     0
    .vgpr_spill_count: 0
    .wavefront_size: 32
    .workgroup_processor_mode: 1
  - .args:
      - .offset:         0
        .size:           88
        .value_kind:     by_value
    .group_segment_fixed_size: 0
    .kernarg_segment_align: 8
    .kernarg_segment_size: 88
    .language:       OpenCL C
    .language_version:
      - 2
      - 0
    .max_flat_workgroup_size: 1024
    .name:           _ZN7rocprim17ROCPRIM_400000_NS6detail17trampoline_kernelINS0_14default_configENS1_35radix_sort_onesweep_config_selectorIiNS0_10empty_typeEEEZZNS1_29radix_sort_onesweep_iterationIS3_Lb1EN6thrust23THRUST_200600_302600_NS6detail15normal_iteratorINS9_10device_ptrIiEEEESE_PS5_SF_jNS0_19identity_decomposerENS1_16block_id_wrapperIjLb0EEEEE10hipError_tT1_PNSt15iterator_traitsISK_E10value_typeET2_T3_PNSL_ISQ_E10value_typeET4_T5_PSV_SW_PNS1_23onesweep_lookback_stateEbbT6_jjT7_P12ihipStream_tbENKUlT_T0_SK_SP_E_clIPiSE_SF_SF_EEDaS13_S14_SK_SP_EUlS13_E_NS1_11comp_targetILNS1_3genE6ELNS1_11target_archE950ELNS1_3gpuE13ELNS1_3repE0EEENS1_47radix_sort_onesweep_sort_config_static_selectorELNS0_4arch9wavefront6targetE0EEEvSK_
    .private_segment_fixed_size: 0
    .sgpr_count:     0
    .sgpr_spill_count: 0
    .symbol:         _ZN7rocprim17ROCPRIM_400000_NS6detail17trampoline_kernelINS0_14default_configENS1_35radix_sort_onesweep_config_selectorIiNS0_10empty_typeEEEZZNS1_29radix_sort_onesweep_iterationIS3_Lb1EN6thrust23THRUST_200600_302600_NS6detail15normal_iteratorINS9_10device_ptrIiEEEESE_PS5_SF_jNS0_19identity_decomposerENS1_16block_id_wrapperIjLb0EEEEE10hipError_tT1_PNSt15iterator_traitsISK_E10value_typeET2_T3_PNSL_ISQ_E10value_typeET4_T5_PSV_SW_PNS1_23onesweep_lookback_stateEbbT6_jjT7_P12ihipStream_tbENKUlT_T0_SK_SP_E_clIPiSE_SF_SF_EEDaS13_S14_SK_SP_EUlS13_E_NS1_11comp_targetILNS1_3genE6ELNS1_11target_archE950ELNS1_3gpuE13ELNS1_3repE0EEENS1_47radix_sort_onesweep_sort_config_static_selectorELNS0_4arch9wavefront6targetE0EEEvSK_.kd
    .uniform_work_group_size: 1
    .uses_dynamic_stack: false
    .vgpr_count:     0
    .vgpr_spill_count: 0
    .wavefront_size: 32
    .workgroup_processor_mode: 1
  - .args:
      - .offset:         0
        .size:           88
        .value_kind:     by_value
    .group_segment_fixed_size: 0
    .kernarg_segment_align: 8
    .kernarg_segment_size: 88
    .language:       OpenCL C
    .language_version:
      - 2
      - 0
    .max_flat_workgroup_size: 1024
    .name:           _ZN7rocprim17ROCPRIM_400000_NS6detail17trampoline_kernelINS0_14default_configENS1_35radix_sort_onesweep_config_selectorIiNS0_10empty_typeEEEZZNS1_29radix_sort_onesweep_iterationIS3_Lb1EN6thrust23THRUST_200600_302600_NS6detail15normal_iteratorINS9_10device_ptrIiEEEESE_PS5_SF_jNS0_19identity_decomposerENS1_16block_id_wrapperIjLb0EEEEE10hipError_tT1_PNSt15iterator_traitsISK_E10value_typeET2_T3_PNSL_ISQ_E10value_typeET4_T5_PSV_SW_PNS1_23onesweep_lookback_stateEbbT6_jjT7_P12ihipStream_tbENKUlT_T0_SK_SP_E_clIPiSE_SF_SF_EEDaS13_S14_SK_SP_EUlS13_E_NS1_11comp_targetILNS1_3genE5ELNS1_11target_archE942ELNS1_3gpuE9ELNS1_3repE0EEENS1_47radix_sort_onesweep_sort_config_static_selectorELNS0_4arch9wavefront6targetE0EEEvSK_
    .private_segment_fixed_size: 0
    .sgpr_count:     0
    .sgpr_spill_count: 0
    .symbol:         _ZN7rocprim17ROCPRIM_400000_NS6detail17trampoline_kernelINS0_14default_configENS1_35radix_sort_onesweep_config_selectorIiNS0_10empty_typeEEEZZNS1_29radix_sort_onesweep_iterationIS3_Lb1EN6thrust23THRUST_200600_302600_NS6detail15normal_iteratorINS9_10device_ptrIiEEEESE_PS5_SF_jNS0_19identity_decomposerENS1_16block_id_wrapperIjLb0EEEEE10hipError_tT1_PNSt15iterator_traitsISK_E10value_typeET2_T3_PNSL_ISQ_E10value_typeET4_T5_PSV_SW_PNS1_23onesweep_lookback_stateEbbT6_jjT7_P12ihipStream_tbENKUlT_T0_SK_SP_E_clIPiSE_SF_SF_EEDaS13_S14_SK_SP_EUlS13_E_NS1_11comp_targetILNS1_3genE5ELNS1_11target_archE942ELNS1_3gpuE9ELNS1_3repE0EEENS1_47radix_sort_onesweep_sort_config_static_selectorELNS0_4arch9wavefront6targetE0EEEvSK_.kd
    .uniform_work_group_size: 1
    .uses_dynamic_stack: false
    .vgpr_count:     0
    .vgpr_spill_count: 0
    .wavefront_size: 32
    .workgroup_processor_mode: 1
  - .args:
      - .offset:         0
        .size:           88
        .value_kind:     by_value
    .group_segment_fixed_size: 0
    .kernarg_segment_align: 8
    .kernarg_segment_size: 88
    .language:       OpenCL C
    .language_version:
      - 2
      - 0
    .max_flat_workgroup_size: 1024
    .name:           _ZN7rocprim17ROCPRIM_400000_NS6detail17trampoline_kernelINS0_14default_configENS1_35radix_sort_onesweep_config_selectorIiNS0_10empty_typeEEEZZNS1_29radix_sort_onesweep_iterationIS3_Lb1EN6thrust23THRUST_200600_302600_NS6detail15normal_iteratorINS9_10device_ptrIiEEEESE_PS5_SF_jNS0_19identity_decomposerENS1_16block_id_wrapperIjLb0EEEEE10hipError_tT1_PNSt15iterator_traitsISK_E10value_typeET2_T3_PNSL_ISQ_E10value_typeET4_T5_PSV_SW_PNS1_23onesweep_lookback_stateEbbT6_jjT7_P12ihipStream_tbENKUlT_T0_SK_SP_E_clIPiSE_SF_SF_EEDaS13_S14_SK_SP_EUlS13_E_NS1_11comp_targetILNS1_3genE2ELNS1_11target_archE906ELNS1_3gpuE6ELNS1_3repE0EEENS1_47radix_sort_onesweep_sort_config_static_selectorELNS0_4arch9wavefront6targetE0EEEvSK_
    .private_segment_fixed_size: 0
    .sgpr_count:     0
    .sgpr_spill_count: 0
    .symbol:         _ZN7rocprim17ROCPRIM_400000_NS6detail17trampoline_kernelINS0_14default_configENS1_35radix_sort_onesweep_config_selectorIiNS0_10empty_typeEEEZZNS1_29radix_sort_onesweep_iterationIS3_Lb1EN6thrust23THRUST_200600_302600_NS6detail15normal_iteratorINS9_10device_ptrIiEEEESE_PS5_SF_jNS0_19identity_decomposerENS1_16block_id_wrapperIjLb0EEEEE10hipError_tT1_PNSt15iterator_traitsISK_E10value_typeET2_T3_PNSL_ISQ_E10value_typeET4_T5_PSV_SW_PNS1_23onesweep_lookback_stateEbbT6_jjT7_P12ihipStream_tbENKUlT_T0_SK_SP_E_clIPiSE_SF_SF_EEDaS13_S14_SK_SP_EUlS13_E_NS1_11comp_targetILNS1_3genE2ELNS1_11target_archE906ELNS1_3gpuE6ELNS1_3repE0EEENS1_47radix_sort_onesweep_sort_config_static_selectorELNS0_4arch9wavefront6targetE0EEEvSK_.kd
    .uniform_work_group_size: 1
    .uses_dynamic_stack: false
    .vgpr_count:     0
    .vgpr_spill_count: 0
    .wavefront_size: 32
    .workgroup_processor_mode: 1
  - .args:
      - .offset:         0
        .size:           88
        .value_kind:     by_value
    .group_segment_fixed_size: 0
    .kernarg_segment_align: 8
    .kernarg_segment_size: 88
    .language:       OpenCL C
    .language_version:
      - 2
      - 0
    .max_flat_workgroup_size: 1024
    .name:           _ZN7rocprim17ROCPRIM_400000_NS6detail17trampoline_kernelINS0_14default_configENS1_35radix_sort_onesweep_config_selectorIiNS0_10empty_typeEEEZZNS1_29radix_sort_onesweep_iterationIS3_Lb1EN6thrust23THRUST_200600_302600_NS6detail15normal_iteratorINS9_10device_ptrIiEEEESE_PS5_SF_jNS0_19identity_decomposerENS1_16block_id_wrapperIjLb0EEEEE10hipError_tT1_PNSt15iterator_traitsISK_E10value_typeET2_T3_PNSL_ISQ_E10value_typeET4_T5_PSV_SW_PNS1_23onesweep_lookback_stateEbbT6_jjT7_P12ihipStream_tbENKUlT_T0_SK_SP_E_clIPiSE_SF_SF_EEDaS13_S14_SK_SP_EUlS13_E_NS1_11comp_targetILNS1_3genE4ELNS1_11target_archE910ELNS1_3gpuE8ELNS1_3repE0EEENS1_47radix_sort_onesweep_sort_config_static_selectorELNS0_4arch9wavefront6targetE0EEEvSK_
    .private_segment_fixed_size: 0
    .sgpr_count:     0
    .sgpr_spill_count: 0
    .symbol:         _ZN7rocprim17ROCPRIM_400000_NS6detail17trampoline_kernelINS0_14default_configENS1_35radix_sort_onesweep_config_selectorIiNS0_10empty_typeEEEZZNS1_29radix_sort_onesweep_iterationIS3_Lb1EN6thrust23THRUST_200600_302600_NS6detail15normal_iteratorINS9_10device_ptrIiEEEESE_PS5_SF_jNS0_19identity_decomposerENS1_16block_id_wrapperIjLb0EEEEE10hipError_tT1_PNSt15iterator_traitsISK_E10value_typeET2_T3_PNSL_ISQ_E10value_typeET4_T5_PSV_SW_PNS1_23onesweep_lookback_stateEbbT6_jjT7_P12ihipStream_tbENKUlT_T0_SK_SP_E_clIPiSE_SF_SF_EEDaS13_S14_SK_SP_EUlS13_E_NS1_11comp_targetILNS1_3genE4ELNS1_11target_archE910ELNS1_3gpuE8ELNS1_3repE0EEENS1_47radix_sort_onesweep_sort_config_static_selectorELNS0_4arch9wavefront6targetE0EEEvSK_.kd
    .uniform_work_group_size: 1
    .uses_dynamic_stack: false
    .vgpr_count:     0
    .vgpr_spill_count: 0
    .wavefront_size: 32
    .workgroup_processor_mode: 1
  - .args:
      - .offset:         0
        .size:           88
        .value_kind:     by_value
    .group_segment_fixed_size: 0
    .kernarg_segment_align: 8
    .kernarg_segment_size: 88
    .language:       OpenCL C
    .language_version:
      - 2
      - 0
    .max_flat_workgroup_size: 512
    .name:           _ZN7rocprim17ROCPRIM_400000_NS6detail17trampoline_kernelINS0_14default_configENS1_35radix_sort_onesweep_config_selectorIiNS0_10empty_typeEEEZZNS1_29radix_sort_onesweep_iterationIS3_Lb1EN6thrust23THRUST_200600_302600_NS6detail15normal_iteratorINS9_10device_ptrIiEEEESE_PS5_SF_jNS0_19identity_decomposerENS1_16block_id_wrapperIjLb0EEEEE10hipError_tT1_PNSt15iterator_traitsISK_E10value_typeET2_T3_PNSL_ISQ_E10value_typeET4_T5_PSV_SW_PNS1_23onesweep_lookback_stateEbbT6_jjT7_P12ihipStream_tbENKUlT_T0_SK_SP_E_clIPiSE_SF_SF_EEDaS13_S14_SK_SP_EUlS13_E_NS1_11comp_targetILNS1_3genE3ELNS1_11target_archE908ELNS1_3gpuE7ELNS1_3repE0EEENS1_47radix_sort_onesweep_sort_config_static_selectorELNS0_4arch9wavefront6targetE0EEEvSK_
    .private_segment_fixed_size: 0
    .sgpr_count:     0
    .sgpr_spill_count: 0
    .symbol:         _ZN7rocprim17ROCPRIM_400000_NS6detail17trampoline_kernelINS0_14default_configENS1_35radix_sort_onesweep_config_selectorIiNS0_10empty_typeEEEZZNS1_29radix_sort_onesweep_iterationIS3_Lb1EN6thrust23THRUST_200600_302600_NS6detail15normal_iteratorINS9_10device_ptrIiEEEESE_PS5_SF_jNS0_19identity_decomposerENS1_16block_id_wrapperIjLb0EEEEE10hipError_tT1_PNSt15iterator_traitsISK_E10value_typeET2_T3_PNSL_ISQ_E10value_typeET4_T5_PSV_SW_PNS1_23onesweep_lookback_stateEbbT6_jjT7_P12ihipStream_tbENKUlT_T0_SK_SP_E_clIPiSE_SF_SF_EEDaS13_S14_SK_SP_EUlS13_E_NS1_11comp_targetILNS1_3genE3ELNS1_11target_archE908ELNS1_3gpuE7ELNS1_3repE0EEENS1_47radix_sort_onesweep_sort_config_static_selectorELNS0_4arch9wavefront6targetE0EEEvSK_.kd
    .uniform_work_group_size: 1
    .uses_dynamic_stack: false
    .vgpr_count:     0
    .vgpr_spill_count: 0
    .wavefront_size: 32
    .workgroup_processor_mode: 1
  - .args:
      - .offset:         0
        .size:           88
        .value_kind:     by_value
    .group_segment_fixed_size: 0
    .kernarg_segment_align: 8
    .kernarg_segment_size: 88
    .language:       OpenCL C
    .language_version:
      - 2
      - 0
    .max_flat_workgroup_size: 1024
    .name:           _ZN7rocprim17ROCPRIM_400000_NS6detail17trampoline_kernelINS0_14default_configENS1_35radix_sort_onesweep_config_selectorIiNS0_10empty_typeEEEZZNS1_29radix_sort_onesweep_iterationIS3_Lb1EN6thrust23THRUST_200600_302600_NS6detail15normal_iteratorINS9_10device_ptrIiEEEESE_PS5_SF_jNS0_19identity_decomposerENS1_16block_id_wrapperIjLb0EEEEE10hipError_tT1_PNSt15iterator_traitsISK_E10value_typeET2_T3_PNSL_ISQ_E10value_typeET4_T5_PSV_SW_PNS1_23onesweep_lookback_stateEbbT6_jjT7_P12ihipStream_tbENKUlT_T0_SK_SP_E_clIPiSE_SF_SF_EEDaS13_S14_SK_SP_EUlS13_E_NS1_11comp_targetILNS1_3genE10ELNS1_11target_archE1201ELNS1_3gpuE5ELNS1_3repE0EEENS1_47radix_sort_onesweep_sort_config_static_selectorELNS0_4arch9wavefront6targetE0EEEvSK_
    .private_segment_fixed_size: 0
    .sgpr_count:     0
    .sgpr_spill_count: 0
    .symbol:         _ZN7rocprim17ROCPRIM_400000_NS6detail17trampoline_kernelINS0_14default_configENS1_35radix_sort_onesweep_config_selectorIiNS0_10empty_typeEEEZZNS1_29radix_sort_onesweep_iterationIS3_Lb1EN6thrust23THRUST_200600_302600_NS6detail15normal_iteratorINS9_10device_ptrIiEEEESE_PS5_SF_jNS0_19identity_decomposerENS1_16block_id_wrapperIjLb0EEEEE10hipError_tT1_PNSt15iterator_traitsISK_E10value_typeET2_T3_PNSL_ISQ_E10value_typeET4_T5_PSV_SW_PNS1_23onesweep_lookback_stateEbbT6_jjT7_P12ihipStream_tbENKUlT_T0_SK_SP_E_clIPiSE_SF_SF_EEDaS13_S14_SK_SP_EUlS13_E_NS1_11comp_targetILNS1_3genE10ELNS1_11target_archE1201ELNS1_3gpuE5ELNS1_3repE0EEENS1_47radix_sort_onesweep_sort_config_static_selectorELNS0_4arch9wavefront6targetE0EEEvSK_.kd
    .uniform_work_group_size: 1
    .uses_dynamic_stack: false
    .vgpr_count:     0
    .vgpr_spill_count: 0
    .wavefront_size: 32
    .workgroup_processor_mode: 1
  - .args:
      - .offset:         0
        .size:           88
        .value_kind:     by_value
    .group_segment_fixed_size: 0
    .kernarg_segment_align: 8
    .kernarg_segment_size: 88
    .language:       OpenCL C
    .language_version:
      - 2
      - 0
    .max_flat_workgroup_size: 1024
    .name:           _ZN7rocprim17ROCPRIM_400000_NS6detail17trampoline_kernelINS0_14default_configENS1_35radix_sort_onesweep_config_selectorIiNS0_10empty_typeEEEZZNS1_29radix_sort_onesweep_iterationIS3_Lb1EN6thrust23THRUST_200600_302600_NS6detail15normal_iteratorINS9_10device_ptrIiEEEESE_PS5_SF_jNS0_19identity_decomposerENS1_16block_id_wrapperIjLb0EEEEE10hipError_tT1_PNSt15iterator_traitsISK_E10value_typeET2_T3_PNSL_ISQ_E10value_typeET4_T5_PSV_SW_PNS1_23onesweep_lookback_stateEbbT6_jjT7_P12ihipStream_tbENKUlT_T0_SK_SP_E_clIPiSE_SF_SF_EEDaS13_S14_SK_SP_EUlS13_E_NS1_11comp_targetILNS1_3genE9ELNS1_11target_archE1100ELNS1_3gpuE3ELNS1_3repE0EEENS1_47radix_sort_onesweep_sort_config_static_selectorELNS0_4arch9wavefront6targetE0EEEvSK_
    .private_segment_fixed_size: 0
    .sgpr_count:     0
    .sgpr_spill_count: 0
    .symbol:         _ZN7rocprim17ROCPRIM_400000_NS6detail17trampoline_kernelINS0_14default_configENS1_35radix_sort_onesweep_config_selectorIiNS0_10empty_typeEEEZZNS1_29radix_sort_onesweep_iterationIS3_Lb1EN6thrust23THRUST_200600_302600_NS6detail15normal_iteratorINS9_10device_ptrIiEEEESE_PS5_SF_jNS0_19identity_decomposerENS1_16block_id_wrapperIjLb0EEEEE10hipError_tT1_PNSt15iterator_traitsISK_E10value_typeET2_T3_PNSL_ISQ_E10value_typeET4_T5_PSV_SW_PNS1_23onesweep_lookback_stateEbbT6_jjT7_P12ihipStream_tbENKUlT_T0_SK_SP_E_clIPiSE_SF_SF_EEDaS13_S14_SK_SP_EUlS13_E_NS1_11comp_targetILNS1_3genE9ELNS1_11target_archE1100ELNS1_3gpuE3ELNS1_3repE0EEENS1_47radix_sort_onesweep_sort_config_static_selectorELNS0_4arch9wavefront6targetE0EEEvSK_.kd
    .uniform_work_group_size: 1
    .uses_dynamic_stack: false
    .vgpr_count:     0
    .vgpr_spill_count: 0
    .wavefront_size: 32
    .workgroup_processor_mode: 1
  - .args:
      - .offset:         0
        .size:           88
        .value_kind:     by_value
      - .offset:         88
        .size:           4
        .value_kind:     hidden_block_count_x
      - .offset:         92
        .size:           4
        .value_kind:     hidden_block_count_y
      - .offset:         96
        .size:           4
        .value_kind:     hidden_block_count_z
      - .offset:         100
        .size:           2
        .value_kind:     hidden_group_size_x
      - .offset:         102
        .size:           2
        .value_kind:     hidden_group_size_y
      - .offset:         104
        .size:           2
        .value_kind:     hidden_group_size_z
      - .offset:         106
        .size:           2
        .value_kind:     hidden_remainder_x
      - .offset:         108
        .size:           2
        .value_kind:     hidden_remainder_y
      - .offset:         110
        .size:           2
        .value_kind:     hidden_remainder_z
      - .offset:         128
        .size:           8
        .value_kind:     hidden_global_offset_x
      - .offset:         136
        .size:           8
        .value_kind:     hidden_global_offset_y
      - .offset:         144
        .size:           8
        .value_kind:     hidden_global_offset_z
      - .offset:         152
        .size:           2
        .value_kind:     hidden_grid_dims
    .group_segment_fixed_size: 37000
    .kernarg_segment_align: 8
    .kernarg_segment_size: 344
    .language:       OpenCL C
    .language_version:
      - 2
      - 0
    .max_flat_workgroup_size: 1024
    .name:           _ZN7rocprim17ROCPRIM_400000_NS6detail17trampoline_kernelINS0_14default_configENS1_35radix_sort_onesweep_config_selectorIiNS0_10empty_typeEEEZZNS1_29radix_sort_onesweep_iterationIS3_Lb1EN6thrust23THRUST_200600_302600_NS6detail15normal_iteratorINS9_10device_ptrIiEEEESE_PS5_SF_jNS0_19identity_decomposerENS1_16block_id_wrapperIjLb0EEEEE10hipError_tT1_PNSt15iterator_traitsISK_E10value_typeET2_T3_PNSL_ISQ_E10value_typeET4_T5_PSV_SW_PNS1_23onesweep_lookback_stateEbbT6_jjT7_P12ihipStream_tbENKUlT_T0_SK_SP_E_clIPiSE_SF_SF_EEDaS13_S14_SK_SP_EUlS13_E_NS1_11comp_targetILNS1_3genE8ELNS1_11target_archE1030ELNS1_3gpuE2ELNS1_3repE0EEENS1_47radix_sort_onesweep_sort_config_static_selectorELNS0_4arch9wavefront6targetE0EEEvSK_
    .private_segment_fixed_size: 0
    .sgpr_count:     27
    .sgpr_spill_count: 0
    .symbol:         _ZN7rocprim17ROCPRIM_400000_NS6detail17trampoline_kernelINS0_14default_configENS1_35radix_sort_onesweep_config_selectorIiNS0_10empty_typeEEEZZNS1_29radix_sort_onesweep_iterationIS3_Lb1EN6thrust23THRUST_200600_302600_NS6detail15normal_iteratorINS9_10device_ptrIiEEEESE_PS5_SF_jNS0_19identity_decomposerENS1_16block_id_wrapperIjLb0EEEEE10hipError_tT1_PNSt15iterator_traitsISK_E10value_typeET2_T3_PNSL_ISQ_E10value_typeET4_T5_PSV_SW_PNS1_23onesweep_lookback_stateEbbT6_jjT7_P12ihipStream_tbENKUlT_T0_SK_SP_E_clIPiSE_SF_SF_EEDaS13_S14_SK_SP_EUlS13_E_NS1_11comp_targetILNS1_3genE8ELNS1_11target_archE1030ELNS1_3gpuE2ELNS1_3repE0EEENS1_47radix_sort_onesweep_sort_config_static_selectorELNS0_4arch9wavefront6targetE0EEEvSK_.kd
    .uniform_work_group_size: 1
    .uses_dynamic_stack: false
    .vgpr_count:     34
    .vgpr_spill_count: 0
    .wavefront_size: 32
    .workgroup_processor_mode: 1
  - .args:           []
    .group_segment_fixed_size: 0
    .kernarg_segment_align: 4
    .kernarg_segment_size: 0
    .language:       OpenCL C
    .language_version:
      - 2
      - 0
    .max_flat_workgroup_size: 1024
    .name:           _ZN7rocprim17ROCPRIM_400000_NS6detail44device_merge_sort_compile_time_verifier_archINS1_11comp_targetILNS1_3genE0ELNS1_11target_archE4294967295ELNS1_3gpuE0ELNS1_3repE0EEES8_NS0_14default_configES9_NS1_37merge_sort_block_sort_config_selectorIiNS0_10empty_typeEEENS1_38merge_sort_block_merge_config_selectorIiSB_EEEEvv
    .private_segment_fixed_size: 0
    .sgpr_count:     0
    .sgpr_spill_count: 0
    .symbol:         _ZN7rocprim17ROCPRIM_400000_NS6detail44device_merge_sort_compile_time_verifier_archINS1_11comp_targetILNS1_3genE0ELNS1_11target_archE4294967295ELNS1_3gpuE0ELNS1_3repE0EEES8_NS0_14default_configES9_NS1_37merge_sort_block_sort_config_selectorIiNS0_10empty_typeEEENS1_38merge_sort_block_merge_config_selectorIiSB_EEEEvv.kd
    .uniform_work_group_size: 1
    .uses_dynamic_stack: false
    .vgpr_count:     0
    .vgpr_spill_count: 0
    .wavefront_size: 32
    .workgroup_processor_mode: 1
  - .args:           []
    .group_segment_fixed_size: 0
    .kernarg_segment_align: 4
    .kernarg_segment_size: 0
    .language:       OpenCL C
    .language_version:
      - 2
      - 0
    .max_flat_workgroup_size: 1024
    .name:           _ZN7rocprim17ROCPRIM_400000_NS6detail44device_merge_sort_compile_time_verifier_archINS1_11comp_targetILNS1_3genE5ELNS1_11target_archE942ELNS1_3gpuE9ELNS1_3repE0EEES8_NS0_14default_configES9_NS1_37merge_sort_block_sort_config_selectorIiNS0_10empty_typeEEENS1_38merge_sort_block_merge_config_selectorIiSB_EEEEvv
    .private_segment_fixed_size: 0
    .sgpr_count:     0
    .sgpr_spill_count: 0
    .symbol:         _ZN7rocprim17ROCPRIM_400000_NS6detail44device_merge_sort_compile_time_verifier_archINS1_11comp_targetILNS1_3genE5ELNS1_11target_archE942ELNS1_3gpuE9ELNS1_3repE0EEES8_NS0_14default_configES9_NS1_37merge_sort_block_sort_config_selectorIiNS0_10empty_typeEEENS1_38merge_sort_block_merge_config_selectorIiSB_EEEEvv.kd
    .uniform_work_group_size: 1
    .uses_dynamic_stack: false
    .vgpr_count:     0
    .vgpr_spill_count: 0
    .wavefront_size: 32
    .workgroup_processor_mode: 1
  - .args:           []
    .group_segment_fixed_size: 0
    .kernarg_segment_align: 4
    .kernarg_segment_size: 0
    .language:       OpenCL C
    .language_version:
      - 2
      - 0
    .max_flat_workgroup_size: 1024
    .name:           _ZN7rocprim17ROCPRIM_400000_NS6detail44device_merge_sort_compile_time_verifier_archINS1_11comp_targetILNS1_3genE4ELNS1_11target_archE910ELNS1_3gpuE8ELNS1_3repE0EEES8_NS0_14default_configES9_NS1_37merge_sort_block_sort_config_selectorIiNS0_10empty_typeEEENS1_38merge_sort_block_merge_config_selectorIiSB_EEEEvv
    .private_segment_fixed_size: 0
    .sgpr_count:     0
    .sgpr_spill_count: 0
    .symbol:         _ZN7rocprim17ROCPRIM_400000_NS6detail44device_merge_sort_compile_time_verifier_archINS1_11comp_targetILNS1_3genE4ELNS1_11target_archE910ELNS1_3gpuE8ELNS1_3repE0EEES8_NS0_14default_configES9_NS1_37merge_sort_block_sort_config_selectorIiNS0_10empty_typeEEENS1_38merge_sort_block_merge_config_selectorIiSB_EEEEvv.kd
    .uniform_work_group_size: 1
    .uses_dynamic_stack: false
    .vgpr_count:     0
    .vgpr_spill_count: 0
    .wavefront_size: 32
    .workgroup_processor_mode: 1
  - .args:           []
    .group_segment_fixed_size: 0
    .kernarg_segment_align: 4
    .kernarg_segment_size: 0
    .language:       OpenCL C
    .language_version:
      - 2
      - 0
    .max_flat_workgroup_size: 1024
    .name:           _ZN7rocprim17ROCPRIM_400000_NS6detail44device_merge_sort_compile_time_verifier_archINS1_11comp_targetILNS1_3genE3ELNS1_11target_archE908ELNS1_3gpuE7ELNS1_3repE0EEES8_NS0_14default_configES9_NS1_37merge_sort_block_sort_config_selectorIiNS0_10empty_typeEEENS1_38merge_sort_block_merge_config_selectorIiSB_EEEEvv
    .private_segment_fixed_size: 0
    .sgpr_count:     0
    .sgpr_spill_count: 0
    .symbol:         _ZN7rocprim17ROCPRIM_400000_NS6detail44device_merge_sort_compile_time_verifier_archINS1_11comp_targetILNS1_3genE3ELNS1_11target_archE908ELNS1_3gpuE7ELNS1_3repE0EEES8_NS0_14default_configES9_NS1_37merge_sort_block_sort_config_selectorIiNS0_10empty_typeEEENS1_38merge_sort_block_merge_config_selectorIiSB_EEEEvv.kd
    .uniform_work_group_size: 1
    .uses_dynamic_stack: false
    .vgpr_count:     0
    .vgpr_spill_count: 0
    .wavefront_size: 32
    .workgroup_processor_mode: 1
  - .args:           []
    .group_segment_fixed_size: 0
    .kernarg_segment_align: 4
    .kernarg_segment_size: 0
    .language:       OpenCL C
    .language_version:
      - 2
      - 0
    .max_flat_workgroup_size: 1024
    .name:           _ZN7rocprim17ROCPRIM_400000_NS6detail44device_merge_sort_compile_time_verifier_archINS1_11comp_targetILNS1_3genE2ELNS1_11target_archE906ELNS1_3gpuE6ELNS1_3repE0EEES8_NS0_14default_configES9_NS1_37merge_sort_block_sort_config_selectorIiNS0_10empty_typeEEENS1_38merge_sort_block_merge_config_selectorIiSB_EEEEvv
    .private_segment_fixed_size: 0
    .sgpr_count:     0
    .sgpr_spill_count: 0
    .symbol:         _ZN7rocprim17ROCPRIM_400000_NS6detail44device_merge_sort_compile_time_verifier_archINS1_11comp_targetILNS1_3genE2ELNS1_11target_archE906ELNS1_3gpuE6ELNS1_3repE0EEES8_NS0_14default_configES9_NS1_37merge_sort_block_sort_config_selectorIiNS0_10empty_typeEEENS1_38merge_sort_block_merge_config_selectorIiSB_EEEEvv.kd
    .uniform_work_group_size: 1
    .uses_dynamic_stack: false
    .vgpr_count:     0
    .vgpr_spill_count: 0
    .wavefront_size: 32
    .workgroup_processor_mode: 1
  - .args:           []
    .group_segment_fixed_size: 0
    .kernarg_segment_align: 4
    .kernarg_segment_size: 0
    .language:       OpenCL C
    .language_version:
      - 2
      - 0
    .max_flat_workgroup_size: 1024
    .name:           _ZN7rocprim17ROCPRIM_400000_NS6detail44device_merge_sort_compile_time_verifier_archINS1_11comp_targetILNS1_3genE10ELNS1_11target_archE1201ELNS1_3gpuE5ELNS1_3repE0EEES8_NS0_14default_configES9_NS1_37merge_sort_block_sort_config_selectorIiNS0_10empty_typeEEENS1_38merge_sort_block_merge_config_selectorIiSB_EEEEvv
    .private_segment_fixed_size: 0
    .sgpr_count:     0
    .sgpr_spill_count: 0
    .symbol:         _ZN7rocprim17ROCPRIM_400000_NS6detail44device_merge_sort_compile_time_verifier_archINS1_11comp_targetILNS1_3genE10ELNS1_11target_archE1201ELNS1_3gpuE5ELNS1_3repE0EEES8_NS0_14default_configES9_NS1_37merge_sort_block_sort_config_selectorIiNS0_10empty_typeEEENS1_38merge_sort_block_merge_config_selectorIiSB_EEEEvv.kd
    .uniform_work_group_size: 1
    .uses_dynamic_stack: false
    .vgpr_count:     0
    .vgpr_spill_count: 0
    .wavefront_size: 32
    .workgroup_processor_mode: 1
  - .args:           []
    .group_segment_fixed_size: 0
    .kernarg_segment_align: 4
    .kernarg_segment_size: 0
    .language:       OpenCL C
    .language_version:
      - 2
      - 0
    .max_flat_workgroup_size: 1024
    .name:           _ZN7rocprim17ROCPRIM_400000_NS6detail44device_merge_sort_compile_time_verifier_archINS1_11comp_targetILNS1_3genE10ELNS1_11target_archE1200ELNS1_3gpuE4ELNS1_3repE0EEENS3_ILS4_10ELS5_1201ELS6_5ELS7_0EEENS0_14default_configESA_NS1_37merge_sort_block_sort_config_selectorIiNS0_10empty_typeEEENS1_38merge_sort_block_merge_config_selectorIiSC_EEEEvv
    .private_segment_fixed_size: 0
    .sgpr_count:     0
    .sgpr_spill_count: 0
    .symbol:         _ZN7rocprim17ROCPRIM_400000_NS6detail44device_merge_sort_compile_time_verifier_archINS1_11comp_targetILNS1_3genE10ELNS1_11target_archE1200ELNS1_3gpuE4ELNS1_3repE0EEENS3_ILS4_10ELS5_1201ELS6_5ELS7_0EEENS0_14default_configESA_NS1_37merge_sort_block_sort_config_selectorIiNS0_10empty_typeEEENS1_38merge_sort_block_merge_config_selectorIiSC_EEEEvv.kd
    .uniform_work_group_size: 1
    .uses_dynamic_stack: false
    .vgpr_count:     0
    .vgpr_spill_count: 0
    .wavefront_size: 32
    .workgroup_processor_mode: 1
  - .args:           []
    .group_segment_fixed_size: 0
    .kernarg_segment_align: 4
    .kernarg_segment_size: 0
    .language:       OpenCL C
    .language_version:
      - 2
      - 0
    .max_flat_workgroup_size: 1024
    .name:           _ZN7rocprim17ROCPRIM_400000_NS6detail44device_merge_sort_compile_time_verifier_archINS1_11comp_targetILNS1_3genE9ELNS1_11target_archE1100ELNS1_3gpuE3ELNS1_3repE0EEES8_NS0_14default_configES9_NS1_37merge_sort_block_sort_config_selectorIiNS0_10empty_typeEEENS1_38merge_sort_block_merge_config_selectorIiSB_EEEEvv
    .private_segment_fixed_size: 0
    .sgpr_count:     0
    .sgpr_spill_count: 0
    .symbol:         _ZN7rocprim17ROCPRIM_400000_NS6detail44device_merge_sort_compile_time_verifier_archINS1_11comp_targetILNS1_3genE9ELNS1_11target_archE1100ELNS1_3gpuE3ELNS1_3repE0EEES8_NS0_14default_configES9_NS1_37merge_sort_block_sort_config_selectorIiNS0_10empty_typeEEENS1_38merge_sort_block_merge_config_selectorIiSB_EEEEvv.kd
    .uniform_work_group_size: 1
    .uses_dynamic_stack: false
    .vgpr_count:     0
    .vgpr_spill_count: 0
    .wavefront_size: 32
    .workgroup_processor_mode: 1
  - .args:           []
    .group_segment_fixed_size: 0
    .kernarg_segment_align: 4
    .kernarg_segment_size: 0
    .language:       OpenCL C
    .language_version:
      - 2
      - 0
    .max_flat_workgroup_size: 1024
    .name:           _ZN7rocprim17ROCPRIM_400000_NS6detail44device_merge_sort_compile_time_verifier_archINS1_11comp_targetILNS1_3genE8ELNS1_11target_archE1030ELNS1_3gpuE2ELNS1_3repE0EEES8_NS0_14default_configES9_NS1_37merge_sort_block_sort_config_selectorIiNS0_10empty_typeEEENS1_38merge_sort_block_merge_config_selectorIiSB_EEEEvv
    .private_segment_fixed_size: 0
    .sgpr_count:     0
    .sgpr_spill_count: 0
    .symbol:         _ZN7rocprim17ROCPRIM_400000_NS6detail44device_merge_sort_compile_time_verifier_archINS1_11comp_targetILNS1_3genE8ELNS1_11target_archE1030ELNS1_3gpuE2ELNS1_3repE0EEES8_NS0_14default_configES9_NS1_37merge_sort_block_sort_config_selectorIiNS0_10empty_typeEEENS1_38merge_sort_block_merge_config_selectorIiSB_EEEEvv.kd
    .uniform_work_group_size: 1
    .uses_dynamic_stack: false
    .vgpr_count:     0
    .vgpr_spill_count: 0
    .wavefront_size: 32
    .workgroup_processor_mode: 1
  - .args:
      - .offset:         0
        .size:           64
        .value_kind:     by_value
    .group_segment_fixed_size: 0
    .kernarg_segment_align: 8
    .kernarg_segment_size: 64
    .language:       OpenCL C
    .language_version:
      - 2
      - 0
    .max_flat_workgroup_size: 256
    .name:           _ZN7rocprim17ROCPRIM_400000_NS6detail17trampoline_kernelINS0_14default_configENS1_37merge_sort_block_sort_config_selectorIiNS0_10empty_typeEEEZNS1_21merge_sort_block_sortIS3_N6thrust23THRUST_200600_302600_NS6detail15normal_iteratorINS9_10device_ptrIiEEEESE_PS5_SF_17evens_before_oddsEE10hipError_tT0_T1_T2_T3_mRjT4_P12ihipStream_tbNS1_7vsmem_tEEUlT_E_NS1_11comp_targetILNS1_3genE0ELNS1_11target_archE4294967295ELNS1_3gpuE0ELNS1_3repE0EEENS1_30default_config_static_selectorELNS0_4arch9wavefront6targetE0EEEvSJ_
    .private_segment_fixed_size: 0
    .sgpr_count:     0
    .sgpr_spill_count: 0
    .symbol:         _ZN7rocprim17ROCPRIM_400000_NS6detail17trampoline_kernelINS0_14default_configENS1_37merge_sort_block_sort_config_selectorIiNS0_10empty_typeEEEZNS1_21merge_sort_block_sortIS3_N6thrust23THRUST_200600_302600_NS6detail15normal_iteratorINS9_10device_ptrIiEEEESE_PS5_SF_17evens_before_oddsEE10hipError_tT0_T1_T2_T3_mRjT4_P12ihipStream_tbNS1_7vsmem_tEEUlT_E_NS1_11comp_targetILNS1_3genE0ELNS1_11target_archE4294967295ELNS1_3gpuE0ELNS1_3repE0EEENS1_30default_config_static_selectorELNS0_4arch9wavefront6targetE0EEEvSJ_.kd
    .uniform_work_group_size: 1
    .uses_dynamic_stack: false
    .vgpr_count:     0
    .vgpr_spill_count: 0
    .wavefront_size: 32
    .workgroup_processor_mode: 1
  - .args:
      - .offset:         0
        .size:           64
        .value_kind:     by_value
    .group_segment_fixed_size: 0
    .kernarg_segment_align: 8
    .kernarg_segment_size: 64
    .language:       OpenCL C
    .language_version:
      - 2
      - 0
    .max_flat_workgroup_size: 256
    .name:           _ZN7rocprim17ROCPRIM_400000_NS6detail17trampoline_kernelINS0_14default_configENS1_37merge_sort_block_sort_config_selectorIiNS0_10empty_typeEEEZNS1_21merge_sort_block_sortIS3_N6thrust23THRUST_200600_302600_NS6detail15normal_iteratorINS9_10device_ptrIiEEEESE_PS5_SF_17evens_before_oddsEE10hipError_tT0_T1_T2_T3_mRjT4_P12ihipStream_tbNS1_7vsmem_tEEUlT_E_NS1_11comp_targetILNS1_3genE5ELNS1_11target_archE942ELNS1_3gpuE9ELNS1_3repE0EEENS1_30default_config_static_selectorELNS0_4arch9wavefront6targetE0EEEvSJ_
    .private_segment_fixed_size: 0
    .sgpr_count:     0
    .sgpr_spill_count: 0
    .symbol:         _ZN7rocprim17ROCPRIM_400000_NS6detail17trampoline_kernelINS0_14default_configENS1_37merge_sort_block_sort_config_selectorIiNS0_10empty_typeEEEZNS1_21merge_sort_block_sortIS3_N6thrust23THRUST_200600_302600_NS6detail15normal_iteratorINS9_10device_ptrIiEEEESE_PS5_SF_17evens_before_oddsEE10hipError_tT0_T1_T2_T3_mRjT4_P12ihipStream_tbNS1_7vsmem_tEEUlT_E_NS1_11comp_targetILNS1_3genE5ELNS1_11target_archE942ELNS1_3gpuE9ELNS1_3repE0EEENS1_30default_config_static_selectorELNS0_4arch9wavefront6targetE0EEEvSJ_.kd
    .uniform_work_group_size: 1
    .uses_dynamic_stack: false
    .vgpr_count:     0
    .vgpr_spill_count: 0
    .wavefront_size: 32
    .workgroup_processor_mode: 1
  - .args:
      - .offset:         0
        .size:           64
        .value_kind:     by_value
    .group_segment_fixed_size: 0
    .kernarg_segment_align: 8
    .kernarg_segment_size: 64
    .language:       OpenCL C
    .language_version:
      - 2
      - 0
    .max_flat_workgroup_size: 256
    .name:           _ZN7rocprim17ROCPRIM_400000_NS6detail17trampoline_kernelINS0_14default_configENS1_37merge_sort_block_sort_config_selectorIiNS0_10empty_typeEEEZNS1_21merge_sort_block_sortIS3_N6thrust23THRUST_200600_302600_NS6detail15normal_iteratorINS9_10device_ptrIiEEEESE_PS5_SF_17evens_before_oddsEE10hipError_tT0_T1_T2_T3_mRjT4_P12ihipStream_tbNS1_7vsmem_tEEUlT_E_NS1_11comp_targetILNS1_3genE4ELNS1_11target_archE910ELNS1_3gpuE8ELNS1_3repE0EEENS1_30default_config_static_selectorELNS0_4arch9wavefront6targetE0EEEvSJ_
    .private_segment_fixed_size: 0
    .sgpr_count:     0
    .sgpr_spill_count: 0
    .symbol:         _ZN7rocprim17ROCPRIM_400000_NS6detail17trampoline_kernelINS0_14default_configENS1_37merge_sort_block_sort_config_selectorIiNS0_10empty_typeEEEZNS1_21merge_sort_block_sortIS3_N6thrust23THRUST_200600_302600_NS6detail15normal_iteratorINS9_10device_ptrIiEEEESE_PS5_SF_17evens_before_oddsEE10hipError_tT0_T1_T2_T3_mRjT4_P12ihipStream_tbNS1_7vsmem_tEEUlT_E_NS1_11comp_targetILNS1_3genE4ELNS1_11target_archE910ELNS1_3gpuE8ELNS1_3repE0EEENS1_30default_config_static_selectorELNS0_4arch9wavefront6targetE0EEEvSJ_.kd
    .uniform_work_group_size: 1
    .uses_dynamic_stack: false
    .vgpr_count:     0
    .vgpr_spill_count: 0
    .wavefront_size: 32
    .workgroup_processor_mode: 1
  - .args:
      - .offset:         0
        .size:           64
        .value_kind:     by_value
    .group_segment_fixed_size: 0
    .kernarg_segment_align: 8
    .kernarg_segment_size: 64
    .language:       OpenCL C
    .language_version:
      - 2
      - 0
    .max_flat_workgroup_size: 256
    .name:           _ZN7rocprim17ROCPRIM_400000_NS6detail17trampoline_kernelINS0_14default_configENS1_37merge_sort_block_sort_config_selectorIiNS0_10empty_typeEEEZNS1_21merge_sort_block_sortIS3_N6thrust23THRUST_200600_302600_NS6detail15normal_iteratorINS9_10device_ptrIiEEEESE_PS5_SF_17evens_before_oddsEE10hipError_tT0_T1_T2_T3_mRjT4_P12ihipStream_tbNS1_7vsmem_tEEUlT_E_NS1_11comp_targetILNS1_3genE3ELNS1_11target_archE908ELNS1_3gpuE7ELNS1_3repE0EEENS1_30default_config_static_selectorELNS0_4arch9wavefront6targetE0EEEvSJ_
    .private_segment_fixed_size: 0
    .sgpr_count:     0
    .sgpr_spill_count: 0
    .symbol:         _ZN7rocprim17ROCPRIM_400000_NS6detail17trampoline_kernelINS0_14default_configENS1_37merge_sort_block_sort_config_selectorIiNS0_10empty_typeEEEZNS1_21merge_sort_block_sortIS3_N6thrust23THRUST_200600_302600_NS6detail15normal_iteratorINS9_10device_ptrIiEEEESE_PS5_SF_17evens_before_oddsEE10hipError_tT0_T1_T2_T3_mRjT4_P12ihipStream_tbNS1_7vsmem_tEEUlT_E_NS1_11comp_targetILNS1_3genE3ELNS1_11target_archE908ELNS1_3gpuE7ELNS1_3repE0EEENS1_30default_config_static_selectorELNS0_4arch9wavefront6targetE0EEEvSJ_.kd
    .uniform_work_group_size: 1
    .uses_dynamic_stack: false
    .vgpr_count:     0
    .vgpr_spill_count: 0
    .wavefront_size: 32
    .workgroup_processor_mode: 1
  - .args:
      - .offset:         0
        .size:           64
        .value_kind:     by_value
    .group_segment_fixed_size: 0
    .kernarg_segment_align: 8
    .kernarg_segment_size: 64
    .language:       OpenCL C
    .language_version:
      - 2
      - 0
    .max_flat_workgroup_size: 256
    .name:           _ZN7rocprim17ROCPRIM_400000_NS6detail17trampoline_kernelINS0_14default_configENS1_37merge_sort_block_sort_config_selectorIiNS0_10empty_typeEEEZNS1_21merge_sort_block_sortIS3_N6thrust23THRUST_200600_302600_NS6detail15normal_iteratorINS9_10device_ptrIiEEEESE_PS5_SF_17evens_before_oddsEE10hipError_tT0_T1_T2_T3_mRjT4_P12ihipStream_tbNS1_7vsmem_tEEUlT_E_NS1_11comp_targetILNS1_3genE2ELNS1_11target_archE906ELNS1_3gpuE6ELNS1_3repE0EEENS1_30default_config_static_selectorELNS0_4arch9wavefront6targetE0EEEvSJ_
    .private_segment_fixed_size: 0
    .sgpr_count:     0
    .sgpr_spill_count: 0
    .symbol:         _ZN7rocprim17ROCPRIM_400000_NS6detail17trampoline_kernelINS0_14default_configENS1_37merge_sort_block_sort_config_selectorIiNS0_10empty_typeEEEZNS1_21merge_sort_block_sortIS3_N6thrust23THRUST_200600_302600_NS6detail15normal_iteratorINS9_10device_ptrIiEEEESE_PS5_SF_17evens_before_oddsEE10hipError_tT0_T1_T2_T3_mRjT4_P12ihipStream_tbNS1_7vsmem_tEEUlT_E_NS1_11comp_targetILNS1_3genE2ELNS1_11target_archE906ELNS1_3gpuE6ELNS1_3repE0EEENS1_30default_config_static_selectorELNS0_4arch9wavefront6targetE0EEEvSJ_.kd
    .uniform_work_group_size: 1
    .uses_dynamic_stack: false
    .vgpr_count:     0
    .vgpr_spill_count: 0
    .wavefront_size: 32
    .workgroup_processor_mode: 1
  - .args:
      - .offset:         0
        .size:           64
        .value_kind:     by_value
    .group_segment_fixed_size: 0
    .kernarg_segment_align: 8
    .kernarg_segment_size: 64
    .language:       OpenCL C
    .language_version:
      - 2
      - 0
    .max_flat_workgroup_size: 256
    .name:           _ZN7rocprim17ROCPRIM_400000_NS6detail17trampoline_kernelINS0_14default_configENS1_37merge_sort_block_sort_config_selectorIiNS0_10empty_typeEEEZNS1_21merge_sort_block_sortIS3_N6thrust23THRUST_200600_302600_NS6detail15normal_iteratorINS9_10device_ptrIiEEEESE_PS5_SF_17evens_before_oddsEE10hipError_tT0_T1_T2_T3_mRjT4_P12ihipStream_tbNS1_7vsmem_tEEUlT_E_NS1_11comp_targetILNS1_3genE10ELNS1_11target_archE1201ELNS1_3gpuE5ELNS1_3repE0EEENS1_30default_config_static_selectorELNS0_4arch9wavefront6targetE0EEEvSJ_
    .private_segment_fixed_size: 0
    .sgpr_count:     0
    .sgpr_spill_count: 0
    .symbol:         _ZN7rocprim17ROCPRIM_400000_NS6detail17trampoline_kernelINS0_14default_configENS1_37merge_sort_block_sort_config_selectorIiNS0_10empty_typeEEEZNS1_21merge_sort_block_sortIS3_N6thrust23THRUST_200600_302600_NS6detail15normal_iteratorINS9_10device_ptrIiEEEESE_PS5_SF_17evens_before_oddsEE10hipError_tT0_T1_T2_T3_mRjT4_P12ihipStream_tbNS1_7vsmem_tEEUlT_E_NS1_11comp_targetILNS1_3genE10ELNS1_11target_archE1201ELNS1_3gpuE5ELNS1_3repE0EEENS1_30default_config_static_selectorELNS0_4arch9wavefront6targetE0EEEvSJ_.kd
    .uniform_work_group_size: 1
    .uses_dynamic_stack: false
    .vgpr_count:     0
    .vgpr_spill_count: 0
    .wavefront_size: 32
    .workgroup_processor_mode: 1
  - .args:
      - .offset:         0
        .size:           64
        .value_kind:     by_value
    .group_segment_fixed_size: 0
    .kernarg_segment_align: 8
    .kernarg_segment_size: 64
    .language:       OpenCL C
    .language_version:
      - 2
      - 0
    .max_flat_workgroup_size: 256
    .name:           _ZN7rocprim17ROCPRIM_400000_NS6detail17trampoline_kernelINS0_14default_configENS1_37merge_sort_block_sort_config_selectorIiNS0_10empty_typeEEEZNS1_21merge_sort_block_sortIS3_N6thrust23THRUST_200600_302600_NS6detail15normal_iteratorINS9_10device_ptrIiEEEESE_PS5_SF_17evens_before_oddsEE10hipError_tT0_T1_T2_T3_mRjT4_P12ihipStream_tbNS1_7vsmem_tEEUlT_E_NS1_11comp_targetILNS1_3genE10ELNS1_11target_archE1200ELNS1_3gpuE4ELNS1_3repE0EEENS1_30default_config_static_selectorELNS0_4arch9wavefront6targetE0EEEvSJ_
    .private_segment_fixed_size: 0
    .sgpr_count:     0
    .sgpr_spill_count: 0
    .symbol:         _ZN7rocprim17ROCPRIM_400000_NS6detail17trampoline_kernelINS0_14default_configENS1_37merge_sort_block_sort_config_selectorIiNS0_10empty_typeEEEZNS1_21merge_sort_block_sortIS3_N6thrust23THRUST_200600_302600_NS6detail15normal_iteratorINS9_10device_ptrIiEEEESE_PS5_SF_17evens_before_oddsEE10hipError_tT0_T1_T2_T3_mRjT4_P12ihipStream_tbNS1_7vsmem_tEEUlT_E_NS1_11comp_targetILNS1_3genE10ELNS1_11target_archE1200ELNS1_3gpuE4ELNS1_3repE0EEENS1_30default_config_static_selectorELNS0_4arch9wavefront6targetE0EEEvSJ_.kd
    .uniform_work_group_size: 1
    .uses_dynamic_stack: false
    .vgpr_count:     0
    .vgpr_spill_count: 0
    .wavefront_size: 32
    .workgroup_processor_mode: 1
  - .args:
      - .offset:         0
        .size:           64
        .value_kind:     by_value
    .group_segment_fixed_size: 0
    .kernarg_segment_align: 8
    .kernarg_segment_size: 64
    .language:       OpenCL C
    .language_version:
      - 2
      - 0
    .max_flat_workgroup_size: 256
    .name:           _ZN7rocprim17ROCPRIM_400000_NS6detail17trampoline_kernelINS0_14default_configENS1_37merge_sort_block_sort_config_selectorIiNS0_10empty_typeEEEZNS1_21merge_sort_block_sortIS3_N6thrust23THRUST_200600_302600_NS6detail15normal_iteratorINS9_10device_ptrIiEEEESE_PS5_SF_17evens_before_oddsEE10hipError_tT0_T1_T2_T3_mRjT4_P12ihipStream_tbNS1_7vsmem_tEEUlT_E_NS1_11comp_targetILNS1_3genE9ELNS1_11target_archE1100ELNS1_3gpuE3ELNS1_3repE0EEENS1_30default_config_static_selectorELNS0_4arch9wavefront6targetE0EEEvSJ_
    .private_segment_fixed_size: 0
    .sgpr_count:     0
    .sgpr_spill_count: 0
    .symbol:         _ZN7rocprim17ROCPRIM_400000_NS6detail17trampoline_kernelINS0_14default_configENS1_37merge_sort_block_sort_config_selectorIiNS0_10empty_typeEEEZNS1_21merge_sort_block_sortIS3_N6thrust23THRUST_200600_302600_NS6detail15normal_iteratorINS9_10device_ptrIiEEEESE_PS5_SF_17evens_before_oddsEE10hipError_tT0_T1_T2_T3_mRjT4_P12ihipStream_tbNS1_7vsmem_tEEUlT_E_NS1_11comp_targetILNS1_3genE9ELNS1_11target_archE1100ELNS1_3gpuE3ELNS1_3repE0EEENS1_30default_config_static_selectorELNS0_4arch9wavefront6targetE0EEEvSJ_.kd
    .uniform_work_group_size: 1
    .uses_dynamic_stack: false
    .vgpr_count:     0
    .vgpr_spill_count: 0
    .wavefront_size: 32
    .workgroup_processor_mode: 1
  - .args:
      - .offset:         0
        .size:           64
        .value_kind:     by_value
      - .offset:         64
        .size:           4
        .value_kind:     hidden_block_count_x
      - .offset:         68
        .size:           4
        .value_kind:     hidden_block_count_y
      - .offset:         72
        .size:           4
        .value_kind:     hidden_block_count_z
      - .offset:         76
        .size:           2
        .value_kind:     hidden_group_size_x
      - .offset:         78
        .size:           2
        .value_kind:     hidden_group_size_y
      - .offset:         80
        .size:           2
        .value_kind:     hidden_group_size_z
      - .offset:         82
        .size:           2
        .value_kind:     hidden_remainder_x
      - .offset:         84
        .size:           2
        .value_kind:     hidden_remainder_y
      - .offset:         86
        .size:           2
        .value_kind:     hidden_remainder_z
      - .offset:         104
        .size:           8
        .value_kind:     hidden_global_offset_x
      - .offset:         112
        .size:           8
        .value_kind:     hidden_global_offset_y
      - .offset:         120
        .size:           8
        .value_kind:     hidden_global_offset_z
      - .offset:         128
        .size:           2
        .value_kind:     hidden_grid_dims
    .group_segment_fixed_size: 8448
    .kernarg_segment_align: 8
    .kernarg_segment_size: 320
    .language:       OpenCL C
    .language_version:
      - 2
      - 0
    .max_flat_workgroup_size: 256
    .name:           _ZN7rocprim17ROCPRIM_400000_NS6detail17trampoline_kernelINS0_14default_configENS1_37merge_sort_block_sort_config_selectorIiNS0_10empty_typeEEEZNS1_21merge_sort_block_sortIS3_N6thrust23THRUST_200600_302600_NS6detail15normal_iteratorINS9_10device_ptrIiEEEESE_PS5_SF_17evens_before_oddsEE10hipError_tT0_T1_T2_T3_mRjT4_P12ihipStream_tbNS1_7vsmem_tEEUlT_E_NS1_11comp_targetILNS1_3genE8ELNS1_11target_archE1030ELNS1_3gpuE2ELNS1_3repE0EEENS1_30default_config_static_selectorELNS0_4arch9wavefront6targetE0EEEvSJ_
    .private_segment_fixed_size: 0
    .sgpr_count:     24
    .sgpr_spill_count: 0
    .symbol:         _ZN7rocprim17ROCPRIM_400000_NS6detail17trampoline_kernelINS0_14default_configENS1_37merge_sort_block_sort_config_selectorIiNS0_10empty_typeEEEZNS1_21merge_sort_block_sortIS3_N6thrust23THRUST_200600_302600_NS6detail15normal_iteratorINS9_10device_ptrIiEEEESE_PS5_SF_17evens_before_oddsEE10hipError_tT0_T1_T2_T3_mRjT4_P12ihipStream_tbNS1_7vsmem_tEEUlT_E_NS1_11comp_targetILNS1_3genE8ELNS1_11target_archE1030ELNS1_3gpuE2ELNS1_3repE0EEENS1_30default_config_static_selectorELNS0_4arch9wavefront6targetE0EEEvSJ_.kd
    .uniform_work_group_size: 1
    .uses_dynamic_stack: false
    .vgpr_count:     50
    .vgpr_spill_count: 0
    .wavefront_size: 32
    .workgroup_processor_mode: 1
  - .args:
      - .offset:         0
        .size:           48
        .value_kind:     by_value
    .group_segment_fixed_size: 0
    .kernarg_segment_align: 8
    .kernarg_segment_size: 48
    .language:       OpenCL C
    .language_version:
      - 2
      - 0
    .max_flat_workgroup_size: 128
    .name:           _ZN7rocprim17ROCPRIM_400000_NS6detail17trampoline_kernelINS0_14default_configENS1_38merge_sort_block_merge_config_selectorIiNS0_10empty_typeEEEZZNS1_27merge_sort_block_merge_implIS3_N6thrust23THRUST_200600_302600_NS6detail15normal_iteratorINS9_10device_ptrIiEEEEPS5_m17evens_before_oddsEE10hipError_tT0_T1_T2_jT3_P12ihipStream_tbPNSt15iterator_traitsISI_E10value_typeEPNSO_ISJ_E10value_typeEPSK_NS1_7vsmem_tEENKUlT_SI_SJ_SK_E_clIPiSE_SF_SF_EESH_SX_SI_SJ_SK_EUlSX_E_NS1_11comp_targetILNS1_3genE0ELNS1_11target_archE4294967295ELNS1_3gpuE0ELNS1_3repE0EEENS1_48merge_mergepath_partition_config_static_selectorELNS0_4arch9wavefront6targetE0EEEvSJ_
    .private_segment_fixed_size: 0
    .sgpr_count:     0
    .sgpr_spill_count: 0
    .symbol:         _ZN7rocprim17ROCPRIM_400000_NS6detail17trampoline_kernelINS0_14default_configENS1_38merge_sort_block_merge_config_selectorIiNS0_10empty_typeEEEZZNS1_27merge_sort_block_merge_implIS3_N6thrust23THRUST_200600_302600_NS6detail15normal_iteratorINS9_10device_ptrIiEEEEPS5_m17evens_before_oddsEE10hipError_tT0_T1_T2_jT3_P12ihipStream_tbPNSt15iterator_traitsISI_E10value_typeEPNSO_ISJ_E10value_typeEPSK_NS1_7vsmem_tEENKUlT_SI_SJ_SK_E_clIPiSE_SF_SF_EESH_SX_SI_SJ_SK_EUlSX_E_NS1_11comp_targetILNS1_3genE0ELNS1_11target_archE4294967295ELNS1_3gpuE0ELNS1_3repE0EEENS1_48merge_mergepath_partition_config_static_selectorELNS0_4arch9wavefront6targetE0EEEvSJ_.kd
    .uniform_work_group_size: 1
    .uses_dynamic_stack: false
    .vgpr_count:     0
    .vgpr_spill_count: 0
    .wavefront_size: 32
    .workgroup_processor_mode: 1
  - .args:
      - .offset:         0
        .size:           48
        .value_kind:     by_value
    .group_segment_fixed_size: 0
    .kernarg_segment_align: 8
    .kernarg_segment_size: 48
    .language:       OpenCL C
    .language_version:
      - 2
      - 0
    .max_flat_workgroup_size: 128
    .name:           _ZN7rocprim17ROCPRIM_400000_NS6detail17trampoline_kernelINS0_14default_configENS1_38merge_sort_block_merge_config_selectorIiNS0_10empty_typeEEEZZNS1_27merge_sort_block_merge_implIS3_N6thrust23THRUST_200600_302600_NS6detail15normal_iteratorINS9_10device_ptrIiEEEEPS5_m17evens_before_oddsEE10hipError_tT0_T1_T2_jT3_P12ihipStream_tbPNSt15iterator_traitsISI_E10value_typeEPNSO_ISJ_E10value_typeEPSK_NS1_7vsmem_tEENKUlT_SI_SJ_SK_E_clIPiSE_SF_SF_EESH_SX_SI_SJ_SK_EUlSX_E_NS1_11comp_targetILNS1_3genE10ELNS1_11target_archE1201ELNS1_3gpuE5ELNS1_3repE0EEENS1_48merge_mergepath_partition_config_static_selectorELNS0_4arch9wavefront6targetE0EEEvSJ_
    .private_segment_fixed_size: 0
    .sgpr_count:     0
    .sgpr_spill_count: 0
    .symbol:         _ZN7rocprim17ROCPRIM_400000_NS6detail17trampoline_kernelINS0_14default_configENS1_38merge_sort_block_merge_config_selectorIiNS0_10empty_typeEEEZZNS1_27merge_sort_block_merge_implIS3_N6thrust23THRUST_200600_302600_NS6detail15normal_iteratorINS9_10device_ptrIiEEEEPS5_m17evens_before_oddsEE10hipError_tT0_T1_T2_jT3_P12ihipStream_tbPNSt15iterator_traitsISI_E10value_typeEPNSO_ISJ_E10value_typeEPSK_NS1_7vsmem_tEENKUlT_SI_SJ_SK_E_clIPiSE_SF_SF_EESH_SX_SI_SJ_SK_EUlSX_E_NS1_11comp_targetILNS1_3genE10ELNS1_11target_archE1201ELNS1_3gpuE5ELNS1_3repE0EEENS1_48merge_mergepath_partition_config_static_selectorELNS0_4arch9wavefront6targetE0EEEvSJ_.kd
    .uniform_work_group_size: 1
    .uses_dynamic_stack: false
    .vgpr_count:     0
    .vgpr_spill_count: 0
    .wavefront_size: 32
    .workgroup_processor_mode: 1
  - .args:
      - .offset:         0
        .size:           48
        .value_kind:     by_value
    .group_segment_fixed_size: 0
    .kernarg_segment_align: 8
    .kernarg_segment_size: 48
    .language:       OpenCL C
    .language_version:
      - 2
      - 0
    .max_flat_workgroup_size: 128
    .name:           _ZN7rocprim17ROCPRIM_400000_NS6detail17trampoline_kernelINS0_14default_configENS1_38merge_sort_block_merge_config_selectorIiNS0_10empty_typeEEEZZNS1_27merge_sort_block_merge_implIS3_N6thrust23THRUST_200600_302600_NS6detail15normal_iteratorINS9_10device_ptrIiEEEEPS5_m17evens_before_oddsEE10hipError_tT0_T1_T2_jT3_P12ihipStream_tbPNSt15iterator_traitsISI_E10value_typeEPNSO_ISJ_E10value_typeEPSK_NS1_7vsmem_tEENKUlT_SI_SJ_SK_E_clIPiSE_SF_SF_EESH_SX_SI_SJ_SK_EUlSX_E_NS1_11comp_targetILNS1_3genE5ELNS1_11target_archE942ELNS1_3gpuE9ELNS1_3repE0EEENS1_48merge_mergepath_partition_config_static_selectorELNS0_4arch9wavefront6targetE0EEEvSJ_
    .private_segment_fixed_size: 0
    .sgpr_count:     0
    .sgpr_spill_count: 0
    .symbol:         _ZN7rocprim17ROCPRIM_400000_NS6detail17trampoline_kernelINS0_14default_configENS1_38merge_sort_block_merge_config_selectorIiNS0_10empty_typeEEEZZNS1_27merge_sort_block_merge_implIS3_N6thrust23THRUST_200600_302600_NS6detail15normal_iteratorINS9_10device_ptrIiEEEEPS5_m17evens_before_oddsEE10hipError_tT0_T1_T2_jT3_P12ihipStream_tbPNSt15iterator_traitsISI_E10value_typeEPNSO_ISJ_E10value_typeEPSK_NS1_7vsmem_tEENKUlT_SI_SJ_SK_E_clIPiSE_SF_SF_EESH_SX_SI_SJ_SK_EUlSX_E_NS1_11comp_targetILNS1_3genE5ELNS1_11target_archE942ELNS1_3gpuE9ELNS1_3repE0EEENS1_48merge_mergepath_partition_config_static_selectorELNS0_4arch9wavefront6targetE0EEEvSJ_.kd
    .uniform_work_group_size: 1
    .uses_dynamic_stack: false
    .vgpr_count:     0
    .vgpr_spill_count: 0
    .wavefront_size: 32
    .workgroup_processor_mode: 1
  - .args:
      - .offset:         0
        .size:           48
        .value_kind:     by_value
    .group_segment_fixed_size: 0
    .kernarg_segment_align: 8
    .kernarg_segment_size: 48
    .language:       OpenCL C
    .language_version:
      - 2
      - 0
    .max_flat_workgroup_size: 128
    .name:           _ZN7rocprim17ROCPRIM_400000_NS6detail17trampoline_kernelINS0_14default_configENS1_38merge_sort_block_merge_config_selectorIiNS0_10empty_typeEEEZZNS1_27merge_sort_block_merge_implIS3_N6thrust23THRUST_200600_302600_NS6detail15normal_iteratorINS9_10device_ptrIiEEEEPS5_m17evens_before_oddsEE10hipError_tT0_T1_T2_jT3_P12ihipStream_tbPNSt15iterator_traitsISI_E10value_typeEPNSO_ISJ_E10value_typeEPSK_NS1_7vsmem_tEENKUlT_SI_SJ_SK_E_clIPiSE_SF_SF_EESH_SX_SI_SJ_SK_EUlSX_E_NS1_11comp_targetILNS1_3genE4ELNS1_11target_archE910ELNS1_3gpuE8ELNS1_3repE0EEENS1_48merge_mergepath_partition_config_static_selectorELNS0_4arch9wavefront6targetE0EEEvSJ_
    .private_segment_fixed_size: 0
    .sgpr_count:     0
    .sgpr_spill_count: 0
    .symbol:         _ZN7rocprim17ROCPRIM_400000_NS6detail17trampoline_kernelINS0_14default_configENS1_38merge_sort_block_merge_config_selectorIiNS0_10empty_typeEEEZZNS1_27merge_sort_block_merge_implIS3_N6thrust23THRUST_200600_302600_NS6detail15normal_iteratorINS9_10device_ptrIiEEEEPS5_m17evens_before_oddsEE10hipError_tT0_T1_T2_jT3_P12ihipStream_tbPNSt15iterator_traitsISI_E10value_typeEPNSO_ISJ_E10value_typeEPSK_NS1_7vsmem_tEENKUlT_SI_SJ_SK_E_clIPiSE_SF_SF_EESH_SX_SI_SJ_SK_EUlSX_E_NS1_11comp_targetILNS1_3genE4ELNS1_11target_archE910ELNS1_3gpuE8ELNS1_3repE0EEENS1_48merge_mergepath_partition_config_static_selectorELNS0_4arch9wavefront6targetE0EEEvSJ_.kd
    .uniform_work_group_size: 1
    .uses_dynamic_stack: false
    .vgpr_count:     0
    .vgpr_spill_count: 0
    .wavefront_size: 32
    .workgroup_processor_mode: 1
  - .args:
      - .offset:         0
        .size:           48
        .value_kind:     by_value
    .group_segment_fixed_size: 0
    .kernarg_segment_align: 8
    .kernarg_segment_size: 48
    .language:       OpenCL C
    .language_version:
      - 2
      - 0
    .max_flat_workgroup_size: 128
    .name:           _ZN7rocprim17ROCPRIM_400000_NS6detail17trampoline_kernelINS0_14default_configENS1_38merge_sort_block_merge_config_selectorIiNS0_10empty_typeEEEZZNS1_27merge_sort_block_merge_implIS3_N6thrust23THRUST_200600_302600_NS6detail15normal_iteratorINS9_10device_ptrIiEEEEPS5_m17evens_before_oddsEE10hipError_tT0_T1_T2_jT3_P12ihipStream_tbPNSt15iterator_traitsISI_E10value_typeEPNSO_ISJ_E10value_typeEPSK_NS1_7vsmem_tEENKUlT_SI_SJ_SK_E_clIPiSE_SF_SF_EESH_SX_SI_SJ_SK_EUlSX_E_NS1_11comp_targetILNS1_3genE3ELNS1_11target_archE908ELNS1_3gpuE7ELNS1_3repE0EEENS1_48merge_mergepath_partition_config_static_selectorELNS0_4arch9wavefront6targetE0EEEvSJ_
    .private_segment_fixed_size: 0
    .sgpr_count:     0
    .sgpr_spill_count: 0
    .symbol:         _ZN7rocprim17ROCPRIM_400000_NS6detail17trampoline_kernelINS0_14default_configENS1_38merge_sort_block_merge_config_selectorIiNS0_10empty_typeEEEZZNS1_27merge_sort_block_merge_implIS3_N6thrust23THRUST_200600_302600_NS6detail15normal_iteratorINS9_10device_ptrIiEEEEPS5_m17evens_before_oddsEE10hipError_tT0_T1_T2_jT3_P12ihipStream_tbPNSt15iterator_traitsISI_E10value_typeEPNSO_ISJ_E10value_typeEPSK_NS1_7vsmem_tEENKUlT_SI_SJ_SK_E_clIPiSE_SF_SF_EESH_SX_SI_SJ_SK_EUlSX_E_NS1_11comp_targetILNS1_3genE3ELNS1_11target_archE908ELNS1_3gpuE7ELNS1_3repE0EEENS1_48merge_mergepath_partition_config_static_selectorELNS0_4arch9wavefront6targetE0EEEvSJ_.kd
    .uniform_work_group_size: 1
    .uses_dynamic_stack: false
    .vgpr_count:     0
    .vgpr_spill_count: 0
    .wavefront_size: 32
    .workgroup_processor_mode: 1
  - .args:
      - .offset:         0
        .size:           48
        .value_kind:     by_value
    .group_segment_fixed_size: 0
    .kernarg_segment_align: 8
    .kernarg_segment_size: 48
    .language:       OpenCL C
    .language_version:
      - 2
      - 0
    .max_flat_workgroup_size: 128
    .name:           _ZN7rocprim17ROCPRIM_400000_NS6detail17trampoline_kernelINS0_14default_configENS1_38merge_sort_block_merge_config_selectorIiNS0_10empty_typeEEEZZNS1_27merge_sort_block_merge_implIS3_N6thrust23THRUST_200600_302600_NS6detail15normal_iteratorINS9_10device_ptrIiEEEEPS5_m17evens_before_oddsEE10hipError_tT0_T1_T2_jT3_P12ihipStream_tbPNSt15iterator_traitsISI_E10value_typeEPNSO_ISJ_E10value_typeEPSK_NS1_7vsmem_tEENKUlT_SI_SJ_SK_E_clIPiSE_SF_SF_EESH_SX_SI_SJ_SK_EUlSX_E_NS1_11comp_targetILNS1_3genE2ELNS1_11target_archE906ELNS1_3gpuE6ELNS1_3repE0EEENS1_48merge_mergepath_partition_config_static_selectorELNS0_4arch9wavefront6targetE0EEEvSJ_
    .private_segment_fixed_size: 0
    .sgpr_count:     0
    .sgpr_spill_count: 0
    .symbol:         _ZN7rocprim17ROCPRIM_400000_NS6detail17trampoline_kernelINS0_14default_configENS1_38merge_sort_block_merge_config_selectorIiNS0_10empty_typeEEEZZNS1_27merge_sort_block_merge_implIS3_N6thrust23THRUST_200600_302600_NS6detail15normal_iteratorINS9_10device_ptrIiEEEEPS5_m17evens_before_oddsEE10hipError_tT0_T1_T2_jT3_P12ihipStream_tbPNSt15iterator_traitsISI_E10value_typeEPNSO_ISJ_E10value_typeEPSK_NS1_7vsmem_tEENKUlT_SI_SJ_SK_E_clIPiSE_SF_SF_EESH_SX_SI_SJ_SK_EUlSX_E_NS1_11comp_targetILNS1_3genE2ELNS1_11target_archE906ELNS1_3gpuE6ELNS1_3repE0EEENS1_48merge_mergepath_partition_config_static_selectorELNS0_4arch9wavefront6targetE0EEEvSJ_.kd
    .uniform_work_group_size: 1
    .uses_dynamic_stack: false
    .vgpr_count:     0
    .vgpr_spill_count: 0
    .wavefront_size: 32
    .workgroup_processor_mode: 1
  - .args:
      - .offset:         0
        .size:           48
        .value_kind:     by_value
    .group_segment_fixed_size: 0
    .kernarg_segment_align: 8
    .kernarg_segment_size: 48
    .language:       OpenCL C
    .language_version:
      - 2
      - 0
    .max_flat_workgroup_size: 128
    .name:           _ZN7rocprim17ROCPRIM_400000_NS6detail17trampoline_kernelINS0_14default_configENS1_38merge_sort_block_merge_config_selectorIiNS0_10empty_typeEEEZZNS1_27merge_sort_block_merge_implIS3_N6thrust23THRUST_200600_302600_NS6detail15normal_iteratorINS9_10device_ptrIiEEEEPS5_m17evens_before_oddsEE10hipError_tT0_T1_T2_jT3_P12ihipStream_tbPNSt15iterator_traitsISI_E10value_typeEPNSO_ISJ_E10value_typeEPSK_NS1_7vsmem_tEENKUlT_SI_SJ_SK_E_clIPiSE_SF_SF_EESH_SX_SI_SJ_SK_EUlSX_E_NS1_11comp_targetILNS1_3genE9ELNS1_11target_archE1100ELNS1_3gpuE3ELNS1_3repE0EEENS1_48merge_mergepath_partition_config_static_selectorELNS0_4arch9wavefront6targetE0EEEvSJ_
    .private_segment_fixed_size: 0
    .sgpr_count:     0
    .sgpr_spill_count: 0
    .symbol:         _ZN7rocprim17ROCPRIM_400000_NS6detail17trampoline_kernelINS0_14default_configENS1_38merge_sort_block_merge_config_selectorIiNS0_10empty_typeEEEZZNS1_27merge_sort_block_merge_implIS3_N6thrust23THRUST_200600_302600_NS6detail15normal_iteratorINS9_10device_ptrIiEEEEPS5_m17evens_before_oddsEE10hipError_tT0_T1_T2_jT3_P12ihipStream_tbPNSt15iterator_traitsISI_E10value_typeEPNSO_ISJ_E10value_typeEPSK_NS1_7vsmem_tEENKUlT_SI_SJ_SK_E_clIPiSE_SF_SF_EESH_SX_SI_SJ_SK_EUlSX_E_NS1_11comp_targetILNS1_3genE9ELNS1_11target_archE1100ELNS1_3gpuE3ELNS1_3repE0EEENS1_48merge_mergepath_partition_config_static_selectorELNS0_4arch9wavefront6targetE0EEEvSJ_.kd
    .uniform_work_group_size: 1
    .uses_dynamic_stack: false
    .vgpr_count:     0
    .vgpr_spill_count: 0
    .wavefront_size: 32
    .workgroup_processor_mode: 1
  - .args:
      - .offset:         0
        .size:           48
        .value_kind:     by_value
    .group_segment_fixed_size: 0
    .kernarg_segment_align: 8
    .kernarg_segment_size: 48
    .language:       OpenCL C
    .language_version:
      - 2
      - 0
    .max_flat_workgroup_size: 128
    .name:           _ZN7rocprim17ROCPRIM_400000_NS6detail17trampoline_kernelINS0_14default_configENS1_38merge_sort_block_merge_config_selectorIiNS0_10empty_typeEEEZZNS1_27merge_sort_block_merge_implIS3_N6thrust23THRUST_200600_302600_NS6detail15normal_iteratorINS9_10device_ptrIiEEEEPS5_m17evens_before_oddsEE10hipError_tT0_T1_T2_jT3_P12ihipStream_tbPNSt15iterator_traitsISI_E10value_typeEPNSO_ISJ_E10value_typeEPSK_NS1_7vsmem_tEENKUlT_SI_SJ_SK_E_clIPiSE_SF_SF_EESH_SX_SI_SJ_SK_EUlSX_E_NS1_11comp_targetILNS1_3genE8ELNS1_11target_archE1030ELNS1_3gpuE2ELNS1_3repE0EEENS1_48merge_mergepath_partition_config_static_selectorELNS0_4arch9wavefront6targetE0EEEvSJ_
    .private_segment_fixed_size: 0
    .sgpr_count:     10
    .sgpr_spill_count: 0
    .symbol:         _ZN7rocprim17ROCPRIM_400000_NS6detail17trampoline_kernelINS0_14default_configENS1_38merge_sort_block_merge_config_selectorIiNS0_10empty_typeEEEZZNS1_27merge_sort_block_merge_implIS3_N6thrust23THRUST_200600_302600_NS6detail15normal_iteratorINS9_10device_ptrIiEEEEPS5_m17evens_before_oddsEE10hipError_tT0_T1_T2_jT3_P12ihipStream_tbPNSt15iterator_traitsISI_E10value_typeEPNSO_ISJ_E10value_typeEPSK_NS1_7vsmem_tEENKUlT_SI_SJ_SK_E_clIPiSE_SF_SF_EESH_SX_SI_SJ_SK_EUlSX_E_NS1_11comp_targetILNS1_3genE8ELNS1_11target_archE1030ELNS1_3gpuE2ELNS1_3repE0EEENS1_48merge_mergepath_partition_config_static_selectorELNS0_4arch9wavefront6targetE0EEEvSJ_.kd
    .uniform_work_group_size: 1
    .uses_dynamic_stack: false
    .vgpr_count:     18
    .vgpr_spill_count: 0
    .wavefront_size: 32
    .workgroup_processor_mode: 1
  - .args:
      - .offset:         0
        .size:           72
        .value_kind:     by_value
    .group_segment_fixed_size: 0
    .kernarg_segment_align: 8
    .kernarg_segment_size: 72
    .language:       OpenCL C
    .language_version:
      - 2
      - 0
    .max_flat_workgroup_size: 128
    .name:           _ZN7rocprim17ROCPRIM_400000_NS6detail17trampoline_kernelINS0_14default_configENS1_38merge_sort_block_merge_config_selectorIiNS0_10empty_typeEEEZZNS1_27merge_sort_block_merge_implIS3_N6thrust23THRUST_200600_302600_NS6detail15normal_iteratorINS9_10device_ptrIiEEEEPS5_m17evens_before_oddsEE10hipError_tT0_T1_T2_jT3_P12ihipStream_tbPNSt15iterator_traitsISI_E10value_typeEPNSO_ISJ_E10value_typeEPSK_NS1_7vsmem_tEENKUlT_SI_SJ_SK_E_clIPiSE_SF_SF_EESH_SX_SI_SJ_SK_EUlSX_E0_NS1_11comp_targetILNS1_3genE0ELNS1_11target_archE4294967295ELNS1_3gpuE0ELNS1_3repE0EEENS1_38merge_mergepath_config_static_selectorELNS0_4arch9wavefront6targetE0EEEvSJ_
    .private_segment_fixed_size: 0
    .sgpr_count:     0
    .sgpr_spill_count: 0
    .symbol:         _ZN7rocprim17ROCPRIM_400000_NS6detail17trampoline_kernelINS0_14default_configENS1_38merge_sort_block_merge_config_selectorIiNS0_10empty_typeEEEZZNS1_27merge_sort_block_merge_implIS3_N6thrust23THRUST_200600_302600_NS6detail15normal_iteratorINS9_10device_ptrIiEEEEPS5_m17evens_before_oddsEE10hipError_tT0_T1_T2_jT3_P12ihipStream_tbPNSt15iterator_traitsISI_E10value_typeEPNSO_ISJ_E10value_typeEPSK_NS1_7vsmem_tEENKUlT_SI_SJ_SK_E_clIPiSE_SF_SF_EESH_SX_SI_SJ_SK_EUlSX_E0_NS1_11comp_targetILNS1_3genE0ELNS1_11target_archE4294967295ELNS1_3gpuE0ELNS1_3repE0EEENS1_38merge_mergepath_config_static_selectorELNS0_4arch9wavefront6targetE0EEEvSJ_.kd
    .uniform_work_group_size: 1
    .uses_dynamic_stack: false
    .vgpr_count:     0
    .vgpr_spill_count: 0
    .wavefront_size: 32
    .workgroup_processor_mode: 1
  - .args:
      - .offset:         0
        .size:           72
        .value_kind:     by_value
    .group_segment_fixed_size: 0
    .kernarg_segment_align: 8
    .kernarg_segment_size: 72
    .language:       OpenCL C
    .language_version:
      - 2
      - 0
    .max_flat_workgroup_size: 256
    .name:           _ZN7rocprim17ROCPRIM_400000_NS6detail17trampoline_kernelINS0_14default_configENS1_38merge_sort_block_merge_config_selectorIiNS0_10empty_typeEEEZZNS1_27merge_sort_block_merge_implIS3_N6thrust23THRUST_200600_302600_NS6detail15normal_iteratorINS9_10device_ptrIiEEEEPS5_m17evens_before_oddsEE10hipError_tT0_T1_T2_jT3_P12ihipStream_tbPNSt15iterator_traitsISI_E10value_typeEPNSO_ISJ_E10value_typeEPSK_NS1_7vsmem_tEENKUlT_SI_SJ_SK_E_clIPiSE_SF_SF_EESH_SX_SI_SJ_SK_EUlSX_E0_NS1_11comp_targetILNS1_3genE10ELNS1_11target_archE1201ELNS1_3gpuE5ELNS1_3repE0EEENS1_38merge_mergepath_config_static_selectorELNS0_4arch9wavefront6targetE0EEEvSJ_
    .private_segment_fixed_size: 0
    .sgpr_count:     0
    .sgpr_spill_count: 0
    .symbol:         _ZN7rocprim17ROCPRIM_400000_NS6detail17trampoline_kernelINS0_14default_configENS1_38merge_sort_block_merge_config_selectorIiNS0_10empty_typeEEEZZNS1_27merge_sort_block_merge_implIS3_N6thrust23THRUST_200600_302600_NS6detail15normal_iteratorINS9_10device_ptrIiEEEEPS5_m17evens_before_oddsEE10hipError_tT0_T1_T2_jT3_P12ihipStream_tbPNSt15iterator_traitsISI_E10value_typeEPNSO_ISJ_E10value_typeEPSK_NS1_7vsmem_tEENKUlT_SI_SJ_SK_E_clIPiSE_SF_SF_EESH_SX_SI_SJ_SK_EUlSX_E0_NS1_11comp_targetILNS1_3genE10ELNS1_11target_archE1201ELNS1_3gpuE5ELNS1_3repE0EEENS1_38merge_mergepath_config_static_selectorELNS0_4arch9wavefront6targetE0EEEvSJ_.kd
    .uniform_work_group_size: 1
    .uses_dynamic_stack: false
    .vgpr_count:     0
    .vgpr_spill_count: 0
    .wavefront_size: 32
    .workgroup_processor_mode: 1
  - .args:
      - .offset:         0
        .size:           72
        .value_kind:     by_value
    .group_segment_fixed_size: 0
    .kernarg_segment_align: 8
    .kernarg_segment_size: 72
    .language:       OpenCL C
    .language_version:
      - 2
      - 0
    .max_flat_workgroup_size: 128
    .name:           _ZN7rocprim17ROCPRIM_400000_NS6detail17trampoline_kernelINS0_14default_configENS1_38merge_sort_block_merge_config_selectorIiNS0_10empty_typeEEEZZNS1_27merge_sort_block_merge_implIS3_N6thrust23THRUST_200600_302600_NS6detail15normal_iteratorINS9_10device_ptrIiEEEEPS5_m17evens_before_oddsEE10hipError_tT0_T1_T2_jT3_P12ihipStream_tbPNSt15iterator_traitsISI_E10value_typeEPNSO_ISJ_E10value_typeEPSK_NS1_7vsmem_tEENKUlT_SI_SJ_SK_E_clIPiSE_SF_SF_EESH_SX_SI_SJ_SK_EUlSX_E0_NS1_11comp_targetILNS1_3genE5ELNS1_11target_archE942ELNS1_3gpuE9ELNS1_3repE0EEENS1_38merge_mergepath_config_static_selectorELNS0_4arch9wavefront6targetE0EEEvSJ_
    .private_segment_fixed_size: 0
    .sgpr_count:     0
    .sgpr_spill_count: 0
    .symbol:         _ZN7rocprim17ROCPRIM_400000_NS6detail17trampoline_kernelINS0_14default_configENS1_38merge_sort_block_merge_config_selectorIiNS0_10empty_typeEEEZZNS1_27merge_sort_block_merge_implIS3_N6thrust23THRUST_200600_302600_NS6detail15normal_iteratorINS9_10device_ptrIiEEEEPS5_m17evens_before_oddsEE10hipError_tT0_T1_T2_jT3_P12ihipStream_tbPNSt15iterator_traitsISI_E10value_typeEPNSO_ISJ_E10value_typeEPSK_NS1_7vsmem_tEENKUlT_SI_SJ_SK_E_clIPiSE_SF_SF_EESH_SX_SI_SJ_SK_EUlSX_E0_NS1_11comp_targetILNS1_3genE5ELNS1_11target_archE942ELNS1_3gpuE9ELNS1_3repE0EEENS1_38merge_mergepath_config_static_selectorELNS0_4arch9wavefront6targetE0EEEvSJ_.kd
    .uniform_work_group_size: 1
    .uses_dynamic_stack: false
    .vgpr_count:     0
    .vgpr_spill_count: 0
    .wavefront_size: 32
    .workgroup_processor_mode: 1
  - .args:
      - .offset:         0
        .size:           72
        .value_kind:     by_value
    .group_segment_fixed_size: 0
    .kernarg_segment_align: 8
    .kernarg_segment_size: 72
    .language:       OpenCL C
    .language_version:
      - 2
      - 0
    .max_flat_workgroup_size: 128
    .name:           _ZN7rocprim17ROCPRIM_400000_NS6detail17trampoline_kernelINS0_14default_configENS1_38merge_sort_block_merge_config_selectorIiNS0_10empty_typeEEEZZNS1_27merge_sort_block_merge_implIS3_N6thrust23THRUST_200600_302600_NS6detail15normal_iteratorINS9_10device_ptrIiEEEEPS5_m17evens_before_oddsEE10hipError_tT0_T1_T2_jT3_P12ihipStream_tbPNSt15iterator_traitsISI_E10value_typeEPNSO_ISJ_E10value_typeEPSK_NS1_7vsmem_tEENKUlT_SI_SJ_SK_E_clIPiSE_SF_SF_EESH_SX_SI_SJ_SK_EUlSX_E0_NS1_11comp_targetILNS1_3genE4ELNS1_11target_archE910ELNS1_3gpuE8ELNS1_3repE0EEENS1_38merge_mergepath_config_static_selectorELNS0_4arch9wavefront6targetE0EEEvSJ_
    .private_segment_fixed_size: 0
    .sgpr_count:     0
    .sgpr_spill_count: 0
    .symbol:         _ZN7rocprim17ROCPRIM_400000_NS6detail17trampoline_kernelINS0_14default_configENS1_38merge_sort_block_merge_config_selectorIiNS0_10empty_typeEEEZZNS1_27merge_sort_block_merge_implIS3_N6thrust23THRUST_200600_302600_NS6detail15normal_iteratorINS9_10device_ptrIiEEEEPS5_m17evens_before_oddsEE10hipError_tT0_T1_T2_jT3_P12ihipStream_tbPNSt15iterator_traitsISI_E10value_typeEPNSO_ISJ_E10value_typeEPSK_NS1_7vsmem_tEENKUlT_SI_SJ_SK_E_clIPiSE_SF_SF_EESH_SX_SI_SJ_SK_EUlSX_E0_NS1_11comp_targetILNS1_3genE4ELNS1_11target_archE910ELNS1_3gpuE8ELNS1_3repE0EEENS1_38merge_mergepath_config_static_selectorELNS0_4arch9wavefront6targetE0EEEvSJ_.kd
    .uniform_work_group_size: 1
    .uses_dynamic_stack: false
    .vgpr_count:     0
    .vgpr_spill_count: 0
    .wavefront_size: 32
    .workgroup_processor_mode: 1
  - .args:
      - .offset:         0
        .size:           72
        .value_kind:     by_value
    .group_segment_fixed_size: 0
    .kernarg_segment_align: 8
    .kernarg_segment_size: 72
    .language:       OpenCL C
    .language_version:
      - 2
      - 0
    .max_flat_workgroup_size: 128
    .name:           _ZN7rocprim17ROCPRIM_400000_NS6detail17trampoline_kernelINS0_14default_configENS1_38merge_sort_block_merge_config_selectorIiNS0_10empty_typeEEEZZNS1_27merge_sort_block_merge_implIS3_N6thrust23THRUST_200600_302600_NS6detail15normal_iteratorINS9_10device_ptrIiEEEEPS5_m17evens_before_oddsEE10hipError_tT0_T1_T2_jT3_P12ihipStream_tbPNSt15iterator_traitsISI_E10value_typeEPNSO_ISJ_E10value_typeEPSK_NS1_7vsmem_tEENKUlT_SI_SJ_SK_E_clIPiSE_SF_SF_EESH_SX_SI_SJ_SK_EUlSX_E0_NS1_11comp_targetILNS1_3genE3ELNS1_11target_archE908ELNS1_3gpuE7ELNS1_3repE0EEENS1_38merge_mergepath_config_static_selectorELNS0_4arch9wavefront6targetE0EEEvSJ_
    .private_segment_fixed_size: 0
    .sgpr_count:     0
    .sgpr_spill_count: 0
    .symbol:         _ZN7rocprim17ROCPRIM_400000_NS6detail17trampoline_kernelINS0_14default_configENS1_38merge_sort_block_merge_config_selectorIiNS0_10empty_typeEEEZZNS1_27merge_sort_block_merge_implIS3_N6thrust23THRUST_200600_302600_NS6detail15normal_iteratorINS9_10device_ptrIiEEEEPS5_m17evens_before_oddsEE10hipError_tT0_T1_T2_jT3_P12ihipStream_tbPNSt15iterator_traitsISI_E10value_typeEPNSO_ISJ_E10value_typeEPSK_NS1_7vsmem_tEENKUlT_SI_SJ_SK_E_clIPiSE_SF_SF_EESH_SX_SI_SJ_SK_EUlSX_E0_NS1_11comp_targetILNS1_3genE3ELNS1_11target_archE908ELNS1_3gpuE7ELNS1_3repE0EEENS1_38merge_mergepath_config_static_selectorELNS0_4arch9wavefront6targetE0EEEvSJ_.kd
    .uniform_work_group_size: 1
    .uses_dynamic_stack: false
    .vgpr_count:     0
    .vgpr_spill_count: 0
    .wavefront_size: 32
    .workgroup_processor_mode: 1
  - .args:
      - .offset:         0
        .size:           72
        .value_kind:     by_value
    .group_segment_fixed_size: 0
    .kernarg_segment_align: 8
    .kernarg_segment_size: 72
    .language:       OpenCL C
    .language_version:
      - 2
      - 0
    .max_flat_workgroup_size: 128
    .name:           _ZN7rocprim17ROCPRIM_400000_NS6detail17trampoline_kernelINS0_14default_configENS1_38merge_sort_block_merge_config_selectorIiNS0_10empty_typeEEEZZNS1_27merge_sort_block_merge_implIS3_N6thrust23THRUST_200600_302600_NS6detail15normal_iteratorINS9_10device_ptrIiEEEEPS5_m17evens_before_oddsEE10hipError_tT0_T1_T2_jT3_P12ihipStream_tbPNSt15iterator_traitsISI_E10value_typeEPNSO_ISJ_E10value_typeEPSK_NS1_7vsmem_tEENKUlT_SI_SJ_SK_E_clIPiSE_SF_SF_EESH_SX_SI_SJ_SK_EUlSX_E0_NS1_11comp_targetILNS1_3genE2ELNS1_11target_archE906ELNS1_3gpuE6ELNS1_3repE0EEENS1_38merge_mergepath_config_static_selectorELNS0_4arch9wavefront6targetE0EEEvSJ_
    .private_segment_fixed_size: 0
    .sgpr_count:     0
    .sgpr_spill_count: 0
    .symbol:         _ZN7rocprim17ROCPRIM_400000_NS6detail17trampoline_kernelINS0_14default_configENS1_38merge_sort_block_merge_config_selectorIiNS0_10empty_typeEEEZZNS1_27merge_sort_block_merge_implIS3_N6thrust23THRUST_200600_302600_NS6detail15normal_iteratorINS9_10device_ptrIiEEEEPS5_m17evens_before_oddsEE10hipError_tT0_T1_T2_jT3_P12ihipStream_tbPNSt15iterator_traitsISI_E10value_typeEPNSO_ISJ_E10value_typeEPSK_NS1_7vsmem_tEENKUlT_SI_SJ_SK_E_clIPiSE_SF_SF_EESH_SX_SI_SJ_SK_EUlSX_E0_NS1_11comp_targetILNS1_3genE2ELNS1_11target_archE906ELNS1_3gpuE6ELNS1_3repE0EEENS1_38merge_mergepath_config_static_selectorELNS0_4arch9wavefront6targetE0EEEvSJ_.kd
    .uniform_work_group_size: 1
    .uses_dynamic_stack: false
    .vgpr_count:     0
    .vgpr_spill_count: 0
    .wavefront_size: 32
    .workgroup_processor_mode: 1
  - .args:
      - .offset:         0
        .size:           72
        .value_kind:     by_value
    .group_segment_fixed_size: 0
    .kernarg_segment_align: 8
    .kernarg_segment_size: 72
    .language:       OpenCL C
    .language_version:
      - 2
      - 0
    .max_flat_workgroup_size: 256
    .name:           _ZN7rocprim17ROCPRIM_400000_NS6detail17trampoline_kernelINS0_14default_configENS1_38merge_sort_block_merge_config_selectorIiNS0_10empty_typeEEEZZNS1_27merge_sort_block_merge_implIS3_N6thrust23THRUST_200600_302600_NS6detail15normal_iteratorINS9_10device_ptrIiEEEEPS5_m17evens_before_oddsEE10hipError_tT0_T1_T2_jT3_P12ihipStream_tbPNSt15iterator_traitsISI_E10value_typeEPNSO_ISJ_E10value_typeEPSK_NS1_7vsmem_tEENKUlT_SI_SJ_SK_E_clIPiSE_SF_SF_EESH_SX_SI_SJ_SK_EUlSX_E0_NS1_11comp_targetILNS1_3genE9ELNS1_11target_archE1100ELNS1_3gpuE3ELNS1_3repE0EEENS1_38merge_mergepath_config_static_selectorELNS0_4arch9wavefront6targetE0EEEvSJ_
    .private_segment_fixed_size: 0
    .sgpr_count:     0
    .sgpr_spill_count: 0
    .symbol:         _ZN7rocprim17ROCPRIM_400000_NS6detail17trampoline_kernelINS0_14default_configENS1_38merge_sort_block_merge_config_selectorIiNS0_10empty_typeEEEZZNS1_27merge_sort_block_merge_implIS3_N6thrust23THRUST_200600_302600_NS6detail15normal_iteratorINS9_10device_ptrIiEEEEPS5_m17evens_before_oddsEE10hipError_tT0_T1_T2_jT3_P12ihipStream_tbPNSt15iterator_traitsISI_E10value_typeEPNSO_ISJ_E10value_typeEPSK_NS1_7vsmem_tEENKUlT_SI_SJ_SK_E_clIPiSE_SF_SF_EESH_SX_SI_SJ_SK_EUlSX_E0_NS1_11comp_targetILNS1_3genE9ELNS1_11target_archE1100ELNS1_3gpuE3ELNS1_3repE0EEENS1_38merge_mergepath_config_static_selectorELNS0_4arch9wavefront6targetE0EEEvSJ_.kd
    .uniform_work_group_size: 1
    .uses_dynamic_stack: false
    .vgpr_count:     0
    .vgpr_spill_count: 0
    .wavefront_size: 32
    .workgroup_processor_mode: 1
  - .args:
      - .offset:         0
        .size:           72
        .value_kind:     by_value
      - .offset:         72
        .size:           4
        .value_kind:     hidden_block_count_x
      - .offset:         76
        .size:           4
        .value_kind:     hidden_block_count_y
      - .offset:         80
        .size:           4
        .value_kind:     hidden_block_count_z
      - .offset:         84
        .size:           2
        .value_kind:     hidden_group_size_x
      - .offset:         86
        .size:           2
        .value_kind:     hidden_group_size_y
      - .offset:         88
        .size:           2
        .value_kind:     hidden_group_size_z
      - .offset:         90
        .size:           2
        .value_kind:     hidden_remainder_x
      - .offset:         92
        .size:           2
        .value_kind:     hidden_remainder_y
      - .offset:         94
        .size:           2
        .value_kind:     hidden_remainder_z
      - .offset:         112
        .size:           8
        .value_kind:     hidden_global_offset_x
      - .offset:         120
        .size:           8
        .value_kind:     hidden_global_offset_y
      - .offset:         128
        .size:           8
        .value_kind:     hidden_global_offset_z
      - .offset:         136
        .size:           2
        .value_kind:     hidden_grid_dims
    .group_segment_fixed_size: 4224
    .kernarg_segment_align: 8
    .kernarg_segment_size: 328
    .language:       OpenCL C
    .language_version:
      - 2
      - 0
    .max_flat_workgroup_size: 512
    .name:           _ZN7rocprim17ROCPRIM_400000_NS6detail17trampoline_kernelINS0_14default_configENS1_38merge_sort_block_merge_config_selectorIiNS0_10empty_typeEEEZZNS1_27merge_sort_block_merge_implIS3_N6thrust23THRUST_200600_302600_NS6detail15normal_iteratorINS9_10device_ptrIiEEEEPS5_m17evens_before_oddsEE10hipError_tT0_T1_T2_jT3_P12ihipStream_tbPNSt15iterator_traitsISI_E10value_typeEPNSO_ISJ_E10value_typeEPSK_NS1_7vsmem_tEENKUlT_SI_SJ_SK_E_clIPiSE_SF_SF_EESH_SX_SI_SJ_SK_EUlSX_E0_NS1_11comp_targetILNS1_3genE8ELNS1_11target_archE1030ELNS1_3gpuE2ELNS1_3repE0EEENS1_38merge_mergepath_config_static_selectorELNS0_4arch9wavefront6targetE0EEEvSJ_
    .private_segment_fixed_size: 0
    .sgpr_count:     33
    .sgpr_spill_count: 0
    .symbol:         _ZN7rocprim17ROCPRIM_400000_NS6detail17trampoline_kernelINS0_14default_configENS1_38merge_sort_block_merge_config_selectorIiNS0_10empty_typeEEEZZNS1_27merge_sort_block_merge_implIS3_N6thrust23THRUST_200600_302600_NS6detail15normal_iteratorINS9_10device_ptrIiEEEEPS5_m17evens_before_oddsEE10hipError_tT0_T1_T2_jT3_P12ihipStream_tbPNSt15iterator_traitsISI_E10value_typeEPNSO_ISJ_E10value_typeEPSK_NS1_7vsmem_tEENKUlT_SI_SJ_SK_E_clIPiSE_SF_SF_EESH_SX_SI_SJ_SK_EUlSX_E0_NS1_11comp_targetILNS1_3genE8ELNS1_11target_archE1030ELNS1_3gpuE2ELNS1_3repE0EEENS1_38merge_mergepath_config_static_selectorELNS0_4arch9wavefront6targetE0EEEvSJ_.kd
    .uniform_work_group_size: 1
    .uses_dynamic_stack: false
    .vgpr_count:     15
    .vgpr_spill_count: 0
    .wavefront_size: 32
    .workgroup_processor_mode: 1
  - .args:
      - .offset:         0
        .size:           56
        .value_kind:     by_value
    .group_segment_fixed_size: 0
    .kernarg_segment_align: 8
    .kernarg_segment_size: 56
    .language:       OpenCL C
    .language_version:
      - 2
      - 0
    .max_flat_workgroup_size: 256
    .name:           _ZN7rocprim17ROCPRIM_400000_NS6detail17trampoline_kernelINS0_14default_configENS1_38merge_sort_block_merge_config_selectorIiNS0_10empty_typeEEEZZNS1_27merge_sort_block_merge_implIS3_N6thrust23THRUST_200600_302600_NS6detail15normal_iteratorINS9_10device_ptrIiEEEEPS5_m17evens_before_oddsEE10hipError_tT0_T1_T2_jT3_P12ihipStream_tbPNSt15iterator_traitsISI_E10value_typeEPNSO_ISJ_E10value_typeEPSK_NS1_7vsmem_tEENKUlT_SI_SJ_SK_E_clIPiSE_SF_SF_EESH_SX_SI_SJ_SK_EUlSX_E1_NS1_11comp_targetILNS1_3genE0ELNS1_11target_archE4294967295ELNS1_3gpuE0ELNS1_3repE0EEENS1_36merge_oddeven_config_static_selectorELNS0_4arch9wavefront6targetE0EEEvSJ_
    .private_segment_fixed_size: 0
    .sgpr_count:     0
    .sgpr_spill_count: 0
    .symbol:         _ZN7rocprim17ROCPRIM_400000_NS6detail17trampoline_kernelINS0_14default_configENS1_38merge_sort_block_merge_config_selectorIiNS0_10empty_typeEEEZZNS1_27merge_sort_block_merge_implIS3_N6thrust23THRUST_200600_302600_NS6detail15normal_iteratorINS9_10device_ptrIiEEEEPS5_m17evens_before_oddsEE10hipError_tT0_T1_T2_jT3_P12ihipStream_tbPNSt15iterator_traitsISI_E10value_typeEPNSO_ISJ_E10value_typeEPSK_NS1_7vsmem_tEENKUlT_SI_SJ_SK_E_clIPiSE_SF_SF_EESH_SX_SI_SJ_SK_EUlSX_E1_NS1_11comp_targetILNS1_3genE0ELNS1_11target_archE4294967295ELNS1_3gpuE0ELNS1_3repE0EEENS1_36merge_oddeven_config_static_selectorELNS0_4arch9wavefront6targetE0EEEvSJ_.kd
    .uniform_work_group_size: 1
    .uses_dynamic_stack: false
    .vgpr_count:     0
    .vgpr_spill_count: 0
    .wavefront_size: 32
    .workgroup_processor_mode: 1
  - .args:
      - .offset:         0
        .size:           56
        .value_kind:     by_value
    .group_segment_fixed_size: 0
    .kernarg_segment_align: 8
    .kernarg_segment_size: 56
    .language:       OpenCL C
    .language_version:
      - 2
      - 0
    .max_flat_workgroup_size: 256
    .name:           _ZN7rocprim17ROCPRIM_400000_NS6detail17trampoline_kernelINS0_14default_configENS1_38merge_sort_block_merge_config_selectorIiNS0_10empty_typeEEEZZNS1_27merge_sort_block_merge_implIS3_N6thrust23THRUST_200600_302600_NS6detail15normal_iteratorINS9_10device_ptrIiEEEEPS5_m17evens_before_oddsEE10hipError_tT0_T1_T2_jT3_P12ihipStream_tbPNSt15iterator_traitsISI_E10value_typeEPNSO_ISJ_E10value_typeEPSK_NS1_7vsmem_tEENKUlT_SI_SJ_SK_E_clIPiSE_SF_SF_EESH_SX_SI_SJ_SK_EUlSX_E1_NS1_11comp_targetILNS1_3genE10ELNS1_11target_archE1201ELNS1_3gpuE5ELNS1_3repE0EEENS1_36merge_oddeven_config_static_selectorELNS0_4arch9wavefront6targetE0EEEvSJ_
    .private_segment_fixed_size: 0
    .sgpr_count:     0
    .sgpr_spill_count: 0
    .symbol:         _ZN7rocprim17ROCPRIM_400000_NS6detail17trampoline_kernelINS0_14default_configENS1_38merge_sort_block_merge_config_selectorIiNS0_10empty_typeEEEZZNS1_27merge_sort_block_merge_implIS3_N6thrust23THRUST_200600_302600_NS6detail15normal_iteratorINS9_10device_ptrIiEEEEPS5_m17evens_before_oddsEE10hipError_tT0_T1_T2_jT3_P12ihipStream_tbPNSt15iterator_traitsISI_E10value_typeEPNSO_ISJ_E10value_typeEPSK_NS1_7vsmem_tEENKUlT_SI_SJ_SK_E_clIPiSE_SF_SF_EESH_SX_SI_SJ_SK_EUlSX_E1_NS1_11comp_targetILNS1_3genE10ELNS1_11target_archE1201ELNS1_3gpuE5ELNS1_3repE0EEENS1_36merge_oddeven_config_static_selectorELNS0_4arch9wavefront6targetE0EEEvSJ_.kd
    .uniform_work_group_size: 1
    .uses_dynamic_stack: false
    .vgpr_count:     0
    .vgpr_spill_count: 0
    .wavefront_size: 32
    .workgroup_processor_mode: 1
  - .args:
      - .offset:         0
        .size:           56
        .value_kind:     by_value
    .group_segment_fixed_size: 0
    .kernarg_segment_align: 8
    .kernarg_segment_size: 56
    .language:       OpenCL C
    .language_version:
      - 2
      - 0
    .max_flat_workgroup_size: 256
    .name:           _ZN7rocprim17ROCPRIM_400000_NS6detail17trampoline_kernelINS0_14default_configENS1_38merge_sort_block_merge_config_selectorIiNS0_10empty_typeEEEZZNS1_27merge_sort_block_merge_implIS3_N6thrust23THRUST_200600_302600_NS6detail15normal_iteratorINS9_10device_ptrIiEEEEPS5_m17evens_before_oddsEE10hipError_tT0_T1_T2_jT3_P12ihipStream_tbPNSt15iterator_traitsISI_E10value_typeEPNSO_ISJ_E10value_typeEPSK_NS1_7vsmem_tEENKUlT_SI_SJ_SK_E_clIPiSE_SF_SF_EESH_SX_SI_SJ_SK_EUlSX_E1_NS1_11comp_targetILNS1_3genE5ELNS1_11target_archE942ELNS1_3gpuE9ELNS1_3repE0EEENS1_36merge_oddeven_config_static_selectorELNS0_4arch9wavefront6targetE0EEEvSJ_
    .private_segment_fixed_size: 0
    .sgpr_count:     0
    .sgpr_spill_count: 0
    .symbol:         _ZN7rocprim17ROCPRIM_400000_NS6detail17trampoline_kernelINS0_14default_configENS1_38merge_sort_block_merge_config_selectorIiNS0_10empty_typeEEEZZNS1_27merge_sort_block_merge_implIS3_N6thrust23THRUST_200600_302600_NS6detail15normal_iteratorINS9_10device_ptrIiEEEEPS5_m17evens_before_oddsEE10hipError_tT0_T1_T2_jT3_P12ihipStream_tbPNSt15iterator_traitsISI_E10value_typeEPNSO_ISJ_E10value_typeEPSK_NS1_7vsmem_tEENKUlT_SI_SJ_SK_E_clIPiSE_SF_SF_EESH_SX_SI_SJ_SK_EUlSX_E1_NS1_11comp_targetILNS1_3genE5ELNS1_11target_archE942ELNS1_3gpuE9ELNS1_3repE0EEENS1_36merge_oddeven_config_static_selectorELNS0_4arch9wavefront6targetE0EEEvSJ_.kd
    .uniform_work_group_size: 1
    .uses_dynamic_stack: false
    .vgpr_count:     0
    .vgpr_spill_count: 0
    .wavefront_size: 32
    .workgroup_processor_mode: 1
  - .args:
      - .offset:         0
        .size:           56
        .value_kind:     by_value
    .group_segment_fixed_size: 0
    .kernarg_segment_align: 8
    .kernarg_segment_size: 56
    .language:       OpenCL C
    .language_version:
      - 2
      - 0
    .max_flat_workgroup_size: 256
    .name:           _ZN7rocprim17ROCPRIM_400000_NS6detail17trampoline_kernelINS0_14default_configENS1_38merge_sort_block_merge_config_selectorIiNS0_10empty_typeEEEZZNS1_27merge_sort_block_merge_implIS3_N6thrust23THRUST_200600_302600_NS6detail15normal_iteratorINS9_10device_ptrIiEEEEPS5_m17evens_before_oddsEE10hipError_tT0_T1_T2_jT3_P12ihipStream_tbPNSt15iterator_traitsISI_E10value_typeEPNSO_ISJ_E10value_typeEPSK_NS1_7vsmem_tEENKUlT_SI_SJ_SK_E_clIPiSE_SF_SF_EESH_SX_SI_SJ_SK_EUlSX_E1_NS1_11comp_targetILNS1_3genE4ELNS1_11target_archE910ELNS1_3gpuE8ELNS1_3repE0EEENS1_36merge_oddeven_config_static_selectorELNS0_4arch9wavefront6targetE0EEEvSJ_
    .private_segment_fixed_size: 0
    .sgpr_count:     0
    .sgpr_spill_count: 0
    .symbol:         _ZN7rocprim17ROCPRIM_400000_NS6detail17trampoline_kernelINS0_14default_configENS1_38merge_sort_block_merge_config_selectorIiNS0_10empty_typeEEEZZNS1_27merge_sort_block_merge_implIS3_N6thrust23THRUST_200600_302600_NS6detail15normal_iteratorINS9_10device_ptrIiEEEEPS5_m17evens_before_oddsEE10hipError_tT0_T1_T2_jT3_P12ihipStream_tbPNSt15iterator_traitsISI_E10value_typeEPNSO_ISJ_E10value_typeEPSK_NS1_7vsmem_tEENKUlT_SI_SJ_SK_E_clIPiSE_SF_SF_EESH_SX_SI_SJ_SK_EUlSX_E1_NS1_11comp_targetILNS1_3genE4ELNS1_11target_archE910ELNS1_3gpuE8ELNS1_3repE0EEENS1_36merge_oddeven_config_static_selectorELNS0_4arch9wavefront6targetE0EEEvSJ_.kd
    .uniform_work_group_size: 1
    .uses_dynamic_stack: false
    .vgpr_count:     0
    .vgpr_spill_count: 0
    .wavefront_size: 32
    .workgroup_processor_mode: 1
  - .args:
      - .offset:         0
        .size:           56
        .value_kind:     by_value
    .group_segment_fixed_size: 0
    .kernarg_segment_align: 8
    .kernarg_segment_size: 56
    .language:       OpenCL C
    .language_version:
      - 2
      - 0
    .max_flat_workgroup_size: 256
    .name:           _ZN7rocprim17ROCPRIM_400000_NS6detail17trampoline_kernelINS0_14default_configENS1_38merge_sort_block_merge_config_selectorIiNS0_10empty_typeEEEZZNS1_27merge_sort_block_merge_implIS3_N6thrust23THRUST_200600_302600_NS6detail15normal_iteratorINS9_10device_ptrIiEEEEPS5_m17evens_before_oddsEE10hipError_tT0_T1_T2_jT3_P12ihipStream_tbPNSt15iterator_traitsISI_E10value_typeEPNSO_ISJ_E10value_typeEPSK_NS1_7vsmem_tEENKUlT_SI_SJ_SK_E_clIPiSE_SF_SF_EESH_SX_SI_SJ_SK_EUlSX_E1_NS1_11comp_targetILNS1_3genE3ELNS1_11target_archE908ELNS1_3gpuE7ELNS1_3repE0EEENS1_36merge_oddeven_config_static_selectorELNS0_4arch9wavefront6targetE0EEEvSJ_
    .private_segment_fixed_size: 0
    .sgpr_count:     0
    .sgpr_spill_count: 0
    .symbol:         _ZN7rocprim17ROCPRIM_400000_NS6detail17trampoline_kernelINS0_14default_configENS1_38merge_sort_block_merge_config_selectorIiNS0_10empty_typeEEEZZNS1_27merge_sort_block_merge_implIS3_N6thrust23THRUST_200600_302600_NS6detail15normal_iteratorINS9_10device_ptrIiEEEEPS5_m17evens_before_oddsEE10hipError_tT0_T1_T2_jT3_P12ihipStream_tbPNSt15iterator_traitsISI_E10value_typeEPNSO_ISJ_E10value_typeEPSK_NS1_7vsmem_tEENKUlT_SI_SJ_SK_E_clIPiSE_SF_SF_EESH_SX_SI_SJ_SK_EUlSX_E1_NS1_11comp_targetILNS1_3genE3ELNS1_11target_archE908ELNS1_3gpuE7ELNS1_3repE0EEENS1_36merge_oddeven_config_static_selectorELNS0_4arch9wavefront6targetE0EEEvSJ_.kd
    .uniform_work_group_size: 1
    .uses_dynamic_stack: false
    .vgpr_count:     0
    .vgpr_spill_count: 0
    .wavefront_size: 32
    .workgroup_processor_mode: 1
  - .args:
      - .offset:         0
        .size:           56
        .value_kind:     by_value
    .group_segment_fixed_size: 0
    .kernarg_segment_align: 8
    .kernarg_segment_size: 56
    .language:       OpenCL C
    .language_version:
      - 2
      - 0
    .max_flat_workgroup_size: 256
    .name:           _ZN7rocprim17ROCPRIM_400000_NS6detail17trampoline_kernelINS0_14default_configENS1_38merge_sort_block_merge_config_selectorIiNS0_10empty_typeEEEZZNS1_27merge_sort_block_merge_implIS3_N6thrust23THRUST_200600_302600_NS6detail15normal_iteratorINS9_10device_ptrIiEEEEPS5_m17evens_before_oddsEE10hipError_tT0_T1_T2_jT3_P12ihipStream_tbPNSt15iterator_traitsISI_E10value_typeEPNSO_ISJ_E10value_typeEPSK_NS1_7vsmem_tEENKUlT_SI_SJ_SK_E_clIPiSE_SF_SF_EESH_SX_SI_SJ_SK_EUlSX_E1_NS1_11comp_targetILNS1_3genE2ELNS1_11target_archE906ELNS1_3gpuE6ELNS1_3repE0EEENS1_36merge_oddeven_config_static_selectorELNS0_4arch9wavefront6targetE0EEEvSJ_
    .private_segment_fixed_size: 0
    .sgpr_count:     0
    .sgpr_spill_count: 0
    .symbol:         _ZN7rocprim17ROCPRIM_400000_NS6detail17trampoline_kernelINS0_14default_configENS1_38merge_sort_block_merge_config_selectorIiNS0_10empty_typeEEEZZNS1_27merge_sort_block_merge_implIS3_N6thrust23THRUST_200600_302600_NS6detail15normal_iteratorINS9_10device_ptrIiEEEEPS5_m17evens_before_oddsEE10hipError_tT0_T1_T2_jT3_P12ihipStream_tbPNSt15iterator_traitsISI_E10value_typeEPNSO_ISJ_E10value_typeEPSK_NS1_7vsmem_tEENKUlT_SI_SJ_SK_E_clIPiSE_SF_SF_EESH_SX_SI_SJ_SK_EUlSX_E1_NS1_11comp_targetILNS1_3genE2ELNS1_11target_archE906ELNS1_3gpuE6ELNS1_3repE0EEENS1_36merge_oddeven_config_static_selectorELNS0_4arch9wavefront6targetE0EEEvSJ_.kd
    .uniform_work_group_size: 1
    .uses_dynamic_stack: false
    .vgpr_count:     0
    .vgpr_spill_count: 0
    .wavefront_size: 32
    .workgroup_processor_mode: 1
  - .args:
      - .offset:         0
        .size:           56
        .value_kind:     by_value
    .group_segment_fixed_size: 0
    .kernarg_segment_align: 8
    .kernarg_segment_size: 56
    .language:       OpenCL C
    .language_version:
      - 2
      - 0
    .max_flat_workgroup_size: 256
    .name:           _ZN7rocprim17ROCPRIM_400000_NS6detail17trampoline_kernelINS0_14default_configENS1_38merge_sort_block_merge_config_selectorIiNS0_10empty_typeEEEZZNS1_27merge_sort_block_merge_implIS3_N6thrust23THRUST_200600_302600_NS6detail15normal_iteratorINS9_10device_ptrIiEEEEPS5_m17evens_before_oddsEE10hipError_tT0_T1_T2_jT3_P12ihipStream_tbPNSt15iterator_traitsISI_E10value_typeEPNSO_ISJ_E10value_typeEPSK_NS1_7vsmem_tEENKUlT_SI_SJ_SK_E_clIPiSE_SF_SF_EESH_SX_SI_SJ_SK_EUlSX_E1_NS1_11comp_targetILNS1_3genE9ELNS1_11target_archE1100ELNS1_3gpuE3ELNS1_3repE0EEENS1_36merge_oddeven_config_static_selectorELNS0_4arch9wavefront6targetE0EEEvSJ_
    .private_segment_fixed_size: 0
    .sgpr_count:     0
    .sgpr_spill_count: 0
    .symbol:         _ZN7rocprim17ROCPRIM_400000_NS6detail17trampoline_kernelINS0_14default_configENS1_38merge_sort_block_merge_config_selectorIiNS0_10empty_typeEEEZZNS1_27merge_sort_block_merge_implIS3_N6thrust23THRUST_200600_302600_NS6detail15normal_iteratorINS9_10device_ptrIiEEEEPS5_m17evens_before_oddsEE10hipError_tT0_T1_T2_jT3_P12ihipStream_tbPNSt15iterator_traitsISI_E10value_typeEPNSO_ISJ_E10value_typeEPSK_NS1_7vsmem_tEENKUlT_SI_SJ_SK_E_clIPiSE_SF_SF_EESH_SX_SI_SJ_SK_EUlSX_E1_NS1_11comp_targetILNS1_3genE9ELNS1_11target_archE1100ELNS1_3gpuE3ELNS1_3repE0EEENS1_36merge_oddeven_config_static_selectorELNS0_4arch9wavefront6targetE0EEEvSJ_.kd
    .uniform_work_group_size: 1
    .uses_dynamic_stack: false
    .vgpr_count:     0
    .vgpr_spill_count: 0
    .wavefront_size: 32
    .workgroup_processor_mode: 1
  - .args:
      - .offset:         0
        .size:           56
        .value_kind:     by_value
    .group_segment_fixed_size: 0
    .kernarg_segment_align: 8
    .kernarg_segment_size: 56
    .language:       OpenCL C
    .language_version:
      - 2
      - 0
    .max_flat_workgroup_size: 256
    .name:           _ZN7rocprim17ROCPRIM_400000_NS6detail17trampoline_kernelINS0_14default_configENS1_38merge_sort_block_merge_config_selectorIiNS0_10empty_typeEEEZZNS1_27merge_sort_block_merge_implIS3_N6thrust23THRUST_200600_302600_NS6detail15normal_iteratorINS9_10device_ptrIiEEEEPS5_m17evens_before_oddsEE10hipError_tT0_T1_T2_jT3_P12ihipStream_tbPNSt15iterator_traitsISI_E10value_typeEPNSO_ISJ_E10value_typeEPSK_NS1_7vsmem_tEENKUlT_SI_SJ_SK_E_clIPiSE_SF_SF_EESH_SX_SI_SJ_SK_EUlSX_E1_NS1_11comp_targetILNS1_3genE8ELNS1_11target_archE1030ELNS1_3gpuE2ELNS1_3repE0EEENS1_36merge_oddeven_config_static_selectorELNS0_4arch9wavefront6targetE0EEEvSJ_
    .private_segment_fixed_size: 0
    .sgpr_count:     18
    .sgpr_spill_count: 0
    .symbol:         _ZN7rocprim17ROCPRIM_400000_NS6detail17trampoline_kernelINS0_14default_configENS1_38merge_sort_block_merge_config_selectorIiNS0_10empty_typeEEEZZNS1_27merge_sort_block_merge_implIS3_N6thrust23THRUST_200600_302600_NS6detail15normal_iteratorINS9_10device_ptrIiEEEEPS5_m17evens_before_oddsEE10hipError_tT0_T1_T2_jT3_P12ihipStream_tbPNSt15iterator_traitsISI_E10value_typeEPNSO_ISJ_E10value_typeEPSK_NS1_7vsmem_tEENKUlT_SI_SJ_SK_E_clIPiSE_SF_SF_EESH_SX_SI_SJ_SK_EUlSX_E1_NS1_11comp_targetILNS1_3genE8ELNS1_11target_archE1030ELNS1_3gpuE2ELNS1_3repE0EEENS1_36merge_oddeven_config_static_selectorELNS0_4arch9wavefront6targetE0EEEvSJ_.kd
    .uniform_work_group_size: 1
    .uses_dynamic_stack: false
    .vgpr_count:     11
    .vgpr_spill_count: 0
    .wavefront_size: 32
    .workgroup_processor_mode: 1
  - .args:
      - .offset:         0
        .size:           48
        .value_kind:     by_value
    .group_segment_fixed_size: 0
    .kernarg_segment_align: 8
    .kernarg_segment_size: 48
    .language:       OpenCL C
    .language_version:
      - 2
      - 0
    .max_flat_workgroup_size: 128
    .name:           _ZN7rocprim17ROCPRIM_400000_NS6detail17trampoline_kernelINS0_14default_configENS1_38merge_sort_block_merge_config_selectorIiNS0_10empty_typeEEEZZNS1_27merge_sort_block_merge_implIS3_N6thrust23THRUST_200600_302600_NS6detail15normal_iteratorINS9_10device_ptrIiEEEEPS5_m17evens_before_oddsEE10hipError_tT0_T1_T2_jT3_P12ihipStream_tbPNSt15iterator_traitsISI_E10value_typeEPNSO_ISJ_E10value_typeEPSK_NS1_7vsmem_tEENKUlT_SI_SJ_SK_E_clISE_PiSF_SF_EESH_SX_SI_SJ_SK_EUlSX_E_NS1_11comp_targetILNS1_3genE0ELNS1_11target_archE4294967295ELNS1_3gpuE0ELNS1_3repE0EEENS1_48merge_mergepath_partition_config_static_selectorELNS0_4arch9wavefront6targetE0EEEvSJ_
    .private_segment_fixed_size: 0
    .sgpr_count:     0
    .sgpr_spill_count: 0
    .symbol:         _ZN7rocprim17ROCPRIM_400000_NS6detail17trampoline_kernelINS0_14default_configENS1_38merge_sort_block_merge_config_selectorIiNS0_10empty_typeEEEZZNS1_27merge_sort_block_merge_implIS3_N6thrust23THRUST_200600_302600_NS6detail15normal_iteratorINS9_10device_ptrIiEEEEPS5_m17evens_before_oddsEE10hipError_tT0_T1_T2_jT3_P12ihipStream_tbPNSt15iterator_traitsISI_E10value_typeEPNSO_ISJ_E10value_typeEPSK_NS1_7vsmem_tEENKUlT_SI_SJ_SK_E_clISE_PiSF_SF_EESH_SX_SI_SJ_SK_EUlSX_E_NS1_11comp_targetILNS1_3genE0ELNS1_11target_archE4294967295ELNS1_3gpuE0ELNS1_3repE0EEENS1_48merge_mergepath_partition_config_static_selectorELNS0_4arch9wavefront6targetE0EEEvSJ_.kd
    .uniform_work_group_size: 1
    .uses_dynamic_stack: false
    .vgpr_count:     0
    .vgpr_spill_count: 0
    .wavefront_size: 32
    .workgroup_processor_mode: 1
  - .args:
      - .offset:         0
        .size:           48
        .value_kind:     by_value
    .group_segment_fixed_size: 0
    .kernarg_segment_align: 8
    .kernarg_segment_size: 48
    .language:       OpenCL C
    .language_version:
      - 2
      - 0
    .max_flat_workgroup_size: 128
    .name:           _ZN7rocprim17ROCPRIM_400000_NS6detail17trampoline_kernelINS0_14default_configENS1_38merge_sort_block_merge_config_selectorIiNS0_10empty_typeEEEZZNS1_27merge_sort_block_merge_implIS3_N6thrust23THRUST_200600_302600_NS6detail15normal_iteratorINS9_10device_ptrIiEEEEPS5_m17evens_before_oddsEE10hipError_tT0_T1_T2_jT3_P12ihipStream_tbPNSt15iterator_traitsISI_E10value_typeEPNSO_ISJ_E10value_typeEPSK_NS1_7vsmem_tEENKUlT_SI_SJ_SK_E_clISE_PiSF_SF_EESH_SX_SI_SJ_SK_EUlSX_E_NS1_11comp_targetILNS1_3genE10ELNS1_11target_archE1201ELNS1_3gpuE5ELNS1_3repE0EEENS1_48merge_mergepath_partition_config_static_selectorELNS0_4arch9wavefront6targetE0EEEvSJ_
    .private_segment_fixed_size: 0
    .sgpr_count:     0
    .sgpr_spill_count: 0
    .symbol:         _ZN7rocprim17ROCPRIM_400000_NS6detail17trampoline_kernelINS0_14default_configENS1_38merge_sort_block_merge_config_selectorIiNS0_10empty_typeEEEZZNS1_27merge_sort_block_merge_implIS3_N6thrust23THRUST_200600_302600_NS6detail15normal_iteratorINS9_10device_ptrIiEEEEPS5_m17evens_before_oddsEE10hipError_tT0_T1_T2_jT3_P12ihipStream_tbPNSt15iterator_traitsISI_E10value_typeEPNSO_ISJ_E10value_typeEPSK_NS1_7vsmem_tEENKUlT_SI_SJ_SK_E_clISE_PiSF_SF_EESH_SX_SI_SJ_SK_EUlSX_E_NS1_11comp_targetILNS1_3genE10ELNS1_11target_archE1201ELNS1_3gpuE5ELNS1_3repE0EEENS1_48merge_mergepath_partition_config_static_selectorELNS0_4arch9wavefront6targetE0EEEvSJ_.kd
    .uniform_work_group_size: 1
    .uses_dynamic_stack: false
    .vgpr_count:     0
    .vgpr_spill_count: 0
    .wavefront_size: 32
    .workgroup_processor_mode: 1
  - .args:
      - .offset:         0
        .size:           48
        .value_kind:     by_value
    .group_segment_fixed_size: 0
    .kernarg_segment_align: 8
    .kernarg_segment_size: 48
    .language:       OpenCL C
    .language_version:
      - 2
      - 0
    .max_flat_workgroup_size: 128
    .name:           _ZN7rocprim17ROCPRIM_400000_NS6detail17trampoline_kernelINS0_14default_configENS1_38merge_sort_block_merge_config_selectorIiNS0_10empty_typeEEEZZNS1_27merge_sort_block_merge_implIS3_N6thrust23THRUST_200600_302600_NS6detail15normal_iteratorINS9_10device_ptrIiEEEEPS5_m17evens_before_oddsEE10hipError_tT0_T1_T2_jT3_P12ihipStream_tbPNSt15iterator_traitsISI_E10value_typeEPNSO_ISJ_E10value_typeEPSK_NS1_7vsmem_tEENKUlT_SI_SJ_SK_E_clISE_PiSF_SF_EESH_SX_SI_SJ_SK_EUlSX_E_NS1_11comp_targetILNS1_3genE5ELNS1_11target_archE942ELNS1_3gpuE9ELNS1_3repE0EEENS1_48merge_mergepath_partition_config_static_selectorELNS0_4arch9wavefront6targetE0EEEvSJ_
    .private_segment_fixed_size: 0
    .sgpr_count:     0
    .sgpr_spill_count: 0
    .symbol:         _ZN7rocprim17ROCPRIM_400000_NS6detail17trampoline_kernelINS0_14default_configENS1_38merge_sort_block_merge_config_selectorIiNS0_10empty_typeEEEZZNS1_27merge_sort_block_merge_implIS3_N6thrust23THRUST_200600_302600_NS6detail15normal_iteratorINS9_10device_ptrIiEEEEPS5_m17evens_before_oddsEE10hipError_tT0_T1_T2_jT3_P12ihipStream_tbPNSt15iterator_traitsISI_E10value_typeEPNSO_ISJ_E10value_typeEPSK_NS1_7vsmem_tEENKUlT_SI_SJ_SK_E_clISE_PiSF_SF_EESH_SX_SI_SJ_SK_EUlSX_E_NS1_11comp_targetILNS1_3genE5ELNS1_11target_archE942ELNS1_3gpuE9ELNS1_3repE0EEENS1_48merge_mergepath_partition_config_static_selectorELNS0_4arch9wavefront6targetE0EEEvSJ_.kd
    .uniform_work_group_size: 1
    .uses_dynamic_stack: false
    .vgpr_count:     0
    .vgpr_spill_count: 0
    .wavefront_size: 32
    .workgroup_processor_mode: 1
  - .args:
      - .offset:         0
        .size:           48
        .value_kind:     by_value
    .group_segment_fixed_size: 0
    .kernarg_segment_align: 8
    .kernarg_segment_size: 48
    .language:       OpenCL C
    .language_version:
      - 2
      - 0
    .max_flat_workgroup_size: 128
    .name:           _ZN7rocprim17ROCPRIM_400000_NS6detail17trampoline_kernelINS0_14default_configENS1_38merge_sort_block_merge_config_selectorIiNS0_10empty_typeEEEZZNS1_27merge_sort_block_merge_implIS3_N6thrust23THRUST_200600_302600_NS6detail15normal_iteratorINS9_10device_ptrIiEEEEPS5_m17evens_before_oddsEE10hipError_tT0_T1_T2_jT3_P12ihipStream_tbPNSt15iterator_traitsISI_E10value_typeEPNSO_ISJ_E10value_typeEPSK_NS1_7vsmem_tEENKUlT_SI_SJ_SK_E_clISE_PiSF_SF_EESH_SX_SI_SJ_SK_EUlSX_E_NS1_11comp_targetILNS1_3genE4ELNS1_11target_archE910ELNS1_3gpuE8ELNS1_3repE0EEENS1_48merge_mergepath_partition_config_static_selectorELNS0_4arch9wavefront6targetE0EEEvSJ_
    .private_segment_fixed_size: 0
    .sgpr_count:     0
    .sgpr_spill_count: 0
    .symbol:         _ZN7rocprim17ROCPRIM_400000_NS6detail17trampoline_kernelINS0_14default_configENS1_38merge_sort_block_merge_config_selectorIiNS0_10empty_typeEEEZZNS1_27merge_sort_block_merge_implIS3_N6thrust23THRUST_200600_302600_NS6detail15normal_iteratorINS9_10device_ptrIiEEEEPS5_m17evens_before_oddsEE10hipError_tT0_T1_T2_jT3_P12ihipStream_tbPNSt15iterator_traitsISI_E10value_typeEPNSO_ISJ_E10value_typeEPSK_NS1_7vsmem_tEENKUlT_SI_SJ_SK_E_clISE_PiSF_SF_EESH_SX_SI_SJ_SK_EUlSX_E_NS1_11comp_targetILNS1_3genE4ELNS1_11target_archE910ELNS1_3gpuE8ELNS1_3repE0EEENS1_48merge_mergepath_partition_config_static_selectorELNS0_4arch9wavefront6targetE0EEEvSJ_.kd
    .uniform_work_group_size: 1
    .uses_dynamic_stack: false
    .vgpr_count:     0
    .vgpr_spill_count: 0
    .wavefront_size: 32
    .workgroup_processor_mode: 1
  - .args:
      - .offset:         0
        .size:           48
        .value_kind:     by_value
    .group_segment_fixed_size: 0
    .kernarg_segment_align: 8
    .kernarg_segment_size: 48
    .language:       OpenCL C
    .language_version:
      - 2
      - 0
    .max_flat_workgroup_size: 128
    .name:           _ZN7rocprim17ROCPRIM_400000_NS6detail17trampoline_kernelINS0_14default_configENS1_38merge_sort_block_merge_config_selectorIiNS0_10empty_typeEEEZZNS1_27merge_sort_block_merge_implIS3_N6thrust23THRUST_200600_302600_NS6detail15normal_iteratorINS9_10device_ptrIiEEEEPS5_m17evens_before_oddsEE10hipError_tT0_T1_T2_jT3_P12ihipStream_tbPNSt15iterator_traitsISI_E10value_typeEPNSO_ISJ_E10value_typeEPSK_NS1_7vsmem_tEENKUlT_SI_SJ_SK_E_clISE_PiSF_SF_EESH_SX_SI_SJ_SK_EUlSX_E_NS1_11comp_targetILNS1_3genE3ELNS1_11target_archE908ELNS1_3gpuE7ELNS1_3repE0EEENS1_48merge_mergepath_partition_config_static_selectorELNS0_4arch9wavefront6targetE0EEEvSJ_
    .private_segment_fixed_size: 0
    .sgpr_count:     0
    .sgpr_spill_count: 0
    .symbol:         _ZN7rocprim17ROCPRIM_400000_NS6detail17trampoline_kernelINS0_14default_configENS1_38merge_sort_block_merge_config_selectorIiNS0_10empty_typeEEEZZNS1_27merge_sort_block_merge_implIS3_N6thrust23THRUST_200600_302600_NS6detail15normal_iteratorINS9_10device_ptrIiEEEEPS5_m17evens_before_oddsEE10hipError_tT0_T1_T2_jT3_P12ihipStream_tbPNSt15iterator_traitsISI_E10value_typeEPNSO_ISJ_E10value_typeEPSK_NS1_7vsmem_tEENKUlT_SI_SJ_SK_E_clISE_PiSF_SF_EESH_SX_SI_SJ_SK_EUlSX_E_NS1_11comp_targetILNS1_3genE3ELNS1_11target_archE908ELNS1_3gpuE7ELNS1_3repE0EEENS1_48merge_mergepath_partition_config_static_selectorELNS0_4arch9wavefront6targetE0EEEvSJ_.kd
    .uniform_work_group_size: 1
    .uses_dynamic_stack: false
    .vgpr_count:     0
    .vgpr_spill_count: 0
    .wavefront_size: 32
    .workgroup_processor_mode: 1
  - .args:
      - .offset:         0
        .size:           48
        .value_kind:     by_value
    .group_segment_fixed_size: 0
    .kernarg_segment_align: 8
    .kernarg_segment_size: 48
    .language:       OpenCL C
    .language_version:
      - 2
      - 0
    .max_flat_workgroup_size: 128
    .name:           _ZN7rocprim17ROCPRIM_400000_NS6detail17trampoline_kernelINS0_14default_configENS1_38merge_sort_block_merge_config_selectorIiNS0_10empty_typeEEEZZNS1_27merge_sort_block_merge_implIS3_N6thrust23THRUST_200600_302600_NS6detail15normal_iteratorINS9_10device_ptrIiEEEEPS5_m17evens_before_oddsEE10hipError_tT0_T1_T2_jT3_P12ihipStream_tbPNSt15iterator_traitsISI_E10value_typeEPNSO_ISJ_E10value_typeEPSK_NS1_7vsmem_tEENKUlT_SI_SJ_SK_E_clISE_PiSF_SF_EESH_SX_SI_SJ_SK_EUlSX_E_NS1_11comp_targetILNS1_3genE2ELNS1_11target_archE906ELNS1_3gpuE6ELNS1_3repE0EEENS1_48merge_mergepath_partition_config_static_selectorELNS0_4arch9wavefront6targetE0EEEvSJ_
    .private_segment_fixed_size: 0
    .sgpr_count:     0
    .sgpr_spill_count: 0
    .symbol:         _ZN7rocprim17ROCPRIM_400000_NS6detail17trampoline_kernelINS0_14default_configENS1_38merge_sort_block_merge_config_selectorIiNS0_10empty_typeEEEZZNS1_27merge_sort_block_merge_implIS3_N6thrust23THRUST_200600_302600_NS6detail15normal_iteratorINS9_10device_ptrIiEEEEPS5_m17evens_before_oddsEE10hipError_tT0_T1_T2_jT3_P12ihipStream_tbPNSt15iterator_traitsISI_E10value_typeEPNSO_ISJ_E10value_typeEPSK_NS1_7vsmem_tEENKUlT_SI_SJ_SK_E_clISE_PiSF_SF_EESH_SX_SI_SJ_SK_EUlSX_E_NS1_11comp_targetILNS1_3genE2ELNS1_11target_archE906ELNS1_3gpuE6ELNS1_3repE0EEENS1_48merge_mergepath_partition_config_static_selectorELNS0_4arch9wavefront6targetE0EEEvSJ_.kd
    .uniform_work_group_size: 1
    .uses_dynamic_stack: false
    .vgpr_count:     0
    .vgpr_spill_count: 0
    .wavefront_size: 32
    .workgroup_processor_mode: 1
  - .args:
      - .offset:         0
        .size:           48
        .value_kind:     by_value
    .group_segment_fixed_size: 0
    .kernarg_segment_align: 8
    .kernarg_segment_size: 48
    .language:       OpenCL C
    .language_version:
      - 2
      - 0
    .max_flat_workgroup_size: 128
    .name:           _ZN7rocprim17ROCPRIM_400000_NS6detail17trampoline_kernelINS0_14default_configENS1_38merge_sort_block_merge_config_selectorIiNS0_10empty_typeEEEZZNS1_27merge_sort_block_merge_implIS3_N6thrust23THRUST_200600_302600_NS6detail15normal_iteratorINS9_10device_ptrIiEEEEPS5_m17evens_before_oddsEE10hipError_tT0_T1_T2_jT3_P12ihipStream_tbPNSt15iterator_traitsISI_E10value_typeEPNSO_ISJ_E10value_typeEPSK_NS1_7vsmem_tEENKUlT_SI_SJ_SK_E_clISE_PiSF_SF_EESH_SX_SI_SJ_SK_EUlSX_E_NS1_11comp_targetILNS1_3genE9ELNS1_11target_archE1100ELNS1_3gpuE3ELNS1_3repE0EEENS1_48merge_mergepath_partition_config_static_selectorELNS0_4arch9wavefront6targetE0EEEvSJ_
    .private_segment_fixed_size: 0
    .sgpr_count:     0
    .sgpr_spill_count: 0
    .symbol:         _ZN7rocprim17ROCPRIM_400000_NS6detail17trampoline_kernelINS0_14default_configENS1_38merge_sort_block_merge_config_selectorIiNS0_10empty_typeEEEZZNS1_27merge_sort_block_merge_implIS3_N6thrust23THRUST_200600_302600_NS6detail15normal_iteratorINS9_10device_ptrIiEEEEPS5_m17evens_before_oddsEE10hipError_tT0_T1_T2_jT3_P12ihipStream_tbPNSt15iterator_traitsISI_E10value_typeEPNSO_ISJ_E10value_typeEPSK_NS1_7vsmem_tEENKUlT_SI_SJ_SK_E_clISE_PiSF_SF_EESH_SX_SI_SJ_SK_EUlSX_E_NS1_11comp_targetILNS1_3genE9ELNS1_11target_archE1100ELNS1_3gpuE3ELNS1_3repE0EEENS1_48merge_mergepath_partition_config_static_selectorELNS0_4arch9wavefront6targetE0EEEvSJ_.kd
    .uniform_work_group_size: 1
    .uses_dynamic_stack: false
    .vgpr_count:     0
    .vgpr_spill_count: 0
    .wavefront_size: 32
    .workgroup_processor_mode: 1
  - .args:
      - .offset:         0
        .size:           48
        .value_kind:     by_value
    .group_segment_fixed_size: 0
    .kernarg_segment_align: 8
    .kernarg_segment_size: 48
    .language:       OpenCL C
    .language_version:
      - 2
      - 0
    .max_flat_workgroup_size: 128
    .name:           _ZN7rocprim17ROCPRIM_400000_NS6detail17trampoline_kernelINS0_14default_configENS1_38merge_sort_block_merge_config_selectorIiNS0_10empty_typeEEEZZNS1_27merge_sort_block_merge_implIS3_N6thrust23THRUST_200600_302600_NS6detail15normal_iteratorINS9_10device_ptrIiEEEEPS5_m17evens_before_oddsEE10hipError_tT0_T1_T2_jT3_P12ihipStream_tbPNSt15iterator_traitsISI_E10value_typeEPNSO_ISJ_E10value_typeEPSK_NS1_7vsmem_tEENKUlT_SI_SJ_SK_E_clISE_PiSF_SF_EESH_SX_SI_SJ_SK_EUlSX_E_NS1_11comp_targetILNS1_3genE8ELNS1_11target_archE1030ELNS1_3gpuE2ELNS1_3repE0EEENS1_48merge_mergepath_partition_config_static_selectorELNS0_4arch9wavefront6targetE0EEEvSJ_
    .private_segment_fixed_size: 0
    .sgpr_count:     10
    .sgpr_spill_count: 0
    .symbol:         _ZN7rocprim17ROCPRIM_400000_NS6detail17trampoline_kernelINS0_14default_configENS1_38merge_sort_block_merge_config_selectorIiNS0_10empty_typeEEEZZNS1_27merge_sort_block_merge_implIS3_N6thrust23THRUST_200600_302600_NS6detail15normal_iteratorINS9_10device_ptrIiEEEEPS5_m17evens_before_oddsEE10hipError_tT0_T1_T2_jT3_P12ihipStream_tbPNSt15iterator_traitsISI_E10value_typeEPNSO_ISJ_E10value_typeEPSK_NS1_7vsmem_tEENKUlT_SI_SJ_SK_E_clISE_PiSF_SF_EESH_SX_SI_SJ_SK_EUlSX_E_NS1_11comp_targetILNS1_3genE8ELNS1_11target_archE1030ELNS1_3gpuE2ELNS1_3repE0EEENS1_48merge_mergepath_partition_config_static_selectorELNS0_4arch9wavefront6targetE0EEEvSJ_.kd
    .uniform_work_group_size: 1
    .uses_dynamic_stack: false
    .vgpr_count:     18
    .vgpr_spill_count: 0
    .wavefront_size: 32
    .workgroup_processor_mode: 1
  - .args:
      - .offset:         0
        .size:           72
        .value_kind:     by_value
    .group_segment_fixed_size: 0
    .kernarg_segment_align: 8
    .kernarg_segment_size: 72
    .language:       OpenCL C
    .language_version:
      - 2
      - 0
    .max_flat_workgroup_size: 128
    .name:           _ZN7rocprim17ROCPRIM_400000_NS6detail17trampoline_kernelINS0_14default_configENS1_38merge_sort_block_merge_config_selectorIiNS0_10empty_typeEEEZZNS1_27merge_sort_block_merge_implIS3_N6thrust23THRUST_200600_302600_NS6detail15normal_iteratorINS9_10device_ptrIiEEEEPS5_m17evens_before_oddsEE10hipError_tT0_T1_T2_jT3_P12ihipStream_tbPNSt15iterator_traitsISI_E10value_typeEPNSO_ISJ_E10value_typeEPSK_NS1_7vsmem_tEENKUlT_SI_SJ_SK_E_clISE_PiSF_SF_EESH_SX_SI_SJ_SK_EUlSX_E0_NS1_11comp_targetILNS1_3genE0ELNS1_11target_archE4294967295ELNS1_3gpuE0ELNS1_3repE0EEENS1_38merge_mergepath_config_static_selectorELNS0_4arch9wavefront6targetE0EEEvSJ_
    .private_segment_fixed_size: 0
    .sgpr_count:     0
    .sgpr_spill_count: 0
    .symbol:         _ZN7rocprim17ROCPRIM_400000_NS6detail17trampoline_kernelINS0_14default_configENS1_38merge_sort_block_merge_config_selectorIiNS0_10empty_typeEEEZZNS1_27merge_sort_block_merge_implIS3_N6thrust23THRUST_200600_302600_NS6detail15normal_iteratorINS9_10device_ptrIiEEEEPS5_m17evens_before_oddsEE10hipError_tT0_T1_T2_jT3_P12ihipStream_tbPNSt15iterator_traitsISI_E10value_typeEPNSO_ISJ_E10value_typeEPSK_NS1_7vsmem_tEENKUlT_SI_SJ_SK_E_clISE_PiSF_SF_EESH_SX_SI_SJ_SK_EUlSX_E0_NS1_11comp_targetILNS1_3genE0ELNS1_11target_archE4294967295ELNS1_3gpuE0ELNS1_3repE0EEENS1_38merge_mergepath_config_static_selectorELNS0_4arch9wavefront6targetE0EEEvSJ_.kd
    .uniform_work_group_size: 1
    .uses_dynamic_stack: false
    .vgpr_count:     0
    .vgpr_spill_count: 0
    .wavefront_size: 32
    .workgroup_processor_mode: 1
  - .args:
      - .offset:         0
        .size:           72
        .value_kind:     by_value
    .group_segment_fixed_size: 0
    .kernarg_segment_align: 8
    .kernarg_segment_size: 72
    .language:       OpenCL C
    .language_version:
      - 2
      - 0
    .max_flat_workgroup_size: 256
    .name:           _ZN7rocprim17ROCPRIM_400000_NS6detail17trampoline_kernelINS0_14default_configENS1_38merge_sort_block_merge_config_selectorIiNS0_10empty_typeEEEZZNS1_27merge_sort_block_merge_implIS3_N6thrust23THRUST_200600_302600_NS6detail15normal_iteratorINS9_10device_ptrIiEEEEPS5_m17evens_before_oddsEE10hipError_tT0_T1_T2_jT3_P12ihipStream_tbPNSt15iterator_traitsISI_E10value_typeEPNSO_ISJ_E10value_typeEPSK_NS1_7vsmem_tEENKUlT_SI_SJ_SK_E_clISE_PiSF_SF_EESH_SX_SI_SJ_SK_EUlSX_E0_NS1_11comp_targetILNS1_3genE10ELNS1_11target_archE1201ELNS1_3gpuE5ELNS1_3repE0EEENS1_38merge_mergepath_config_static_selectorELNS0_4arch9wavefront6targetE0EEEvSJ_
    .private_segment_fixed_size: 0
    .sgpr_count:     0
    .sgpr_spill_count: 0
    .symbol:         _ZN7rocprim17ROCPRIM_400000_NS6detail17trampoline_kernelINS0_14default_configENS1_38merge_sort_block_merge_config_selectorIiNS0_10empty_typeEEEZZNS1_27merge_sort_block_merge_implIS3_N6thrust23THRUST_200600_302600_NS6detail15normal_iteratorINS9_10device_ptrIiEEEEPS5_m17evens_before_oddsEE10hipError_tT0_T1_T2_jT3_P12ihipStream_tbPNSt15iterator_traitsISI_E10value_typeEPNSO_ISJ_E10value_typeEPSK_NS1_7vsmem_tEENKUlT_SI_SJ_SK_E_clISE_PiSF_SF_EESH_SX_SI_SJ_SK_EUlSX_E0_NS1_11comp_targetILNS1_3genE10ELNS1_11target_archE1201ELNS1_3gpuE5ELNS1_3repE0EEENS1_38merge_mergepath_config_static_selectorELNS0_4arch9wavefront6targetE0EEEvSJ_.kd
    .uniform_work_group_size: 1
    .uses_dynamic_stack: false
    .vgpr_count:     0
    .vgpr_spill_count: 0
    .wavefront_size: 32
    .workgroup_processor_mode: 1
  - .args:
      - .offset:         0
        .size:           72
        .value_kind:     by_value
    .group_segment_fixed_size: 0
    .kernarg_segment_align: 8
    .kernarg_segment_size: 72
    .language:       OpenCL C
    .language_version:
      - 2
      - 0
    .max_flat_workgroup_size: 128
    .name:           _ZN7rocprim17ROCPRIM_400000_NS6detail17trampoline_kernelINS0_14default_configENS1_38merge_sort_block_merge_config_selectorIiNS0_10empty_typeEEEZZNS1_27merge_sort_block_merge_implIS3_N6thrust23THRUST_200600_302600_NS6detail15normal_iteratorINS9_10device_ptrIiEEEEPS5_m17evens_before_oddsEE10hipError_tT0_T1_T2_jT3_P12ihipStream_tbPNSt15iterator_traitsISI_E10value_typeEPNSO_ISJ_E10value_typeEPSK_NS1_7vsmem_tEENKUlT_SI_SJ_SK_E_clISE_PiSF_SF_EESH_SX_SI_SJ_SK_EUlSX_E0_NS1_11comp_targetILNS1_3genE5ELNS1_11target_archE942ELNS1_3gpuE9ELNS1_3repE0EEENS1_38merge_mergepath_config_static_selectorELNS0_4arch9wavefront6targetE0EEEvSJ_
    .private_segment_fixed_size: 0
    .sgpr_count:     0
    .sgpr_spill_count: 0
    .symbol:         _ZN7rocprim17ROCPRIM_400000_NS6detail17trampoline_kernelINS0_14default_configENS1_38merge_sort_block_merge_config_selectorIiNS0_10empty_typeEEEZZNS1_27merge_sort_block_merge_implIS3_N6thrust23THRUST_200600_302600_NS6detail15normal_iteratorINS9_10device_ptrIiEEEEPS5_m17evens_before_oddsEE10hipError_tT0_T1_T2_jT3_P12ihipStream_tbPNSt15iterator_traitsISI_E10value_typeEPNSO_ISJ_E10value_typeEPSK_NS1_7vsmem_tEENKUlT_SI_SJ_SK_E_clISE_PiSF_SF_EESH_SX_SI_SJ_SK_EUlSX_E0_NS1_11comp_targetILNS1_3genE5ELNS1_11target_archE942ELNS1_3gpuE9ELNS1_3repE0EEENS1_38merge_mergepath_config_static_selectorELNS0_4arch9wavefront6targetE0EEEvSJ_.kd
    .uniform_work_group_size: 1
    .uses_dynamic_stack: false
    .vgpr_count:     0
    .vgpr_spill_count: 0
    .wavefront_size: 32
    .workgroup_processor_mode: 1
  - .args:
      - .offset:         0
        .size:           72
        .value_kind:     by_value
    .group_segment_fixed_size: 0
    .kernarg_segment_align: 8
    .kernarg_segment_size: 72
    .language:       OpenCL C
    .language_version:
      - 2
      - 0
    .max_flat_workgroup_size: 128
    .name:           _ZN7rocprim17ROCPRIM_400000_NS6detail17trampoline_kernelINS0_14default_configENS1_38merge_sort_block_merge_config_selectorIiNS0_10empty_typeEEEZZNS1_27merge_sort_block_merge_implIS3_N6thrust23THRUST_200600_302600_NS6detail15normal_iteratorINS9_10device_ptrIiEEEEPS5_m17evens_before_oddsEE10hipError_tT0_T1_T2_jT3_P12ihipStream_tbPNSt15iterator_traitsISI_E10value_typeEPNSO_ISJ_E10value_typeEPSK_NS1_7vsmem_tEENKUlT_SI_SJ_SK_E_clISE_PiSF_SF_EESH_SX_SI_SJ_SK_EUlSX_E0_NS1_11comp_targetILNS1_3genE4ELNS1_11target_archE910ELNS1_3gpuE8ELNS1_3repE0EEENS1_38merge_mergepath_config_static_selectorELNS0_4arch9wavefront6targetE0EEEvSJ_
    .private_segment_fixed_size: 0
    .sgpr_count:     0
    .sgpr_spill_count: 0
    .symbol:         _ZN7rocprim17ROCPRIM_400000_NS6detail17trampoline_kernelINS0_14default_configENS1_38merge_sort_block_merge_config_selectorIiNS0_10empty_typeEEEZZNS1_27merge_sort_block_merge_implIS3_N6thrust23THRUST_200600_302600_NS6detail15normal_iteratorINS9_10device_ptrIiEEEEPS5_m17evens_before_oddsEE10hipError_tT0_T1_T2_jT3_P12ihipStream_tbPNSt15iterator_traitsISI_E10value_typeEPNSO_ISJ_E10value_typeEPSK_NS1_7vsmem_tEENKUlT_SI_SJ_SK_E_clISE_PiSF_SF_EESH_SX_SI_SJ_SK_EUlSX_E0_NS1_11comp_targetILNS1_3genE4ELNS1_11target_archE910ELNS1_3gpuE8ELNS1_3repE0EEENS1_38merge_mergepath_config_static_selectorELNS0_4arch9wavefront6targetE0EEEvSJ_.kd
    .uniform_work_group_size: 1
    .uses_dynamic_stack: false
    .vgpr_count:     0
    .vgpr_spill_count: 0
    .wavefront_size: 32
    .workgroup_processor_mode: 1
  - .args:
      - .offset:         0
        .size:           72
        .value_kind:     by_value
    .group_segment_fixed_size: 0
    .kernarg_segment_align: 8
    .kernarg_segment_size: 72
    .language:       OpenCL C
    .language_version:
      - 2
      - 0
    .max_flat_workgroup_size: 128
    .name:           _ZN7rocprim17ROCPRIM_400000_NS6detail17trampoline_kernelINS0_14default_configENS1_38merge_sort_block_merge_config_selectorIiNS0_10empty_typeEEEZZNS1_27merge_sort_block_merge_implIS3_N6thrust23THRUST_200600_302600_NS6detail15normal_iteratorINS9_10device_ptrIiEEEEPS5_m17evens_before_oddsEE10hipError_tT0_T1_T2_jT3_P12ihipStream_tbPNSt15iterator_traitsISI_E10value_typeEPNSO_ISJ_E10value_typeEPSK_NS1_7vsmem_tEENKUlT_SI_SJ_SK_E_clISE_PiSF_SF_EESH_SX_SI_SJ_SK_EUlSX_E0_NS1_11comp_targetILNS1_3genE3ELNS1_11target_archE908ELNS1_3gpuE7ELNS1_3repE0EEENS1_38merge_mergepath_config_static_selectorELNS0_4arch9wavefront6targetE0EEEvSJ_
    .private_segment_fixed_size: 0
    .sgpr_count:     0
    .sgpr_spill_count: 0
    .symbol:         _ZN7rocprim17ROCPRIM_400000_NS6detail17trampoline_kernelINS0_14default_configENS1_38merge_sort_block_merge_config_selectorIiNS0_10empty_typeEEEZZNS1_27merge_sort_block_merge_implIS3_N6thrust23THRUST_200600_302600_NS6detail15normal_iteratorINS9_10device_ptrIiEEEEPS5_m17evens_before_oddsEE10hipError_tT0_T1_T2_jT3_P12ihipStream_tbPNSt15iterator_traitsISI_E10value_typeEPNSO_ISJ_E10value_typeEPSK_NS1_7vsmem_tEENKUlT_SI_SJ_SK_E_clISE_PiSF_SF_EESH_SX_SI_SJ_SK_EUlSX_E0_NS1_11comp_targetILNS1_3genE3ELNS1_11target_archE908ELNS1_3gpuE7ELNS1_3repE0EEENS1_38merge_mergepath_config_static_selectorELNS0_4arch9wavefront6targetE0EEEvSJ_.kd
    .uniform_work_group_size: 1
    .uses_dynamic_stack: false
    .vgpr_count:     0
    .vgpr_spill_count: 0
    .wavefront_size: 32
    .workgroup_processor_mode: 1
  - .args:
      - .offset:         0
        .size:           72
        .value_kind:     by_value
    .group_segment_fixed_size: 0
    .kernarg_segment_align: 8
    .kernarg_segment_size: 72
    .language:       OpenCL C
    .language_version:
      - 2
      - 0
    .max_flat_workgroup_size: 128
    .name:           _ZN7rocprim17ROCPRIM_400000_NS6detail17trampoline_kernelINS0_14default_configENS1_38merge_sort_block_merge_config_selectorIiNS0_10empty_typeEEEZZNS1_27merge_sort_block_merge_implIS3_N6thrust23THRUST_200600_302600_NS6detail15normal_iteratorINS9_10device_ptrIiEEEEPS5_m17evens_before_oddsEE10hipError_tT0_T1_T2_jT3_P12ihipStream_tbPNSt15iterator_traitsISI_E10value_typeEPNSO_ISJ_E10value_typeEPSK_NS1_7vsmem_tEENKUlT_SI_SJ_SK_E_clISE_PiSF_SF_EESH_SX_SI_SJ_SK_EUlSX_E0_NS1_11comp_targetILNS1_3genE2ELNS1_11target_archE906ELNS1_3gpuE6ELNS1_3repE0EEENS1_38merge_mergepath_config_static_selectorELNS0_4arch9wavefront6targetE0EEEvSJ_
    .private_segment_fixed_size: 0
    .sgpr_count:     0
    .sgpr_spill_count: 0
    .symbol:         _ZN7rocprim17ROCPRIM_400000_NS6detail17trampoline_kernelINS0_14default_configENS1_38merge_sort_block_merge_config_selectorIiNS0_10empty_typeEEEZZNS1_27merge_sort_block_merge_implIS3_N6thrust23THRUST_200600_302600_NS6detail15normal_iteratorINS9_10device_ptrIiEEEEPS5_m17evens_before_oddsEE10hipError_tT0_T1_T2_jT3_P12ihipStream_tbPNSt15iterator_traitsISI_E10value_typeEPNSO_ISJ_E10value_typeEPSK_NS1_7vsmem_tEENKUlT_SI_SJ_SK_E_clISE_PiSF_SF_EESH_SX_SI_SJ_SK_EUlSX_E0_NS1_11comp_targetILNS1_3genE2ELNS1_11target_archE906ELNS1_3gpuE6ELNS1_3repE0EEENS1_38merge_mergepath_config_static_selectorELNS0_4arch9wavefront6targetE0EEEvSJ_.kd
    .uniform_work_group_size: 1
    .uses_dynamic_stack: false
    .vgpr_count:     0
    .vgpr_spill_count: 0
    .wavefront_size: 32
    .workgroup_processor_mode: 1
  - .args:
      - .offset:         0
        .size:           72
        .value_kind:     by_value
    .group_segment_fixed_size: 0
    .kernarg_segment_align: 8
    .kernarg_segment_size: 72
    .language:       OpenCL C
    .language_version:
      - 2
      - 0
    .max_flat_workgroup_size: 256
    .name:           _ZN7rocprim17ROCPRIM_400000_NS6detail17trampoline_kernelINS0_14default_configENS1_38merge_sort_block_merge_config_selectorIiNS0_10empty_typeEEEZZNS1_27merge_sort_block_merge_implIS3_N6thrust23THRUST_200600_302600_NS6detail15normal_iteratorINS9_10device_ptrIiEEEEPS5_m17evens_before_oddsEE10hipError_tT0_T1_T2_jT3_P12ihipStream_tbPNSt15iterator_traitsISI_E10value_typeEPNSO_ISJ_E10value_typeEPSK_NS1_7vsmem_tEENKUlT_SI_SJ_SK_E_clISE_PiSF_SF_EESH_SX_SI_SJ_SK_EUlSX_E0_NS1_11comp_targetILNS1_3genE9ELNS1_11target_archE1100ELNS1_3gpuE3ELNS1_3repE0EEENS1_38merge_mergepath_config_static_selectorELNS0_4arch9wavefront6targetE0EEEvSJ_
    .private_segment_fixed_size: 0
    .sgpr_count:     0
    .sgpr_spill_count: 0
    .symbol:         _ZN7rocprim17ROCPRIM_400000_NS6detail17trampoline_kernelINS0_14default_configENS1_38merge_sort_block_merge_config_selectorIiNS0_10empty_typeEEEZZNS1_27merge_sort_block_merge_implIS3_N6thrust23THRUST_200600_302600_NS6detail15normal_iteratorINS9_10device_ptrIiEEEEPS5_m17evens_before_oddsEE10hipError_tT0_T1_T2_jT3_P12ihipStream_tbPNSt15iterator_traitsISI_E10value_typeEPNSO_ISJ_E10value_typeEPSK_NS1_7vsmem_tEENKUlT_SI_SJ_SK_E_clISE_PiSF_SF_EESH_SX_SI_SJ_SK_EUlSX_E0_NS1_11comp_targetILNS1_3genE9ELNS1_11target_archE1100ELNS1_3gpuE3ELNS1_3repE0EEENS1_38merge_mergepath_config_static_selectorELNS0_4arch9wavefront6targetE0EEEvSJ_.kd
    .uniform_work_group_size: 1
    .uses_dynamic_stack: false
    .vgpr_count:     0
    .vgpr_spill_count: 0
    .wavefront_size: 32
    .workgroup_processor_mode: 1
  - .args:
      - .offset:         0
        .size:           72
        .value_kind:     by_value
      - .offset:         72
        .size:           4
        .value_kind:     hidden_block_count_x
      - .offset:         76
        .size:           4
        .value_kind:     hidden_block_count_y
      - .offset:         80
        .size:           4
        .value_kind:     hidden_block_count_z
      - .offset:         84
        .size:           2
        .value_kind:     hidden_group_size_x
      - .offset:         86
        .size:           2
        .value_kind:     hidden_group_size_y
      - .offset:         88
        .size:           2
        .value_kind:     hidden_group_size_z
      - .offset:         90
        .size:           2
        .value_kind:     hidden_remainder_x
      - .offset:         92
        .size:           2
        .value_kind:     hidden_remainder_y
      - .offset:         94
        .size:           2
        .value_kind:     hidden_remainder_z
      - .offset:         112
        .size:           8
        .value_kind:     hidden_global_offset_x
      - .offset:         120
        .size:           8
        .value_kind:     hidden_global_offset_y
      - .offset:         128
        .size:           8
        .value_kind:     hidden_global_offset_z
      - .offset:         136
        .size:           2
        .value_kind:     hidden_grid_dims
    .group_segment_fixed_size: 4224
    .kernarg_segment_align: 8
    .kernarg_segment_size: 328
    .language:       OpenCL C
    .language_version:
      - 2
      - 0
    .max_flat_workgroup_size: 512
    .name:           _ZN7rocprim17ROCPRIM_400000_NS6detail17trampoline_kernelINS0_14default_configENS1_38merge_sort_block_merge_config_selectorIiNS0_10empty_typeEEEZZNS1_27merge_sort_block_merge_implIS3_N6thrust23THRUST_200600_302600_NS6detail15normal_iteratorINS9_10device_ptrIiEEEEPS5_m17evens_before_oddsEE10hipError_tT0_T1_T2_jT3_P12ihipStream_tbPNSt15iterator_traitsISI_E10value_typeEPNSO_ISJ_E10value_typeEPSK_NS1_7vsmem_tEENKUlT_SI_SJ_SK_E_clISE_PiSF_SF_EESH_SX_SI_SJ_SK_EUlSX_E0_NS1_11comp_targetILNS1_3genE8ELNS1_11target_archE1030ELNS1_3gpuE2ELNS1_3repE0EEENS1_38merge_mergepath_config_static_selectorELNS0_4arch9wavefront6targetE0EEEvSJ_
    .private_segment_fixed_size: 0
    .sgpr_count:     33
    .sgpr_spill_count: 0
    .symbol:         _ZN7rocprim17ROCPRIM_400000_NS6detail17trampoline_kernelINS0_14default_configENS1_38merge_sort_block_merge_config_selectorIiNS0_10empty_typeEEEZZNS1_27merge_sort_block_merge_implIS3_N6thrust23THRUST_200600_302600_NS6detail15normal_iteratorINS9_10device_ptrIiEEEEPS5_m17evens_before_oddsEE10hipError_tT0_T1_T2_jT3_P12ihipStream_tbPNSt15iterator_traitsISI_E10value_typeEPNSO_ISJ_E10value_typeEPSK_NS1_7vsmem_tEENKUlT_SI_SJ_SK_E_clISE_PiSF_SF_EESH_SX_SI_SJ_SK_EUlSX_E0_NS1_11comp_targetILNS1_3genE8ELNS1_11target_archE1030ELNS1_3gpuE2ELNS1_3repE0EEENS1_38merge_mergepath_config_static_selectorELNS0_4arch9wavefront6targetE0EEEvSJ_.kd
    .uniform_work_group_size: 1
    .uses_dynamic_stack: false
    .vgpr_count:     15
    .vgpr_spill_count: 0
    .wavefront_size: 32
    .workgroup_processor_mode: 1
  - .args:
      - .offset:         0
        .size:           56
        .value_kind:     by_value
    .group_segment_fixed_size: 0
    .kernarg_segment_align: 8
    .kernarg_segment_size: 56
    .language:       OpenCL C
    .language_version:
      - 2
      - 0
    .max_flat_workgroup_size: 256
    .name:           _ZN7rocprim17ROCPRIM_400000_NS6detail17trampoline_kernelINS0_14default_configENS1_38merge_sort_block_merge_config_selectorIiNS0_10empty_typeEEEZZNS1_27merge_sort_block_merge_implIS3_N6thrust23THRUST_200600_302600_NS6detail15normal_iteratorINS9_10device_ptrIiEEEEPS5_m17evens_before_oddsEE10hipError_tT0_T1_T2_jT3_P12ihipStream_tbPNSt15iterator_traitsISI_E10value_typeEPNSO_ISJ_E10value_typeEPSK_NS1_7vsmem_tEENKUlT_SI_SJ_SK_E_clISE_PiSF_SF_EESH_SX_SI_SJ_SK_EUlSX_E1_NS1_11comp_targetILNS1_3genE0ELNS1_11target_archE4294967295ELNS1_3gpuE0ELNS1_3repE0EEENS1_36merge_oddeven_config_static_selectorELNS0_4arch9wavefront6targetE0EEEvSJ_
    .private_segment_fixed_size: 0
    .sgpr_count:     0
    .sgpr_spill_count: 0
    .symbol:         _ZN7rocprim17ROCPRIM_400000_NS6detail17trampoline_kernelINS0_14default_configENS1_38merge_sort_block_merge_config_selectorIiNS0_10empty_typeEEEZZNS1_27merge_sort_block_merge_implIS3_N6thrust23THRUST_200600_302600_NS6detail15normal_iteratorINS9_10device_ptrIiEEEEPS5_m17evens_before_oddsEE10hipError_tT0_T1_T2_jT3_P12ihipStream_tbPNSt15iterator_traitsISI_E10value_typeEPNSO_ISJ_E10value_typeEPSK_NS1_7vsmem_tEENKUlT_SI_SJ_SK_E_clISE_PiSF_SF_EESH_SX_SI_SJ_SK_EUlSX_E1_NS1_11comp_targetILNS1_3genE0ELNS1_11target_archE4294967295ELNS1_3gpuE0ELNS1_3repE0EEENS1_36merge_oddeven_config_static_selectorELNS0_4arch9wavefront6targetE0EEEvSJ_.kd
    .uniform_work_group_size: 1
    .uses_dynamic_stack: false
    .vgpr_count:     0
    .vgpr_spill_count: 0
    .wavefront_size: 32
    .workgroup_processor_mode: 1
  - .args:
      - .offset:         0
        .size:           56
        .value_kind:     by_value
    .group_segment_fixed_size: 0
    .kernarg_segment_align: 8
    .kernarg_segment_size: 56
    .language:       OpenCL C
    .language_version:
      - 2
      - 0
    .max_flat_workgroup_size: 256
    .name:           _ZN7rocprim17ROCPRIM_400000_NS6detail17trampoline_kernelINS0_14default_configENS1_38merge_sort_block_merge_config_selectorIiNS0_10empty_typeEEEZZNS1_27merge_sort_block_merge_implIS3_N6thrust23THRUST_200600_302600_NS6detail15normal_iteratorINS9_10device_ptrIiEEEEPS5_m17evens_before_oddsEE10hipError_tT0_T1_T2_jT3_P12ihipStream_tbPNSt15iterator_traitsISI_E10value_typeEPNSO_ISJ_E10value_typeEPSK_NS1_7vsmem_tEENKUlT_SI_SJ_SK_E_clISE_PiSF_SF_EESH_SX_SI_SJ_SK_EUlSX_E1_NS1_11comp_targetILNS1_3genE10ELNS1_11target_archE1201ELNS1_3gpuE5ELNS1_3repE0EEENS1_36merge_oddeven_config_static_selectorELNS0_4arch9wavefront6targetE0EEEvSJ_
    .private_segment_fixed_size: 0
    .sgpr_count:     0
    .sgpr_spill_count: 0
    .symbol:         _ZN7rocprim17ROCPRIM_400000_NS6detail17trampoline_kernelINS0_14default_configENS1_38merge_sort_block_merge_config_selectorIiNS0_10empty_typeEEEZZNS1_27merge_sort_block_merge_implIS3_N6thrust23THRUST_200600_302600_NS6detail15normal_iteratorINS9_10device_ptrIiEEEEPS5_m17evens_before_oddsEE10hipError_tT0_T1_T2_jT3_P12ihipStream_tbPNSt15iterator_traitsISI_E10value_typeEPNSO_ISJ_E10value_typeEPSK_NS1_7vsmem_tEENKUlT_SI_SJ_SK_E_clISE_PiSF_SF_EESH_SX_SI_SJ_SK_EUlSX_E1_NS1_11comp_targetILNS1_3genE10ELNS1_11target_archE1201ELNS1_3gpuE5ELNS1_3repE0EEENS1_36merge_oddeven_config_static_selectorELNS0_4arch9wavefront6targetE0EEEvSJ_.kd
    .uniform_work_group_size: 1
    .uses_dynamic_stack: false
    .vgpr_count:     0
    .vgpr_spill_count: 0
    .wavefront_size: 32
    .workgroup_processor_mode: 1
  - .args:
      - .offset:         0
        .size:           56
        .value_kind:     by_value
    .group_segment_fixed_size: 0
    .kernarg_segment_align: 8
    .kernarg_segment_size: 56
    .language:       OpenCL C
    .language_version:
      - 2
      - 0
    .max_flat_workgroup_size: 256
    .name:           _ZN7rocprim17ROCPRIM_400000_NS6detail17trampoline_kernelINS0_14default_configENS1_38merge_sort_block_merge_config_selectorIiNS0_10empty_typeEEEZZNS1_27merge_sort_block_merge_implIS3_N6thrust23THRUST_200600_302600_NS6detail15normal_iteratorINS9_10device_ptrIiEEEEPS5_m17evens_before_oddsEE10hipError_tT0_T1_T2_jT3_P12ihipStream_tbPNSt15iterator_traitsISI_E10value_typeEPNSO_ISJ_E10value_typeEPSK_NS1_7vsmem_tEENKUlT_SI_SJ_SK_E_clISE_PiSF_SF_EESH_SX_SI_SJ_SK_EUlSX_E1_NS1_11comp_targetILNS1_3genE5ELNS1_11target_archE942ELNS1_3gpuE9ELNS1_3repE0EEENS1_36merge_oddeven_config_static_selectorELNS0_4arch9wavefront6targetE0EEEvSJ_
    .private_segment_fixed_size: 0
    .sgpr_count:     0
    .sgpr_spill_count: 0
    .symbol:         _ZN7rocprim17ROCPRIM_400000_NS6detail17trampoline_kernelINS0_14default_configENS1_38merge_sort_block_merge_config_selectorIiNS0_10empty_typeEEEZZNS1_27merge_sort_block_merge_implIS3_N6thrust23THRUST_200600_302600_NS6detail15normal_iteratorINS9_10device_ptrIiEEEEPS5_m17evens_before_oddsEE10hipError_tT0_T1_T2_jT3_P12ihipStream_tbPNSt15iterator_traitsISI_E10value_typeEPNSO_ISJ_E10value_typeEPSK_NS1_7vsmem_tEENKUlT_SI_SJ_SK_E_clISE_PiSF_SF_EESH_SX_SI_SJ_SK_EUlSX_E1_NS1_11comp_targetILNS1_3genE5ELNS1_11target_archE942ELNS1_3gpuE9ELNS1_3repE0EEENS1_36merge_oddeven_config_static_selectorELNS0_4arch9wavefront6targetE0EEEvSJ_.kd
    .uniform_work_group_size: 1
    .uses_dynamic_stack: false
    .vgpr_count:     0
    .vgpr_spill_count: 0
    .wavefront_size: 32
    .workgroup_processor_mode: 1
  - .args:
      - .offset:         0
        .size:           56
        .value_kind:     by_value
    .group_segment_fixed_size: 0
    .kernarg_segment_align: 8
    .kernarg_segment_size: 56
    .language:       OpenCL C
    .language_version:
      - 2
      - 0
    .max_flat_workgroup_size: 256
    .name:           _ZN7rocprim17ROCPRIM_400000_NS6detail17trampoline_kernelINS0_14default_configENS1_38merge_sort_block_merge_config_selectorIiNS0_10empty_typeEEEZZNS1_27merge_sort_block_merge_implIS3_N6thrust23THRUST_200600_302600_NS6detail15normal_iteratorINS9_10device_ptrIiEEEEPS5_m17evens_before_oddsEE10hipError_tT0_T1_T2_jT3_P12ihipStream_tbPNSt15iterator_traitsISI_E10value_typeEPNSO_ISJ_E10value_typeEPSK_NS1_7vsmem_tEENKUlT_SI_SJ_SK_E_clISE_PiSF_SF_EESH_SX_SI_SJ_SK_EUlSX_E1_NS1_11comp_targetILNS1_3genE4ELNS1_11target_archE910ELNS1_3gpuE8ELNS1_3repE0EEENS1_36merge_oddeven_config_static_selectorELNS0_4arch9wavefront6targetE0EEEvSJ_
    .private_segment_fixed_size: 0
    .sgpr_count:     0
    .sgpr_spill_count: 0
    .symbol:         _ZN7rocprim17ROCPRIM_400000_NS6detail17trampoline_kernelINS0_14default_configENS1_38merge_sort_block_merge_config_selectorIiNS0_10empty_typeEEEZZNS1_27merge_sort_block_merge_implIS3_N6thrust23THRUST_200600_302600_NS6detail15normal_iteratorINS9_10device_ptrIiEEEEPS5_m17evens_before_oddsEE10hipError_tT0_T1_T2_jT3_P12ihipStream_tbPNSt15iterator_traitsISI_E10value_typeEPNSO_ISJ_E10value_typeEPSK_NS1_7vsmem_tEENKUlT_SI_SJ_SK_E_clISE_PiSF_SF_EESH_SX_SI_SJ_SK_EUlSX_E1_NS1_11comp_targetILNS1_3genE4ELNS1_11target_archE910ELNS1_3gpuE8ELNS1_3repE0EEENS1_36merge_oddeven_config_static_selectorELNS0_4arch9wavefront6targetE0EEEvSJ_.kd
    .uniform_work_group_size: 1
    .uses_dynamic_stack: false
    .vgpr_count:     0
    .vgpr_spill_count: 0
    .wavefront_size: 32
    .workgroup_processor_mode: 1
  - .args:
      - .offset:         0
        .size:           56
        .value_kind:     by_value
    .group_segment_fixed_size: 0
    .kernarg_segment_align: 8
    .kernarg_segment_size: 56
    .language:       OpenCL C
    .language_version:
      - 2
      - 0
    .max_flat_workgroup_size: 256
    .name:           _ZN7rocprim17ROCPRIM_400000_NS6detail17trampoline_kernelINS0_14default_configENS1_38merge_sort_block_merge_config_selectorIiNS0_10empty_typeEEEZZNS1_27merge_sort_block_merge_implIS3_N6thrust23THRUST_200600_302600_NS6detail15normal_iteratorINS9_10device_ptrIiEEEEPS5_m17evens_before_oddsEE10hipError_tT0_T1_T2_jT3_P12ihipStream_tbPNSt15iterator_traitsISI_E10value_typeEPNSO_ISJ_E10value_typeEPSK_NS1_7vsmem_tEENKUlT_SI_SJ_SK_E_clISE_PiSF_SF_EESH_SX_SI_SJ_SK_EUlSX_E1_NS1_11comp_targetILNS1_3genE3ELNS1_11target_archE908ELNS1_3gpuE7ELNS1_3repE0EEENS1_36merge_oddeven_config_static_selectorELNS0_4arch9wavefront6targetE0EEEvSJ_
    .private_segment_fixed_size: 0
    .sgpr_count:     0
    .sgpr_spill_count: 0
    .symbol:         _ZN7rocprim17ROCPRIM_400000_NS6detail17trampoline_kernelINS0_14default_configENS1_38merge_sort_block_merge_config_selectorIiNS0_10empty_typeEEEZZNS1_27merge_sort_block_merge_implIS3_N6thrust23THRUST_200600_302600_NS6detail15normal_iteratorINS9_10device_ptrIiEEEEPS5_m17evens_before_oddsEE10hipError_tT0_T1_T2_jT3_P12ihipStream_tbPNSt15iterator_traitsISI_E10value_typeEPNSO_ISJ_E10value_typeEPSK_NS1_7vsmem_tEENKUlT_SI_SJ_SK_E_clISE_PiSF_SF_EESH_SX_SI_SJ_SK_EUlSX_E1_NS1_11comp_targetILNS1_3genE3ELNS1_11target_archE908ELNS1_3gpuE7ELNS1_3repE0EEENS1_36merge_oddeven_config_static_selectorELNS0_4arch9wavefront6targetE0EEEvSJ_.kd
    .uniform_work_group_size: 1
    .uses_dynamic_stack: false
    .vgpr_count:     0
    .vgpr_spill_count: 0
    .wavefront_size: 32
    .workgroup_processor_mode: 1
  - .args:
      - .offset:         0
        .size:           56
        .value_kind:     by_value
    .group_segment_fixed_size: 0
    .kernarg_segment_align: 8
    .kernarg_segment_size: 56
    .language:       OpenCL C
    .language_version:
      - 2
      - 0
    .max_flat_workgroup_size: 256
    .name:           _ZN7rocprim17ROCPRIM_400000_NS6detail17trampoline_kernelINS0_14default_configENS1_38merge_sort_block_merge_config_selectorIiNS0_10empty_typeEEEZZNS1_27merge_sort_block_merge_implIS3_N6thrust23THRUST_200600_302600_NS6detail15normal_iteratorINS9_10device_ptrIiEEEEPS5_m17evens_before_oddsEE10hipError_tT0_T1_T2_jT3_P12ihipStream_tbPNSt15iterator_traitsISI_E10value_typeEPNSO_ISJ_E10value_typeEPSK_NS1_7vsmem_tEENKUlT_SI_SJ_SK_E_clISE_PiSF_SF_EESH_SX_SI_SJ_SK_EUlSX_E1_NS1_11comp_targetILNS1_3genE2ELNS1_11target_archE906ELNS1_3gpuE6ELNS1_3repE0EEENS1_36merge_oddeven_config_static_selectorELNS0_4arch9wavefront6targetE0EEEvSJ_
    .private_segment_fixed_size: 0
    .sgpr_count:     0
    .sgpr_spill_count: 0
    .symbol:         _ZN7rocprim17ROCPRIM_400000_NS6detail17trampoline_kernelINS0_14default_configENS1_38merge_sort_block_merge_config_selectorIiNS0_10empty_typeEEEZZNS1_27merge_sort_block_merge_implIS3_N6thrust23THRUST_200600_302600_NS6detail15normal_iteratorINS9_10device_ptrIiEEEEPS5_m17evens_before_oddsEE10hipError_tT0_T1_T2_jT3_P12ihipStream_tbPNSt15iterator_traitsISI_E10value_typeEPNSO_ISJ_E10value_typeEPSK_NS1_7vsmem_tEENKUlT_SI_SJ_SK_E_clISE_PiSF_SF_EESH_SX_SI_SJ_SK_EUlSX_E1_NS1_11comp_targetILNS1_3genE2ELNS1_11target_archE906ELNS1_3gpuE6ELNS1_3repE0EEENS1_36merge_oddeven_config_static_selectorELNS0_4arch9wavefront6targetE0EEEvSJ_.kd
    .uniform_work_group_size: 1
    .uses_dynamic_stack: false
    .vgpr_count:     0
    .vgpr_spill_count: 0
    .wavefront_size: 32
    .workgroup_processor_mode: 1
  - .args:
      - .offset:         0
        .size:           56
        .value_kind:     by_value
    .group_segment_fixed_size: 0
    .kernarg_segment_align: 8
    .kernarg_segment_size: 56
    .language:       OpenCL C
    .language_version:
      - 2
      - 0
    .max_flat_workgroup_size: 256
    .name:           _ZN7rocprim17ROCPRIM_400000_NS6detail17trampoline_kernelINS0_14default_configENS1_38merge_sort_block_merge_config_selectorIiNS0_10empty_typeEEEZZNS1_27merge_sort_block_merge_implIS3_N6thrust23THRUST_200600_302600_NS6detail15normal_iteratorINS9_10device_ptrIiEEEEPS5_m17evens_before_oddsEE10hipError_tT0_T1_T2_jT3_P12ihipStream_tbPNSt15iterator_traitsISI_E10value_typeEPNSO_ISJ_E10value_typeEPSK_NS1_7vsmem_tEENKUlT_SI_SJ_SK_E_clISE_PiSF_SF_EESH_SX_SI_SJ_SK_EUlSX_E1_NS1_11comp_targetILNS1_3genE9ELNS1_11target_archE1100ELNS1_3gpuE3ELNS1_3repE0EEENS1_36merge_oddeven_config_static_selectorELNS0_4arch9wavefront6targetE0EEEvSJ_
    .private_segment_fixed_size: 0
    .sgpr_count:     0
    .sgpr_spill_count: 0
    .symbol:         _ZN7rocprim17ROCPRIM_400000_NS6detail17trampoline_kernelINS0_14default_configENS1_38merge_sort_block_merge_config_selectorIiNS0_10empty_typeEEEZZNS1_27merge_sort_block_merge_implIS3_N6thrust23THRUST_200600_302600_NS6detail15normal_iteratorINS9_10device_ptrIiEEEEPS5_m17evens_before_oddsEE10hipError_tT0_T1_T2_jT3_P12ihipStream_tbPNSt15iterator_traitsISI_E10value_typeEPNSO_ISJ_E10value_typeEPSK_NS1_7vsmem_tEENKUlT_SI_SJ_SK_E_clISE_PiSF_SF_EESH_SX_SI_SJ_SK_EUlSX_E1_NS1_11comp_targetILNS1_3genE9ELNS1_11target_archE1100ELNS1_3gpuE3ELNS1_3repE0EEENS1_36merge_oddeven_config_static_selectorELNS0_4arch9wavefront6targetE0EEEvSJ_.kd
    .uniform_work_group_size: 1
    .uses_dynamic_stack: false
    .vgpr_count:     0
    .vgpr_spill_count: 0
    .wavefront_size: 32
    .workgroup_processor_mode: 1
  - .args:
      - .offset:         0
        .size:           56
        .value_kind:     by_value
    .group_segment_fixed_size: 0
    .kernarg_segment_align: 8
    .kernarg_segment_size: 56
    .language:       OpenCL C
    .language_version:
      - 2
      - 0
    .max_flat_workgroup_size: 256
    .name:           _ZN7rocprim17ROCPRIM_400000_NS6detail17trampoline_kernelINS0_14default_configENS1_38merge_sort_block_merge_config_selectorIiNS0_10empty_typeEEEZZNS1_27merge_sort_block_merge_implIS3_N6thrust23THRUST_200600_302600_NS6detail15normal_iteratorINS9_10device_ptrIiEEEEPS5_m17evens_before_oddsEE10hipError_tT0_T1_T2_jT3_P12ihipStream_tbPNSt15iterator_traitsISI_E10value_typeEPNSO_ISJ_E10value_typeEPSK_NS1_7vsmem_tEENKUlT_SI_SJ_SK_E_clISE_PiSF_SF_EESH_SX_SI_SJ_SK_EUlSX_E1_NS1_11comp_targetILNS1_3genE8ELNS1_11target_archE1030ELNS1_3gpuE2ELNS1_3repE0EEENS1_36merge_oddeven_config_static_selectorELNS0_4arch9wavefront6targetE0EEEvSJ_
    .private_segment_fixed_size: 0
    .sgpr_count:     18
    .sgpr_spill_count: 0
    .symbol:         _ZN7rocprim17ROCPRIM_400000_NS6detail17trampoline_kernelINS0_14default_configENS1_38merge_sort_block_merge_config_selectorIiNS0_10empty_typeEEEZZNS1_27merge_sort_block_merge_implIS3_N6thrust23THRUST_200600_302600_NS6detail15normal_iteratorINS9_10device_ptrIiEEEEPS5_m17evens_before_oddsEE10hipError_tT0_T1_T2_jT3_P12ihipStream_tbPNSt15iterator_traitsISI_E10value_typeEPNSO_ISJ_E10value_typeEPSK_NS1_7vsmem_tEENKUlT_SI_SJ_SK_E_clISE_PiSF_SF_EESH_SX_SI_SJ_SK_EUlSX_E1_NS1_11comp_targetILNS1_3genE8ELNS1_11target_archE1030ELNS1_3gpuE2ELNS1_3repE0EEENS1_36merge_oddeven_config_static_selectorELNS0_4arch9wavefront6targetE0EEEvSJ_.kd
    .uniform_work_group_size: 1
    .uses_dynamic_stack: false
    .vgpr_count:     11
    .vgpr_spill_count: 0
    .wavefront_size: 32
    .workgroup_processor_mode: 1
  - .args:
      - .offset:         0
        .size:           16
        .value_kind:     by_value
      - .offset:         16
        .size:           8
        .value_kind:     by_value
      - .offset:         24
        .size:           8
        .value_kind:     by_value
    .group_segment_fixed_size: 0
    .kernarg_segment_align: 8
    .kernarg_segment_size: 32
    .language:       OpenCL C
    .language_version:
      - 2
      - 0
    .max_flat_workgroup_size: 256
    .name:           _ZN6thrust23THRUST_200600_302600_NS11hip_rocprim14__parallel_for6kernelILj256ENS1_20__uninitialized_fill7functorINS0_10device_ptrIfEEfEEmLj1EEEvT0_T1_SA_
    .private_segment_fixed_size: 0
    .sgpr_count:     14
    .sgpr_spill_count: 0
    .symbol:         _ZN6thrust23THRUST_200600_302600_NS11hip_rocprim14__parallel_for6kernelILj256ENS1_20__uninitialized_fill7functorINS0_10device_ptrIfEEfEEmLj1EEEvT0_T1_SA_.kd
    .uniform_work_group_size: 1
    .uses_dynamic_stack: false
    .vgpr_count:     4
    .vgpr_spill_count: 0
    .wavefront_size: 32
    .workgroup_processor_mode: 1
  - .args:
      - .offset:         0
        .size:           48
        .value_kind:     by_value
    .group_segment_fixed_size: 0
    .kernarg_segment_align: 8
    .kernarg_segment_size: 48
    .language:       OpenCL C
    .language_version:
      - 2
      - 0
    .max_flat_workgroup_size: 256
    .name:           _ZN7rocprim17ROCPRIM_400000_NS6detail17trampoline_kernelINS0_13kernel_configILj256ELj4ELj4294967295EEENS1_37radix_sort_block_sort_config_selectorIfNS0_10empty_typeEEEZNS1_21radix_sort_block_sortIS4_Lb0EN6thrust23THRUST_200600_302600_NS6detail15normal_iteratorINSA_10device_ptrIfEEEESF_PS6_SG_NS0_19identity_decomposerEEE10hipError_tT1_T2_T3_T4_jRjT5_jjP12ihipStream_tbEUlT_E_NS1_11comp_targetILNS1_3genE0ELNS1_11target_archE4294967295ELNS1_3gpuE0ELNS1_3repE0EEENS1_44radix_sort_block_sort_config_static_selectorELNS0_4arch9wavefront6targetE0EEEvSJ_
    .private_segment_fixed_size: 0
    .sgpr_count:     0
    .sgpr_spill_count: 0
    .symbol:         _ZN7rocprim17ROCPRIM_400000_NS6detail17trampoline_kernelINS0_13kernel_configILj256ELj4ELj4294967295EEENS1_37radix_sort_block_sort_config_selectorIfNS0_10empty_typeEEEZNS1_21radix_sort_block_sortIS4_Lb0EN6thrust23THRUST_200600_302600_NS6detail15normal_iteratorINSA_10device_ptrIfEEEESF_PS6_SG_NS0_19identity_decomposerEEE10hipError_tT1_T2_T3_T4_jRjT5_jjP12ihipStream_tbEUlT_E_NS1_11comp_targetILNS1_3genE0ELNS1_11target_archE4294967295ELNS1_3gpuE0ELNS1_3repE0EEENS1_44radix_sort_block_sort_config_static_selectorELNS0_4arch9wavefront6targetE0EEEvSJ_.kd
    .uniform_work_group_size: 1
    .uses_dynamic_stack: false
    .vgpr_count:     0
    .vgpr_spill_count: 0
    .wavefront_size: 32
    .workgroup_processor_mode: 1
  - .args:
      - .offset:         0
        .size:           48
        .value_kind:     by_value
    .group_segment_fixed_size: 0
    .kernarg_segment_align: 8
    .kernarg_segment_size: 48
    .language:       OpenCL C
    .language_version:
      - 2
      - 0
    .max_flat_workgroup_size: 256
    .name:           _ZN7rocprim17ROCPRIM_400000_NS6detail17trampoline_kernelINS0_13kernel_configILj256ELj4ELj4294967295EEENS1_37radix_sort_block_sort_config_selectorIfNS0_10empty_typeEEEZNS1_21radix_sort_block_sortIS4_Lb0EN6thrust23THRUST_200600_302600_NS6detail15normal_iteratorINSA_10device_ptrIfEEEESF_PS6_SG_NS0_19identity_decomposerEEE10hipError_tT1_T2_T3_T4_jRjT5_jjP12ihipStream_tbEUlT_E_NS1_11comp_targetILNS1_3genE5ELNS1_11target_archE942ELNS1_3gpuE9ELNS1_3repE0EEENS1_44radix_sort_block_sort_config_static_selectorELNS0_4arch9wavefront6targetE0EEEvSJ_
    .private_segment_fixed_size: 0
    .sgpr_count:     0
    .sgpr_spill_count: 0
    .symbol:         _ZN7rocprim17ROCPRIM_400000_NS6detail17trampoline_kernelINS0_13kernel_configILj256ELj4ELj4294967295EEENS1_37radix_sort_block_sort_config_selectorIfNS0_10empty_typeEEEZNS1_21radix_sort_block_sortIS4_Lb0EN6thrust23THRUST_200600_302600_NS6detail15normal_iteratorINSA_10device_ptrIfEEEESF_PS6_SG_NS0_19identity_decomposerEEE10hipError_tT1_T2_T3_T4_jRjT5_jjP12ihipStream_tbEUlT_E_NS1_11comp_targetILNS1_3genE5ELNS1_11target_archE942ELNS1_3gpuE9ELNS1_3repE0EEENS1_44radix_sort_block_sort_config_static_selectorELNS0_4arch9wavefront6targetE0EEEvSJ_.kd
    .uniform_work_group_size: 1
    .uses_dynamic_stack: false
    .vgpr_count:     0
    .vgpr_spill_count: 0
    .wavefront_size: 32
    .workgroup_processor_mode: 1
  - .args:
      - .offset:         0
        .size:           48
        .value_kind:     by_value
    .group_segment_fixed_size: 0
    .kernarg_segment_align: 8
    .kernarg_segment_size: 48
    .language:       OpenCL C
    .language_version:
      - 2
      - 0
    .max_flat_workgroup_size: 256
    .name:           _ZN7rocprim17ROCPRIM_400000_NS6detail17trampoline_kernelINS0_13kernel_configILj256ELj4ELj4294967295EEENS1_37radix_sort_block_sort_config_selectorIfNS0_10empty_typeEEEZNS1_21radix_sort_block_sortIS4_Lb0EN6thrust23THRUST_200600_302600_NS6detail15normal_iteratorINSA_10device_ptrIfEEEESF_PS6_SG_NS0_19identity_decomposerEEE10hipError_tT1_T2_T3_T4_jRjT5_jjP12ihipStream_tbEUlT_E_NS1_11comp_targetILNS1_3genE4ELNS1_11target_archE910ELNS1_3gpuE8ELNS1_3repE0EEENS1_44radix_sort_block_sort_config_static_selectorELNS0_4arch9wavefront6targetE0EEEvSJ_
    .private_segment_fixed_size: 0
    .sgpr_count:     0
    .sgpr_spill_count: 0
    .symbol:         _ZN7rocprim17ROCPRIM_400000_NS6detail17trampoline_kernelINS0_13kernel_configILj256ELj4ELj4294967295EEENS1_37radix_sort_block_sort_config_selectorIfNS0_10empty_typeEEEZNS1_21radix_sort_block_sortIS4_Lb0EN6thrust23THRUST_200600_302600_NS6detail15normal_iteratorINSA_10device_ptrIfEEEESF_PS6_SG_NS0_19identity_decomposerEEE10hipError_tT1_T2_T3_T4_jRjT5_jjP12ihipStream_tbEUlT_E_NS1_11comp_targetILNS1_3genE4ELNS1_11target_archE910ELNS1_3gpuE8ELNS1_3repE0EEENS1_44radix_sort_block_sort_config_static_selectorELNS0_4arch9wavefront6targetE0EEEvSJ_.kd
    .uniform_work_group_size: 1
    .uses_dynamic_stack: false
    .vgpr_count:     0
    .vgpr_spill_count: 0
    .wavefront_size: 32
    .workgroup_processor_mode: 1
  - .args:
      - .offset:         0
        .size:           48
        .value_kind:     by_value
    .group_segment_fixed_size: 0
    .kernarg_segment_align: 8
    .kernarg_segment_size: 48
    .language:       OpenCL C
    .language_version:
      - 2
      - 0
    .max_flat_workgroup_size: 256
    .name:           _ZN7rocprim17ROCPRIM_400000_NS6detail17trampoline_kernelINS0_13kernel_configILj256ELj4ELj4294967295EEENS1_37radix_sort_block_sort_config_selectorIfNS0_10empty_typeEEEZNS1_21radix_sort_block_sortIS4_Lb0EN6thrust23THRUST_200600_302600_NS6detail15normal_iteratorINSA_10device_ptrIfEEEESF_PS6_SG_NS0_19identity_decomposerEEE10hipError_tT1_T2_T3_T4_jRjT5_jjP12ihipStream_tbEUlT_E_NS1_11comp_targetILNS1_3genE3ELNS1_11target_archE908ELNS1_3gpuE7ELNS1_3repE0EEENS1_44radix_sort_block_sort_config_static_selectorELNS0_4arch9wavefront6targetE0EEEvSJ_
    .private_segment_fixed_size: 0
    .sgpr_count:     0
    .sgpr_spill_count: 0
    .symbol:         _ZN7rocprim17ROCPRIM_400000_NS6detail17trampoline_kernelINS0_13kernel_configILj256ELj4ELj4294967295EEENS1_37radix_sort_block_sort_config_selectorIfNS0_10empty_typeEEEZNS1_21radix_sort_block_sortIS4_Lb0EN6thrust23THRUST_200600_302600_NS6detail15normal_iteratorINSA_10device_ptrIfEEEESF_PS6_SG_NS0_19identity_decomposerEEE10hipError_tT1_T2_T3_T4_jRjT5_jjP12ihipStream_tbEUlT_E_NS1_11comp_targetILNS1_3genE3ELNS1_11target_archE908ELNS1_3gpuE7ELNS1_3repE0EEENS1_44radix_sort_block_sort_config_static_selectorELNS0_4arch9wavefront6targetE0EEEvSJ_.kd
    .uniform_work_group_size: 1
    .uses_dynamic_stack: false
    .vgpr_count:     0
    .vgpr_spill_count: 0
    .wavefront_size: 32
    .workgroup_processor_mode: 1
  - .args:
      - .offset:         0
        .size:           48
        .value_kind:     by_value
    .group_segment_fixed_size: 0
    .kernarg_segment_align: 8
    .kernarg_segment_size: 48
    .language:       OpenCL C
    .language_version:
      - 2
      - 0
    .max_flat_workgroup_size: 256
    .name:           _ZN7rocprim17ROCPRIM_400000_NS6detail17trampoline_kernelINS0_13kernel_configILj256ELj4ELj4294967295EEENS1_37radix_sort_block_sort_config_selectorIfNS0_10empty_typeEEEZNS1_21radix_sort_block_sortIS4_Lb0EN6thrust23THRUST_200600_302600_NS6detail15normal_iteratorINSA_10device_ptrIfEEEESF_PS6_SG_NS0_19identity_decomposerEEE10hipError_tT1_T2_T3_T4_jRjT5_jjP12ihipStream_tbEUlT_E_NS1_11comp_targetILNS1_3genE2ELNS1_11target_archE906ELNS1_3gpuE6ELNS1_3repE0EEENS1_44radix_sort_block_sort_config_static_selectorELNS0_4arch9wavefront6targetE0EEEvSJ_
    .private_segment_fixed_size: 0
    .sgpr_count:     0
    .sgpr_spill_count: 0
    .symbol:         _ZN7rocprim17ROCPRIM_400000_NS6detail17trampoline_kernelINS0_13kernel_configILj256ELj4ELj4294967295EEENS1_37radix_sort_block_sort_config_selectorIfNS0_10empty_typeEEEZNS1_21radix_sort_block_sortIS4_Lb0EN6thrust23THRUST_200600_302600_NS6detail15normal_iteratorINSA_10device_ptrIfEEEESF_PS6_SG_NS0_19identity_decomposerEEE10hipError_tT1_T2_T3_T4_jRjT5_jjP12ihipStream_tbEUlT_E_NS1_11comp_targetILNS1_3genE2ELNS1_11target_archE906ELNS1_3gpuE6ELNS1_3repE0EEENS1_44radix_sort_block_sort_config_static_selectorELNS0_4arch9wavefront6targetE0EEEvSJ_.kd
    .uniform_work_group_size: 1
    .uses_dynamic_stack: false
    .vgpr_count:     0
    .vgpr_spill_count: 0
    .wavefront_size: 32
    .workgroup_processor_mode: 1
  - .args:
      - .offset:         0
        .size:           48
        .value_kind:     by_value
    .group_segment_fixed_size: 0
    .kernarg_segment_align: 8
    .kernarg_segment_size: 48
    .language:       OpenCL C
    .language_version:
      - 2
      - 0
    .max_flat_workgroup_size: 256
    .name:           _ZN7rocprim17ROCPRIM_400000_NS6detail17trampoline_kernelINS0_13kernel_configILj256ELj4ELj4294967295EEENS1_37radix_sort_block_sort_config_selectorIfNS0_10empty_typeEEEZNS1_21radix_sort_block_sortIS4_Lb0EN6thrust23THRUST_200600_302600_NS6detail15normal_iteratorINSA_10device_ptrIfEEEESF_PS6_SG_NS0_19identity_decomposerEEE10hipError_tT1_T2_T3_T4_jRjT5_jjP12ihipStream_tbEUlT_E_NS1_11comp_targetILNS1_3genE10ELNS1_11target_archE1201ELNS1_3gpuE5ELNS1_3repE0EEENS1_44radix_sort_block_sort_config_static_selectorELNS0_4arch9wavefront6targetE0EEEvSJ_
    .private_segment_fixed_size: 0
    .sgpr_count:     0
    .sgpr_spill_count: 0
    .symbol:         _ZN7rocprim17ROCPRIM_400000_NS6detail17trampoline_kernelINS0_13kernel_configILj256ELj4ELj4294967295EEENS1_37radix_sort_block_sort_config_selectorIfNS0_10empty_typeEEEZNS1_21radix_sort_block_sortIS4_Lb0EN6thrust23THRUST_200600_302600_NS6detail15normal_iteratorINSA_10device_ptrIfEEEESF_PS6_SG_NS0_19identity_decomposerEEE10hipError_tT1_T2_T3_T4_jRjT5_jjP12ihipStream_tbEUlT_E_NS1_11comp_targetILNS1_3genE10ELNS1_11target_archE1201ELNS1_3gpuE5ELNS1_3repE0EEENS1_44radix_sort_block_sort_config_static_selectorELNS0_4arch9wavefront6targetE0EEEvSJ_.kd
    .uniform_work_group_size: 1
    .uses_dynamic_stack: false
    .vgpr_count:     0
    .vgpr_spill_count: 0
    .wavefront_size: 32
    .workgroup_processor_mode: 1
  - .args:
      - .offset:         0
        .size:           48
        .value_kind:     by_value
    .group_segment_fixed_size: 0
    .kernarg_segment_align: 8
    .kernarg_segment_size: 48
    .language:       OpenCL C
    .language_version:
      - 2
      - 0
    .max_flat_workgroup_size: 256
    .name:           _ZN7rocprim17ROCPRIM_400000_NS6detail17trampoline_kernelINS0_13kernel_configILj256ELj4ELj4294967295EEENS1_37radix_sort_block_sort_config_selectorIfNS0_10empty_typeEEEZNS1_21radix_sort_block_sortIS4_Lb0EN6thrust23THRUST_200600_302600_NS6detail15normal_iteratorINSA_10device_ptrIfEEEESF_PS6_SG_NS0_19identity_decomposerEEE10hipError_tT1_T2_T3_T4_jRjT5_jjP12ihipStream_tbEUlT_E_NS1_11comp_targetILNS1_3genE10ELNS1_11target_archE1200ELNS1_3gpuE4ELNS1_3repE0EEENS1_44radix_sort_block_sort_config_static_selectorELNS0_4arch9wavefront6targetE0EEEvSJ_
    .private_segment_fixed_size: 0
    .sgpr_count:     0
    .sgpr_spill_count: 0
    .symbol:         _ZN7rocprim17ROCPRIM_400000_NS6detail17trampoline_kernelINS0_13kernel_configILj256ELj4ELj4294967295EEENS1_37radix_sort_block_sort_config_selectorIfNS0_10empty_typeEEEZNS1_21radix_sort_block_sortIS4_Lb0EN6thrust23THRUST_200600_302600_NS6detail15normal_iteratorINSA_10device_ptrIfEEEESF_PS6_SG_NS0_19identity_decomposerEEE10hipError_tT1_T2_T3_T4_jRjT5_jjP12ihipStream_tbEUlT_E_NS1_11comp_targetILNS1_3genE10ELNS1_11target_archE1200ELNS1_3gpuE4ELNS1_3repE0EEENS1_44radix_sort_block_sort_config_static_selectorELNS0_4arch9wavefront6targetE0EEEvSJ_.kd
    .uniform_work_group_size: 1
    .uses_dynamic_stack: false
    .vgpr_count:     0
    .vgpr_spill_count: 0
    .wavefront_size: 32
    .workgroup_processor_mode: 1
  - .args:
      - .offset:         0
        .size:           48
        .value_kind:     by_value
    .group_segment_fixed_size: 0
    .kernarg_segment_align: 8
    .kernarg_segment_size: 48
    .language:       OpenCL C
    .language_version:
      - 2
      - 0
    .max_flat_workgroup_size: 256
    .name:           _ZN7rocprim17ROCPRIM_400000_NS6detail17trampoline_kernelINS0_13kernel_configILj256ELj4ELj4294967295EEENS1_37radix_sort_block_sort_config_selectorIfNS0_10empty_typeEEEZNS1_21radix_sort_block_sortIS4_Lb0EN6thrust23THRUST_200600_302600_NS6detail15normal_iteratorINSA_10device_ptrIfEEEESF_PS6_SG_NS0_19identity_decomposerEEE10hipError_tT1_T2_T3_T4_jRjT5_jjP12ihipStream_tbEUlT_E_NS1_11comp_targetILNS1_3genE9ELNS1_11target_archE1100ELNS1_3gpuE3ELNS1_3repE0EEENS1_44radix_sort_block_sort_config_static_selectorELNS0_4arch9wavefront6targetE0EEEvSJ_
    .private_segment_fixed_size: 0
    .sgpr_count:     0
    .sgpr_spill_count: 0
    .symbol:         _ZN7rocprim17ROCPRIM_400000_NS6detail17trampoline_kernelINS0_13kernel_configILj256ELj4ELj4294967295EEENS1_37radix_sort_block_sort_config_selectorIfNS0_10empty_typeEEEZNS1_21radix_sort_block_sortIS4_Lb0EN6thrust23THRUST_200600_302600_NS6detail15normal_iteratorINSA_10device_ptrIfEEEESF_PS6_SG_NS0_19identity_decomposerEEE10hipError_tT1_T2_T3_T4_jRjT5_jjP12ihipStream_tbEUlT_E_NS1_11comp_targetILNS1_3genE9ELNS1_11target_archE1100ELNS1_3gpuE3ELNS1_3repE0EEENS1_44radix_sort_block_sort_config_static_selectorELNS0_4arch9wavefront6targetE0EEEvSJ_.kd
    .uniform_work_group_size: 1
    .uses_dynamic_stack: false
    .vgpr_count:     0
    .vgpr_spill_count: 0
    .wavefront_size: 32
    .workgroup_processor_mode: 1
  - .args:
      - .offset:         0
        .size:           48
        .value_kind:     by_value
      - .offset:         48
        .size:           4
        .value_kind:     hidden_block_count_x
      - .offset:         52
        .size:           4
        .value_kind:     hidden_block_count_y
      - .offset:         56
        .size:           4
        .value_kind:     hidden_block_count_z
      - .offset:         60
        .size:           2
        .value_kind:     hidden_group_size_x
      - .offset:         62
        .size:           2
        .value_kind:     hidden_group_size_y
      - .offset:         64
        .size:           2
        .value_kind:     hidden_group_size_z
      - .offset:         66
        .size:           2
        .value_kind:     hidden_remainder_x
      - .offset:         68
        .size:           2
        .value_kind:     hidden_remainder_y
      - .offset:         70
        .size:           2
        .value_kind:     hidden_remainder_z
      - .offset:         88
        .size:           8
        .value_kind:     hidden_global_offset_x
      - .offset:         96
        .size:           8
        .value_kind:     hidden_global_offset_y
      - .offset:         104
        .size:           8
        .value_kind:     hidden_global_offset_z
      - .offset:         112
        .size:           2
        .value_kind:     hidden_grid_dims
    .group_segment_fixed_size: 8224
    .kernarg_segment_align: 8
    .kernarg_segment_size: 304
    .language:       OpenCL C
    .language_version:
      - 2
      - 0
    .max_flat_workgroup_size: 256
    .name:           _ZN7rocprim17ROCPRIM_400000_NS6detail17trampoline_kernelINS0_13kernel_configILj256ELj4ELj4294967295EEENS1_37radix_sort_block_sort_config_selectorIfNS0_10empty_typeEEEZNS1_21radix_sort_block_sortIS4_Lb0EN6thrust23THRUST_200600_302600_NS6detail15normal_iteratorINSA_10device_ptrIfEEEESF_PS6_SG_NS0_19identity_decomposerEEE10hipError_tT1_T2_T3_T4_jRjT5_jjP12ihipStream_tbEUlT_E_NS1_11comp_targetILNS1_3genE8ELNS1_11target_archE1030ELNS1_3gpuE2ELNS1_3repE0EEENS1_44radix_sort_block_sort_config_static_selectorELNS0_4arch9wavefront6targetE0EEEvSJ_
    .private_segment_fixed_size: 0
    .sgpr_count:     30
    .sgpr_spill_count: 0
    .symbol:         _ZN7rocprim17ROCPRIM_400000_NS6detail17trampoline_kernelINS0_13kernel_configILj256ELj4ELj4294967295EEENS1_37radix_sort_block_sort_config_selectorIfNS0_10empty_typeEEEZNS1_21radix_sort_block_sortIS4_Lb0EN6thrust23THRUST_200600_302600_NS6detail15normal_iteratorINSA_10device_ptrIfEEEESF_PS6_SG_NS0_19identity_decomposerEEE10hipError_tT1_T2_T3_T4_jRjT5_jjP12ihipStream_tbEUlT_E_NS1_11comp_targetILNS1_3genE8ELNS1_11target_archE1030ELNS1_3gpuE2ELNS1_3repE0EEENS1_44radix_sort_block_sort_config_static_selectorELNS0_4arch9wavefront6targetE0EEEvSJ_.kd
    .uniform_work_group_size: 1
    .uses_dynamic_stack: false
    .vgpr_count:     38
    .vgpr_spill_count: 0
    .wavefront_size: 32
    .workgroup_processor_mode: 1
  - .args:           []
    .group_segment_fixed_size: 0
    .kernarg_segment_align: 4
    .kernarg_segment_size: 0
    .language:       OpenCL C
    .language_version:
      - 2
      - 0
    .max_flat_workgroup_size: 1024
    .name:           _ZN7rocprim17ROCPRIM_400000_NS6detail44device_merge_sort_compile_time_verifier_archINS1_11comp_targetILNS1_3genE0ELNS1_11target_archE4294967295ELNS1_3gpuE0ELNS1_3repE0EEES8_NS1_28merge_sort_block_sort_configILj256ELj4ELNS0_20block_sort_algorithmE0EEENS0_14default_configENS1_37merge_sort_block_sort_config_selectorIfNS0_10empty_typeEEENS1_38merge_sort_block_merge_config_selectorIfSE_EEEEvv
    .private_segment_fixed_size: 0
    .sgpr_count:     0
    .sgpr_spill_count: 0
    .symbol:         _ZN7rocprim17ROCPRIM_400000_NS6detail44device_merge_sort_compile_time_verifier_archINS1_11comp_targetILNS1_3genE0ELNS1_11target_archE4294967295ELNS1_3gpuE0ELNS1_3repE0EEES8_NS1_28merge_sort_block_sort_configILj256ELj4ELNS0_20block_sort_algorithmE0EEENS0_14default_configENS1_37merge_sort_block_sort_config_selectorIfNS0_10empty_typeEEENS1_38merge_sort_block_merge_config_selectorIfSE_EEEEvv.kd
    .uniform_work_group_size: 1
    .uses_dynamic_stack: false
    .vgpr_count:     0
    .vgpr_spill_count: 0
    .wavefront_size: 32
    .workgroup_processor_mode: 1
  - .args:           []
    .group_segment_fixed_size: 0
    .kernarg_segment_align: 4
    .kernarg_segment_size: 0
    .language:       OpenCL C
    .language_version:
      - 2
      - 0
    .max_flat_workgroup_size: 1024
    .name:           _ZN7rocprim17ROCPRIM_400000_NS6detail44device_merge_sort_compile_time_verifier_archINS1_11comp_targetILNS1_3genE5ELNS1_11target_archE942ELNS1_3gpuE9ELNS1_3repE0EEES8_NS1_28merge_sort_block_sort_configILj256ELj4ELNS0_20block_sort_algorithmE0EEENS0_14default_configENS1_37merge_sort_block_sort_config_selectorIfNS0_10empty_typeEEENS1_38merge_sort_block_merge_config_selectorIfSE_EEEEvv
    .private_segment_fixed_size: 0
    .sgpr_count:     0
    .sgpr_spill_count: 0
    .symbol:         _ZN7rocprim17ROCPRIM_400000_NS6detail44device_merge_sort_compile_time_verifier_archINS1_11comp_targetILNS1_3genE5ELNS1_11target_archE942ELNS1_3gpuE9ELNS1_3repE0EEES8_NS1_28merge_sort_block_sort_configILj256ELj4ELNS0_20block_sort_algorithmE0EEENS0_14default_configENS1_37merge_sort_block_sort_config_selectorIfNS0_10empty_typeEEENS1_38merge_sort_block_merge_config_selectorIfSE_EEEEvv.kd
    .uniform_work_group_size: 1
    .uses_dynamic_stack: false
    .vgpr_count:     0
    .vgpr_spill_count: 0
    .wavefront_size: 32
    .workgroup_processor_mode: 1
  - .args:           []
    .group_segment_fixed_size: 0
    .kernarg_segment_align: 4
    .kernarg_segment_size: 0
    .language:       OpenCL C
    .language_version:
      - 2
      - 0
    .max_flat_workgroup_size: 1024
    .name:           _ZN7rocprim17ROCPRIM_400000_NS6detail44device_merge_sort_compile_time_verifier_archINS1_11comp_targetILNS1_3genE4ELNS1_11target_archE910ELNS1_3gpuE8ELNS1_3repE0EEES8_NS1_28merge_sort_block_sort_configILj256ELj4ELNS0_20block_sort_algorithmE0EEENS0_14default_configENS1_37merge_sort_block_sort_config_selectorIfNS0_10empty_typeEEENS1_38merge_sort_block_merge_config_selectorIfSE_EEEEvv
    .private_segment_fixed_size: 0
    .sgpr_count:     0
    .sgpr_spill_count: 0
    .symbol:         _ZN7rocprim17ROCPRIM_400000_NS6detail44device_merge_sort_compile_time_verifier_archINS1_11comp_targetILNS1_3genE4ELNS1_11target_archE910ELNS1_3gpuE8ELNS1_3repE0EEES8_NS1_28merge_sort_block_sort_configILj256ELj4ELNS0_20block_sort_algorithmE0EEENS0_14default_configENS1_37merge_sort_block_sort_config_selectorIfNS0_10empty_typeEEENS1_38merge_sort_block_merge_config_selectorIfSE_EEEEvv.kd
    .uniform_work_group_size: 1
    .uses_dynamic_stack: false
    .vgpr_count:     0
    .vgpr_spill_count: 0
    .wavefront_size: 32
    .workgroup_processor_mode: 1
  - .args:           []
    .group_segment_fixed_size: 0
    .kernarg_segment_align: 4
    .kernarg_segment_size: 0
    .language:       OpenCL C
    .language_version:
      - 2
      - 0
    .max_flat_workgroup_size: 1024
    .name:           _ZN7rocprim17ROCPRIM_400000_NS6detail44device_merge_sort_compile_time_verifier_archINS1_11comp_targetILNS1_3genE3ELNS1_11target_archE908ELNS1_3gpuE7ELNS1_3repE0EEES8_NS1_28merge_sort_block_sort_configILj256ELj4ELNS0_20block_sort_algorithmE0EEENS0_14default_configENS1_37merge_sort_block_sort_config_selectorIfNS0_10empty_typeEEENS1_38merge_sort_block_merge_config_selectorIfSE_EEEEvv
    .private_segment_fixed_size: 0
    .sgpr_count:     0
    .sgpr_spill_count: 0
    .symbol:         _ZN7rocprim17ROCPRIM_400000_NS6detail44device_merge_sort_compile_time_verifier_archINS1_11comp_targetILNS1_3genE3ELNS1_11target_archE908ELNS1_3gpuE7ELNS1_3repE0EEES8_NS1_28merge_sort_block_sort_configILj256ELj4ELNS0_20block_sort_algorithmE0EEENS0_14default_configENS1_37merge_sort_block_sort_config_selectorIfNS0_10empty_typeEEENS1_38merge_sort_block_merge_config_selectorIfSE_EEEEvv.kd
    .uniform_work_group_size: 1
    .uses_dynamic_stack: false
    .vgpr_count:     0
    .vgpr_spill_count: 0
    .wavefront_size: 32
    .workgroup_processor_mode: 1
  - .args:           []
    .group_segment_fixed_size: 0
    .kernarg_segment_align: 4
    .kernarg_segment_size: 0
    .language:       OpenCL C
    .language_version:
      - 2
      - 0
    .max_flat_workgroup_size: 1024
    .name:           _ZN7rocprim17ROCPRIM_400000_NS6detail44device_merge_sort_compile_time_verifier_archINS1_11comp_targetILNS1_3genE2ELNS1_11target_archE906ELNS1_3gpuE6ELNS1_3repE0EEES8_NS1_28merge_sort_block_sort_configILj256ELj4ELNS0_20block_sort_algorithmE0EEENS0_14default_configENS1_37merge_sort_block_sort_config_selectorIfNS0_10empty_typeEEENS1_38merge_sort_block_merge_config_selectorIfSE_EEEEvv
    .private_segment_fixed_size: 0
    .sgpr_count:     0
    .sgpr_spill_count: 0
    .symbol:         _ZN7rocprim17ROCPRIM_400000_NS6detail44device_merge_sort_compile_time_verifier_archINS1_11comp_targetILNS1_3genE2ELNS1_11target_archE906ELNS1_3gpuE6ELNS1_3repE0EEES8_NS1_28merge_sort_block_sort_configILj256ELj4ELNS0_20block_sort_algorithmE0EEENS0_14default_configENS1_37merge_sort_block_sort_config_selectorIfNS0_10empty_typeEEENS1_38merge_sort_block_merge_config_selectorIfSE_EEEEvv.kd
    .uniform_work_group_size: 1
    .uses_dynamic_stack: false
    .vgpr_count:     0
    .vgpr_spill_count: 0
    .wavefront_size: 32
    .workgroup_processor_mode: 1
  - .args:           []
    .group_segment_fixed_size: 0
    .kernarg_segment_align: 4
    .kernarg_segment_size: 0
    .language:       OpenCL C
    .language_version:
      - 2
      - 0
    .max_flat_workgroup_size: 1024
    .name:           _ZN7rocprim17ROCPRIM_400000_NS6detail44device_merge_sort_compile_time_verifier_archINS1_11comp_targetILNS1_3genE10ELNS1_11target_archE1201ELNS1_3gpuE5ELNS1_3repE0EEES8_NS1_28merge_sort_block_sort_configILj256ELj4ELNS0_20block_sort_algorithmE0EEENS0_14default_configENS1_37merge_sort_block_sort_config_selectorIfNS0_10empty_typeEEENS1_38merge_sort_block_merge_config_selectorIfSE_EEEEvv
    .private_segment_fixed_size: 0
    .sgpr_count:     0
    .sgpr_spill_count: 0
    .symbol:         _ZN7rocprim17ROCPRIM_400000_NS6detail44device_merge_sort_compile_time_verifier_archINS1_11comp_targetILNS1_3genE10ELNS1_11target_archE1201ELNS1_3gpuE5ELNS1_3repE0EEES8_NS1_28merge_sort_block_sort_configILj256ELj4ELNS0_20block_sort_algorithmE0EEENS0_14default_configENS1_37merge_sort_block_sort_config_selectorIfNS0_10empty_typeEEENS1_38merge_sort_block_merge_config_selectorIfSE_EEEEvv.kd
    .uniform_work_group_size: 1
    .uses_dynamic_stack: false
    .vgpr_count:     0
    .vgpr_spill_count: 0
    .wavefront_size: 32
    .workgroup_processor_mode: 1
  - .args:           []
    .group_segment_fixed_size: 0
    .kernarg_segment_align: 4
    .kernarg_segment_size: 0
    .language:       OpenCL C
    .language_version:
      - 2
      - 0
    .max_flat_workgroup_size: 1024
    .name:           _ZN7rocprim17ROCPRIM_400000_NS6detail44device_merge_sort_compile_time_verifier_archINS1_11comp_targetILNS1_3genE10ELNS1_11target_archE1200ELNS1_3gpuE4ELNS1_3repE0EEENS3_ILS4_10ELS5_1201ELS6_5ELS7_0EEENS1_28merge_sort_block_sort_configILj256ELj4ELNS0_20block_sort_algorithmE0EEENS0_14default_configENS1_37merge_sort_block_sort_config_selectorIfNS0_10empty_typeEEENS1_38merge_sort_block_merge_config_selectorIfSF_EEEEvv
    .private_segment_fixed_size: 0
    .sgpr_count:     0
    .sgpr_spill_count: 0
    .symbol:         _ZN7rocprim17ROCPRIM_400000_NS6detail44device_merge_sort_compile_time_verifier_archINS1_11comp_targetILNS1_3genE10ELNS1_11target_archE1200ELNS1_3gpuE4ELNS1_3repE0EEENS3_ILS4_10ELS5_1201ELS6_5ELS7_0EEENS1_28merge_sort_block_sort_configILj256ELj4ELNS0_20block_sort_algorithmE0EEENS0_14default_configENS1_37merge_sort_block_sort_config_selectorIfNS0_10empty_typeEEENS1_38merge_sort_block_merge_config_selectorIfSF_EEEEvv.kd
    .uniform_work_group_size: 1
    .uses_dynamic_stack: false
    .vgpr_count:     0
    .vgpr_spill_count: 0
    .wavefront_size: 32
    .workgroup_processor_mode: 1
  - .args:           []
    .group_segment_fixed_size: 0
    .kernarg_segment_align: 4
    .kernarg_segment_size: 0
    .language:       OpenCL C
    .language_version:
      - 2
      - 0
    .max_flat_workgroup_size: 1024
    .name:           _ZN7rocprim17ROCPRIM_400000_NS6detail44device_merge_sort_compile_time_verifier_archINS1_11comp_targetILNS1_3genE9ELNS1_11target_archE1100ELNS1_3gpuE3ELNS1_3repE0EEES8_NS1_28merge_sort_block_sort_configILj256ELj4ELNS0_20block_sort_algorithmE0EEENS0_14default_configENS1_37merge_sort_block_sort_config_selectorIfNS0_10empty_typeEEENS1_38merge_sort_block_merge_config_selectorIfSE_EEEEvv
    .private_segment_fixed_size: 0
    .sgpr_count:     0
    .sgpr_spill_count: 0
    .symbol:         _ZN7rocprim17ROCPRIM_400000_NS6detail44device_merge_sort_compile_time_verifier_archINS1_11comp_targetILNS1_3genE9ELNS1_11target_archE1100ELNS1_3gpuE3ELNS1_3repE0EEES8_NS1_28merge_sort_block_sort_configILj256ELj4ELNS0_20block_sort_algorithmE0EEENS0_14default_configENS1_37merge_sort_block_sort_config_selectorIfNS0_10empty_typeEEENS1_38merge_sort_block_merge_config_selectorIfSE_EEEEvv.kd
    .uniform_work_group_size: 1
    .uses_dynamic_stack: false
    .vgpr_count:     0
    .vgpr_spill_count: 0
    .wavefront_size: 32
    .workgroup_processor_mode: 1
  - .args:           []
    .group_segment_fixed_size: 0
    .kernarg_segment_align: 4
    .kernarg_segment_size: 0
    .language:       OpenCL C
    .language_version:
      - 2
      - 0
    .max_flat_workgroup_size: 1024
    .name:           _ZN7rocprim17ROCPRIM_400000_NS6detail44device_merge_sort_compile_time_verifier_archINS1_11comp_targetILNS1_3genE8ELNS1_11target_archE1030ELNS1_3gpuE2ELNS1_3repE0EEES8_NS1_28merge_sort_block_sort_configILj256ELj4ELNS0_20block_sort_algorithmE0EEENS0_14default_configENS1_37merge_sort_block_sort_config_selectorIfNS0_10empty_typeEEENS1_38merge_sort_block_merge_config_selectorIfSE_EEEEvv
    .private_segment_fixed_size: 0
    .sgpr_count:     0
    .sgpr_spill_count: 0
    .symbol:         _ZN7rocprim17ROCPRIM_400000_NS6detail44device_merge_sort_compile_time_verifier_archINS1_11comp_targetILNS1_3genE8ELNS1_11target_archE1030ELNS1_3gpuE2ELNS1_3repE0EEES8_NS1_28merge_sort_block_sort_configILj256ELj4ELNS0_20block_sort_algorithmE0EEENS0_14default_configENS1_37merge_sort_block_sort_config_selectorIfNS0_10empty_typeEEENS1_38merge_sort_block_merge_config_selectorIfSE_EEEEvv.kd
    .uniform_work_group_size: 1
    .uses_dynamic_stack: false
    .vgpr_count:     0
    .vgpr_spill_count: 0
    .wavefront_size: 32
    .workgroup_processor_mode: 1
  - .args:
      - .offset:         0
        .size:           40
        .value_kind:     by_value
    .group_segment_fixed_size: 0
    .kernarg_segment_align: 8
    .kernarg_segment_size: 40
    .language:       OpenCL C
    .language_version:
      - 2
      - 0
    .max_flat_workgroup_size: 128
    .name:           _ZN7rocprim17ROCPRIM_400000_NS6detail17trampoline_kernelINS0_14default_configENS1_38merge_sort_block_merge_config_selectorIfNS0_10empty_typeEEEZZNS1_27merge_sort_block_merge_implIS3_N6thrust23THRUST_200600_302600_NS6detail15normal_iteratorINS9_10device_ptrIfEEEEPS5_jNS1_19radix_merge_compareILb0ELb0EfNS0_19identity_decomposerEEEEE10hipError_tT0_T1_T2_jT3_P12ihipStream_tbPNSt15iterator_traitsISK_E10value_typeEPNSQ_ISL_E10value_typeEPSM_NS1_7vsmem_tEENKUlT_SK_SL_SM_E_clIPfSE_SF_SF_EESJ_SZ_SK_SL_SM_EUlSZ_E_NS1_11comp_targetILNS1_3genE0ELNS1_11target_archE4294967295ELNS1_3gpuE0ELNS1_3repE0EEENS1_48merge_mergepath_partition_config_static_selectorELNS0_4arch9wavefront6targetE0EEEvSL_
    .private_segment_fixed_size: 0
    .sgpr_count:     0
    .sgpr_spill_count: 0
    .symbol:         _ZN7rocprim17ROCPRIM_400000_NS6detail17trampoline_kernelINS0_14default_configENS1_38merge_sort_block_merge_config_selectorIfNS0_10empty_typeEEEZZNS1_27merge_sort_block_merge_implIS3_N6thrust23THRUST_200600_302600_NS6detail15normal_iteratorINS9_10device_ptrIfEEEEPS5_jNS1_19radix_merge_compareILb0ELb0EfNS0_19identity_decomposerEEEEE10hipError_tT0_T1_T2_jT3_P12ihipStream_tbPNSt15iterator_traitsISK_E10value_typeEPNSQ_ISL_E10value_typeEPSM_NS1_7vsmem_tEENKUlT_SK_SL_SM_E_clIPfSE_SF_SF_EESJ_SZ_SK_SL_SM_EUlSZ_E_NS1_11comp_targetILNS1_3genE0ELNS1_11target_archE4294967295ELNS1_3gpuE0ELNS1_3repE0EEENS1_48merge_mergepath_partition_config_static_selectorELNS0_4arch9wavefront6targetE0EEEvSL_.kd
    .uniform_work_group_size: 1
    .uses_dynamic_stack: false
    .vgpr_count:     0
    .vgpr_spill_count: 0
    .wavefront_size: 32
    .workgroup_processor_mode: 1
  - .args:
      - .offset:         0
        .size:           40
        .value_kind:     by_value
    .group_segment_fixed_size: 0
    .kernarg_segment_align: 8
    .kernarg_segment_size: 40
    .language:       OpenCL C
    .language_version:
      - 2
      - 0
    .max_flat_workgroup_size: 128
    .name:           _ZN7rocprim17ROCPRIM_400000_NS6detail17trampoline_kernelINS0_14default_configENS1_38merge_sort_block_merge_config_selectorIfNS0_10empty_typeEEEZZNS1_27merge_sort_block_merge_implIS3_N6thrust23THRUST_200600_302600_NS6detail15normal_iteratorINS9_10device_ptrIfEEEEPS5_jNS1_19radix_merge_compareILb0ELb0EfNS0_19identity_decomposerEEEEE10hipError_tT0_T1_T2_jT3_P12ihipStream_tbPNSt15iterator_traitsISK_E10value_typeEPNSQ_ISL_E10value_typeEPSM_NS1_7vsmem_tEENKUlT_SK_SL_SM_E_clIPfSE_SF_SF_EESJ_SZ_SK_SL_SM_EUlSZ_E_NS1_11comp_targetILNS1_3genE10ELNS1_11target_archE1201ELNS1_3gpuE5ELNS1_3repE0EEENS1_48merge_mergepath_partition_config_static_selectorELNS0_4arch9wavefront6targetE0EEEvSL_
    .private_segment_fixed_size: 0
    .sgpr_count:     0
    .sgpr_spill_count: 0
    .symbol:         _ZN7rocprim17ROCPRIM_400000_NS6detail17trampoline_kernelINS0_14default_configENS1_38merge_sort_block_merge_config_selectorIfNS0_10empty_typeEEEZZNS1_27merge_sort_block_merge_implIS3_N6thrust23THRUST_200600_302600_NS6detail15normal_iteratorINS9_10device_ptrIfEEEEPS5_jNS1_19radix_merge_compareILb0ELb0EfNS0_19identity_decomposerEEEEE10hipError_tT0_T1_T2_jT3_P12ihipStream_tbPNSt15iterator_traitsISK_E10value_typeEPNSQ_ISL_E10value_typeEPSM_NS1_7vsmem_tEENKUlT_SK_SL_SM_E_clIPfSE_SF_SF_EESJ_SZ_SK_SL_SM_EUlSZ_E_NS1_11comp_targetILNS1_3genE10ELNS1_11target_archE1201ELNS1_3gpuE5ELNS1_3repE0EEENS1_48merge_mergepath_partition_config_static_selectorELNS0_4arch9wavefront6targetE0EEEvSL_.kd
    .uniform_work_group_size: 1
    .uses_dynamic_stack: false
    .vgpr_count:     0
    .vgpr_spill_count: 0
    .wavefront_size: 32
    .workgroup_processor_mode: 1
  - .args:
      - .offset:         0
        .size:           40
        .value_kind:     by_value
    .group_segment_fixed_size: 0
    .kernarg_segment_align: 8
    .kernarg_segment_size: 40
    .language:       OpenCL C
    .language_version:
      - 2
      - 0
    .max_flat_workgroup_size: 128
    .name:           _ZN7rocprim17ROCPRIM_400000_NS6detail17trampoline_kernelINS0_14default_configENS1_38merge_sort_block_merge_config_selectorIfNS0_10empty_typeEEEZZNS1_27merge_sort_block_merge_implIS3_N6thrust23THRUST_200600_302600_NS6detail15normal_iteratorINS9_10device_ptrIfEEEEPS5_jNS1_19radix_merge_compareILb0ELb0EfNS0_19identity_decomposerEEEEE10hipError_tT0_T1_T2_jT3_P12ihipStream_tbPNSt15iterator_traitsISK_E10value_typeEPNSQ_ISL_E10value_typeEPSM_NS1_7vsmem_tEENKUlT_SK_SL_SM_E_clIPfSE_SF_SF_EESJ_SZ_SK_SL_SM_EUlSZ_E_NS1_11comp_targetILNS1_3genE5ELNS1_11target_archE942ELNS1_3gpuE9ELNS1_3repE0EEENS1_48merge_mergepath_partition_config_static_selectorELNS0_4arch9wavefront6targetE0EEEvSL_
    .private_segment_fixed_size: 0
    .sgpr_count:     0
    .sgpr_spill_count: 0
    .symbol:         _ZN7rocprim17ROCPRIM_400000_NS6detail17trampoline_kernelINS0_14default_configENS1_38merge_sort_block_merge_config_selectorIfNS0_10empty_typeEEEZZNS1_27merge_sort_block_merge_implIS3_N6thrust23THRUST_200600_302600_NS6detail15normal_iteratorINS9_10device_ptrIfEEEEPS5_jNS1_19radix_merge_compareILb0ELb0EfNS0_19identity_decomposerEEEEE10hipError_tT0_T1_T2_jT3_P12ihipStream_tbPNSt15iterator_traitsISK_E10value_typeEPNSQ_ISL_E10value_typeEPSM_NS1_7vsmem_tEENKUlT_SK_SL_SM_E_clIPfSE_SF_SF_EESJ_SZ_SK_SL_SM_EUlSZ_E_NS1_11comp_targetILNS1_3genE5ELNS1_11target_archE942ELNS1_3gpuE9ELNS1_3repE0EEENS1_48merge_mergepath_partition_config_static_selectorELNS0_4arch9wavefront6targetE0EEEvSL_.kd
    .uniform_work_group_size: 1
    .uses_dynamic_stack: false
    .vgpr_count:     0
    .vgpr_spill_count: 0
    .wavefront_size: 32
    .workgroup_processor_mode: 1
  - .args:
      - .offset:         0
        .size:           40
        .value_kind:     by_value
    .group_segment_fixed_size: 0
    .kernarg_segment_align: 8
    .kernarg_segment_size: 40
    .language:       OpenCL C
    .language_version:
      - 2
      - 0
    .max_flat_workgroup_size: 128
    .name:           _ZN7rocprim17ROCPRIM_400000_NS6detail17trampoline_kernelINS0_14default_configENS1_38merge_sort_block_merge_config_selectorIfNS0_10empty_typeEEEZZNS1_27merge_sort_block_merge_implIS3_N6thrust23THRUST_200600_302600_NS6detail15normal_iteratorINS9_10device_ptrIfEEEEPS5_jNS1_19radix_merge_compareILb0ELb0EfNS0_19identity_decomposerEEEEE10hipError_tT0_T1_T2_jT3_P12ihipStream_tbPNSt15iterator_traitsISK_E10value_typeEPNSQ_ISL_E10value_typeEPSM_NS1_7vsmem_tEENKUlT_SK_SL_SM_E_clIPfSE_SF_SF_EESJ_SZ_SK_SL_SM_EUlSZ_E_NS1_11comp_targetILNS1_3genE4ELNS1_11target_archE910ELNS1_3gpuE8ELNS1_3repE0EEENS1_48merge_mergepath_partition_config_static_selectorELNS0_4arch9wavefront6targetE0EEEvSL_
    .private_segment_fixed_size: 0
    .sgpr_count:     0
    .sgpr_spill_count: 0
    .symbol:         _ZN7rocprim17ROCPRIM_400000_NS6detail17trampoline_kernelINS0_14default_configENS1_38merge_sort_block_merge_config_selectorIfNS0_10empty_typeEEEZZNS1_27merge_sort_block_merge_implIS3_N6thrust23THRUST_200600_302600_NS6detail15normal_iteratorINS9_10device_ptrIfEEEEPS5_jNS1_19radix_merge_compareILb0ELb0EfNS0_19identity_decomposerEEEEE10hipError_tT0_T1_T2_jT3_P12ihipStream_tbPNSt15iterator_traitsISK_E10value_typeEPNSQ_ISL_E10value_typeEPSM_NS1_7vsmem_tEENKUlT_SK_SL_SM_E_clIPfSE_SF_SF_EESJ_SZ_SK_SL_SM_EUlSZ_E_NS1_11comp_targetILNS1_3genE4ELNS1_11target_archE910ELNS1_3gpuE8ELNS1_3repE0EEENS1_48merge_mergepath_partition_config_static_selectorELNS0_4arch9wavefront6targetE0EEEvSL_.kd
    .uniform_work_group_size: 1
    .uses_dynamic_stack: false
    .vgpr_count:     0
    .vgpr_spill_count: 0
    .wavefront_size: 32
    .workgroup_processor_mode: 1
  - .args:
      - .offset:         0
        .size:           40
        .value_kind:     by_value
    .group_segment_fixed_size: 0
    .kernarg_segment_align: 8
    .kernarg_segment_size: 40
    .language:       OpenCL C
    .language_version:
      - 2
      - 0
    .max_flat_workgroup_size: 128
    .name:           _ZN7rocprim17ROCPRIM_400000_NS6detail17trampoline_kernelINS0_14default_configENS1_38merge_sort_block_merge_config_selectorIfNS0_10empty_typeEEEZZNS1_27merge_sort_block_merge_implIS3_N6thrust23THRUST_200600_302600_NS6detail15normal_iteratorINS9_10device_ptrIfEEEEPS5_jNS1_19radix_merge_compareILb0ELb0EfNS0_19identity_decomposerEEEEE10hipError_tT0_T1_T2_jT3_P12ihipStream_tbPNSt15iterator_traitsISK_E10value_typeEPNSQ_ISL_E10value_typeEPSM_NS1_7vsmem_tEENKUlT_SK_SL_SM_E_clIPfSE_SF_SF_EESJ_SZ_SK_SL_SM_EUlSZ_E_NS1_11comp_targetILNS1_3genE3ELNS1_11target_archE908ELNS1_3gpuE7ELNS1_3repE0EEENS1_48merge_mergepath_partition_config_static_selectorELNS0_4arch9wavefront6targetE0EEEvSL_
    .private_segment_fixed_size: 0
    .sgpr_count:     0
    .sgpr_spill_count: 0
    .symbol:         _ZN7rocprim17ROCPRIM_400000_NS6detail17trampoline_kernelINS0_14default_configENS1_38merge_sort_block_merge_config_selectorIfNS0_10empty_typeEEEZZNS1_27merge_sort_block_merge_implIS3_N6thrust23THRUST_200600_302600_NS6detail15normal_iteratorINS9_10device_ptrIfEEEEPS5_jNS1_19radix_merge_compareILb0ELb0EfNS0_19identity_decomposerEEEEE10hipError_tT0_T1_T2_jT3_P12ihipStream_tbPNSt15iterator_traitsISK_E10value_typeEPNSQ_ISL_E10value_typeEPSM_NS1_7vsmem_tEENKUlT_SK_SL_SM_E_clIPfSE_SF_SF_EESJ_SZ_SK_SL_SM_EUlSZ_E_NS1_11comp_targetILNS1_3genE3ELNS1_11target_archE908ELNS1_3gpuE7ELNS1_3repE0EEENS1_48merge_mergepath_partition_config_static_selectorELNS0_4arch9wavefront6targetE0EEEvSL_.kd
    .uniform_work_group_size: 1
    .uses_dynamic_stack: false
    .vgpr_count:     0
    .vgpr_spill_count: 0
    .wavefront_size: 32
    .workgroup_processor_mode: 1
  - .args:
      - .offset:         0
        .size:           40
        .value_kind:     by_value
    .group_segment_fixed_size: 0
    .kernarg_segment_align: 8
    .kernarg_segment_size: 40
    .language:       OpenCL C
    .language_version:
      - 2
      - 0
    .max_flat_workgroup_size: 128
    .name:           _ZN7rocprim17ROCPRIM_400000_NS6detail17trampoline_kernelINS0_14default_configENS1_38merge_sort_block_merge_config_selectorIfNS0_10empty_typeEEEZZNS1_27merge_sort_block_merge_implIS3_N6thrust23THRUST_200600_302600_NS6detail15normal_iteratorINS9_10device_ptrIfEEEEPS5_jNS1_19radix_merge_compareILb0ELb0EfNS0_19identity_decomposerEEEEE10hipError_tT0_T1_T2_jT3_P12ihipStream_tbPNSt15iterator_traitsISK_E10value_typeEPNSQ_ISL_E10value_typeEPSM_NS1_7vsmem_tEENKUlT_SK_SL_SM_E_clIPfSE_SF_SF_EESJ_SZ_SK_SL_SM_EUlSZ_E_NS1_11comp_targetILNS1_3genE2ELNS1_11target_archE906ELNS1_3gpuE6ELNS1_3repE0EEENS1_48merge_mergepath_partition_config_static_selectorELNS0_4arch9wavefront6targetE0EEEvSL_
    .private_segment_fixed_size: 0
    .sgpr_count:     0
    .sgpr_spill_count: 0
    .symbol:         _ZN7rocprim17ROCPRIM_400000_NS6detail17trampoline_kernelINS0_14default_configENS1_38merge_sort_block_merge_config_selectorIfNS0_10empty_typeEEEZZNS1_27merge_sort_block_merge_implIS3_N6thrust23THRUST_200600_302600_NS6detail15normal_iteratorINS9_10device_ptrIfEEEEPS5_jNS1_19radix_merge_compareILb0ELb0EfNS0_19identity_decomposerEEEEE10hipError_tT0_T1_T2_jT3_P12ihipStream_tbPNSt15iterator_traitsISK_E10value_typeEPNSQ_ISL_E10value_typeEPSM_NS1_7vsmem_tEENKUlT_SK_SL_SM_E_clIPfSE_SF_SF_EESJ_SZ_SK_SL_SM_EUlSZ_E_NS1_11comp_targetILNS1_3genE2ELNS1_11target_archE906ELNS1_3gpuE6ELNS1_3repE0EEENS1_48merge_mergepath_partition_config_static_selectorELNS0_4arch9wavefront6targetE0EEEvSL_.kd
    .uniform_work_group_size: 1
    .uses_dynamic_stack: false
    .vgpr_count:     0
    .vgpr_spill_count: 0
    .wavefront_size: 32
    .workgroup_processor_mode: 1
  - .args:
      - .offset:         0
        .size:           40
        .value_kind:     by_value
    .group_segment_fixed_size: 0
    .kernarg_segment_align: 8
    .kernarg_segment_size: 40
    .language:       OpenCL C
    .language_version:
      - 2
      - 0
    .max_flat_workgroup_size: 128
    .name:           _ZN7rocprim17ROCPRIM_400000_NS6detail17trampoline_kernelINS0_14default_configENS1_38merge_sort_block_merge_config_selectorIfNS0_10empty_typeEEEZZNS1_27merge_sort_block_merge_implIS3_N6thrust23THRUST_200600_302600_NS6detail15normal_iteratorINS9_10device_ptrIfEEEEPS5_jNS1_19radix_merge_compareILb0ELb0EfNS0_19identity_decomposerEEEEE10hipError_tT0_T1_T2_jT3_P12ihipStream_tbPNSt15iterator_traitsISK_E10value_typeEPNSQ_ISL_E10value_typeEPSM_NS1_7vsmem_tEENKUlT_SK_SL_SM_E_clIPfSE_SF_SF_EESJ_SZ_SK_SL_SM_EUlSZ_E_NS1_11comp_targetILNS1_3genE9ELNS1_11target_archE1100ELNS1_3gpuE3ELNS1_3repE0EEENS1_48merge_mergepath_partition_config_static_selectorELNS0_4arch9wavefront6targetE0EEEvSL_
    .private_segment_fixed_size: 0
    .sgpr_count:     0
    .sgpr_spill_count: 0
    .symbol:         _ZN7rocprim17ROCPRIM_400000_NS6detail17trampoline_kernelINS0_14default_configENS1_38merge_sort_block_merge_config_selectorIfNS0_10empty_typeEEEZZNS1_27merge_sort_block_merge_implIS3_N6thrust23THRUST_200600_302600_NS6detail15normal_iteratorINS9_10device_ptrIfEEEEPS5_jNS1_19radix_merge_compareILb0ELb0EfNS0_19identity_decomposerEEEEE10hipError_tT0_T1_T2_jT3_P12ihipStream_tbPNSt15iterator_traitsISK_E10value_typeEPNSQ_ISL_E10value_typeEPSM_NS1_7vsmem_tEENKUlT_SK_SL_SM_E_clIPfSE_SF_SF_EESJ_SZ_SK_SL_SM_EUlSZ_E_NS1_11comp_targetILNS1_3genE9ELNS1_11target_archE1100ELNS1_3gpuE3ELNS1_3repE0EEENS1_48merge_mergepath_partition_config_static_selectorELNS0_4arch9wavefront6targetE0EEEvSL_.kd
    .uniform_work_group_size: 1
    .uses_dynamic_stack: false
    .vgpr_count:     0
    .vgpr_spill_count: 0
    .wavefront_size: 32
    .workgroup_processor_mode: 1
  - .args:
      - .offset:         0
        .size:           40
        .value_kind:     by_value
    .group_segment_fixed_size: 0
    .kernarg_segment_align: 8
    .kernarg_segment_size: 40
    .language:       OpenCL C
    .language_version:
      - 2
      - 0
    .max_flat_workgroup_size: 128
    .name:           _ZN7rocprim17ROCPRIM_400000_NS6detail17trampoline_kernelINS0_14default_configENS1_38merge_sort_block_merge_config_selectorIfNS0_10empty_typeEEEZZNS1_27merge_sort_block_merge_implIS3_N6thrust23THRUST_200600_302600_NS6detail15normal_iteratorINS9_10device_ptrIfEEEEPS5_jNS1_19radix_merge_compareILb0ELb0EfNS0_19identity_decomposerEEEEE10hipError_tT0_T1_T2_jT3_P12ihipStream_tbPNSt15iterator_traitsISK_E10value_typeEPNSQ_ISL_E10value_typeEPSM_NS1_7vsmem_tEENKUlT_SK_SL_SM_E_clIPfSE_SF_SF_EESJ_SZ_SK_SL_SM_EUlSZ_E_NS1_11comp_targetILNS1_3genE8ELNS1_11target_archE1030ELNS1_3gpuE2ELNS1_3repE0EEENS1_48merge_mergepath_partition_config_static_selectorELNS0_4arch9wavefront6targetE0EEEvSL_
    .private_segment_fixed_size: 0
    .sgpr_count:     9
    .sgpr_spill_count: 0
    .symbol:         _ZN7rocprim17ROCPRIM_400000_NS6detail17trampoline_kernelINS0_14default_configENS1_38merge_sort_block_merge_config_selectorIfNS0_10empty_typeEEEZZNS1_27merge_sort_block_merge_implIS3_N6thrust23THRUST_200600_302600_NS6detail15normal_iteratorINS9_10device_ptrIfEEEEPS5_jNS1_19radix_merge_compareILb0ELb0EfNS0_19identity_decomposerEEEEE10hipError_tT0_T1_T2_jT3_P12ihipStream_tbPNSt15iterator_traitsISK_E10value_typeEPNSQ_ISL_E10value_typeEPSM_NS1_7vsmem_tEENKUlT_SK_SL_SM_E_clIPfSE_SF_SF_EESJ_SZ_SK_SL_SM_EUlSZ_E_NS1_11comp_targetILNS1_3genE8ELNS1_11target_archE1030ELNS1_3gpuE2ELNS1_3repE0EEENS1_48merge_mergepath_partition_config_static_selectorELNS0_4arch9wavefront6targetE0EEEvSL_.kd
    .uniform_work_group_size: 1
    .uses_dynamic_stack: false
    .vgpr_count:     15
    .vgpr_spill_count: 0
    .wavefront_size: 32
    .workgroup_processor_mode: 1
  - .args:
      - .offset:         0
        .size:           64
        .value_kind:     by_value
    .group_segment_fixed_size: 0
    .kernarg_segment_align: 8
    .kernarg_segment_size: 64
    .language:       OpenCL C
    .language_version:
      - 2
      - 0
    .max_flat_workgroup_size: 128
    .name:           _ZN7rocprim17ROCPRIM_400000_NS6detail17trampoline_kernelINS0_14default_configENS1_38merge_sort_block_merge_config_selectorIfNS0_10empty_typeEEEZZNS1_27merge_sort_block_merge_implIS3_N6thrust23THRUST_200600_302600_NS6detail15normal_iteratorINS9_10device_ptrIfEEEEPS5_jNS1_19radix_merge_compareILb0ELb0EfNS0_19identity_decomposerEEEEE10hipError_tT0_T1_T2_jT3_P12ihipStream_tbPNSt15iterator_traitsISK_E10value_typeEPNSQ_ISL_E10value_typeEPSM_NS1_7vsmem_tEENKUlT_SK_SL_SM_E_clIPfSE_SF_SF_EESJ_SZ_SK_SL_SM_EUlSZ_E0_NS1_11comp_targetILNS1_3genE0ELNS1_11target_archE4294967295ELNS1_3gpuE0ELNS1_3repE0EEENS1_38merge_mergepath_config_static_selectorELNS0_4arch9wavefront6targetE0EEEvSL_
    .private_segment_fixed_size: 0
    .sgpr_count:     0
    .sgpr_spill_count: 0
    .symbol:         _ZN7rocprim17ROCPRIM_400000_NS6detail17trampoline_kernelINS0_14default_configENS1_38merge_sort_block_merge_config_selectorIfNS0_10empty_typeEEEZZNS1_27merge_sort_block_merge_implIS3_N6thrust23THRUST_200600_302600_NS6detail15normal_iteratorINS9_10device_ptrIfEEEEPS5_jNS1_19radix_merge_compareILb0ELb0EfNS0_19identity_decomposerEEEEE10hipError_tT0_T1_T2_jT3_P12ihipStream_tbPNSt15iterator_traitsISK_E10value_typeEPNSQ_ISL_E10value_typeEPSM_NS1_7vsmem_tEENKUlT_SK_SL_SM_E_clIPfSE_SF_SF_EESJ_SZ_SK_SL_SM_EUlSZ_E0_NS1_11comp_targetILNS1_3genE0ELNS1_11target_archE4294967295ELNS1_3gpuE0ELNS1_3repE0EEENS1_38merge_mergepath_config_static_selectorELNS0_4arch9wavefront6targetE0EEEvSL_.kd
    .uniform_work_group_size: 1
    .uses_dynamic_stack: false
    .vgpr_count:     0
    .vgpr_spill_count: 0
    .wavefront_size: 32
    .workgroup_processor_mode: 1
  - .args:
      - .offset:         0
        .size:           64
        .value_kind:     by_value
    .group_segment_fixed_size: 0
    .kernarg_segment_align: 8
    .kernarg_segment_size: 64
    .language:       OpenCL C
    .language_version:
      - 2
      - 0
    .max_flat_workgroup_size: 256
    .name:           _ZN7rocprim17ROCPRIM_400000_NS6detail17trampoline_kernelINS0_14default_configENS1_38merge_sort_block_merge_config_selectorIfNS0_10empty_typeEEEZZNS1_27merge_sort_block_merge_implIS3_N6thrust23THRUST_200600_302600_NS6detail15normal_iteratorINS9_10device_ptrIfEEEEPS5_jNS1_19radix_merge_compareILb0ELb0EfNS0_19identity_decomposerEEEEE10hipError_tT0_T1_T2_jT3_P12ihipStream_tbPNSt15iterator_traitsISK_E10value_typeEPNSQ_ISL_E10value_typeEPSM_NS1_7vsmem_tEENKUlT_SK_SL_SM_E_clIPfSE_SF_SF_EESJ_SZ_SK_SL_SM_EUlSZ_E0_NS1_11comp_targetILNS1_3genE10ELNS1_11target_archE1201ELNS1_3gpuE5ELNS1_3repE0EEENS1_38merge_mergepath_config_static_selectorELNS0_4arch9wavefront6targetE0EEEvSL_
    .private_segment_fixed_size: 0
    .sgpr_count:     0
    .sgpr_spill_count: 0
    .symbol:         _ZN7rocprim17ROCPRIM_400000_NS6detail17trampoline_kernelINS0_14default_configENS1_38merge_sort_block_merge_config_selectorIfNS0_10empty_typeEEEZZNS1_27merge_sort_block_merge_implIS3_N6thrust23THRUST_200600_302600_NS6detail15normal_iteratorINS9_10device_ptrIfEEEEPS5_jNS1_19radix_merge_compareILb0ELb0EfNS0_19identity_decomposerEEEEE10hipError_tT0_T1_T2_jT3_P12ihipStream_tbPNSt15iterator_traitsISK_E10value_typeEPNSQ_ISL_E10value_typeEPSM_NS1_7vsmem_tEENKUlT_SK_SL_SM_E_clIPfSE_SF_SF_EESJ_SZ_SK_SL_SM_EUlSZ_E0_NS1_11comp_targetILNS1_3genE10ELNS1_11target_archE1201ELNS1_3gpuE5ELNS1_3repE0EEENS1_38merge_mergepath_config_static_selectorELNS0_4arch9wavefront6targetE0EEEvSL_.kd
    .uniform_work_group_size: 1
    .uses_dynamic_stack: false
    .vgpr_count:     0
    .vgpr_spill_count: 0
    .wavefront_size: 32
    .workgroup_processor_mode: 1
  - .args:
      - .offset:         0
        .size:           64
        .value_kind:     by_value
    .group_segment_fixed_size: 0
    .kernarg_segment_align: 8
    .kernarg_segment_size: 64
    .language:       OpenCL C
    .language_version:
      - 2
      - 0
    .max_flat_workgroup_size: 128
    .name:           _ZN7rocprim17ROCPRIM_400000_NS6detail17trampoline_kernelINS0_14default_configENS1_38merge_sort_block_merge_config_selectorIfNS0_10empty_typeEEEZZNS1_27merge_sort_block_merge_implIS3_N6thrust23THRUST_200600_302600_NS6detail15normal_iteratorINS9_10device_ptrIfEEEEPS5_jNS1_19radix_merge_compareILb0ELb0EfNS0_19identity_decomposerEEEEE10hipError_tT0_T1_T2_jT3_P12ihipStream_tbPNSt15iterator_traitsISK_E10value_typeEPNSQ_ISL_E10value_typeEPSM_NS1_7vsmem_tEENKUlT_SK_SL_SM_E_clIPfSE_SF_SF_EESJ_SZ_SK_SL_SM_EUlSZ_E0_NS1_11comp_targetILNS1_3genE5ELNS1_11target_archE942ELNS1_3gpuE9ELNS1_3repE0EEENS1_38merge_mergepath_config_static_selectorELNS0_4arch9wavefront6targetE0EEEvSL_
    .private_segment_fixed_size: 0
    .sgpr_count:     0
    .sgpr_spill_count: 0
    .symbol:         _ZN7rocprim17ROCPRIM_400000_NS6detail17trampoline_kernelINS0_14default_configENS1_38merge_sort_block_merge_config_selectorIfNS0_10empty_typeEEEZZNS1_27merge_sort_block_merge_implIS3_N6thrust23THRUST_200600_302600_NS6detail15normal_iteratorINS9_10device_ptrIfEEEEPS5_jNS1_19radix_merge_compareILb0ELb0EfNS0_19identity_decomposerEEEEE10hipError_tT0_T1_T2_jT3_P12ihipStream_tbPNSt15iterator_traitsISK_E10value_typeEPNSQ_ISL_E10value_typeEPSM_NS1_7vsmem_tEENKUlT_SK_SL_SM_E_clIPfSE_SF_SF_EESJ_SZ_SK_SL_SM_EUlSZ_E0_NS1_11comp_targetILNS1_3genE5ELNS1_11target_archE942ELNS1_3gpuE9ELNS1_3repE0EEENS1_38merge_mergepath_config_static_selectorELNS0_4arch9wavefront6targetE0EEEvSL_.kd
    .uniform_work_group_size: 1
    .uses_dynamic_stack: false
    .vgpr_count:     0
    .vgpr_spill_count: 0
    .wavefront_size: 32
    .workgroup_processor_mode: 1
  - .args:
      - .offset:         0
        .size:           64
        .value_kind:     by_value
    .group_segment_fixed_size: 0
    .kernarg_segment_align: 8
    .kernarg_segment_size: 64
    .language:       OpenCL C
    .language_version:
      - 2
      - 0
    .max_flat_workgroup_size: 128
    .name:           _ZN7rocprim17ROCPRIM_400000_NS6detail17trampoline_kernelINS0_14default_configENS1_38merge_sort_block_merge_config_selectorIfNS0_10empty_typeEEEZZNS1_27merge_sort_block_merge_implIS3_N6thrust23THRUST_200600_302600_NS6detail15normal_iteratorINS9_10device_ptrIfEEEEPS5_jNS1_19radix_merge_compareILb0ELb0EfNS0_19identity_decomposerEEEEE10hipError_tT0_T1_T2_jT3_P12ihipStream_tbPNSt15iterator_traitsISK_E10value_typeEPNSQ_ISL_E10value_typeEPSM_NS1_7vsmem_tEENKUlT_SK_SL_SM_E_clIPfSE_SF_SF_EESJ_SZ_SK_SL_SM_EUlSZ_E0_NS1_11comp_targetILNS1_3genE4ELNS1_11target_archE910ELNS1_3gpuE8ELNS1_3repE0EEENS1_38merge_mergepath_config_static_selectorELNS0_4arch9wavefront6targetE0EEEvSL_
    .private_segment_fixed_size: 0
    .sgpr_count:     0
    .sgpr_spill_count: 0
    .symbol:         _ZN7rocprim17ROCPRIM_400000_NS6detail17trampoline_kernelINS0_14default_configENS1_38merge_sort_block_merge_config_selectorIfNS0_10empty_typeEEEZZNS1_27merge_sort_block_merge_implIS3_N6thrust23THRUST_200600_302600_NS6detail15normal_iteratorINS9_10device_ptrIfEEEEPS5_jNS1_19radix_merge_compareILb0ELb0EfNS0_19identity_decomposerEEEEE10hipError_tT0_T1_T2_jT3_P12ihipStream_tbPNSt15iterator_traitsISK_E10value_typeEPNSQ_ISL_E10value_typeEPSM_NS1_7vsmem_tEENKUlT_SK_SL_SM_E_clIPfSE_SF_SF_EESJ_SZ_SK_SL_SM_EUlSZ_E0_NS1_11comp_targetILNS1_3genE4ELNS1_11target_archE910ELNS1_3gpuE8ELNS1_3repE0EEENS1_38merge_mergepath_config_static_selectorELNS0_4arch9wavefront6targetE0EEEvSL_.kd
    .uniform_work_group_size: 1
    .uses_dynamic_stack: false
    .vgpr_count:     0
    .vgpr_spill_count: 0
    .wavefront_size: 32
    .workgroup_processor_mode: 1
  - .args:
      - .offset:         0
        .size:           64
        .value_kind:     by_value
    .group_segment_fixed_size: 0
    .kernarg_segment_align: 8
    .kernarg_segment_size: 64
    .language:       OpenCL C
    .language_version:
      - 2
      - 0
    .max_flat_workgroup_size: 128
    .name:           _ZN7rocprim17ROCPRIM_400000_NS6detail17trampoline_kernelINS0_14default_configENS1_38merge_sort_block_merge_config_selectorIfNS0_10empty_typeEEEZZNS1_27merge_sort_block_merge_implIS3_N6thrust23THRUST_200600_302600_NS6detail15normal_iteratorINS9_10device_ptrIfEEEEPS5_jNS1_19radix_merge_compareILb0ELb0EfNS0_19identity_decomposerEEEEE10hipError_tT0_T1_T2_jT3_P12ihipStream_tbPNSt15iterator_traitsISK_E10value_typeEPNSQ_ISL_E10value_typeEPSM_NS1_7vsmem_tEENKUlT_SK_SL_SM_E_clIPfSE_SF_SF_EESJ_SZ_SK_SL_SM_EUlSZ_E0_NS1_11comp_targetILNS1_3genE3ELNS1_11target_archE908ELNS1_3gpuE7ELNS1_3repE0EEENS1_38merge_mergepath_config_static_selectorELNS0_4arch9wavefront6targetE0EEEvSL_
    .private_segment_fixed_size: 0
    .sgpr_count:     0
    .sgpr_spill_count: 0
    .symbol:         _ZN7rocprim17ROCPRIM_400000_NS6detail17trampoline_kernelINS0_14default_configENS1_38merge_sort_block_merge_config_selectorIfNS0_10empty_typeEEEZZNS1_27merge_sort_block_merge_implIS3_N6thrust23THRUST_200600_302600_NS6detail15normal_iteratorINS9_10device_ptrIfEEEEPS5_jNS1_19radix_merge_compareILb0ELb0EfNS0_19identity_decomposerEEEEE10hipError_tT0_T1_T2_jT3_P12ihipStream_tbPNSt15iterator_traitsISK_E10value_typeEPNSQ_ISL_E10value_typeEPSM_NS1_7vsmem_tEENKUlT_SK_SL_SM_E_clIPfSE_SF_SF_EESJ_SZ_SK_SL_SM_EUlSZ_E0_NS1_11comp_targetILNS1_3genE3ELNS1_11target_archE908ELNS1_3gpuE7ELNS1_3repE0EEENS1_38merge_mergepath_config_static_selectorELNS0_4arch9wavefront6targetE0EEEvSL_.kd
    .uniform_work_group_size: 1
    .uses_dynamic_stack: false
    .vgpr_count:     0
    .vgpr_spill_count: 0
    .wavefront_size: 32
    .workgroup_processor_mode: 1
  - .args:
      - .offset:         0
        .size:           64
        .value_kind:     by_value
    .group_segment_fixed_size: 0
    .kernarg_segment_align: 8
    .kernarg_segment_size: 64
    .language:       OpenCL C
    .language_version:
      - 2
      - 0
    .max_flat_workgroup_size: 128
    .name:           _ZN7rocprim17ROCPRIM_400000_NS6detail17trampoline_kernelINS0_14default_configENS1_38merge_sort_block_merge_config_selectorIfNS0_10empty_typeEEEZZNS1_27merge_sort_block_merge_implIS3_N6thrust23THRUST_200600_302600_NS6detail15normal_iteratorINS9_10device_ptrIfEEEEPS5_jNS1_19radix_merge_compareILb0ELb0EfNS0_19identity_decomposerEEEEE10hipError_tT0_T1_T2_jT3_P12ihipStream_tbPNSt15iterator_traitsISK_E10value_typeEPNSQ_ISL_E10value_typeEPSM_NS1_7vsmem_tEENKUlT_SK_SL_SM_E_clIPfSE_SF_SF_EESJ_SZ_SK_SL_SM_EUlSZ_E0_NS1_11comp_targetILNS1_3genE2ELNS1_11target_archE906ELNS1_3gpuE6ELNS1_3repE0EEENS1_38merge_mergepath_config_static_selectorELNS0_4arch9wavefront6targetE0EEEvSL_
    .private_segment_fixed_size: 0
    .sgpr_count:     0
    .sgpr_spill_count: 0
    .symbol:         _ZN7rocprim17ROCPRIM_400000_NS6detail17trampoline_kernelINS0_14default_configENS1_38merge_sort_block_merge_config_selectorIfNS0_10empty_typeEEEZZNS1_27merge_sort_block_merge_implIS3_N6thrust23THRUST_200600_302600_NS6detail15normal_iteratorINS9_10device_ptrIfEEEEPS5_jNS1_19radix_merge_compareILb0ELb0EfNS0_19identity_decomposerEEEEE10hipError_tT0_T1_T2_jT3_P12ihipStream_tbPNSt15iterator_traitsISK_E10value_typeEPNSQ_ISL_E10value_typeEPSM_NS1_7vsmem_tEENKUlT_SK_SL_SM_E_clIPfSE_SF_SF_EESJ_SZ_SK_SL_SM_EUlSZ_E0_NS1_11comp_targetILNS1_3genE2ELNS1_11target_archE906ELNS1_3gpuE6ELNS1_3repE0EEENS1_38merge_mergepath_config_static_selectorELNS0_4arch9wavefront6targetE0EEEvSL_.kd
    .uniform_work_group_size: 1
    .uses_dynamic_stack: false
    .vgpr_count:     0
    .vgpr_spill_count: 0
    .wavefront_size: 32
    .workgroup_processor_mode: 1
  - .args:
      - .offset:         0
        .size:           64
        .value_kind:     by_value
    .group_segment_fixed_size: 0
    .kernarg_segment_align: 8
    .kernarg_segment_size: 64
    .language:       OpenCL C
    .language_version:
      - 2
      - 0
    .max_flat_workgroup_size: 256
    .name:           _ZN7rocprim17ROCPRIM_400000_NS6detail17trampoline_kernelINS0_14default_configENS1_38merge_sort_block_merge_config_selectorIfNS0_10empty_typeEEEZZNS1_27merge_sort_block_merge_implIS3_N6thrust23THRUST_200600_302600_NS6detail15normal_iteratorINS9_10device_ptrIfEEEEPS5_jNS1_19radix_merge_compareILb0ELb0EfNS0_19identity_decomposerEEEEE10hipError_tT0_T1_T2_jT3_P12ihipStream_tbPNSt15iterator_traitsISK_E10value_typeEPNSQ_ISL_E10value_typeEPSM_NS1_7vsmem_tEENKUlT_SK_SL_SM_E_clIPfSE_SF_SF_EESJ_SZ_SK_SL_SM_EUlSZ_E0_NS1_11comp_targetILNS1_3genE9ELNS1_11target_archE1100ELNS1_3gpuE3ELNS1_3repE0EEENS1_38merge_mergepath_config_static_selectorELNS0_4arch9wavefront6targetE0EEEvSL_
    .private_segment_fixed_size: 0
    .sgpr_count:     0
    .sgpr_spill_count: 0
    .symbol:         _ZN7rocprim17ROCPRIM_400000_NS6detail17trampoline_kernelINS0_14default_configENS1_38merge_sort_block_merge_config_selectorIfNS0_10empty_typeEEEZZNS1_27merge_sort_block_merge_implIS3_N6thrust23THRUST_200600_302600_NS6detail15normal_iteratorINS9_10device_ptrIfEEEEPS5_jNS1_19radix_merge_compareILb0ELb0EfNS0_19identity_decomposerEEEEE10hipError_tT0_T1_T2_jT3_P12ihipStream_tbPNSt15iterator_traitsISK_E10value_typeEPNSQ_ISL_E10value_typeEPSM_NS1_7vsmem_tEENKUlT_SK_SL_SM_E_clIPfSE_SF_SF_EESJ_SZ_SK_SL_SM_EUlSZ_E0_NS1_11comp_targetILNS1_3genE9ELNS1_11target_archE1100ELNS1_3gpuE3ELNS1_3repE0EEENS1_38merge_mergepath_config_static_selectorELNS0_4arch9wavefront6targetE0EEEvSL_.kd
    .uniform_work_group_size: 1
    .uses_dynamic_stack: false
    .vgpr_count:     0
    .vgpr_spill_count: 0
    .wavefront_size: 32
    .workgroup_processor_mode: 1
  - .args:
      - .offset:         0
        .size:           64
        .value_kind:     by_value
      - .offset:         64
        .size:           4
        .value_kind:     hidden_block_count_x
      - .offset:         68
        .size:           4
        .value_kind:     hidden_block_count_y
      - .offset:         72
        .size:           4
        .value_kind:     hidden_block_count_z
      - .offset:         76
        .size:           2
        .value_kind:     hidden_group_size_x
      - .offset:         78
        .size:           2
        .value_kind:     hidden_group_size_y
      - .offset:         80
        .size:           2
        .value_kind:     hidden_group_size_z
      - .offset:         82
        .size:           2
        .value_kind:     hidden_remainder_x
      - .offset:         84
        .size:           2
        .value_kind:     hidden_remainder_y
      - .offset:         86
        .size:           2
        .value_kind:     hidden_remainder_z
      - .offset:         104
        .size:           8
        .value_kind:     hidden_global_offset_x
      - .offset:         112
        .size:           8
        .value_kind:     hidden_global_offset_y
      - .offset:         120
        .size:           8
        .value_kind:     hidden_global_offset_z
      - .offset:         128
        .size:           2
        .value_kind:     hidden_grid_dims
    .group_segment_fixed_size: 4224
    .kernarg_segment_align: 8
    .kernarg_segment_size: 320
    .language:       OpenCL C
    .language_version:
      - 2
      - 0
    .max_flat_workgroup_size: 512
    .name:           _ZN7rocprim17ROCPRIM_400000_NS6detail17trampoline_kernelINS0_14default_configENS1_38merge_sort_block_merge_config_selectorIfNS0_10empty_typeEEEZZNS1_27merge_sort_block_merge_implIS3_N6thrust23THRUST_200600_302600_NS6detail15normal_iteratorINS9_10device_ptrIfEEEEPS5_jNS1_19radix_merge_compareILb0ELb0EfNS0_19identity_decomposerEEEEE10hipError_tT0_T1_T2_jT3_P12ihipStream_tbPNSt15iterator_traitsISK_E10value_typeEPNSQ_ISL_E10value_typeEPSM_NS1_7vsmem_tEENKUlT_SK_SL_SM_E_clIPfSE_SF_SF_EESJ_SZ_SK_SL_SM_EUlSZ_E0_NS1_11comp_targetILNS1_3genE8ELNS1_11target_archE1030ELNS1_3gpuE2ELNS1_3repE0EEENS1_38merge_mergepath_config_static_selectorELNS0_4arch9wavefront6targetE0EEEvSL_
    .private_segment_fixed_size: 0
    .sgpr_count:     25
    .sgpr_spill_count: 0
    .symbol:         _ZN7rocprim17ROCPRIM_400000_NS6detail17trampoline_kernelINS0_14default_configENS1_38merge_sort_block_merge_config_selectorIfNS0_10empty_typeEEEZZNS1_27merge_sort_block_merge_implIS3_N6thrust23THRUST_200600_302600_NS6detail15normal_iteratorINS9_10device_ptrIfEEEEPS5_jNS1_19radix_merge_compareILb0ELb0EfNS0_19identity_decomposerEEEEE10hipError_tT0_T1_T2_jT3_P12ihipStream_tbPNSt15iterator_traitsISK_E10value_typeEPNSQ_ISL_E10value_typeEPSM_NS1_7vsmem_tEENKUlT_SK_SL_SM_E_clIPfSE_SF_SF_EESJ_SZ_SK_SL_SM_EUlSZ_E0_NS1_11comp_targetILNS1_3genE8ELNS1_11target_archE1030ELNS1_3gpuE2ELNS1_3repE0EEENS1_38merge_mergepath_config_static_selectorELNS0_4arch9wavefront6targetE0EEEvSL_.kd
    .uniform_work_group_size: 1
    .uses_dynamic_stack: false
    .vgpr_count:     14
    .vgpr_spill_count: 0
    .wavefront_size: 32
    .workgroup_processor_mode: 1
  - .args:
      - .offset:         0
        .size:           48
        .value_kind:     by_value
    .group_segment_fixed_size: 0
    .kernarg_segment_align: 8
    .kernarg_segment_size: 48
    .language:       OpenCL C
    .language_version:
      - 2
      - 0
    .max_flat_workgroup_size: 256
    .name:           _ZN7rocprim17ROCPRIM_400000_NS6detail17trampoline_kernelINS0_14default_configENS1_38merge_sort_block_merge_config_selectorIfNS0_10empty_typeEEEZZNS1_27merge_sort_block_merge_implIS3_N6thrust23THRUST_200600_302600_NS6detail15normal_iteratorINS9_10device_ptrIfEEEEPS5_jNS1_19radix_merge_compareILb0ELb0EfNS0_19identity_decomposerEEEEE10hipError_tT0_T1_T2_jT3_P12ihipStream_tbPNSt15iterator_traitsISK_E10value_typeEPNSQ_ISL_E10value_typeEPSM_NS1_7vsmem_tEENKUlT_SK_SL_SM_E_clIPfSE_SF_SF_EESJ_SZ_SK_SL_SM_EUlSZ_E1_NS1_11comp_targetILNS1_3genE0ELNS1_11target_archE4294967295ELNS1_3gpuE0ELNS1_3repE0EEENS1_36merge_oddeven_config_static_selectorELNS0_4arch9wavefront6targetE0EEEvSL_
    .private_segment_fixed_size: 0
    .sgpr_count:     0
    .sgpr_spill_count: 0
    .symbol:         _ZN7rocprim17ROCPRIM_400000_NS6detail17trampoline_kernelINS0_14default_configENS1_38merge_sort_block_merge_config_selectorIfNS0_10empty_typeEEEZZNS1_27merge_sort_block_merge_implIS3_N6thrust23THRUST_200600_302600_NS6detail15normal_iteratorINS9_10device_ptrIfEEEEPS5_jNS1_19radix_merge_compareILb0ELb0EfNS0_19identity_decomposerEEEEE10hipError_tT0_T1_T2_jT3_P12ihipStream_tbPNSt15iterator_traitsISK_E10value_typeEPNSQ_ISL_E10value_typeEPSM_NS1_7vsmem_tEENKUlT_SK_SL_SM_E_clIPfSE_SF_SF_EESJ_SZ_SK_SL_SM_EUlSZ_E1_NS1_11comp_targetILNS1_3genE0ELNS1_11target_archE4294967295ELNS1_3gpuE0ELNS1_3repE0EEENS1_36merge_oddeven_config_static_selectorELNS0_4arch9wavefront6targetE0EEEvSL_.kd
    .uniform_work_group_size: 1
    .uses_dynamic_stack: false
    .vgpr_count:     0
    .vgpr_spill_count: 0
    .wavefront_size: 32
    .workgroup_processor_mode: 1
  - .args:
      - .offset:         0
        .size:           48
        .value_kind:     by_value
    .group_segment_fixed_size: 0
    .kernarg_segment_align: 8
    .kernarg_segment_size: 48
    .language:       OpenCL C
    .language_version:
      - 2
      - 0
    .max_flat_workgroup_size: 256
    .name:           _ZN7rocprim17ROCPRIM_400000_NS6detail17trampoline_kernelINS0_14default_configENS1_38merge_sort_block_merge_config_selectorIfNS0_10empty_typeEEEZZNS1_27merge_sort_block_merge_implIS3_N6thrust23THRUST_200600_302600_NS6detail15normal_iteratorINS9_10device_ptrIfEEEEPS5_jNS1_19radix_merge_compareILb0ELb0EfNS0_19identity_decomposerEEEEE10hipError_tT0_T1_T2_jT3_P12ihipStream_tbPNSt15iterator_traitsISK_E10value_typeEPNSQ_ISL_E10value_typeEPSM_NS1_7vsmem_tEENKUlT_SK_SL_SM_E_clIPfSE_SF_SF_EESJ_SZ_SK_SL_SM_EUlSZ_E1_NS1_11comp_targetILNS1_3genE10ELNS1_11target_archE1201ELNS1_3gpuE5ELNS1_3repE0EEENS1_36merge_oddeven_config_static_selectorELNS0_4arch9wavefront6targetE0EEEvSL_
    .private_segment_fixed_size: 0
    .sgpr_count:     0
    .sgpr_spill_count: 0
    .symbol:         _ZN7rocprim17ROCPRIM_400000_NS6detail17trampoline_kernelINS0_14default_configENS1_38merge_sort_block_merge_config_selectorIfNS0_10empty_typeEEEZZNS1_27merge_sort_block_merge_implIS3_N6thrust23THRUST_200600_302600_NS6detail15normal_iteratorINS9_10device_ptrIfEEEEPS5_jNS1_19radix_merge_compareILb0ELb0EfNS0_19identity_decomposerEEEEE10hipError_tT0_T1_T2_jT3_P12ihipStream_tbPNSt15iterator_traitsISK_E10value_typeEPNSQ_ISL_E10value_typeEPSM_NS1_7vsmem_tEENKUlT_SK_SL_SM_E_clIPfSE_SF_SF_EESJ_SZ_SK_SL_SM_EUlSZ_E1_NS1_11comp_targetILNS1_3genE10ELNS1_11target_archE1201ELNS1_3gpuE5ELNS1_3repE0EEENS1_36merge_oddeven_config_static_selectorELNS0_4arch9wavefront6targetE0EEEvSL_.kd
    .uniform_work_group_size: 1
    .uses_dynamic_stack: false
    .vgpr_count:     0
    .vgpr_spill_count: 0
    .wavefront_size: 32
    .workgroup_processor_mode: 1
  - .args:
      - .offset:         0
        .size:           48
        .value_kind:     by_value
    .group_segment_fixed_size: 0
    .kernarg_segment_align: 8
    .kernarg_segment_size: 48
    .language:       OpenCL C
    .language_version:
      - 2
      - 0
    .max_flat_workgroup_size: 256
    .name:           _ZN7rocprim17ROCPRIM_400000_NS6detail17trampoline_kernelINS0_14default_configENS1_38merge_sort_block_merge_config_selectorIfNS0_10empty_typeEEEZZNS1_27merge_sort_block_merge_implIS3_N6thrust23THRUST_200600_302600_NS6detail15normal_iteratorINS9_10device_ptrIfEEEEPS5_jNS1_19radix_merge_compareILb0ELb0EfNS0_19identity_decomposerEEEEE10hipError_tT0_T1_T2_jT3_P12ihipStream_tbPNSt15iterator_traitsISK_E10value_typeEPNSQ_ISL_E10value_typeEPSM_NS1_7vsmem_tEENKUlT_SK_SL_SM_E_clIPfSE_SF_SF_EESJ_SZ_SK_SL_SM_EUlSZ_E1_NS1_11comp_targetILNS1_3genE5ELNS1_11target_archE942ELNS1_3gpuE9ELNS1_3repE0EEENS1_36merge_oddeven_config_static_selectorELNS0_4arch9wavefront6targetE0EEEvSL_
    .private_segment_fixed_size: 0
    .sgpr_count:     0
    .sgpr_spill_count: 0
    .symbol:         _ZN7rocprim17ROCPRIM_400000_NS6detail17trampoline_kernelINS0_14default_configENS1_38merge_sort_block_merge_config_selectorIfNS0_10empty_typeEEEZZNS1_27merge_sort_block_merge_implIS3_N6thrust23THRUST_200600_302600_NS6detail15normal_iteratorINS9_10device_ptrIfEEEEPS5_jNS1_19radix_merge_compareILb0ELb0EfNS0_19identity_decomposerEEEEE10hipError_tT0_T1_T2_jT3_P12ihipStream_tbPNSt15iterator_traitsISK_E10value_typeEPNSQ_ISL_E10value_typeEPSM_NS1_7vsmem_tEENKUlT_SK_SL_SM_E_clIPfSE_SF_SF_EESJ_SZ_SK_SL_SM_EUlSZ_E1_NS1_11comp_targetILNS1_3genE5ELNS1_11target_archE942ELNS1_3gpuE9ELNS1_3repE0EEENS1_36merge_oddeven_config_static_selectorELNS0_4arch9wavefront6targetE0EEEvSL_.kd
    .uniform_work_group_size: 1
    .uses_dynamic_stack: false
    .vgpr_count:     0
    .vgpr_spill_count: 0
    .wavefront_size: 32
    .workgroup_processor_mode: 1
  - .args:
      - .offset:         0
        .size:           48
        .value_kind:     by_value
    .group_segment_fixed_size: 0
    .kernarg_segment_align: 8
    .kernarg_segment_size: 48
    .language:       OpenCL C
    .language_version:
      - 2
      - 0
    .max_flat_workgroup_size: 256
    .name:           _ZN7rocprim17ROCPRIM_400000_NS6detail17trampoline_kernelINS0_14default_configENS1_38merge_sort_block_merge_config_selectorIfNS0_10empty_typeEEEZZNS1_27merge_sort_block_merge_implIS3_N6thrust23THRUST_200600_302600_NS6detail15normal_iteratorINS9_10device_ptrIfEEEEPS5_jNS1_19radix_merge_compareILb0ELb0EfNS0_19identity_decomposerEEEEE10hipError_tT0_T1_T2_jT3_P12ihipStream_tbPNSt15iterator_traitsISK_E10value_typeEPNSQ_ISL_E10value_typeEPSM_NS1_7vsmem_tEENKUlT_SK_SL_SM_E_clIPfSE_SF_SF_EESJ_SZ_SK_SL_SM_EUlSZ_E1_NS1_11comp_targetILNS1_3genE4ELNS1_11target_archE910ELNS1_3gpuE8ELNS1_3repE0EEENS1_36merge_oddeven_config_static_selectorELNS0_4arch9wavefront6targetE0EEEvSL_
    .private_segment_fixed_size: 0
    .sgpr_count:     0
    .sgpr_spill_count: 0
    .symbol:         _ZN7rocprim17ROCPRIM_400000_NS6detail17trampoline_kernelINS0_14default_configENS1_38merge_sort_block_merge_config_selectorIfNS0_10empty_typeEEEZZNS1_27merge_sort_block_merge_implIS3_N6thrust23THRUST_200600_302600_NS6detail15normal_iteratorINS9_10device_ptrIfEEEEPS5_jNS1_19radix_merge_compareILb0ELb0EfNS0_19identity_decomposerEEEEE10hipError_tT0_T1_T2_jT3_P12ihipStream_tbPNSt15iterator_traitsISK_E10value_typeEPNSQ_ISL_E10value_typeEPSM_NS1_7vsmem_tEENKUlT_SK_SL_SM_E_clIPfSE_SF_SF_EESJ_SZ_SK_SL_SM_EUlSZ_E1_NS1_11comp_targetILNS1_3genE4ELNS1_11target_archE910ELNS1_3gpuE8ELNS1_3repE0EEENS1_36merge_oddeven_config_static_selectorELNS0_4arch9wavefront6targetE0EEEvSL_.kd
    .uniform_work_group_size: 1
    .uses_dynamic_stack: false
    .vgpr_count:     0
    .vgpr_spill_count: 0
    .wavefront_size: 32
    .workgroup_processor_mode: 1
  - .args:
      - .offset:         0
        .size:           48
        .value_kind:     by_value
    .group_segment_fixed_size: 0
    .kernarg_segment_align: 8
    .kernarg_segment_size: 48
    .language:       OpenCL C
    .language_version:
      - 2
      - 0
    .max_flat_workgroup_size: 256
    .name:           _ZN7rocprim17ROCPRIM_400000_NS6detail17trampoline_kernelINS0_14default_configENS1_38merge_sort_block_merge_config_selectorIfNS0_10empty_typeEEEZZNS1_27merge_sort_block_merge_implIS3_N6thrust23THRUST_200600_302600_NS6detail15normal_iteratorINS9_10device_ptrIfEEEEPS5_jNS1_19radix_merge_compareILb0ELb0EfNS0_19identity_decomposerEEEEE10hipError_tT0_T1_T2_jT3_P12ihipStream_tbPNSt15iterator_traitsISK_E10value_typeEPNSQ_ISL_E10value_typeEPSM_NS1_7vsmem_tEENKUlT_SK_SL_SM_E_clIPfSE_SF_SF_EESJ_SZ_SK_SL_SM_EUlSZ_E1_NS1_11comp_targetILNS1_3genE3ELNS1_11target_archE908ELNS1_3gpuE7ELNS1_3repE0EEENS1_36merge_oddeven_config_static_selectorELNS0_4arch9wavefront6targetE0EEEvSL_
    .private_segment_fixed_size: 0
    .sgpr_count:     0
    .sgpr_spill_count: 0
    .symbol:         _ZN7rocprim17ROCPRIM_400000_NS6detail17trampoline_kernelINS0_14default_configENS1_38merge_sort_block_merge_config_selectorIfNS0_10empty_typeEEEZZNS1_27merge_sort_block_merge_implIS3_N6thrust23THRUST_200600_302600_NS6detail15normal_iteratorINS9_10device_ptrIfEEEEPS5_jNS1_19radix_merge_compareILb0ELb0EfNS0_19identity_decomposerEEEEE10hipError_tT0_T1_T2_jT3_P12ihipStream_tbPNSt15iterator_traitsISK_E10value_typeEPNSQ_ISL_E10value_typeEPSM_NS1_7vsmem_tEENKUlT_SK_SL_SM_E_clIPfSE_SF_SF_EESJ_SZ_SK_SL_SM_EUlSZ_E1_NS1_11comp_targetILNS1_3genE3ELNS1_11target_archE908ELNS1_3gpuE7ELNS1_3repE0EEENS1_36merge_oddeven_config_static_selectorELNS0_4arch9wavefront6targetE0EEEvSL_.kd
    .uniform_work_group_size: 1
    .uses_dynamic_stack: false
    .vgpr_count:     0
    .vgpr_spill_count: 0
    .wavefront_size: 32
    .workgroup_processor_mode: 1
  - .args:
      - .offset:         0
        .size:           48
        .value_kind:     by_value
    .group_segment_fixed_size: 0
    .kernarg_segment_align: 8
    .kernarg_segment_size: 48
    .language:       OpenCL C
    .language_version:
      - 2
      - 0
    .max_flat_workgroup_size: 256
    .name:           _ZN7rocprim17ROCPRIM_400000_NS6detail17trampoline_kernelINS0_14default_configENS1_38merge_sort_block_merge_config_selectorIfNS0_10empty_typeEEEZZNS1_27merge_sort_block_merge_implIS3_N6thrust23THRUST_200600_302600_NS6detail15normal_iteratorINS9_10device_ptrIfEEEEPS5_jNS1_19radix_merge_compareILb0ELb0EfNS0_19identity_decomposerEEEEE10hipError_tT0_T1_T2_jT3_P12ihipStream_tbPNSt15iterator_traitsISK_E10value_typeEPNSQ_ISL_E10value_typeEPSM_NS1_7vsmem_tEENKUlT_SK_SL_SM_E_clIPfSE_SF_SF_EESJ_SZ_SK_SL_SM_EUlSZ_E1_NS1_11comp_targetILNS1_3genE2ELNS1_11target_archE906ELNS1_3gpuE6ELNS1_3repE0EEENS1_36merge_oddeven_config_static_selectorELNS0_4arch9wavefront6targetE0EEEvSL_
    .private_segment_fixed_size: 0
    .sgpr_count:     0
    .sgpr_spill_count: 0
    .symbol:         _ZN7rocprim17ROCPRIM_400000_NS6detail17trampoline_kernelINS0_14default_configENS1_38merge_sort_block_merge_config_selectorIfNS0_10empty_typeEEEZZNS1_27merge_sort_block_merge_implIS3_N6thrust23THRUST_200600_302600_NS6detail15normal_iteratorINS9_10device_ptrIfEEEEPS5_jNS1_19radix_merge_compareILb0ELb0EfNS0_19identity_decomposerEEEEE10hipError_tT0_T1_T2_jT3_P12ihipStream_tbPNSt15iterator_traitsISK_E10value_typeEPNSQ_ISL_E10value_typeEPSM_NS1_7vsmem_tEENKUlT_SK_SL_SM_E_clIPfSE_SF_SF_EESJ_SZ_SK_SL_SM_EUlSZ_E1_NS1_11comp_targetILNS1_3genE2ELNS1_11target_archE906ELNS1_3gpuE6ELNS1_3repE0EEENS1_36merge_oddeven_config_static_selectorELNS0_4arch9wavefront6targetE0EEEvSL_.kd
    .uniform_work_group_size: 1
    .uses_dynamic_stack: false
    .vgpr_count:     0
    .vgpr_spill_count: 0
    .wavefront_size: 32
    .workgroup_processor_mode: 1
  - .args:
      - .offset:         0
        .size:           48
        .value_kind:     by_value
    .group_segment_fixed_size: 0
    .kernarg_segment_align: 8
    .kernarg_segment_size: 48
    .language:       OpenCL C
    .language_version:
      - 2
      - 0
    .max_flat_workgroup_size: 256
    .name:           _ZN7rocprim17ROCPRIM_400000_NS6detail17trampoline_kernelINS0_14default_configENS1_38merge_sort_block_merge_config_selectorIfNS0_10empty_typeEEEZZNS1_27merge_sort_block_merge_implIS3_N6thrust23THRUST_200600_302600_NS6detail15normal_iteratorINS9_10device_ptrIfEEEEPS5_jNS1_19radix_merge_compareILb0ELb0EfNS0_19identity_decomposerEEEEE10hipError_tT0_T1_T2_jT3_P12ihipStream_tbPNSt15iterator_traitsISK_E10value_typeEPNSQ_ISL_E10value_typeEPSM_NS1_7vsmem_tEENKUlT_SK_SL_SM_E_clIPfSE_SF_SF_EESJ_SZ_SK_SL_SM_EUlSZ_E1_NS1_11comp_targetILNS1_3genE9ELNS1_11target_archE1100ELNS1_3gpuE3ELNS1_3repE0EEENS1_36merge_oddeven_config_static_selectorELNS0_4arch9wavefront6targetE0EEEvSL_
    .private_segment_fixed_size: 0
    .sgpr_count:     0
    .sgpr_spill_count: 0
    .symbol:         _ZN7rocprim17ROCPRIM_400000_NS6detail17trampoline_kernelINS0_14default_configENS1_38merge_sort_block_merge_config_selectorIfNS0_10empty_typeEEEZZNS1_27merge_sort_block_merge_implIS3_N6thrust23THRUST_200600_302600_NS6detail15normal_iteratorINS9_10device_ptrIfEEEEPS5_jNS1_19radix_merge_compareILb0ELb0EfNS0_19identity_decomposerEEEEE10hipError_tT0_T1_T2_jT3_P12ihipStream_tbPNSt15iterator_traitsISK_E10value_typeEPNSQ_ISL_E10value_typeEPSM_NS1_7vsmem_tEENKUlT_SK_SL_SM_E_clIPfSE_SF_SF_EESJ_SZ_SK_SL_SM_EUlSZ_E1_NS1_11comp_targetILNS1_3genE9ELNS1_11target_archE1100ELNS1_3gpuE3ELNS1_3repE0EEENS1_36merge_oddeven_config_static_selectorELNS0_4arch9wavefront6targetE0EEEvSL_.kd
    .uniform_work_group_size: 1
    .uses_dynamic_stack: false
    .vgpr_count:     0
    .vgpr_spill_count: 0
    .wavefront_size: 32
    .workgroup_processor_mode: 1
  - .args:
      - .offset:         0
        .size:           48
        .value_kind:     by_value
    .group_segment_fixed_size: 0
    .kernarg_segment_align: 8
    .kernarg_segment_size: 48
    .language:       OpenCL C
    .language_version:
      - 2
      - 0
    .max_flat_workgroup_size: 256
    .name:           _ZN7rocprim17ROCPRIM_400000_NS6detail17trampoline_kernelINS0_14default_configENS1_38merge_sort_block_merge_config_selectorIfNS0_10empty_typeEEEZZNS1_27merge_sort_block_merge_implIS3_N6thrust23THRUST_200600_302600_NS6detail15normal_iteratorINS9_10device_ptrIfEEEEPS5_jNS1_19radix_merge_compareILb0ELb0EfNS0_19identity_decomposerEEEEE10hipError_tT0_T1_T2_jT3_P12ihipStream_tbPNSt15iterator_traitsISK_E10value_typeEPNSQ_ISL_E10value_typeEPSM_NS1_7vsmem_tEENKUlT_SK_SL_SM_E_clIPfSE_SF_SF_EESJ_SZ_SK_SL_SM_EUlSZ_E1_NS1_11comp_targetILNS1_3genE8ELNS1_11target_archE1030ELNS1_3gpuE2ELNS1_3repE0EEENS1_36merge_oddeven_config_static_selectorELNS0_4arch9wavefront6targetE0EEEvSL_
    .private_segment_fixed_size: 0
    .sgpr_count:     18
    .sgpr_spill_count: 0
    .symbol:         _ZN7rocprim17ROCPRIM_400000_NS6detail17trampoline_kernelINS0_14default_configENS1_38merge_sort_block_merge_config_selectorIfNS0_10empty_typeEEEZZNS1_27merge_sort_block_merge_implIS3_N6thrust23THRUST_200600_302600_NS6detail15normal_iteratorINS9_10device_ptrIfEEEEPS5_jNS1_19radix_merge_compareILb0ELb0EfNS0_19identity_decomposerEEEEE10hipError_tT0_T1_T2_jT3_P12ihipStream_tbPNSt15iterator_traitsISK_E10value_typeEPNSQ_ISL_E10value_typeEPSM_NS1_7vsmem_tEENKUlT_SK_SL_SM_E_clIPfSE_SF_SF_EESJ_SZ_SK_SL_SM_EUlSZ_E1_NS1_11comp_targetILNS1_3genE8ELNS1_11target_archE1030ELNS1_3gpuE2ELNS1_3repE0EEENS1_36merge_oddeven_config_static_selectorELNS0_4arch9wavefront6targetE0EEEvSL_.kd
    .uniform_work_group_size: 1
    .uses_dynamic_stack: false
    .vgpr_count:     9
    .vgpr_spill_count: 0
    .wavefront_size: 32
    .workgroup_processor_mode: 1
  - .args:
      - .offset:         0
        .size:           40
        .value_kind:     by_value
    .group_segment_fixed_size: 0
    .kernarg_segment_align: 8
    .kernarg_segment_size: 40
    .language:       OpenCL C
    .language_version:
      - 2
      - 0
    .max_flat_workgroup_size: 128
    .name:           _ZN7rocprim17ROCPRIM_400000_NS6detail17trampoline_kernelINS0_14default_configENS1_38merge_sort_block_merge_config_selectorIfNS0_10empty_typeEEEZZNS1_27merge_sort_block_merge_implIS3_N6thrust23THRUST_200600_302600_NS6detail15normal_iteratorINS9_10device_ptrIfEEEEPS5_jNS1_19radix_merge_compareILb0ELb0EfNS0_19identity_decomposerEEEEE10hipError_tT0_T1_T2_jT3_P12ihipStream_tbPNSt15iterator_traitsISK_E10value_typeEPNSQ_ISL_E10value_typeEPSM_NS1_7vsmem_tEENKUlT_SK_SL_SM_E_clISE_PfSF_SF_EESJ_SZ_SK_SL_SM_EUlSZ_E_NS1_11comp_targetILNS1_3genE0ELNS1_11target_archE4294967295ELNS1_3gpuE0ELNS1_3repE0EEENS1_48merge_mergepath_partition_config_static_selectorELNS0_4arch9wavefront6targetE0EEEvSL_
    .private_segment_fixed_size: 0
    .sgpr_count:     0
    .sgpr_spill_count: 0
    .symbol:         _ZN7rocprim17ROCPRIM_400000_NS6detail17trampoline_kernelINS0_14default_configENS1_38merge_sort_block_merge_config_selectorIfNS0_10empty_typeEEEZZNS1_27merge_sort_block_merge_implIS3_N6thrust23THRUST_200600_302600_NS6detail15normal_iteratorINS9_10device_ptrIfEEEEPS5_jNS1_19radix_merge_compareILb0ELb0EfNS0_19identity_decomposerEEEEE10hipError_tT0_T1_T2_jT3_P12ihipStream_tbPNSt15iterator_traitsISK_E10value_typeEPNSQ_ISL_E10value_typeEPSM_NS1_7vsmem_tEENKUlT_SK_SL_SM_E_clISE_PfSF_SF_EESJ_SZ_SK_SL_SM_EUlSZ_E_NS1_11comp_targetILNS1_3genE0ELNS1_11target_archE4294967295ELNS1_3gpuE0ELNS1_3repE0EEENS1_48merge_mergepath_partition_config_static_selectorELNS0_4arch9wavefront6targetE0EEEvSL_.kd
    .uniform_work_group_size: 1
    .uses_dynamic_stack: false
    .vgpr_count:     0
    .vgpr_spill_count: 0
    .wavefront_size: 32
    .workgroup_processor_mode: 1
  - .args:
      - .offset:         0
        .size:           40
        .value_kind:     by_value
    .group_segment_fixed_size: 0
    .kernarg_segment_align: 8
    .kernarg_segment_size: 40
    .language:       OpenCL C
    .language_version:
      - 2
      - 0
    .max_flat_workgroup_size: 128
    .name:           _ZN7rocprim17ROCPRIM_400000_NS6detail17trampoline_kernelINS0_14default_configENS1_38merge_sort_block_merge_config_selectorIfNS0_10empty_typeEEEZZNS1_27merge_sort_block_merge_implIS3_N6thrust23THRUST_200600_302600_NS6detail15normal_iteratorINS9_10device_ptrIfEEEEPS5_jNS1_19radix_merge_compareILb0ELb0EfNS0_19identity_decomposerEEEEE10hipError_tT0_T1_T2_jT3_P12ihipStream_tbPNSt15iterator_traitsISK_E10value_typeEPNSQ_ISL_E10value_typeEPSM_NS1_7vsmem_tEENKUlT_SK_SL_SM_E_clISE_PfSF_SF_EESJ_SZ_SK_SL_SM_EUlSZ_E_NS1_11comp_targetILNS1_3genE10ELNS1_11target_archE1201ELNS1_3gpuE5ELNS1_3repE0EEENS1_48merge_mergepath_partition_config_static_selectorELNS0_4arch9wavefront6targetE0EEEvSL_
    .private_segment_fixed_size: 0
    .sgpr_count:     0
    .sgpr_spill_count: 0
    .symbol:         _ZN7rocprim17ROCPRIM_400000_NS6detail17trampoline_kernelINS0_14default_configENS1_38merge_sort_block_merge_config_selectorIfNS0_10empty_typeEEEZZNS1_27merge_sort_block_merge_implIS3_N6thrust23THRUST_200600_302600_NS6detail15normal_iteratorINS9_10device_ptrIfEEEEPS5_jNS1_19radix_merge_compareILb0ELb0EfNS0_19identity_decomposerEEEEE10hipError_tT0_T1_T2_jT3_P12ihipStream_tbPNSt15iterator_traitsISK_E10value_typeEPNSQ_ISL_E10value_typeEPSM_NS1_7vsmem_tEENKUlT_SK_SL_SM_E_clISE_PfSF_SF_EESJ_SZ_SK_SL_SM_EUlSZ_E_NS1_11comp_targetILNS1_3genE10ELNS1_11target_archE1201ELNS1_3gpuE5ELNS1_3repE0EEENS1_48merge_mergepath_partition_config_static_selectorELNS0_4arch9wavefront6targetE0EEEvSL_.kd
    .uniform_work_group_size: 1
    .uses_dynamic_stack: false
    .vgpr_count:     0
    .vgpr_spill_count: 0
    .wavefront_size: 32
    .workgroup_processor_mode: 1
  - .args:
      - .offset:         0
        .size:           40
        .value_kind:     by_value
    .group_segment_fixed_size: 0
    .kernarg_segment_align: 8
    .kernarg_segment_size: 40
    .language:       OpenCL C
    .language_version:
      - 2
      - 0
    .max_flat_workgroup_size: 128
    .name:           _ZN7rocprim17ROCPRIM_400000_NS6detail17trampoline_kernelINS0_14default_configENS1_38merge_sort_block_merge_config_selectorIfNS0_10empty_typeEEEZZNS1_27merge_sort_block_merge_implIS3_N6thrust23THRUST_200600_302600_NS6detail15normal_iteratorINS9_10device_ptrIfEEEEPS5_jNS1_19radix_merge_compareILb0ELb0EfNS0_19identity_decomposerEEEEE10hipError_tT0_T1_T2_jT3_P12ihipStream_tbPNSt15iterator_traitsISK_E10value_typeEPNSQ_ISL_E10value_typeEPSM_NS1_7vsmem_tEENKUlT_SK_SL_SM_E_clISE_PfSF_SF_EESJ_SZ_SK_SL_SM_EUlSZ_E_NS1_11comp_targetILNS1_3genE5ELNS1_11target_archE942ELNS1_3gpuE9ELNS1_3repE0EEENS1_48merge_mergepath_partition_config_static_selectorELNS0_4arch9wavefront6targetE0EEEvSL_
    .private_segment_fixed_size: 0
    .sgpr_count:     0
    .sgpr_spill_count: 0
    .symbol:         _ZN7rocprim17ROCPRIM_400000_NS6detail17trampoline_kernelINS0_14default_configENS1_38merge_sort_block_merge_config_selectorIfNS0_10empty_typeEEEZZNS1_27merge_sort_block_merge_implIS3_N6thrust23THRUST_200600_302600_NS6detail15normal_iteratorINS9_10device_ptrIfEEEEPS5_jNS1_19radix_merge_compareILb0ELb0EfNS0_19identity_decomposerEEEEE10hipError_tT0_T1_T2_jT3_P12ihipStream_tbPNSt15iterator_traitsISK_E10value_typeEPNSQ_ISL_E10value_typeEPSM_NS1_7vsmem_tEENKUlT_SK_SL_SM_E_clISE_PfSF_SF_EESJ_SZ_SK_SL_SM_EUlSZ_E_NS1_11comp_targetILNS1_3genE5ELNS1_11target_archE942ELNS1_3gpuE9ELNS1_3repE0EEENS1_48merge_mergepath_partition_config_static_selectorELNS0_4arch9wavefront6targetE0EEEvSL_.kd
    .uniform_work_group_size: 1
    .uses_dynamic_stack: false
    .vgpr_count:     0
    .vgpr_spill_count: 0
    .wavefront_size: 32
    .workgroup_processor_mode: 1
  - .args:
      - .offset:         0
        .size:           40
        .value_kind:     by_value
    .group_segment_fixed_size: 0
    .kernarg_segment_align: 8
    .kernarg_segment_size: 40
    .language:       OpenCL C
    .language_version:
      - 2
      - 0
    .max_flat_workgroup_size: 128
    .name:           _ZN7rocprim17ROCPRIM_400000_NS6detail17trampoline_kernelINS0_14default_configENS1_38merge_sort_block_merge_config_selectorIfNS0_10empty_typeEEEZZNS1_27merge_sort_block_merge_implIS3_N6thrust23THRUST_200600_302600_NS6detail15normal_iteratorINS9_10device_ptrIfEEEEPS5_jNS1_19radix_merge_compareILb0ELb0EfNS0_19identity_decomposerEEEEE10hipError_tT0_T1_T2_jT3_P12ihipStream_tbPNSt15iterator_traitsISK_E10value_typeEPNSQ_ISL_E10value_typeEPSM_NS1_7vsmem_tEENKUlT_SK_SL_SM_E_clISE_PfSF_SF_EESJ_SZ_SK_SL_SM_EUlSZ_E_NS1_11comp_targetILNS1_3genE4ELNS1_11target_archE910ELNS1_3gpuE8ELNS1_3repE0EEENS1_48merge_mergepath_partition_config_static_selectorELNS0_4arch9wavefront6targetE0EEEvSL_
    .private_segment_fixed_size: 0
    .sgpr_count:     0
    .sgpr_spill_count: 0
    .symbol:         _ZN7rocprim17ROCPRIM_400000_NS6detail17trampoline_kernelINS0_14default_configENS1_38merge_sort_block_merge_config_selectorIfNS0_10empty_typeEEEZZNS1_27merge_sort_block_merge_implIS3_N6thrust23THRUST_200600_302600_NS6detail15normal_iteratorINS9_10device_ptrIfEEEEPS5_jNS1_19radix_merge_compareILb0ELb0EfNS0_19identity_decomposerEEEEE10hipError_tT0_T1_T2_jT3_P12ihipStream_tbPNSt15iterator_traitsISK_E10value_typeEPNSQ_ISL_E10value_typeEPSM_NS1_7vsmem_tEENKUlT_SK_SL_SM_E_clISE_PfSF_SF_EESJ_SZ_SK_SL_SM_EUlSZ_E_NS1_11comp_targetILNS1_3genE4ELNS1_11target_archE910ELNS1_3gpuE8ELNS1_3repE0EEENS1_48merge_mergepath_partition_config_static_selectorELNS0_4arch9wavefront6targetE0EEEvSL_.kd
    .uniform_work_group_size: 1
    .uses_dynamic_stack: false
    .vgpr_count:     0
    .vgpr_spill_count: 0
    .wavefront_size: 32
    .workgroup_processor_mode: 1
  - .args:
      - .offset:         0
        .size:           40
        .value_kind:     by_value
    .group_segment_fixed_size: 0
    .kernarg_segment_align: 8
    .kernarg_segment_size: 40
    .language:       OpenCL C
    .language_version:
      - 2
      - 0
    .max_flat_workgroup_size: 128
    .name:           _ZN7rocprim17ROCPRIM_400000_NS6detail17trampoline_kernelINS0_14default_configENS1_38merge_sort_block_merge_config_selectorIfNS0_10empty_typeEEEZZNS1_27merge_sort_block_merge_implIS3_N6thrust23THRUST_200600_302600_NS6detail15normal_iteratorINS9_10device_ptrIfEEEEPS5_jNS1_19radix_merge_compareILb0ELb0EfNS0_19identity_decomposerEEEEE10hipError_tT0_T1_T2_jT3_P12ihipStream_tbPNSt15iterator_traitsISK_E10value_typeEPNSQ_ISL_E10value_typeEPSM_NS1_7vsmem_tEENKUlT_SK_SL_SM_E_clISE_PfSF_SF_EESJ_SZ_SK_SL_SM_EUlSZ_E_NS1_11comp_targetILNS1_3genE3ELNS1_11target_archE908ELNS1_3gpuE7ELNS1_3repE0EEENS1_48merge_mergepath_partition_config_static_selectorELNS0_4arch9wavefront6targetE0EEEvSL_
    .private_segment_fixed_size: 0
    .sgpr_count:     0
    .sgpr_spill_count: 0
    .symbol:         _ZN7rocprim17ROCPRIM_400000_NS6detail17trampoline_kernelINS0_14default_configENS1_38merge_sort_block_merge_config_selectorIfNS0_10empty_typeEEEZZNS1_27merge_sort_block_merge_implIS3_N6thrust23THRUST_200600_302600_NS6detail15normal_iteratorINS9_10device_ptrIfEEEEPS5_jNS1_19radix_merge_compareILb0ELb0EfNS0_19identity_decomposerEEEEE10hipError_tT0_T1_T2_jT3_P12ihipStream_tbPNSt15iterator_traitsISK_E10value_typeEPNSQ_ISL_E10value_typeEPSM_NS1_7vsmem_tEENKUlT_SK_SL_SM_E_clISE_PfSF_SF_EESJ_SZ_SK_SL_SM_EUlSZ_E_NS1_11comp_targetILNS1_3genE3ELNS1_11target_archE908ELNS1_3gpuE7ELNS1_3repE0EEENS1_48merge_mergepath_partition_config_static_selectorELNS0_4arch9wavefront6targetE0EEEvSL_.kd
    .uniform_work_group_size: 1
    .uses_dynamic_stack: false
    .vgpr_count:     0
    .vgpr_spill_count: 0
    .wavefront_size: 32
    .workgroup_processor_mode: 1
  - .args:
      - .offset:         0
        .size:           40
        .value_kind:     by_value
    .group_segment_fixed_size: 0
    .kernarg_segment_align: 8
    .kernarg_segment_size: 40
    .language:       OpenCL C
    .language_version:
      - 2
      - 0
    .max_flat_workgroup_size: 128
    .name:           _ZN7rocprim17ROCPRIM_400000_NS6detail17trampoline_kernelINS0_14default_configENS1_38merge_sort_block_merge_config_selectorIfNS0_10empty_typeEEEZZNS1_27merge_sort_block_merge_implIS3_N6thrust23THRUST_200600_302600_NS6detail15normal_iteratorINS9_10device_ptrIfEEEEPS5_jNS1_19radix_merge_compareILb0ELb0EfNS0_19identity_decomposerEEEEE10hipError_tT0_T1_T2_jT3_P12ihipStream_tbPNSt15iterator_traitsISK_E10value_typeEPNSQ_ISL_E10value_typeEPSM_NS1_7vsmem_tEENKUlT_SK_SL_SM_E_clISE_PfSF_SF_EESJ_SZ_SK_SL_SM_EUlSZ_E_NS1_11comp_targetILNS1_3genE2ELNS1_11target_archE906ELNS1_3gpuE6ELNS1_3repE0EEENS1_48merge_mergepath_partition_config_static_selectorELNS0_4arch9wavefront6targetE0EEEvSL_
    .private_segment_fixed_size: 0
    .sgpr_count:     0
    .sgpr_spill_count: 0
    .symbol:         _ZN7rocprim17ROCPRIM_400000_NS6detail17trampoline_kernelINS0_14default_configENS1_38merge_sort_block_merge_config_selectorIfNS0_10empty_typeEEEZZNS1_27merge_sort_block_merge_implIS3_N6thrust23THRUST_200600_302600_NS6detail15normal_iteratorINS9_10device_ptrIfEEEEPS5_jNS1_19radix_merge_compareILb0ELb0EfNS0_19identity_decomposerEEEEE10hipError_tT0_T1_T2_jT3_P12ihipStream_tbPNSt15iterator_traitsISK_E10value_typeEPNSQ_ISL_E10value_typeEPSM_NS1_7vsmem_tEENKUlT_SK_SL_SM_E_clISE_PfSF_SF_EESJ_SZ_SK_SL_SM_EUlSZ_E_NS1_11comp_targetILNS1_3genE2ELNS1_11target_archE906ELNS1_3gpuE6ELNS1_3repE0EEENS1_48merge_mergepath_partition_config_static_selectorELNS0_4arch9wavefront6targetE0EEEvSL_.kd
    .uniform_work_group_size: 1
    .uses_dynamic_stack: false
    .vgpr_count:     0
    .vgpr_spill_count: 0
    .wavefront_size: 32
    .workgroup_processor_mode: 1
  - .args:
      - .offset:         0
        .size:           40
        .value_kind:     by_value
    .group_segment_fixed_size: 0
    .kernarg_segment_align: 8
    .kernarg_segment_size: 40
    .language:       OpenCL C
    .language_version:
      - 2
      - 0
    .max_flat_workgroup_size: 128
    .name:           _ZN7rocprim17ROCPRIM_400000_NS6detail17trampoline_kernelINS0_14default_configENS1_38merge_sort_block_merge_config_selectorIfNS0_10empty_typeEEEZZNS1_27merge_sort_block_merge_implIS3_N6thrust23THRUST_200600_302600_NS6detail15normal_iteratorINS9_10device_ptrIfEEEEPS5_jNS1_19radix_merge_compareILb0ELb0EfNS0_19identity_decomposerEEEEE10hipError_tT0_T1_T2_jT3_P12ihipStream_tbPNSt15iterator_traitsISK_E10value_typeEPNSQ_ISL_E10value_typeEPSM_NS1_7vsmem_tEENKUlT_SK_SL_SM_E_clISE_PfSF_SF_EESJ_SZ_SK_SL_SM_EUlSZ_E_NS1_11comp_targetILNS1_3genE9ELNS1_11target_archE1100ELNS1_3gpuE3ELNS1_3repE0EEENS1_48merge_mergepath_partition_config_static_selectorELNS0_4arch9wavefront6targetE0EEEvSL_
    .private_segment_fixed_size: 0
    .sgpr_count:     0
    .sgpr_spill_count: 0
    .symbol:         _ZN7rocprim17ROCPRIM_400000_NS6detail17trampoline_kernelINS0_14default_configENS1_38merge_sort_block_merge_config_selectorIfNS0_10empty_typeEEEZZNS1_27merge_sort_block_merge_implIS3_N6thrust23THRUST_200600_302600_NS6detail15normal_iteratorINS9_10device_ptrIfEEEEPS5_jNS1_19radix_merge_compareILb0ELb0EfNS0_19identity_decomposerEEEEE10hipError_tT0_T1_T2_jT3_P12ihipStream_tbPNSt15iterator_traitsISK_E10value_typeEPNSQ_ISL_E10value_typeEPSM_NS1_7vsmem_tEENKUlT_SK_SL_SM_E_clISE_PfSF_SF_EESJ_SZ_SK_SL_SM_EUlSZ_E_NS1_11comp_targetILNS1_3genE9ELNS1_11target_archE1100ELNS1_3gpuE3ELNS1_3repE0EEENS1_48merge_mergepath_partition_config_static_selectorELNS0_4arch9wavefront6targetE0EEEvSL_.kd
    .uniform_work_group_size: 1
    .uses_dynamic_stack: false
    .vgpr_count:     0
    .vgpr_spill_count: 0
    .wavefront_size: 32
    .workgroup_processor_mode: 1
  - .args:
      - .offset:         0
        .size:           40
        .value_kind:     by_value
    .group_segment_fixed_size: 0
    .kernarg_segment_align: 8
    .kernarg_segment_size: 40
    .language:       OpenCL C
    .language_version:
      - 2
      - 0
    .max_flat_workgroup_size: 128
    .name:           _ZN7rocprim17ROCPRIM_400000_NS6detail17trampoline_kernelINS0_14default_configENS1_38merge_sort_block_merge_config_selectorIfNS0_10empty_typeEEEZZNS1_27merge_sort_block_merge_implIS3_N6thrust23THRUST_200600_302600_NS6detail15normal_iteratorINS9_10device_ptrIfEEEEPS5_jNS1_19radix_merge_compareILb0ELb0EfNS0_19identity_decomposerEEEEE10hipError_tT0_T1_T2_jT3_P12ihipStream_tbPNSt15iterator_traitsISK_E10value_typeEPNSQ_ISL_E10value_typeEPSM_NS1_7vsmem_tEENKUlT_SK_SL_SM_E_clISE_PfSF_SF_EESJ_SZ_SK_SL_SM_EUlSZ_E_NS1_11comp_targetILNS1_3genE8ELNS1_11target_archE1030ELNS1_3gpuE2ELNS1_3repE0EEENS1_48merge_mergepath_partition_config_static_selectorELNS0_4arch9wavefront6targetE0EEEvSL_
    .private_segment_fixed_size: 0
    .sgpr_count:     9
    .sgpr_spill_count: 0
    .symbol:         _ZN7rocprim17ROCPRIM_400000_NS6detail17trampoline_kernelINS0_14default_configENS1_38merge_sort_block_merge_config_selectorIfNS0_10empty_typeEEEZZNS1_27merge_sort_block_merge_implIS3_N6thrust23THRUST_200600_302600_NS6detail15normal_iteratorINS9_10device_ptrIfEEEEPS5_jNS1_19radix_merge_compareILb0ELb0EfNS0_19identity_decomposerEEEEE10hipError_tT0_T1_T2_jT3_P12ihipStream_tbPNSt15iterator_traitsISK_E10value_typeEPNSQ_ISL_E10value_typeEPSM_NS1_7vsmem_tEENKUlT_SK_SL_SM_E_clISE_PfSF_SF_EESJ_SZ_SK_SL_SM_EUlSZ_E_NS1_11comp_targetILNS1_3genE8ELNS1_11target_archE1030ELNS1_3gpuE2ELNS1_3repE0EEENS1_48merge_mergepath_partition_config_static_selectorELNS0_4arch9wavefront6targetE0EEEvSL_.kd
    .uniform_work_group_size: 1
    .uses_dynamic_stack: false
    .vgpr_count:     15
    .vgpr_spill_count: 0
    .wavefront_size: 32
    .workgroup_processor_mode: 1
  - .args:
      - .offset:         0
        .size:           64
        .value_kind:     by_value
    .group_segment_fixed_size: 0
    .kernarg_segment_align: 8
    .kernarg_segment_size: 64
    .language:       OpenCL C
    .language_version:
      - 2
      - 0
    .max_flat_workgroup_size: 128
    .name:           _ZN7rocprim17ROCPRIM_400000_NS6detail17trampoline_kernelINS0_14default_configENS1_38merge_sort_block_merge_config_selectorIfNS0_10empty_typeEEEZZNS1_27merge_sort_block_merge_implIS3_N6thrust23THRUST_200600_302600_NS6detail15normal_iteratorINS9_10device_ptrIfEEEEPS5_jNS1_19radix_merge_compareILb0ELb0EfNS0_19identity_decomposerEEEEE10hipError_tT0_T1_T2_jT3_P12ihipStream_tbPNSt15iterator_traitsISK_E10value_typeEPNSQ_ISL_E10value_typeEPSM_NS1_7vsmem_tEENKUlT_SK_SL_SM_E_clISE_PfSF_SF_EESJ_SZ_SK_SL_SM_EUlSZ_E0_NS1_11comp_targetILNS1_3genE0ELNS1_11target_archE4294967295ELNS1_3gpuE0ELNS1_3repE0EEENS1_38merge_mergepath_config_static_selectorELNS0_4arch9wavefront6targetE0EEEvSL_
    .private_segment_fixed_size: 0
    .sgpr_count:     0
    .sgpr_spill_count: 0
    .symbol:         _ZN7rocprim17ROCPRIM_400000_NS6detail17trampoline_kernelINS0_14default_configENS1_38merge_sort_block_merge_config_selectorIfNS0_10empty_typeEEEZZNS1_27merge_sort_block_merge_implIS3_N6thrust23THRUST_200600_302600_NS6detail15normal_iteratorINS9_10device_ptrIfEEEEPS5_jNS1_19radix_merge_compareILb0ELb0EfNS0_19identity_decomposerEEEEE10hipError_tT0_T1_T2_jT3_P12ihipStream_tbPNSt15iterator_traitsISK_E10value_typeEPNSQ_ISL_E10value_typeEPSM_NS1_7vsmem_tEENKUlT_SK_SL_SM_E_clISE_PfSF_SF_EESJ_SZ_SK_SL_SM_EUlSZ_E0_NS1_11comp_targetILNS1_3genE0ELNS1_11target_archE4294967295ELNS1_3gpuE0ELNS1_3repE0EEENS1_38merge_mergepath_config_static_selectorELNS0_4arch9wavefront6targetE0EEEvSL_.kd
    .uniform_work_group_size: 1
    .uses_dynamic_stack: false
    .vgpr_count:     0
    .vgpr_spill_count: 0
    .wavefront_size: 32
    .workgroup_processor_mode: 1
  - .args:
      - .offset:         0
        .size:           64
        .value_kind:     by_value
    .group_segment_fixed_size: 0
    .kernarg_segment_align: 8
    .kernarg_segment_size: 64
    .language:       OpenCL C
    .language_version:
      - 2
      - 0
    .max_flat_workgroup_size: 256
    .name:           _ZN7rocprim17ROCPRIM_400000_NS6detail17trampoline_kernelINS0_14default_configENS1_38merge_sort_block_merge_config_selectorIfNS0_10empty_typeEEEZZNS1_27merge_sort_block_merge_implIS3_N6thrust23THRUST_200600_302600_NS6detail15normal_iteratorINS9_10device_ptrIfEEEEPS5_jNS1_19radix_merge_compareILb0ELb0EfNS0_19identity_decomposerEEEEE10hipError_tT0_T1_T2_jT3_P12ihipStream_tbPNSt15iterator_traitsISK_E10value_typeEPNSQ_ISL_E10value_typeEPSM_NS1_7vsmem_tEENKUlT_SK_SL_SM_E_clISE_PfSF_SF_EESJ_SZ_SK_SL_SM_EUlSZ_E0_NS1_11comp_targetILNS1_3genE10ELNS1_11target_archE1201ELNS1_3gpuE5ELNS1_3repE0EEENS1_38merge_mergepath_config_static_selectorELNS0_4arch9wavefront6targetE0EEEvSL_
    .private_segment_fixed_size: 0
    .sgpr_count:     0
    .sgpr_spill_count: 0
    .symbol:         _ZN7rocprim17ROCPRIM_400000_NS6detail17trampoline_kernelINS0_14default_configENS1_38merge_sort_block_merge_config_selectorIfNS0_10empty_typeEEEZZNS1_27merge_sort_block_merge_implIS3_N6thrust23THRUST_200600_302600_NS6detail15normal_iteratorINS9_10device_ptrIfEEEEPS5_jNS1_19radix_merge_compareILb0ELb0EfNS0_19identity_decomposerEEEEE10hipError_tT0_T1_T2_jT3_P12ihipStream_tbPNSt15iterator_traitsISK_E10value_typeEPNSQ_ISL_E10value_typeEPSM_NS1_7vsmem_tEENKUlT_SK_SL_SM_E_clISE_PfSF_SF_EESJ_SZ_SK_SL_SM_EUlSZ_E0_NS1_11comp_targetILNS1_3genE10ELNS1_11target_archE1201ELNS1_3gpuE5ELNS1_3repE0EEENS1_38merge_mergepath_config_static_selectorELNS0_4arch9wavefront6targetE0EEEvSL_.kd
    .uniform_work_group_size: 1
    .uses_dynamic_stack: false
    .vgpr_count:     0
    .vgpr_spill_count: 0
    .wavefront_size: 32
    .workgroup_processor_mode: 1
  - .args:
      - .offset:         0
        .size:           64
        .value_kind:     by_value
    .group_segment_fixed_size: 0
    .kernarg_segment_align: 8
    .kernarg_segment_size: 64
    .language:       OpenCL C
    .language_version:
      - 2
      - 0
    .max_flat_workgroup_size: 128
    .name:           _ZN7rocprim17ROCPRIM_400000_NS6detail17trampoline_kernelINS0_14default_configENS1_38merge_sort_block_merge_config_selectorIfNS0_10empty_typeEEEZZNS1_27merge_sort_block_merge_implIS3_N6thrust23THRUST_200600_302600_NS6detail15normal_iteratorINS9_10device_ptrIfEEEEPS5_jNS1_19radix_merge_compareILb0ELb0EfNS0_19identity_decomposerEEEEE10hipError_tT0_T1_T2_jT3_P12ihipStream_tbPNSt15iterator_traitsISK_E10value_typeEPNSQ_ISL_E10value_typeEPSM_NS1_7vsmem_tEENKUlT_SK_SL_SM_E_clISE_PfSF_SF_EESJ_SZ_SK_SL_SM_EUlSZ_E0_NS1_11comp_targetILNS1_3genE5ELNS1_11target_archE942ELNS1_3gpuE9ELNS1_3repE0EEENS1_38merge_mergepath_config_static_selectorELNS0_4arch9wavefront6targetE0EEEvSL_
    .private_segment_fixed_size: 0
    .sgpr_count:     0
    .sgpr_spill_count: 0
    .symbol:         _ZN7rocprim17ROCPRIM_400000_NS6detail17trampoline_kernelINS0_14default_configENS1_38merge_sort_block_merge_config_selectorIfNS0_10empty_typeEEEZZNS1_27merge_sort_block_merge_implIS3_N6thrust23THRUST_200600_302600_NS6detail15normal_iteratorINS9_10device_ptrIfEEEEPS5_jNS1_19radix_merge_compareILb0ELb0EfNS0_19identity_decomposerEEEEE10hipError_tT0_T1_T2_jT3_P12ihipStream_tbPNSt15iterator_traitsISK_E10value_typeEPNSQ_ISL_E10value_typeEPSM_NS1_7vsmem_tEENKUlT_SK_SL_SM_E_clISE_PfSF_SF_EESJ_SZ_SK_SL_SM_EUlSZ_E0_NS1_11comp_targetILNS1_3genE5ELNS1_11target_archE942ELNS1_3gpuE9ELNS1_3repE0EEENS1_38merge_mergepath_config_static_selectorELNS0_4arch9wavefront6targetE0EEEvSL_.kd
    .uniform_work_group_size: 1
    .uses_dynamic_stack: false
    .vgpr_count:     0
    .vgpr_spill_count: 0
    .wavefront_size: 32
    .workgroup_processor_mode: 1
  - .args:
      - .offset:         0
        .size:           64
        .value_kind:     by_value
    .group_segment_fixed_size: 0
    .kernarg_segment_align: 8
    .kernarg_segment_size: 64
    .language:       OpenCL C
    .language_version:
      - 2
      - 0
    .max_flat_workgroup_size: 128
    .name:           _ZN7rocprim17ROCPRIM_400000_NS6detail17trampoline_kernelINS0_14default_configENS1_38merge_sort_block_merge_config_selectorIfNS0_10empty_typeEEEZZNS1_27merge_sort_block_merge_implIS3_N6thrust23THRUST_200600_302600_NS6detail15normal_iteratorINS9_10device_ptrIfEEEEPS5_jNS1_19radix_merge_compareILb0ELb0EfNS0_19identity_decomposerEEEEE10hipError_tT0_T1_T2_jT3_P12ihipStream_tbPNSt15iterator_traitsISK_E10value_typeEPNSQ_ISL_E10value_typeEPSM_NS1_7vsmem_tEENKUlT_SK_SL_SM_E_clISE_PfSF_SF_EESJ_SZ_SK_SL_SM_EUlSZ_E0_NS1_11comp_targetILNS1_3genE4ELNS1_11target_archE910ELNS1_3gpuE8ELNS1_3repE0EEENS1_38merge_mergepath_config_static_selectorELNS0_4arch9wavefront6targetE0EEEvSL_
    .private_segment_fixed_size: 0
    .sgpr_count:     0
    .sgpr_spill_count: 0
    .symbol:         _ZN7rocprim17ROCPRIM_400000_NS6detail17trampoline_kernelINS0_14default_configENS1_38merge_sort_block_merge_config_selectorIfNS0_10empty_typeEEEZZNS1_27merge_sort_block_merge_implIS3_N6thrust23THRUST_200600_302600_NS6detail15normal_iteratorINS9_10device_ptrIfEEEEPS5_jNS1_19radix_merge_compareILb0ELb0EfNS0_19identity_decomposerEEEEE10hipError_tT0_T1_T2_jT3_P12ihipStream_tbPNSt15iterator_traitsISK_E10value_typeEPNSQ_ISL_E10value_typeEPSM_NS1_7vsmem_tEENKUlT_SK_SL_SM_E_clISE_PfSF_SF_EESJ_SZ_SK_SL_SM_EUlSZ_E0_NS1_11comp_targetILNS1_3genE4ELNS1_11target_archE910ELNS1_3gpuE8ELNS1_3repE0EEENS1_38merge_mergepath_config_static_selectorELNS0_4arch9wavefront6targetE0EEEvSL_.kd
    .uniform_work_group_size: 1
    .uses_dynamic_stack: false
    .vgpr_count:     0
    .vgpr_spill_count: 0
    .wavefront_size: 32
    .workgroup_processor_mode: 1
  - .args:
      - .offset:         0
        .size:           64
        .value_kind:     by_value
    .group_segment_fixed_size: 0
    .kernarg_segment_align: 8
    .kernarg_segment_size: 64
    .language:       OpenCL C
    .language_version:
      - 2
      - 0
    .max_flat_workgroup_size: 128
    .name:           _ZN7rocprim17ROCPRIM_400000_NS6detail17trampoline_kernelINS0_14default_configENS1_38merge_sort_block_merge_config_selectorIfNS0_10empty_typeEEEZZNS1_27merge_sort_block_merge_implIS3_N6thrust23THRUST_200600_302600_NS6detail15normal_iteratorINS9_10device_ptrIfEEEEPS5_jNS1_19radix_merge_compareILb0ELb0EfNS0_19identity_decomposerEEEEE10hipError_tT0_T1_T2_jT3_P12ihipStream_tbPNSt15iterator_traitsISK_E10value_typeEPNSQ_ISL_E10value_typeEPSM_NS1_7vsmem_tEENKUlT_SK_SL_SM_E_clISE_PfSF_SF_EESJ_SZ_SK_SL_SM_EUlSZ_E0_NS1_11comp_targetILNS1_3genE3ELNS1_11target_archE908ELNS1_3gpuE7ELNS1_3repE0EEENS1_38merge_mergepath_config_static_selectorELNS0_4arch9wavefront6targetE0EEEvSL_
    .private_segment_fixed_size: 0
    .sgpr_count:     0
    .sgpr_spill_count: 0
    .symbol:         _ZN7rocprim17ROCPRIM_400000_NS6detail17trampoline_kernelINS0_14default_configENS1_38merge_sort_block_merge_config_selectorIfNS0_10empty_typeEEEZZNS1_27merge_sort_block_merge_implIS3_N6thrust23THRUST_200600_302600_NS6detail15normal_iteratorINS9_10device_ptrIfEEEEPS5_jNS1_19radix_merge_compareILb0ELb0EfNS0_19identity_decomposerEEEEE10hipError_tT0_T1_T2_jT3_P12ihipStream_tbPNSt15iterator_traitsISK_E10value_typeEPNSQ_ISL_E10value_typeEPSM_NS1_7vsmem_tEENKUlT_SK_SL_SM_E_clISE_PfSF_SF_EESJ_SZ_SK_SL_SM_EUlSZ_E0_NS1_11comp_targetILNS1_3genE3ELNS1_11target_archE908ELNS1_3gpuE7ELNS1_3repE0EEENS1_38merge_mergepath_config_static_selectorELNS0_4arch9wavefront6targetE0EEEvSL_.kd
    .uniform_work_group_size: 1
    .uses_dynamic_stack: false
    .vgpr_count:     0
    .vgpr_spill_count: 0
    .wavefront_size: 32
    .workgroup_processor_mode: 1
  - .args:
      - .offset:         0
        .size:           64
        .value_kind:     by_value
    .group_segment_fixed_size: 0
    .kernarg_segment_align: 8
    .kernarg_segment_size: 64
    .language:       OpenCL C
    .language_version:
      - 2
      - 0
    .max_flat_workgroup_size: 128
    .name:           _ZN7rocprim17ROCPRIM_400000_NS6detail17trampoline_kernelINS0_14default_configENS1_38merge_sort_block_merge_config_selectorIfNS0_10empty_typeEEEZZNS1_27merge_sort_block_merge_implIS3_N6thrust23THRUST_200600_302600_NS6detail15normal_iteratorINS9_10device_ptrIfEEEEPS5_jNS1_19radix_merge_compareILb0ELb0EfNS0_19identity_decomposerEEEEE10hipError_tT0_T1_T2_jT3_P12ihipStream_tbPNSt15iterator_traitsISK_E10value_typeEPNSQ_ISL_E10value_typeEPSM_NS1_7vsmem_tEENKUlT_SK_SL_SM_E_clISE_PfSF_SF_EESJ_SZ_SK_SL_SM_EUlSZ_E0_NS1_11comp_targetILNS1_3genE2ELNS1_11target_archE906ELNS1_3gpuE6ELNS1_3repE0EEENS1_38merge_mergepath_config_static_selectorELNS0_4arch9wavefront6targetE0EEEvSL_
    .private_segment_fixed_size: 0
    .sgpr_count:     0
    .sgpr_spill_count: 0
    .symbol:         _ZN7rocprim17ROCPRIM_400000_NS6detail17trampoline_kernelINS0_14default_configENS1_38merge_sort_block_merge_config_selectorIfNS0_10empty_typeEEEZZNS1_27merge_sort_block_merge_implIS3_N6thrust23THRUST_200600_302600_NS6detail15normal_iteratorINS9_10device_ptrIfEEEEPS5_jNS1_19radix_merge_compareILb0ELb0EfNS0_19identity_decomposerEEEEE10hipError_tT0_T1_T2_jT3_P12ihipStream_tbPNSt15iterator_traitsISK_E10value_typeEPNSQ_ISL_E10value_typeEPSM_NS1_7vsmem_tEENKUlT_SK_SL_SM_E_clISE_PfSF_SF_EESJ_SZ_SK_SL_SM_EUlSZ_E0_NS1_11comp_targetILNS1_3genE2ELNS1_11target_archE906ELNS1_3gpuE6ELNS1_3repE0EEENS1_38merge_mergepath_config_static_selectorELNS0_4arch9wavefront6targetE0EEEvSL_.kd
    .uniform_work_group_size: 1
    .uses_dynamic_stack: false
    .vgpr_count:     0
    .vgpr_spill_count: 0
    .wavefront_size: 32
    .workgroup_processor_mode: 1
  - .args:
      - .offset:         0
        .size:           64
        .value_kind:     by_value
    .group_segment_fixed_size: 0
    .kernarg_segment_align: 8
    .kernarg_segment_size: 64
    .language:       OpenCL C
    .language_version:
      - 2
      - 0
    .max_flat_workgroup_size: 256
    .name:           _ZN7rocprim17ROCPRIM_400000_NS6detail17trampoline_kernelINS0_14default_configENS1_38merge_sort_block_merge_config_selectorIfNS0_10empty_typeEEEZZNS1_27merge_sort_block_merge_implIS3_N6thrust23THRUST_200600_302600_NS6detail15normal_iteratorINS9_10device_ptrIfEEEEPS5_jNS1_19radix_merge_compareILb0ELb0EfNS0_19identity_decomposerEEEEE10hipError_tT0_T1_T2_jT3_P12ihipStream_tbPNSt15iterator_traitsISK_E10value_typeEPNSQ_ISL_E10value_typeEPSM_NS1_7vsmem_tEENKUlT_SK_SL_SM_E_clISE_PfSF_SF_EESJ_SZ_SK_SL_SM_EUlSZ_E0_NS1_11comp_targetILNS1_3genE9ELNS1_11target_archE1100ELNS1_3gpuE3ELNS1_3repE0EEENS1_38merge_mergepath_config_static_selectorELNS0_4arch9wavefront6targetE0EEEvSL_
    .private_segment_fixed_size: 0
    .sgpr_count:     0
    .sgpr_spill_count: 0
    .symbol:         _ZN7rocprim17ROCPRIM_400000_NS6detail17trampoline_kernelINS0_14default_configENS1_38merge_sort_block_merge_config_selectorIfNS0_10empty_typeEEEZZNS1_27merge_sort_block_merge_implIS3_N6thrust23THRUST_200600_302600_NS6detail15normal_iteratorINS9_10device_ptrIfEEEEPS5_jNS1_19radix_merge_compareILb0ELb0EfNS0_19identity_decomposerEEEEE10hipError_tT0_T1_T2_jT3_P12ihipStream_tbPNSt15iterator_traitsISK_E10value_typeEPNSQ_ISL_E10value_typeEPSM_NS1_7vsmem_tEENKUlT_SK_SL_SM_E_clISE_PfSF_SF_EESJ_SZ_SK_SL_SM_EUlSZ_E0_NS1_11comp_targetILNS1_3genE9ELNS1_11target_archE1100ELNS1_3gpuE3ELNS1_3repE0EEENS1_38merge_mergepath_config_static_selectorELNS0_4arch9wavefront6targetE0EEEvSL_.kd
    .uniform_work_group_size: 1
    .uses_dynamic_stack: false
    .vgpr_count:     0
    .vgpr_spill_count: 0
    .wavefront_size: 32
    .workgroup_processor_mode: 1
  - .args:
      - .offset:         0
        .size:           64
        .value_kind:     by_value
      - .offset:         64
        .size:           4
        .value_kind:     hidden_block_count_x
      - .offset:         68
        .size:           4
        .value_kind:     hidden_block_count_y
      - .offset:         72
        .size:           4
        .value_kind:     hidden_block_count_z
      - .offset:         76
        .size:           2
        .value_kind:     hidden_group_size_x
      - .offset:         78
        .size:           2
        .value_kind:     hidden_group_size_y
      - .offset:         80
        .size:           2
        .value_kind:     hidden_group_size_z
      - .offset:         82
        .size:           2
        .value_kind:     hidden_remainder_x
      - .offset:         84
        .size:           2
        .value_kind:     hidden_remainder_y
      - .offset:         86
        .size:           2
        .value_kind:     hidden_remainder_z
      - .offset:         104
        .size:           8
        .value_kind:     hidden_global_offset_x
      - .offset:         112
        .size:           8
        .value_kind:     hidden_global_offset_y
      - .offset:         120
        .size:           8
        .value_kind:     hidden_global_offset_z
      - .offset:         128
        .size:           2
        .value_kind:     hidden_grid_dims
    .group_segment_fixed_size: 4224
    .kernarg_segment_align: 8
    .kernarg_segment_size: 320
    .language:       OpenCL C
    .language_version:
      - 2
      - 0
    .max_flat_workgroup_size: 512
    .name:           _ZN7rocprim17ROCPRIM_400000_NS6detail17trampoline_kernelINS0_14default_configENS1_38merge_sort_block_merge_config_selectorIfNS0_10empty_typeEEEZZNS1_27merge_sort_block_merge_implIS3_N6thrust23THRUST_200600_302600_NS6detail15normal_iteratorINS9_10device_ptrIfEEEEPS5_jNS1_19radix_merge_compareILb0ELb0EfNS0_19identity_decomposerEEEEE10hipError_tT0_T1_T2_jT3_P12ihipStream_tbPNSt15iterator_traitsISK_E10value_typeEPNSQ_ISL_E10value_typeEPSM_NS1_7vsmem_tEENKUlT_SK_SL_SM_E_clISE_PfSF_SF_EESJ_SZ_SK_SL_SM_EUlSZ_E0_NS1_11comp_targetILNS1_3genE8ELNS1_11target_archE1030ELNS1_3gpuE2ELNS1_3repE0EEENS1_38merge_mergepath_config_static_selectorELNS0_4arch9wavefront6targetE0EEEvSL_
    .private_segment_fixed_size: 0
    .sgpr_count:     25
    .sgpr_spill_count: 0
    .symbol:         _ZN7rocprim17ROCPRIM_400000_NS6detail17trampoline_kernelINS0_14default_configENS1_38merge_sort_block_merge_config_selectorIfNS0_10empty_typeEEEZZNS1_27merge_sort_block_merge_implIS3_N6thrust23THRUST_200600_302600_NS6detail15normal_iteratorINS9_10device_ptrIfEEEEPS5_jNS1_19radix_merge_compareILb0ELb0EfNS0_19identity_decomposerEEEEE10hipError_tT0_T1_T2_jT3_P12ihipStream_tbPNSt15iterator_traitsISK_E10value_typeEPNSQ_ISL_E10value_typeEPSM_NS1_7vsmem_tEENKUlT_SK_SL_SM_E_clISE_PfSF_SF_EESJ_SZ_SK_SL_SM_EUlSZ_E0_NS1_11comp_targetILNS1_3genE8ELNS1_11target_archE1030ELNS1_3gpuE2ELNS1_3repE0EEENS1_38merge_mergepath_config_static_selectorELNS0_4arch9wavefront6targetE0EEEvSL_.kd
    .uniform_work_group_size: 1
    .uses_dynamic_stack: false
    .vgpr_count:     15
    .vgpr_spill_count: 0
    .wavefront_size: 32
    .workgroup_processor_mode: 1
  - .args:
      - .offset:         0
        .size:           48
        .value_kind:     by_value
    .group_segment_fixed_size: 0
    .kernarg_segment_align: 8
    .kernarg_segment_size: 48
    .language:       OpenCL C
    .language_version:
      - 2
      - 0
    .max_flat_workgroup_size: 256
    .name:           _ZN7rocprim17ROCPRIM_400000_NS6detail17trampoline_kernelINS0_14default_configENS1_38merge_sort_block_merge_config_selectorIfNS0_10empty_typeEEEZZNS1_27merge_sort_block_merge_implIS3_N6thrust23THRUST_200600_302600_NS6detail15normal_iteratorINS9_10device_ptrIfEEEEPS5_jNS1_19radix_merge_compareILb0ELb0EfNS0_19identity_decomposerEEEEE10hipError_tT0_T1_T2_jT3_P12ihipStream_tbPNSt15iterator_traitsISK_E10value_typeEPNSQ_ISL_E10value_typeEPSM_NS1_7vsmem_tEENKUlT_SK_SL_SM_E_clISE_PfSF_SF_EESJ_SZ_SK_SL_SM_EUlSZ_E1_NS1_11comp_targetILNS1_3genE0ELNS1_11target_archE4294967295ELNS1_3gpuE0ELNS1_3repE0EEENS1_36merge_oddeven_config_static_selectorELNS0_4arch9wavefront6targetE0EEEvSL_
    .private_segment_fixed_size: 0
    .sgpr_count:     0
    .sgpr_spill_count: 0
    .symbol:         _ZN7rocprim17ROCPRIM_400000_NS6detail17trampoline_kernelINS0_14default_configENS1_38merge_sort_block_merge_config_selectorIfNS0_10empty_typeEEEZZNS1_27merge_sort_block_merge_implIS3_N6thrust23THRUST_200600_302600_NS6detail15normal_iteratorINS9_10device_ptrIfEEEEPS5_jNS1_19radix_merge_compareILb0ELb0EfNS0_19identity_decomposerEEEEE10hipError_tT0_T1_T2_jT3_P12ihipStream_tbPNSt15iterator_traitsISK_E10value_typeEPNSQ_ISL_E10value_typeEPSM_NS1_7vsmem_tEENKUlT_SK_SL_SM_E_clISE_PfSF_SF_EESJ_SZ_SK_SL_SM_EUlSZ_E1_NS1_11comp_targetILNS1_3genE0ELNS1_11target_archE4294967295ELNS1_3gpuE0ELNS1_3repE0EEENS1_36merge_oddeven_config_static_selectorELNS0_4arch9wavefront6targetE0EEEvSL_.kd
    .uniform_work_group_size: 1
    .uses_dynamic_stack: false
    .vgpr_count:     0
    .vgpr_spill_count: 0
    .wavefront_size: 32
    .workgroup_processor_mode: 1
  - .args:
      - .offset:         0
        .size:           48
        .value_kind:     by_value
    .group_segment_fixed_size: 0
    .kernarg_segment_align: 8
    .kernarg_segment_size: 48
    .language:       OpenCL C
    .language_version:
      - 2
      - 0
    .max_flat_workgroup_size: 256
    .name:           _ZN7rocprim17ROCPRIM_400000_NS6detail17trampoline_kernelINS0_14default_configENS1_38merge_sort_block_merge_config_selectorIfNS0_10empty_typeEEEZZNS1_27merge_sort_block_merge_implIS3_N6thrust23THRUST_200600_302600_NS6detail15normal_iteratorINS9_10device_ptrIfEEEEPS5_jNS1_19radix_merge_compareILb0ELb0EfNS0_19identity_decomposerEEEEE10hipError_tT0_T1_T2_jT3_P12ihipStream_tbPNSt15iterator_traitsISK_E10value_typeEPNSQ_ISL_E10value_typeEPSM_NS1_7vsmem_tEENKUlT_SK_SL_SM_E_clISE_PfSF_SF_EESJ_SZ_SK_SL_SM_EUlSZ_E1_NS1_11comp_targetILNS1_3genE10ELNS1_11target_archE1201ELNS1_3gpuE5ELNS1_3repE0EEENS1_36merge_oddeven_config_static_selectorELNS0_4arch9wavefront6targetE0EEEvSL_
    .private_segment_fixed_size: 0
    .sgpr_count:     0
    .sgpr_spill_count: 0
    .symbol:         _ZN7rocprim17ROCPRIM_400000_NS6detail17trampoline_kernelINS0_14default_configENS1_38merge_sort_block_merge_config_selectorIfNS0_10empty_typeEEEZZNS1_27merge_sort_block_merge_implIS3_N6thrust23THRUST_200600_302600_NS6detail15normal_iteratorINS9_10device_ptrIfEEEEPS5_jNS1_19radix_merge_compareILb0ELb0EfNS0_19identity_decomposerEEEEE10hipError_tT0_T1_T2_jT3_P12ihipStream_tbPNSt15iterator_traitsISK_E10value_typeEPNSQ_ISL_E10value_typeEPSM_NS1_7vsmem_tEENKUlT_SK_SL_SM_E_clISE_PfSF_SF_EESJ_SZ_SK_SL_SM_EUlSZ_E1_NS1_11comp_targetILNS1_3genE10ELNS1_11target_archE1201ELNS1_3gpuE5ELNS1_3repE0EEENS1_36merge_oddeven_config_static_selectorELNS0_4arch9wavefront6targetE0EEEvSL_.kd
    .uniform_work_group_size: 1
    .uses_dynamic_stack: false
    .vgpr_count:     0
    .vgpr_spill_count: 0
    .wavefront_size: 32
    .workgroup_processor_mode: 1
  - .args:
      - .offset:         0
        .size:           48
        .value_kind:     by_value
    .group_segment_fixed_size: 0
    .kernarg_segment_align: 8
    .kernarg_segment_size: 48
    .language:       OpenCL C
    .language_version:
      - 2
      - 0
    .max_flat_workgroup_size: 256
    .name:           _ZN7rocprim17ROCPRIM_400000_NS6detail17trampoline_kernelINS0_14default_configENS1_38merge_sort_block_merge_config_selectorIfNS0_10empty_typeEEEZZNS1_27merge_sort_block_merge_implIS3_N6thrust23THRUST_200600_302600_NS6detail15normal_iteratorINS9_10device_ptrIfEEEEPS5_jNS1_19radix_merge_compareILb0ELb0EfNS0_19identity_decomposerEEEEE10hipError_tT0_T1_T2_jT3_P12ihipStream_tbPNSt15iterator_traitsISK_E10value_typeEPNSQ_ISL_E10value_typeEPSM_NS1_7vsmem_tEENKUlT_SK_SL_SM_E_clISE_PfSF_SF_EESJ_SZ_SK_SL_SM_EUlSZ_E1_NS1_11comp_targetILNS1_3genE5ELNS1_11target_archE942ELNS1_3gpuE9ELNS1_3repE0EEENS1_36merge_oddeven_config_static_selectorELNS0_4arch9wavefront6targetE0EEEvSL_
    .private_segment_fixed_size: 0
    .sgpr_count:     0
    .sgpr_spill_count: 0
    .symbol:         _ZN7rocprim17ROCPRIM_400000_NS6detail17trampoline_kernelINS0_14default_configENS1_38merge_sort_block_merge_config_selectorIfNS0_10empty_typeEEEZZNS1_27merge_sort_block_merge_implIS3_N6thrust23THRUST_200600_302600_NS6detail15normal_iteratorINS9_10device_ptrIfEEEEPS5_jNS1_19radix_merge_compareILb0ELb0EfNS0_19identity_decomposerEEEEE10hipError_tT0_T1_T2_jT3_P12ihipStream_tbPNSt15iterator_traitsISK_E10value_typeEPNSQ_ISL_E10value_typeEPSM_NS1_7vsmem_tEENKUlT_SK_SL_SM_E_clISE_PfSF_SF_EESJ_SZ_SK_SL_SM_EUlSZ_E1_NS1_11comp_targetILNS1_3genE5ELNS1_11target_archE942ELNS1_3gpuE9ELNS1_3repE0EEENS1_36merge_oddeven_config_static_selectorELNS0_4arch9wavefront6targetE0EEEvSL_.kd
    .uniform_work_group_size: 1
    .uses_dynamic_stack: false
    .vgpr_count:     0
    .vgpr_spill_count: 0
    .wavefront_size: 32
    .workgroup_processor_mode: 1
  - .args:
      - .offset:         0
        .size:           48
        .value_kind:     by_value
    .group_segment_fixed_size: 0
    .kernarg_segment_align: 8
    .kernarg_segment_size: 48
    .language:       OpenCL C
    .language_version:
      - 2
      - 0
    .max_flat_workgroup_size: 256
    .name:           _ZN7rocprim17ROCPRIM_400000_NS6detail17trampoline_kernelINS0_14default_configENS1_38merge_sort_block_merge_config_selectorIfNS0_10empty_typeEEEZZNS1_27merge_sort_block_merge_implIS3_N6thrust23THRUST_200600_302600_NS6detail15normal_iteratorINS9_10device_ptrIfEEEEPS5_jNS1_19radix_merge_compareILb0ELb0EfNS0_19identity_decomposerEEEEE10hipError_tT0_T1_T2_jT3_P12ihipStream_tbPNSt15iterator_traitsISK_E10value_typeEPNSQ_ISL_E10value_typeEPSM_NS1_7vsmem_tEENKUlT_SK_SL_SM_E_clISE_PfSF_SF_EESJ_SZ_SK_SL_SM_EUlSZ_E1_NS1_11comp_targetILNS1_3genE4ELNS1_11target_archE910ELNS1_3gpuE8ELNS1_3repE0EEENS1_36merge_oddeven_config_static_selectorELNS0_4arch9wavefront6targetE0EEEvSL_
    .private_segment_fixed_size: 0
    .sgpr_count:     0
    .sgpr_spill_count: 0
    .symbol:         _ZN7rocprim17ROCPRIM_400000_NS6detail17trampoline_kernelINS0_14default_configENS1_38merge_sort_block_merge_config_selectorIfNS0_10empty_typeEEEZZNS1_27merge_sort_block_merge_implIS3_N6thrust23THRUST_200600_302600_NS6detail15normal_iteratorINS9_10device_ptrIfEEEEPS5_jNS1_19radix_merge_compareILb0ELb0EfNS0_19identity_decomposerEEEEE10hipError_tT0_T1_T2_jT3_P12ihipStream_tbPNSt15iterator_traitsISK_E10value_typeEPNSQ_ISL_E10value_typeEPSM_NS1_7vsmem_tEENKUlT_SK_SL_SM_E_clISE_PfSF_SF_EESJ_SZ_SK_SL_SM_EUlSZ_E1_NS1_11comp_targetILNS1_3genE4ELNS1_11target_archE910ELNS1_3gpuE8ELNS1_3repE0EEENS1_36merge_oddeven_config_static_selectorELNS0_4arch9wavefront6targetE0EEEvSL_.kd
    .uniform_work_group_size: 1
    .uses_dynamic_stack: false
    .vgpr_count:     0
    .vgpr_spill_count: 0
    .wavefront_size: 32
    .workgroup_processor_mode: 1
  - .args:
      - .offset:         0
        .size:           48
        .value_kind:     by_value
    .group_segment_fixed_size: 0
    .kernarg_segment_align: 8
    .kernarg_segment_size: 48
    .language:       OpenCL C
    .language_version:
      - 2
      - 0
    .max_flat_workgroup_size: 256
    .name:           _ZN7rocprim17ROCPRIM_400000_NS6detail17trampoline_kernelINS0_14default_configENS1_38merge_sort_block_merge_config_selectorIfNS0_10empty_typeEEEZZNS1_27merge_sort_block_merge_implIS3_N6thrust23THRUST_200600_302600_NS6detail15normal_iteratorINS9_10device_ptrIfEEEEPS5_jNS1_19radix_merge_compareILb0ELb0EfNS0_19identity_decomposerEEEEE10hipError_tT0_T1_T2_jT3_P12ihipStream_tbPNSt15iterator_traitsISK_E10value_typeEPNSQ_ISL_E10value_typeEPSM_NS1_7vsmem_tEENKUlT_SK_SL_SM_E_clISE_PfSF_SF_EESJ_SZ_SK_SL_SM_EUlSZ_E1_NS1_11comp_targetILNS1_3genE3ELNS1_11target_archE908ELNS1_3gpuE7ELNS1_3repE0EEENS1_36merge_oddeven_config_static_selectorELNS0_4arch9wavefront6targetE0EEEvSL_
    .private_segment_fixed_size: 0
    .sgpr_count:     0
    .sgpr_spill_count: 0
    .symbol:         _ZN7rocprim17ROCPRIM_400000_NS6detail17trampoline_kernelINS0_14default_configENS1_38merge_sort_block_merge_config_selectorIfNS0_10empty_typeEEEZZNS1_27merge_sort_block_merge_implIS3_N6thrust23THRUST_200600_302600_NS6detail15normal_iteratorINS9_10device_ptrIfEEEEPS5_jNS1_19radix_merge_compareILb0ELb0EfNS0_19identity_decomposerEEEEE10hipError_tT0_T1_T2_jT3_P12ihipStream_tbPNSt15iterator_traitsISK_E10value_typeEPNSQ_ISL_E10value_typeEPSM_NS1_7vsmem_tEENKUlT_SK_SL_SM_E_clISE_PfSF_SF_EESJ_SZ_SK_SL_SM_EUlSZ_E1_NS1_11comp_targetILNS1_3genE3ELNS1_11target_archE908ELNS1_3gpuE7ELNS1_3repE0EEENS1_36merge_oddeven_config_static_selectorELNS0_4arch9wavefront6targetE0EEEvSL_.kd
    .uniform_work_group_size: 1
    .uses_dynamic_stack: false
    .vgpr_count:     0
    .vgpr_spill_count: 0
    .wavefront_size: 32
    .workgroup_processor_mode: 1
  - .args:
      - .offset:         0
        .size:           48
        .value_kind:     by_value
    .group_segment_fixed_size: 0
    .kernarg_segment_align: 8
    .kernarg_segment_size: 48
    .language:       OpenCL C
    .language_version:
      - 2
      - 0
    .max_flat_workgroup_size: 256
    .name:           _ZN7rocprim17ROCPRIM_400000_NS6detail17trampoline_kernelINS0_14default_configENS1_38merge_sort_block_merge_config_selectorIfNS0_10empty_typeEEEZZNS1_27merge_sort_block_merge_implIS3_N6thrust23THRUST_200600_302600_NS6detail15normal_iteratorINS9_10device_ptrIfEEEEPS5_jNS1_19radix_merge_compareILb0ELb0EfNS0_19identity_decomposerEEEEE10hipError_tT0_T1_T2_jT3_P12ihipStream_tbPNSt15iterator_traitsISK_E10value_typeEPNSQ_ISL_E10value_typeEPSM_NS1_7vsmem_tEENKUlT_SK_SL_SM_E_clISE_PfSF_SF_EESJ_SZ_SK_SL_SM_EUlSZ_E1_NS1_11comp_targetILNS1_3genE2ELNS1_11target_archE906ELNS1_3gpuE6ELNS1_3repE0EEENS1_36merge_oddeven_config_static_selectorELNS0_4arch9wavefront6targetE0EEEvSL_
    .private_segment_fixed_size: 0
    .sgpr_count:     0
    .sgpr_spill_count: 0
    .symbol:         _ZN7rocprim17ROCPRIM_400000_NS6detail17trampoline_kernelINS0_14default_configENS1_38merge_sort_block_merge_config_selectorIfNS0_10empty_typeEEEZZNS1_27merge_sort_block_merge_implIS3_N6thrust23THRUST_200600_302600_NS6detail15normal_iteratorINS9_10device_ptrIfEEEEPS5_jNS1_19radix_merge_compareILb0ELb0EfNS0_19identity_decomposerEEEEE10hipError_tT0_T1_T2_jT3_P12ihipStream_tbPNSt15iterator_traitsISK_E10value_typeEPNSQ_ISL_E10value_typeEPSM_NS1_7vsmem_tEENKUlT_SK_SL_SM_E_clISE_PfSF_SF_EESJ_SZ_SK_SL_SM_EUlSZ_E1_NS1_11comp_targetILNS1_3genE2ELNS1_11target_archE906ELNS1_3gpuE6ELNS1_3repE0EEENS1_36merge_oddeven_config_static_selectorELNS0_4arch9wavefront6targetE0EEEvSL_.kd
    .uniform_work_group_size: 1
    .uses_dynamic_stack: false
    .vgpr_count:     0
    .vgpr_spill_count: 0
    .wavefront_size: 32
    .workgroup_processor_mode: 1
  - .args:
      - .offset:         0
        .size:           48
        .value_kind:     by_value
    .group_segment_fixed_size: 0
    .kernarg_segment_align: 8
    .kernarg_segment_size: 48
    .language:       OpenCL C
    .language_version:
      - 2
      - 0
    .max_flat_workgroup_size: 256
    .name:           _ZN7rocprim17ROCPRIM_400000_NS6detail17trampoline_kernelINS0_14default_configENS1_38merge_sort_block_merge_config_selectorIfNS0_10empty_typeEEEZZNS1_27merge_sort_block_merge_implIS3_N6thrust23THRUST_200600_302600_NS6detail15normal_iteratorINS9_10device_ptrIfEEEEPS5_jNS1_19radix_merge_compareILb0ELb0EfNS0_19identity_decomposerEEEEE10hipError_tT0_T1_T2_jT3_P12ihipStream_tbPNSt15iterator_traitsISK_E10value_typeEPNSQ_ISL_E10value_typeEPSM_NS1_7vsmem_tEENKUlT_SK_SL_SM_E_clISE_PfSF_SF_EESJ_SZ_SK_SL_SM_EUlSZ_E1_NS1_11comp_targetILNS1_3genE9ELNS1_11target_archE1100ELNS1_3gpuE3ELNS1_3repE0EEENS1_36merge_oddeven_config_static_selectorELNS0_4arch9wavefront6targetE0EEEvSL_
    .private_segment_fixed_size: 0
    .sgpr_count:     0
    .sgpr_spill_count: 0
    .symbol:         _ZN7rocprim17ROCPRIM_400000_NS6detail17trampoline_kernelINS0_14default_configENS1_38merge_sort_block_merge_config_selectorIfNS0_10empty_typeEEEZZNS1_27merge_sort_block_merge_implIS3_N6thrust23THRUST_200600_302600_NS6detail15normal_iteratorINS9_10device_ptrIfEEEEPS5_jNS1_19radix_merge_compareILb0ELb0EfNS0_19identity_decomposerEEEEE10hipError_tT0_T1_T2_jT3_P12ihipStream_tbPNSt15iterator_traitsISK_E10value_typeEPNSQ_ISL_E10value_typeEPSM_NS1_7vsmem_tEENKUlT_SK_SL_SM_E_clISE_PfSF_SF_EESJ_SZ_SK_SL_SM_EUlSZ_E1_NS1_11comp_targetILNS1_3genE9ELNS1_11target_archE1100ELNS1_3gpuE3ELNS1_3repE0EEENS1_36merge_oddeven_config_static_selectorELNS0_4arch9wavefront6targetE0EEEvSL_.kd
    .uniform_work_group_size: 1
    .uses_dynamic_stack: false
    .vgpr_count:     0
    .vgpr_spill_count: 0
    .wavefront_size: 32
    .workgroup_processor_mode: 1
  - .args:
      - .offset:         0
        .size:           48
        .value_kind:     by_value
    .group_segment_fixed_size: 0
    .kernarg_segment_align: 8
    .kernarg_segment_size: 48
    .language:       OpenCL C
    .language_version:
      - 2
      - 0
    .max_flat_workgroup_size: 256
    .name:           _ZN7rocprim17ROCPRIM_400000_NS6detail17trampoline_kernelINS0_14default_configENS1_38merge_sort_block_merge_config_selectorIfNS0_10empty_typeEEEZZNS1_27merge_sort_block_merge_implIS3_N6thrust23THRUST_200600_302600_NS6detail15normal_iteratorINS9_10device_ptrIfEEEEPS5_jNS1_19radix_merge_compareILb0ELb0EfNS0_19identity_decomposerEEEEE10hipError_tT0_T1_T2_jT3_P12ihipStream_tbPNSt15iterator_traitsISK_E10value_typeEPNSQ_ISL_E10value_typeEPSM_NS1_7vsmem_tEENKUlT_SK_SL_SM_E_clISE_PfSF_SF_EESJ_SZ_SK_SL_SM_EUlSZ_E1_NS1_11comp_targetILNS1_3genE8ELNS1_11target_archE1030ELNS1_3gpuE2ELNS1_3repE0EEENS1_36merge_oddeven_config_static_selectorELNS0_4arch9wavefront6targetE0EEEvSL_
    .private_segment_fixed_size: 0
    .sgpr_count:     18
    .sgpr_spill_count: 0
    .symbol:         _ZN7rocprim17ROCPRIM_400000_NS6detail17trampoline_kernelINS0_14default_configENS1_38merge_sort_block_merge_config_selectorIfNS0_10empty_typeEEEZZNS1_27merge_sort_block_merge_implIS3_N6thrust23THRUST_200600_302600_NS6detail15normal_iteratorINS9_10device_ptrIfEEEEPS5_jNS1_19radix_merge_compareILb0ELb0EfNS0_19identity_decomposerEEEEE10hipError_tT0_T1_T2_jT3_P12ihipStream_tbPNSt15iterator_traitsISK_E10value_typeEPNSQ_ISL_E10value_typeEPSM_NS1_7vsmem_tEENKUlT_SK_SL_SM_E_clISE_PfSF_SF_EESJ_SZ_SK_SL_SM_EUlSZ_E1_NS1_11comp_targetILNS1_3genE8ELNS1_11target_archE1030ELNS1_3gpuE2ELNS1_3repE0EEENS1_36merge_oddeven_config_static_selectorELNS0_4arch9wavefront6targetE0EEEvSL_.kd
    .uniform_work_group_size: 1
    .uses_dynamic_stack: false
    .vgpr_count:     9
    .vgpr_spill_count: 0
    .wavefront_size: 32
    .workgroup_processor_mode: 1
  - .args:
      - .offset:         0
        .size:           40
        .value_kind:     by_value
    .group_segment_fixed_size: 0
    .kernarg_segment_align: 8
    .kernarg_segment_size: 40
    .language:       OpenCL C
    .language_version:
      - 2
      - 0
    .max_flat_workgroup_size: 128
    .name:           _ZN7rocprim17ROCPRIM_400000_NS6detail17trampoline_kernelINS0_14default_configENS1_25transform_config_selectorIfLb0EEEZNS1_14transform_implILb0ES3_S5_PfN6thrust23THRUST_200600_302600_NS6detail15normal_iteratorINS9_10device_ptrIfEEEENS0_8identityIfEEEE10hipError_tT2_T3_mT4_P12ihipStream_tbEUlT_E_NS1_11comp_targetILNS1_3genE0ELNS1_11target_archE4294967295ELNS1_3gpuE0ELNS1_3repE0EEENS1_30default_config_static_selectorELNS0_4arch9wavefront6targetE0EEEvT1_
    .private_segment_fixed_size: 0
    .sgpr_count:     0
    .sgpr_spill_count: 0
    .symbol:         _ZN7rocprim17ROCPRIM_400000_NS6detail17trampoline_kernelINS0_14default_configENS1_25transform_config_selectorIfLb0EEEZNS1_14transform_implILb0ES3_S5_PfN6thrust23THRUST_200600_302600_NS6detail15normal_iteratorINS9_10device_ptrIfEEEENS0_8identityIfEEEE10hipError_tT2_T3_mT4_P12ihipStream_tbEUlT_E_NS1_11comp_targetILNS1_3genE0ELNS1_11target_archE4294967295ELNS1_3gpuE0ELNS1_3repE0EEENS1_30default_config_static_selectorELNS0_4arch9wavefront6targetE0EEEvT1_.kd
    .uniform_work_group_size: 1
    .uses_dynamic_stack: false
    .vgpr_count:     0
    .vgpr_spill_count: 0
    .wavefront_size: 32
    .workgroup_processor_mode: 1
  - .args:
      - .offset:         0
        .size:           40
        .value_kind:     by_value
    .group_segment_fixed_size: 0
    .kernarg_segment_align: 8
    .kernarg_segment_size: 40
    .language:       OpenCL C
    .language_version:
      - 2
      - 0
    .max_flat_workgroup_size: 256
    .name:           _ZN7rocprim17ROCPRIM_400000_NS6detail17trampoline_kernelINS0_14default_configENS1_25transform_config_selectorIfLb0EEEZNS1_14transform_implILb0ES3_S5_PfN6thrust23THRUST_200600_302600_NS6detail15normal_iteratorINS9_10device_ptrIfEEEENS0_8identityIfEEEE10hipError_tT2_T3_mT4_P12ihipStream_tbEUlT_E_NS1_11comp_targetILNS1_3genE5ELNS1_11target_archE942ELNS1_3gpuE9ELNS1_3repE0EEENS1_30default_config_static_selectorELNS0_4arch9wavefront6targetE0EEEvT1_
    .private_segment_fixed_size: 0
    .sgpr_count:     0
    .sgpr_spill_count: 0
    .symbol:         _ZN7rocprim17ROCPRIM_400000_NS6detail17trampoline_kernelINS0_14default_configENS1_25transform_config_selectorIfLb0EEEZNS1_14transform_implILb0ES3_S5_PfN6thrust23THRUST_200600_302600_NS6detail15normal_iteratorINS9_10device_ptrIfEEEENS0_8identityIfEEEE10hipError_tT2_T3_mT4_P12ihipStream_tbEUlT_E_NS1_11comp_targetILNS1_3genE5ELNS1_11target_archE942ELNS1_3gpuE9ELNS1_3repE0EEENS1_30default_config_static_selectorELNS0_4arch9wavefront6targetE0EEEvT1_.kd
    .uniform_work_group_size: 1
    .uses_dynamic_stack: false
    .vgpr_count:     0
    .vgpr_spill_count: 0
    .wavefront_size: 32
    .workgroup_processor_mode: 1
  - .args:
      - .offset:         0
        .size:           40
        .value_kind:     by_value
    .group_segment_fixed_size: 0
    .kernarg_segment_align: 8
    .kernarg_segment_size: 40
    .language:       OpenCL C
    .language_version:
      - 2
      - 0
    .max_flat_workgroup_size: 1024
    .name:           _ZN7rocprim17ROCPRIM_400000_NS6detail17trampoline_kernelINS0_14default_configENS1_25transform_config_selectorIfLb0EEEZNS1_14transform_implILb0ES3_S5_PfN6thrust23THRUST_200600_302600_NS6detail15normal_iteratorINS9_10device_ptrIfEEEENS0_8identityIfEEEE10hipError_tT2_T3_mT4_P12ihipStream_tbEUlT_E_NS1_11comp_targetILNS1_3genE4ELNS1_11target_archE910ELNS1_3gpuE8ELNS1_3repE0EEENS1_30default_config_static_selectorELNS0_4arch9wavefront6targetE0EEEvT1_
    .private_segment_fixed_size: 0
    .sgpr_count:     0
    .sgpr_spill_count: 0
    .symbol:         _ZN7rocprim17ROCPRIM_400000_NS6detail17trampoline_kernelINS0_14default_configENS1_25transform_config_selectorIfLb0EEEZNS1_14transform_implILb0ES3_S5_PfN6thrust23THRUST_200600_302600_NS6detail15normal_iteratorINS9_10device_ptrIfEEEENS0_8identityIfEEEE10hipError_tT2_T3_mT4_P12ihipStream_tbEUlT_E_NS1_11comp_targetILNS1_3genE4ELNS1_11target_archE910ELNS1_3gpuE8ELNS1_3repE0EEENS1_30default_config_static_selectorELNS0_4arch9wavefront6targetE0EEEvT1_.kd
    .uniform_work_group_size: 1
    .uses_dynamic_stack: false
    .vgpr_count:     0
    .vgpr_spill_count: 0
    .wavefront_size: 32
    .workgroup_processor_mode: 1
  - .args:
      - .offset:         0
        .size:           40
        .value_kind:     by_value
    .group_segment_fixed_size: 0
    .kernarg_segment_align: 8
    .kernarg_segment_size: 40
    .language:       OpenCL C
    .language_version:
      - 2
      - 0
    .max_flat_workgroup_size: 128
    .name:           _ZN7rocprim17ROCPRIM_400000_NS6detail17trampoline_kernelINS0_14default_configENS1_25transform_config_selectorIfLb0EEEZNS1_14transform_implILb0ES3_S5_PfN6thrust23THRUST_200600_302600_NS6detail15normal_iteratorINS9_10device_ptrIfEEEENS0_8identityIfEEEE10hipError_tT2_T3_mT4_P12ihipStream_tbEUlT_E_NS1_11comp_targetILNS1_3genE3ELNS1_11target_archE908ELNS1_3gpuE7ELNS1_3repE0EEENS1_30default_config_static_selectorELNS0_4arch9wavefront6targetE0EEEvT1_
    .private_segment_fixed_size: 0
    .sgpr_count:     0
    .sgpr_spill_count: 0
    .symbol:         _ZN7rocprim17ROCPRIM_400000_NS6detail17trampoline_kernelINS0_14default_configENS1_25transform_config_selectorIfLb0EEEZNS1_14transform_implILb0ES3_S5_PfN6thrust23THRUST_200600_302600_NS6detail15normal_iteratorINS9_10device_ptrIfEEEENS0_8identityIfEEEE10hipError_tT2_T3_mT4_P12ihipStream_tbEUlT_E_NS1_11comp_targetILNS1_3genE3ELNS1_11target_archE908ELNS1_3gpuE7ELNS1_3repE0EEENS1_30default_config_static_selectorELNS0_4arch9wavefront6targetE0EEEvT1_.kd
    .uniform_work_group_size: 1
    .uses_dynamic_stack: false
    .vgpr_count:     0
    .vgpr_spill_count: 0
    .wavefront_size: 32
    .workgroup_processor_mode: 1
  - .args:
      - .offset:         0
        .size:           40
        .value_kind:     by_value
    .group_segment_fixed_size: 0
    .kernarg_segment_align: 8
    .kernarg_segment_size: 40
    .language:       OpenCL C
    .language_version:
      - 2
      - 0
    .max_flat_workgroup_size: 1024
    .name:           _ZN7rocprim17ROCPRIM_400000_NS6detail17trampoline_kernelINS0_14default_configENS1_25transform_config_selectorIfLb0EEEZNS1_14transform_implILb0ES3_S5_PfN6thrust23THRUST_200600_302600_NS6detail15normal_iteratorINS9_10device_ptrIfEEEENS0_8identityIfEEEE10hipError_tT2_T3_mT4_P12ihipStream_tbEUlT_E_NS1_11comp_targetILNS1_3genE2ELNS1_11target_archE906ELNS1_3gpuE6ELNS1_3repE0EEENS1_30default_config_static_selectorELNS0_4arch9wavefront6targetE0EEEvT1_
    .private_segment_fixed_size: 0
    .sgpr_count:     0
    .sgpr_spill_count: 0
    .symbol:         _ZN7rocprim17ROCPRIM_400000_NS6detail17trampoline_kernelINS0_14default_configENS1_25transform_config_selectorIfLb0EEEZNS1_14transform_implILb0ES3_S5_PfN6thrust23THRUST_200600_302600_NS6detail15normal_iteratorINS9_10device_ptrIfEEEENS0_8identityIfEEEE10hipError_tT2_T3_mT4_P12ihipStream_tbEUlT_E_NS1_11comp_targetILNS1_3genE2ELNS1_11target_archE906ELNS1_3gpuE6ELNS1_3repE0EEENS1_30default_config_static_selectorELNS0_4arch9wavefront6targetE0EEEvT1_.kd
    .uniform_work_group_size: 1
    .uses_dynamic_stack: false
    .vgpr_count:     0
    .vgpr_spill_count: 0
    .wavefront_size: 32
    .workgroup_processor_mode: 1
  - .args:
      - .offset:         0
        .size:           40
        .value_kind:     by_value
    .group_segment_fixed_size: 0
    .kernarg_segment_align: 8
    .kernarg_segment_size: 40
    .language:       OpenCL C
    .language_version:
      - 2
      - 0
    .max_flat_workgroup_size: 512
    .name:           _ZN7rocprim17ROCPRIM_400000_NS6detail17trampoline_kernelINS0_14default_configENS1_25transform_config_selectorIfLb0EEEZNS1_14transform_implILb0ES3_S5_PfN6thrust23THRUST_200600_302600_NS6detail15normal_iteratorINS9_10device_ptrIfEEEENS0_8identityIfEEEE10hipError_tT2_T3_mT4_P12ihipStream_tbEUlT_E_NS1_11comp_targetILNS1_3genE10ELNS1_11target_archE1201ELNS1_3gpuE5ELNS1_3repE0EEENS1_30default_config_static_selectorELNS0_4arch9wavefront6targetE0EEEvT1_
    .private_segment_fixed_size: 0
    .sgpr_count:     0
    .sgpr_spill_count: 0
    .symbol:         _ZN7rocprim17ROCPRIM_400000_NS6detail17trampoline_kernelINS0_14default_configENS1_25transform_config_selectorIfLb0EEEZNS1_14transform_implILb0ES3_S5_PfN6thrust23THRUST_200600_302600_NS6detail15normal_iteratorINS9_10device_ptrIfEEEENS0_8identityIfEEEE10hipError_tT2_T3_mT4_P12ihipStream_tbEUlT_E_NS1_11comp_targetILNS1_3genE10ELNS1_11target_archE1201ELNS1_3gpuE5ELNS1_3repE0EEENS1_30default_config_static_selectorELNS0_4arch9wavefront6targetE0EEEvT1_.kd
    .uniform_work_group_size: 1
    .uses_dynamic_stack: false
    .vgpr_count:     0
    .vgpr_spill_count: 0
    .wavefront_size: 32
    .workgroup_processor_mode: 1
  - .args:
      - .offset:         0
        .size:           40
        .value_kind:     by_value
    .group_segment_fixed_size: 0
    .kernarg_segment_align: 8
    .kernarg_segment_size: 40
    .language:       OpenCL C
    .language_version:
      - 2
      - 0
    .max_flat_workgroup_size: 512
    .name:           _ZN7rocprim17ROCPRIM_400000_NS6detail17trampoline_kernelINS0_14default_configENS1_25transform_config_selectorIfLb0EEEZNS1_14transform_implILb0ES3_S5_PfN6thrust23THRUST_200600_302600_NS6detail15normal_iteratorINS9_10device_ptrIfEEEENS0_8identityIfEEEE10hipError_tT2_T3_mT4_P12ihipStream_tbEUlT_E_NS1_11comp_targetILNS1_3genE10ELNS1_11target_archE1200ELNS1_3gpuE4ELNS1_3repE0EEENS1_30default_config_static_selectorELNS0_4arch9wavefront6targetE0EEEvT1_
    .private_segment_fixed_size: 0
    .sgpr_count:     0
    .sgpr_spill_count: 0
    .symbol:         _ZN7rocprim17ROCPRIM_400000_NS6detail17trampoline_kernelINS0_14default_configENS1_25transform_config_selectorIfLb0EEEZNS1_14transform_implILb0ES3_S5_PfN6thrust23THRUST_200600_302600_NS6detail15normal_iteratorINS9_10device_ptrIfEEEENS0_8identityIfEEEE10hipError_tT2_T3_mT4_P12ihipStream_tbEUlT_E_NS1_11comp_targetILNS1_3genE10ELNS1_11target_archE1200ELNS1_3gpuE4ELNS1_3repE0EEENS1_30default_config_static_selectorELNS0_4arch9wavefront6targetE0EEEvT1_.kd
    .uniform_work_group_size: 1
    .uses_dynamic_stack: false
    .vgpr_count:     0
    .vgpr_spill_count: 0
    .wavefront_size: 32
    .workgroup_processor_mode: 1
  - .args:
      - .offset:         0
        .size:           40
        .value_kind:     by_value
    .group_segment_fixed_size: 0
    .kernarg_segment_align: 8
    .kernarg_segment_size: 40
    .language:       OpenCL C
    .language_version:
      - 2
      - 0
    .max_flat_workgroup_size: 1024
    .name:           _ZN7rocprim17ROCPRIM_400000_NS6detail17trampoline_kernelINS0_14default_configENS1_25transform_config_selectorIfLb0EEEZNS1_14transform_implILb0ES3_S5_PfN6thrust23THRUST_200600_302600_NS6detail15normal_iteratorINS9_10device_ptrIfEEEENS0_8identityIfEEEE10hipError_tT2_T3_mT4_P12ihipStream_tbEUlT_E_NS1_11comp_targetILNS1_3genE9ELNS1_11target_archE1100ELNS1_3gpuE3ELNS1_3repE0EEENS1_30default_config_static_selectorELNS0_4arch9wavefront6targetE0EEEvT1_
    .private_segment_fixed_size: 0
    .sgpr_count:     0
    .sgpr_spill_count: 0
    .symbol:         _ZN7rocprim17ROCPRIM_400000_NS6detail17trampoline_kernelINS0_14default_configENS1_25transform_config_selectorIfLb0EEEZNS1_14transform_implILb0ES3_S5_PfN6thrust23THRUST_200600_302600_NS6detail15normal_iteratorINS9_10device_ptrIfEEEENS0_8identityIfEEEE10hipError_tT2_T3_mT4_P12ihipStream_tbEUlT_E_NS1_11comp_targetILNS1_3genE9ELNS1_11target_archE1100ELNS1_3gpuE3ELNS1_3repE0EEENS1_30default_config_static_selectorELNS0_4arch9wavefront6targetE0EEEvT1_.kd
    .uniform_work_group_size: 1
    .uses_dynamic_stack: false
    .vgpr_count:     0
    .vgpr_spill_count: 0
    .wavefront_size: 32
    .workgroup_processor_mode: 1
  - .args:
      - .offset:         0
        .size:           40
        .value_kind:     by_value
      - .offset:         40
        .size:           4
        .value_kind:     hidden_block_count_x
      - .offset:         44
        .size:           4
        .value_kind:     hidden_block_count_y
      - .offset:         48
        .size:           4
        .value_kind:     hidden_block_count_z
      - .offset:         52
        .size:           2
        .value_kind:     hidden_group_size_x
      - .offset:         54
        .size:           2
        .value_kind:     hidden_group_size_y
      - .offset:         56
        .size:           2
        .value_kind:     hidden_group_size_z
      - .offset:         58
        .size:           2
        .value_kind:     hidden_remainder_x
      - .offset:         60
        .size:           2
        .value_kind:     hidden_remainder_y
      - .offset:         62
        .size:           2
        .value_kind:     hidden_remainder_z
      - .offset:         80
        .size:           8
        .value_kind:     hidden_global_offset_x
      - .offset:         88
        .size:           8
        .value_kind:     hidden_global_offset_y
      - .offset:         96
        .size:           8
        .value_kind:     hidden_global_offset_z
      - .offset:         104
        .size:           2
        .value_kind:     hidden_grid_dims
    .group_segment_fixed_size: 0
    .kernarg_segment_align: 8
    .kernarg_segment_size: 296
    .language:       OpenCL C
    .language_version:
      - 2
      - 0
    .max_flat_workgroup_size: 256
    .name:           _ZN7rocprim17ROCPRIM_400000_NS6detail17trampoline_kernelINS0_14default_configENS1_25transform_config_selectorIfLb0EEEZNS1_14transform_implILb0ES3_S5_PfN6thrust23THRUST_200600_302600_NS6detail15normal_iteratorINS9_10device_ptrIfEEEENS0_8identityIfEEEE10hipError_tT2_T3_mT4_P12ihipStream_tbEUlT_E_NS1_11comp_targetILNS1_3genE8ELNS1_11target_archE1030ELNS1_3gpuE2ELNS1_3repE0EEENS1_30default_config_static_selectorELNS0_4arch9wavefront6targetE0EEEvT1_
    .private_segment_fixed_size: 0
    .sgpr_count:     14
    .sgpr_spill_count: 0
    .symbol:         _ZN7rocprim17ROCPRIM_400000_NS6detail17trampoline_kernelINS0_14default_configENS1_25transform_config_selectorIfLb0EEEZNS1_14transform_implILb0ES3_S5_PfN6thrust23THRUST_200600_302600_NS6detail15normal_iteratorINS9_10device_ptrIfEEEENS0_8identityIfEEEE10hipError_tT2_T3_mT4_P12ihipStream_tbEUlT_E_NS1_11comp_targetILNS1_3genE8ELNS1_11target_archE1030ELNS1_3gpuE2ELNS1_3repE0EEENS1_30default_config_static_selectorELNS0_4arch9wavefront6targetE0EEEvT1_.kd
    .uniform_work_group_size: 1
    .uses_dynamic_stack: false
    .vgpr_count:     3
    .vgpr_spill_count: 0
    .wavefront_size: 32
    .workgroup_processor_mode: 1
  - .args:
      - .offset:         0
        .size:           40
        .value_kind:     by_value
    .group_segment_fixed_size: 0
    .kernarg_segment_align: 8
    .kernarg_segment_size: 40
    .language:       OpenCL C
    .language_version:
      - 2
      - 0
    .max_flat_workgroup_size: 512
    .name:           _ZN7rocprim17ROCPRIM_400000_NS6detail17trampoline_kernelINS0_14default_configENS1_35radix_sort_onesweep_config_selectorIfNS0_10empty_typeEEEZNS1_34radix_sort_onesweep_global_offsetsIS3_Lb0EN6thrust23THRUST_200600_302600_NS6detail15normal_iteratorINS9_10device_ptrIfEEEEPS5_jNS0_19identity_decomposerEEE10hipError_tT1_T2_PT3_SK_jT4_jjP12ihipStream_tbEUlT_E_NS1_11comp_targetILNS1_3genE0ELNS1_11target_archE4294967295ELNS1_3gpuE0ELNS1_3repE0EEENS1_52radix_sort_onesweep_histogram_config_static_selectorELNS0_4arch9wavefront6targetE0EEEvSI_
    .private_segment_fixed_size: 0
    .sgpr_count:     0
    .sgpr_spill_count: 0
    .symbol:         _ZN7rocprim17ROCPRIM_400000_NS6detail17trampoline_kernelINS0_14default_configENS1_35radix_sort_onesweep_config_selectorIfNS0_10empty_typeEEEZNS1_34radix_sort_onesweep_global_offsetsIS3_Lb0EN6thrust23THRUST_200600_302600_NS6detail15normal_iteratorINS9_10device_ptrIfEEEEPS5_jNS0_19identity_decomposerEEE10hipError_tT1_T2_PT3_SK_jT4_jjP12ihipStream_tbEUlT_E_NS1_11comp_targetILNS1_3genE0ELNS1_11target_archE4294967295ELNS1_3gpuE0ELNS1_3repE0EEENS1_52radix_sort_onesweep_histogram_config_static_selectorELNS0_4arch9wavefront6targetE0EEEvSI_.kd
    .uniform_work_group_size: 1
    .uses_dynamic_stack: false
    .vgpr_count:     0
    .vgpr_spill_count: 0
    .wavefront_size: 32
    .workgroup_processor_mode: 1
  - .args:
      - .offset:         0
        .size:           40
        .value_kind:     by_value
    .group_segment_fixed_size: 0
    .kernarg_segment_align: 8
    .kernarg_segment_size: 40
    .language:       OpenCL C
    .language_version:
      - 2
      - 0
    .max_flat_workgroup_size: 1024
    .name:           _ZN7rocprim17ROCPRIM_400000_NS6detail17trampoline_kernelINS0_14default_configENS1_35radix_sort_onesweep_config_selectorIfNS0_10empty_typeEEEZNS1_34radix_sort_onesweep_global_offsetsIS3_Lb0EN6thrust23THRUST_200600_302600_NS6detail15normal_iteratorINS9_10device_ptrIfEEEEPS5_jNS0_19identity_decomposerEEE10hipError_tT1_T2_PT3_SK_jT4_jjP12ihipStream_tbEUlT_E_NS1_11comp_targetILNS1_3genE6ELNS1_11target_archE950ELNS1_3gpuE13ELNS1_3repE0EEENS1_52radix_sort_onesweep_histogram_config_static_selectorELNS0_4arch9wavefront6targetE0EEEvSI_
    .private_segment_fixed_size: 0
    .sgpr_count:     0
    .sgpr_spill_count: 0
    .symbol:         _ZN7rocprim17ROCPRIM_400000_NS6detail17trampoline_kernelINS0_14default_configENS1_35radix_sort_onesweep_config_selectorIfNS0_10empty_typeEEEZNS1_34radix_sort_onesweep_global_offsetsIS3_Lb0EN6thrust23THRUST_200600_302600_NS6detail15normal_iteratorINS9_10device_ptrIfEEEEPS5_jNS0_19identity_decomposerEEE10hipError_tT1_T2_PT3_SK_jT4_jjP12ihipStream_tbEUlT_E_NS1_11comp_targetILNS1_3genE6ELNS1_11target_archE950ELNS1_3gpuE13ELNS1_3repE0EEENS1_52radix_sort_onesweep_histogram_config_static_selectorELNS0_4arch9wavefront6targetE0EEEvSI_.kd
    .uniform_work_group_size: 1
    .uses_dynamic_stack: false
    .vgpr_count:     0
    .vgpr_spill_count: 0
    .wavefront_size: 32
    .workgroup_processor_mode: 1
  - .args:
      - .offset:         0
        .size:           40
        .value_kind:     by_value
    .group_segment_fixed_size: 0
    .kernarg_segment_align: 8
    .kernarg_segment_size: 40
    .language:       OpenCL C
    .language_version:
      - 2
      - 0
    .max_flat_workgroup_size: 1024
    .name:           _ZN7rocprim17ROCPRIM_400000_NS6detail17trampoline_kernelINS0_14default_configENS1_35radix_sort_onesweep_config_selectorIfNS0_10empty_typeEEEZNS1_34radix_sort_onesweep_global_offsetsIS3_Lb0EN6thrust23THRUST_200600_302600_NS6detail15normal_iteratorINS9_10device_ptrIfEEEEPS5_jNS0_19identity_decomposerEEE10hipError_tT1_T2_PT3_SK_jT4_jjP12ihipStream_tbEUlT_E_NS1_11comp_targetILNS1_3genE5ELNS1_11target_archE942ELNS1_3gpuE9ELNS1_3repE0EEENS1_52radix_sort_onesweep_histogram_config_static_selectorELNS0_4arch9wavefront6targetE0EEEvSI_
    .private_segment_fixed_size: 0
    .sgpr_count:     0
    .sgpr_spill_count: 0
    .symbol:         _ZN7rocprim17ROCPRIM_400000_NS6detail17trampoline_kernelINS0_14default_configENS1_35radix_sort_onesweep_config_selectorIfNS0_10empty_typeEEEZNS1_34radix_sort_onesweep_global_offsetsIS3_Lb0EN6thrust23THRUST_200600_302600_NS6detail15normal_iteratorINS9_10device_ptrIfEEEEPS5_jNS0_19identity_decomposerEEE10hipError_tT1_T2_PT3_SK_jT4_jjP12ihipStream_tbEUlT_E_NS1_11comp_targetILNS1_3genE5ELNS1_11target_archE942ELNS1_3gpuE9ELNS1_3repE0EEENS1_52radix_sort_onesweep_histogram_config_static_selectorELNS0_4arch9wavefront6targetE0EEEvSI_.kd
    .uniform_work_group_size: 1
    .uses_dynamic_stack: false
    .vgpr_count:     0
    .vgpr_spill_count: 0
    .wavefront_size: 32
    .workgroup_processor_mode: 1
  - .args:
      - .offset:         0
        .size:           40
        .value_kind:     by_value
    .group_segment_fixed_size: 0
    .kernarg_segment_align: 8
    .kernarg_segment_size: 40
    .language:       OpenCL C
    .language_version:
      - 2
      - 0
    .max_flat_workgroup_size: 512
    .name:           _ZN7rocprim17ROCPRIM_400000_NS6detail17trampoline_kernelINS0_14default_configENS1_35radix_sort_onesweep_config_selectorIfNS0_10empty_typeEEEZNS1_34radix_sort_onesweep_global_offsetsIS3_Lb0EN6thrust23THRUST_200600_302600_NS6detail15normal_iteratorINS9_10device_ptrIfEEEEPS5_jNS0_19identity_decomposerEEE10hipError_tT1_T2_PT3_SK_jT4_jjP12ihipStream_tbEUlT_E_NS1_11comp_targetILNS1_3genE2ELNS1_11target_archE906ELNS1_3gpuE6ELNS1_3repE0EEENS1_52radix_sort_onesweep_histogram_config_static_selectorELNS0_4arch9wavefront6targetE0EEEvSI_
    .private_segment_fixed_size: 0
    .sgpr_count:     0
    .sgpr_spill_count: 0
    .symbol:         _ZN7rocprim17ROCPRIM_400000_NS6detail17trampoline_kernelINS0_14default_configENS1_35radix_sort_onesweep_config_selectorIfNS0_10empty_typeEEEZNS1_34radix_sort_onesweep_global_offsetsIS3_Lb0EN6thrust23THRUST_200600_302600_NS6detail15normal_iteratorINS9_10device_ptrIfEEEEPS5_jNS0_19identity_decomposerEEE10hipError_tT1_T2_PT3_SK_jT4_jjP12ihipStream_tbEUlT_E_NS1_11comp_targetILNS1_3genE2ELNS1_11target_archE906ELNS1_3gpuE6ELNS1_3repE0EEENS1_52radix_sort_onesweep_histogram_config_static_selectorELNS0_4arch9wavefront6targetE0EEEvSI_.kd
    .uniform_work_group_size: 1
    .uses_dynamic_stack: false
    .vgpr_count:     0
    .vgpr_spill_count: 0
    .wavefront_size: 32
    .workgroup_processor_mode: 1
  - .args:
      - .offset:         0
        .size:           40
        .value_kind:     by_value
    .group_segment_fixed_size: 0
    .kernarg_segment_align: 8
    .kernarg_segment_size: 40
    .language:       OpenCL C
    .language_version:
      - 2
      - 0
    .max_flat_workgroup_size: 1024
    .name:           _ZN7rocprim17ROCPRIM_400000_NS6detail17trampoline_kernelINS0_14default_configENS1_35radix_sort_onesweep_config_selectorIfNS0_10empty_typeEEEZNS1_34radix_sort_onesweep_global_offsetsIS3_Lb0EN6thrust23THRUST_200600_302600_NS6detail15normal_iteratorINS9_10device_ptrIfEEEEPS5_jNS0_19identity_decomposerEEE10hipError_tT1_T2_PT3_SK_jT4_jjP12ihipStream_tbEUlT_E_NS1_11comp_targetILNS1_3genE4ELNS1_11target_archE910ELNS1_3gpuE8ELNS1_3repE0EEENS1_52radix_sort_onesweep_histogram_config_static_selectorELNS0_4arch9wavefront6targetE0EEEvSI_
    .private_segment_fixed_size: 0
    .sgpr_count:     0
    .sgpr_spill_count: 0
    .symbol:         _ZN7rocprim17ROCPRIM_400000_NS6detail17trampoline_kernelINS0_14default_configENS1_35radix_sort_onesweep_config_selectorIfNS0_10empty_typeEEEZNS1_34radix_sort_onesweep_global_offsetsIS3_Lb0EN6thrust23THRUST_200600_302600_NS6detail15normal_iteratorINS9_10device_ptrIfEEEEPS5_jNS0_19identity_decomposerEEE10hipError_tT1_T2_PT3_SK_jT4_jjP12ihipStream_tbEUlT_E_NS1_11comp_targetILNS1_3genE4ELNS1_11target_archE910ELNS1_3gpuE8ELNS1_3repE0EEENS1_52radix_sort_onesweep_histogram_config_static_selectorELNS0_4arch9wavefront6targetE0EEEvSI_.kd
    .uniform_work_group_size: 1
    .uses_dynamic_stack: false
    .vgpr_count:     0
    .vgpr_spill_count: 0
    .wavefront_size: 32
    .workgroup_processor_mode: 1
  - .args:
      - .offset:         0
        .size:           40
        .value_kind:     by_value
    .group_segment_fixed_size: 0
    .kernarg_segment_align: 8
    .kernarg_segment_size: 40
    .language:       OpenCL C
    .language_version:
      - 2
      - 0
    .max_flat_workgroup_size: 512
    .name:           _ZN7rocprim17ROCPRIM_400000_NS6detail17trampoline_kernelINS0_14default_configENS1_35radix_sort_onesweep_config_selectorIfNS0_10empty_typeEEEZNS1_34radix_sort_onesweep_global_offsetsIS3_Lb0EN6thrust23THRUST_200600_302600_NS6detail15normal_iteratorINS9_10device_ptrIfEEEEPS5_jNS0_19identity_decomposerEEE10hipError_tT1_T2_PT3_SK_jT4_jjP12ihipStream_tbEUlT_E_NS1_11comp_targetILNS1_3genE3ELNS1_11target_archE908ELNS1_3gpuE7ELNS1_3repE0EEENS1_52radix_sort_onesweep_histogram_config_static_selectorELNS0_4arch9wavefront6targetE0EEEvSI_
    .private_segment_fixed_size: 0
    .sgpr_count:     0
    .sgpr_spill_count: 0
    .symbol:         _ZN7rocprim17ROCPRIM_400000_NS6detail17trampoline_kernelINS0_14default_configENS1_35radix_sort_onesweep_config_selectorIfNS0_10empty_typeEEEZNS1_34radix_sort_onesweep_global_offsetsIS3_Lb0EN6thrust23THRUST_200600_302600_NS6detail15normal_iteratorINS9_10device_ptrIfEEEEPS5_jNS0_19identity_decomposerEEE10hipError_tT1_T2_PT3_SK_jT4_jjP12ihipStream_tbEUlT_E_NS1_11comp_targetILNS1_3genE3ELNS1_11target_archE908ELNS1_3gpuE7ELNS1_3repE0EEENS1_52radix_sort_onesweep_histogram_config_static_selectorELNS0_4arch9wavefront6targetE0EEEvSI_.kd
    .uniform_work_group_size: 1
    .uses_dynamic_stack: false
    .vgpr_count:     0
    .vgpr_spill_count: 0
    .wavefront_size: 32
    .workgroup_processor_mode: 1
  - .args:
      - .offset:         0
        .size:           40
        .value_kind:     by_value
    .group_segment_fixed_size: 0
    .kernarg_segment_align: 8
    .kernarg_segment_size: 40
    .language:       OpenCL C
    .language_version:
      - 2
      - 0
    .max_flat_workgroup_size: 512
    .name:           _ZN7rocprim17ROCPRIM_400000_NS6detail17trampoline_kernelINS0_14default_configENS1_35radix_sort_onesweep_config_selectorIfNS0_10empty_typeEEEZNS1_34radix_sort_onesweep_global_offsetsIS3_Lb0EN6thrust23THRUST_200600_302600_NS6detail15normal_iteratorINS9_10device_ptrIfEEEEPS5_jNS0_19identity_decomposerEEE10hipError_tT1_T2_PT3_SK_jT4_jjP12ihipStream_tbEUlT_E_NS1_11comp_targetILNS1_3genE10ELNS1_11target_archE1201ELNS1_3gpuE5ELNS1_3repE0EEENS1_52radix_sort_onesweep_histogram_config_static_selectorELNS0_4arch9wavefront6targetE0EEEvSI_
    .private_segment_fixed_size: 0
    .sgpr_count:     0
    .sgpr_spill_count: 0
    .symbol:         _ZN7rocprim17ROCPRIM_400000_NS6detail17trampoline_kernelINS0_14default_configENS1_35radix_sort_onesweep_config_selectorIfNS0_10empty_typeEEEZNS1_34radix_sort_onesweep_global_offsetsIS3_Lb0EN6thrust23THRUST_200600_302600_NS6detail15normal_iteratorINS9_10device_ptrIfEEEEPS5_jNS0_19identity_decomposerEEE10hipError_tT1_T2_PT3_SK_jT4_jjP12ihipStream_tbEUlT_E_NS1_11comp_targetILNS1_3genE10ELNS1_11target_archE1201ELNS1_3gpuE5ELNS1_3repE0EEENS1_52radix_sort_onesweep_histogram_config_static_selectorELNS0_4arch9wavefront6targetE0EEEvSI_.kd
    .uniform_work_group_size: 1
    .uses_dynamic_stack: false
    .vgpr_count:     0
    .vgpr_spill_count: 0
    .wavefront_size: 32
    .workgroup_processor_mode: 1
  - .args:
      - .offset:         0
        .size:           40
        .value_kind:     by_value
    .group_segment_fixed_size: 0
    .kernarg_segment_align: 8
    .kernarg_segment_size: 40
    .language:       OpenCL C
    .language_version:
      - 2
      - 0
    .max_flat_workgroup_size: 1024
    .name:           _ZN7rocprim17ROCPRIM_400000_NS6detail17trampoline_kernelINS0_14default_configENS1_35radix_sort_onesweep_config_selectorIfNS0_10empty_typeEEEZNS1_34radix_sort_onesweep_global_offsetsIS3_Lb0EN6thrust23THRUST_200600_302600_NS6detail15normal_iteratorINS9_10device_ptrIfEEEEPS5_jNS0_19identity_decomposerEEE10hipError_tT1_T2_PT3_SK_jT4_jjP12ihipStream_tbEUlT_E_NS1_11comp_targetILNS1_3genE9ELNS1_11target_archE1100ELNS1_3gpuE3ELNS1_3repE0EEENS1_52radix_sort_onesweep_histogram_config_static_selectorELNS0_4arch9wavefront6targetE0EEEvSI_
    .private_segment_fixed_size: 0
    .sgpr_count:     0
    .sgpr_spill_count: 0
    .symbol:         _ZN7rocprim17ROCPRIM_400000_NS6detail17trampoline_kernelINS0_14default_configENS1_35radix_sort_onesweep_config_selectorIfNS0_10empty_typeEEEZNS1_34radix_sort_onesweep_global_offsetsIS3_Lb0EN6thrust23THRUST_200600_302600_NS6detail15normal_iteratorINS9_10device_ptrIfEEEEPS5_jNS0_19identity_decomposerEEE10hipError_tT1_T2_PT3_SK_jT4_jjP12ihipStream_tbEUlT_E_NS1_11comp_targetILNS1_3genE9ELNS1_11target_archE1100ELNS1_3gpuE3ELNS1_3repE0EEENS1_52radix_sort_onesweep_histogram_config_static_selectorELNS0_4arch9wavefront6targetE0EEEvSI_.kd
    .uniform_work_group_size: 1
    .uses_dynamic_stack: false
    .vgpr_count:     0
    .vgpr_spill_count: 0
    .wavefront_size: 32
    .workgroup_processor_mode: 1
  - .args:
      - .offset:         0
        .size:           40
        .value_kind:     by_value
    .group_segment_fixed_size: 16384
    .kernarg_segment_align: 8
    .kernarg_segment_size: 40
    .language:       OpenCL C
    .language_version:
      - 2
      - 0
    .max_flat_workgroup_size: 1024
    .name:           _ZN7rocprim17ROCPRIM_400000_NS6detail17trampoline_kernelINS0_14default_configENS1_35radix_sort_onesweep_config_selectorIfNS0_10empty_typeEEEZNS1_34radix_sort_onesweep_global_offsetsIS3_Lb0EN6thrust23THRUST_200600_302600_NS6detail15normal_iteratorINS9_10device_ptrIfEEEEPS5_jNS0_19identity_decomposerEEE10hipError_tT1_T2_PT3_SK_jT4_jjP12ihipStream_tbEUlT_E_NS1_11comp_targetILNS1_3genE8ELNS1_11target_archE1030ELNS1_3gpuE2ELNS1_3repE0EEENS1_52radix_sort_onesweep_histogram_config_static_selectorELNS0_4arch9wavefront6targetE0EEEvSI_
    .private_segment_fixed_size: 0
    .sgpr_count:     16
    .sgpr_spill_count: 0
    .symbol:         _ZN7rocprim17ROCPRIM_400000_NS6detail17trampoline_kernelINS0_14default_configENS1_35radix_sort_onesweep_config_selectorIfNS0_10empty_typeEEEZNS1_34radix_sort_onesweep_global_offsetsIS3_Lb0EN6thrust23THRUST_200600_302600_NS6detail15normal_iteratorINS9_10device_ptrIfEEEEPS5_jNS0_19identity_decomposerEEE10hipError_tT1_T2_PT3_SK_jT4_jjP12ihipStream_tbEUlT_E_NS1_11comp_targetILNS1_3genE8ELNS1_11target_archE1030ELNS1_3gpuE2ELNS1_3repE0EEENS1_52radix_sort_onesweep_histogram_config_static_selectorELNS0_4arch9wavefront6targetE0EEEvSI_.kd
    .uniform_work_group_size: 1
    .uses_dynamic_stack: false
    .vgpr_count:     16
    .vgpr_spill_count: 0
    .wavefront_size: 32
    .workgroup_processor_mode: 1
  - .args:
      - .address_space:  global
        .offset:         0
        .size:           8
        .value_kind:     global_buffer
    .group_segment_fixed_size: 0
    .kernarg_segment_align: 8
    .kernarg_segment_size: 8
    .language:       OpenCL C
    .language_version:
      - 2
      - 0
    .max_flat_workgroup_size: 512
    .name:           _ZN7rocprim17ROCPRIM_400000_NS6detail17trampoline_kernelINS0_14default_configENS1_35radix_sort_onesweep_config_selectorIfNS0_10empty_typeEEEZNS1_34radix_sort_onesweep_global_offsetsIS3_Lb0EN6thrust23THRUST_200600_302600_NS6detail15normal_iteratorINS9_10device_ptrIfEEEEPS5_jNS0_19identity_decomposerEEE10hipError_tT1_T2_PT3_SK_jT4_jjP12ihipStream_tbEUlT_E0_NS1_11comp_targetILNS1_3genE0ELNS1_11target_archE4294967295ELNS1_3gpuE0ELNS1_3repE0EEENS1_52radix_sort_onesweep_histogram_config_static_selectorELNS0_4arch9wavefront6targetE0EEEvSI_
    .private_segment_fixed_size: 0
    .sgpr_count:     0
    .sgpr_spill_count: 0
    .symbol:         _ZN7rocprim17ROCPRIM_400000_NS6detail17trampoline_kernelINS0_14default_configENS1_35radix_sort_onesweep_config_selectorIfNS0_10empty_typeEEEZNS1_34radix_sort_onesweep_global_offsetsIS3_Lb0EN6thrust23THRUST_200600_302600_NS6detail15normal_iteratorINS9_10device_ptrIfEEEEPS5_jNS0_19identity_decomposerEEE10hipError_tT1_T2_PT3_SK_jT4_jjP12ihipStream_tbEUlT_E0_NS1_11comp_targetILNS1_3genE0ELNS1_11target_archE4294967295ELNS1_3gpuE0ELNS1_3repE0EEENS1_52radix_sort_onesweep_histogram_config_static_selectorELNS0_4arch9wavefront6targetE0EEEvSI_.kd
    .uniform_work_group_size: 1
    .uses_dynamic_stack: false
    .vgpr_count:     0
    .vgpr_spill_count: 0
    .wavefront_size: 32
    .workgroup_processor_mode: 1
  - .args:
      - .address_space:  global
        .offset:         0
        .size:           8
        .value_kind:     global_buffer
    .group_segment_fixed_size: 0
    .kernarg_segment_align: 8
    .kernarg_segment_size: 8
    .language:       OpenCL C
    .language_version:
      - 2
      - 0
    .max_flat_workgroup_size: 1024
    .name:           _ZN7rocprim17ROCPRIM_400000_NS6detail17trampoline_kernelINS0_14default_configENS1_35radix_sort_onesweep_config_selectorIfNS0_10empty_typeEEEZNS1_34radix_sort_onesweep_global_offsetsIS3_Lb0EN6thrust23THRUST_200600_302600_NS6detail15normal_iteratorINS9_10device_ptrIfEEEEPS5_jNS0_19identity_decomposerEEE10hipError_tT1_T2_PT3_SK_jT4_jjP12ihipStream_tbEUlT_E0_NS1_11comp_targetILNS1_3genE6ELNS1_11target_archE950ELNS1_3gpuE13ELNS1_3repE0EEENS1_52radix_sort_onesweep_histogram_config_static_selectorELNS0_4arch9wavefront6targetE0EEEvSI_
    .private_segment_fixed_size: 0
    .sgpr_count:     0
    .sgpr_spill_count: 0
    .symbol:         _ZN7rocprim17ROCPRIM_400000_NS6detail17trampoline_kernelINS0_14default_configENS1_35radix_sort_onesweep_config_selectorIfNS0_10empty_typeEEEZNS1_34radix_sort_onesweep_global_offsetsIS3_Lb0EN6thrust23THRUST_200600_302600_NS6detail15normal_iteratorINS9_10device_ptrIfEEEEPS5_jNS0_19identity_decomposerEEE10hipError_tT1_T2_PT3_SK_jT4_jjP12ihipStream_tbEUlT_E0_NS1_11comp_targetILNS1_3genE6ELNS1_11target_archE950ELNS1_3gpuE13ELNS1_3repE0EEENS1_52radix_sort_onesweep_histogram_config_static_selectorELNS0_4arch9wavefront6targetE0EEEvSI_.kd
    .uniform_work_group_size: 1
    .uses_dynamic_stack: false
    .vgpr_count:     0
    .vgpr_spill_count: 0
    .wavefront_size: 32
    .workgroup_processor_mode: 1
  - .args:
      - .address_space:  global
        .offset:         0
        .size:           8
        .value_kind:     global_buffer
    .group_segment_fixed_size: 0
    .kernarg_segment_align: 8
    .kernarg_segment_size: 8
    .language:       OpenCL C
    .language_version:
      - 2
      - 0
    .max_flat_workgroup_size: 1024
    .name:           _ZN7rocprim17ROCPRIM_400000_NS6detail17trampoline_kernelINS0_14default_configENS1_35radix_sort_onesweep_config_selectorIfNS0_10empty_typeEEEZNS1_34radix_sort_onesweep_global_offsetsIS3_Lb0EN6thrust23THRUST_200600_302600_NS6detail15normal_iteratorINS9_10device_ptrIfEEEEPS5_jNS0_19identity_decomposerEEE10hipError_tT1_T2_PT3_SK_jT4_jjP12ihipStream_tbEUlT_E0_NS1_11comp_targetILNS1_3genE5ELNS1_11target_archE942ELNS1_3gpuE9ELNS1_3repE0EEENS1_52radix_sort_onesweep_histogram_config_static_selectorELNS0_4arch9wavefront6targetE0EEEvSI_
    .private_segment_fixed_size: 0
    .sgpr_count:     0
    .sgpr_spill_count: 0
    .symbol:         _ZN7rocprim17ROCPRIM_400000_NS6detail17trampoline_kernelINS0_14default_configENS1_35radix_sort_onesweep_config_selectorIfNS0_10empty_typeEEEZNS1_34radix_sort_onesweep_global_offsetsIS3_Lb0EN6thrust23THRUST_200600_302600_NS6detail15normal_iteratorINS9_10device_ptrIfEEEEPS5_jNS0_19identity_decomposerEEE10hipError_tT1_T2_PT3_SK_jT4_jjP12ihipStream_tbEUlT_E0_NS1_11comp_targetILNS1_3genE5ELNS1_11target_archE942ELNS1_3gpuE9ELNS1_3repE0EEENS1_52radix_sort_onesweep_histogram_config_static_selectorELNS0_4arch9wavefront6targetE0EEEvSI_.kd
    .uniform_work_group_size: 1
    .uses_dynamic_stack: false
    .vgpr_count:     0
    .vgpr_spill_count: 0
    .wavefront_size: 32
    .workgroup_processor_mode: 1
  - .args:
      - .address_space:  global
        .offset:         0
        .size:           8
        .value_kind:     global_buffer
    .group_segment_fixed_size: 0
    .kernarg_segment_align: 8
    .kernarg_segment_size: 8
    .language:       OpenCL C
    .language_version:
      - 2
      - 0
    .max_flat_workgroup_size: 512
    .name:           _ZN7rocprim17ROCPRIM_400000_NS6detail17trampoline_kernelINS0_14default_configENS1_35radix_sort_onesweep_config_selectorIfNS0_10empty_typeEEEZNS1_34radix_sort_onesweep_global_offsetsIS3_Lb0EN6thrust23THRUST_200600_302600_NS6detail15normal_iteratorINS9_10device_ptrIfEEEEPS5_jNS0_19identity_decomposerEEE10hipError_tT1_T2_PT3_SK_jT4_jjP12ihipStream_tbEUlT_E0_NS1_11comp_targetILNS1_3genE2ELNS1_11target_archE906ELNS1_3gpuE6ELNS1_3repE0EEENS1_52radix_sort_onesweep_histogram_config_static_selectorELNS0_4arch9wavefront6targetE0EEEvSI_
    .private_segment_fixed_size: 0
    .sgpr_count:     0
    .sgpr_spill_count: 0
    .symbol:         _ZN7rocprim17ROCPRIM_400000_NS6detail17trampoline_kernelINS0_14default_configENS1_35radix_sort_onesweep_config_selectorIfNS0_10empty_typeEEEZNS1_34radix_sort_onesweep_global_offsetsIS3_Lb0EN6thrust23THRUST_200600_302600_NS6detail15normal_iteratorINS9_10device_ptrIfEEEEPS5_jNS0_19identity_decomposerEEE10hipError_tT1_T2_PT3_SK_jT4_jjP12ihipStream_tbEUlT_E0_NS1_11comp_targetILNS1_3genE2ELNS1_11target_archE906ELNS1_3gpuE6ELNS1_3repE0EEENS1_52radix_sort_onesweep_histogram_config_static_selectorELNS0_4arch9wavefront6targetE0EEEvSI_.kd
    .uniform_work_group_size: 1
    .uses_dynamic_stack: false
    .vgpr_count:     0
    .vgpr_spill_count: 0
    .wavefront_size: 32
    .workgroup_processor_mode: 1
  - .args:
      - .address_space:  global
        .offset:         0
        .size:           8
        .value_kind:     global_buffer
    .group_segment_fixed_size: 0
    .kernarg_segment_align: 8
    .kernarg_segment_size: 8
    .language:       OpenCL C
    .language_version:
      - 2
      - 0
    .max_flat_workgroup_size: 1024
    .name:           _ZN7rocprim17ROCPRIM_400000_NS6detail17trampoline_kernelINS0_14default_configENS1_35radix_sort_onesweep_config_selectorIfNS0_10empty_typeEEEZNS1_34radix_sort_onesweep_global_offsetsIS3_Lb0EN6thrust23THRUST_200600_302600_NS6detail15normal_iteratorINS9_10device_ptrIfEEEEPS5_jNS0_19identity_decomposerEEE10hipError_tT1_T2_PT3_SK_jT4_jjP12ihipStream_tbEUlT_E0_NS1_11comp_targetILNS1_3genE4ELNS1_11target_archE910ELNS1_3gpuE8ELNS1_3repE0EEENS1_52radix_sort_onesweep_histogram_config_static_selectorELNS0_4arch9wavefront6targetE0EEEvSI_
    .private_segment_fixed_size: 0
    .sgpr_count:     0
    .sgpr_spill_count: 0
    .symbol:         _ZN7rocprim17ROCPRIM_400000_NS6detail17trampoline_kernelINS0_14default_configENS1_35radix_sort_onesweep_config_selectorIfNS0_10empty_typeEEEZNS1_34radix_sort_onesweep_global_offsetsIS3_Lb0EN6thrust23THRUST_200600_302600_NS6detail15normal_iteratorINS9_10device_ptrIfEEEEPS5_jNS0_19identity_decomposerEEE10hipError_tT1_T2_PT3_SK_jT4_jjP12ihipStream_tbEUlT_E0_NS1_11comp_targetILNS1_3genE4ELNS1_11target_archE910ELNS1_3gpuE8ELNS1_3repE0EEENS1_52radix_sort_onesweep_histogram_config_static_selectorELNS0_4arch9wavefront6targetE0EEEvSI_.kd
    .uniform_work_group_size: 1
    .uses_dynamic_stack: false
    .vgpr_count:     0
    .vgpr_spill_count: 0
    .wavefront_size: 32
    .workgroup_processor_mode: 1
  - .args:
      - .address_space:  global
        .offset:         0
        .size:           8
        .value_kind:     global_buffer
    .group_segment_fixed_size: 0
    .kernarg_segment_align: 8
    .kernarg_segment_size: 8
    .language:       OpenCL C
    .language_version:
      - 2
      - 0
    .max_flat_workgroup_size: 512
    .name:           _ZN7rocprim17ROCPRIM_400000_NS6detail17trampoline_kernelINS0_14default_configENS1_35radix_sort_onesweep_config_selectorIfNS0_10empty_typeEEEZNS1_34radix_sort_onesweep_global_offsetsIS3_Lb0EN6thrust23THRUST_200600_302600_NS6detail15normal_iteratorINS9_10device_ptrIfEEEEPS5_jNS0_19identity_decomposerEEE10hipError_tT1_T2_PT3_SK_jT4_jjP12ihipStream_tbEUlT_E0_NS1_11comp_targetILNS1_3genE3ELNS1_11target_archE908ELNS1_3gpuE7ELNS1_3repE0EEENS1_52radix_sort_onesweep_histogram_config_static_selectorELNS0_4arch9wavefront6targetE0EEEvSI_
    .private_segment_fixed_size: 0
    .sgpr_count:     0
    .sgpr_spill_count: 0
    .symbol:         _ZN7rocprim17ROCPRIM_400000_NS6detail17trampoline_kernelINS0_14default_configENS1_35radix_sort_onesweep_config_selectorIfNS0_10empty_typeEEEZNS1_34radix_sort_onesweep_global_offsetsIS3_Lb0EN6thrust23THRUST_200600_302600_NS6detail15normal_iteratorINS9_10device_ptrIfEEEEPS5_jNS0_19identity_decomposerEEE10hipError_tT1_T2_PT3_SK_jT4_jjP12ihipStream_tbEUlT_E0_NS1_11comp_targetILNS1_3genE3ELNS1_11target_archE908ELNS1_3gpuE7ELNS1_3repE0EEENS1_52radix_sort_onesweep_histogram_config_static_selectorELNS0_4arch9wavefront6targetE0EEEvSI_.kd
    .uniform_work_group_size: 1
    .uses_dynamic_stack: false
    .vgpr_count:     0
    .vgpr_spill_count: 0
    .wavefront_size: 32
    .workgroup_processor_mode: 1
  - .args:
      - .address_space:  global
        .offset:         0
        .size:           8
        .value_kind:     global_buffer
    .group_segment_fixed_size: 0
    .kernarg_segment_align: 8
    .kernarg_segment_size: 8
    .language:       OpenCL C
    .language_version:
      - 2
      - 0
    .max_flat_workgroup_size: 512
    .name:           _ZN7rocprim17ROCPRIM_400000_NS6detail17trampoline_kernelINS0_14default_configENS1_35radix_sort_onesweep_config_selectorIfNS0_10empty_typeEEEZNS1_34radix_sort_onesweep_global_offsetsIS3_Lb0EN6thrust23THRUST_200600_302600_NS6detail15normal_iteratorINS9_10device_ptrIfEEEEPS5_jNS0_19identity_decomposerEEE10hipError_tT1_T2_PT3_SK_jT4_jjP12ihipStream_tbEUlT_E0_NS1_11comp_targetILNS1_3genE10ELNS1_11target_archE1201ELNS1_3gpuE5ELNS1_3repE0EEENS1_52radix_sort_onesweep_histogram_config_static_selectorELNS0_4arch9wavefront6targetE0EEEvSI_
    .private_segment_fixed_size: 0
    .sgpr_count:     0
    .sgpr_spill_count: 0
    .symbol:         _ZN7rocprim17ROCPRIM_400000_NS6detail17trampoline_kernelINS0_14default_configENS1_35radix_sort_onesweep_config_selectorIfNS0_10empty_typeEEEZNS1_34radix_sort_onesweep_global_offsetsIS3_Lb0EN6thrust23THRUST_200600_302600_NS6detail15normal_iteratorINS9_10device_ptrIfEEEEPS5_jNS0_19identity_decomposerEEE10hipError_tT1_T2_PT3_SK_jT4_jjP12ihipStream_tbEUlT_E0_NS1_11comp_targetILNS1_3genE10ELNS1_11target_archE1201ELNS1_3gpuE5ELNS1_3repE0EEENS1_52radix_sort_onesweep_histogram_config_static_selectorELNS0_4arch9wavefront6targetE0EEEvSI_.kd
    .uniform_work_group_size: 1
    .uses_dynamic_stack: false
    .vgpr_count:     0
    .vgpr_spill_count: 0
    .wavefront_size: 32
    .workgroup_processor_mode: 1
  - .args:
      - .address_space:  global
        .offset:         0
        .size:           8
        .value_kind:     global_buffer
    .group_segment_fixed_size: 0
    .kernarg_segment_align: 8
    .kernarg_segment_size: 8
    .language:       OpenCL C
    .language_version:
      - 2
      - 0
    .max_flat_workgroup_size: 1024
    .name:           _ZN7rocprim17ROCPRIM_400000_NS6detail17trampoline_kernelINS0_14default_configENS1_35radix_sort_onesweep_config_selectorIfNS0_10empty_typeEEEZNS1_34radix_sort_onesweep_global_offsetsIS3_Lb0EN6thrust23THRUST_200600_302600_NS6detail15normal_iteratorINS9_10device_ptrIfEEEEPS5_jNS0_19identity_decomposerEEE10hipError_tT1_T2_PT3_SK_jT4_jjP12ihipStream_tbEUlT_E0_NS1_11comp_targetILNS1_3genE9ELNS1_11target_archE1100ELNS1_3gpuE3ELNS1_3repE0EEENS1_52radix_sort_onesweep_histogram_config_static_selectorELNS0_4arch9wavefront6targetE0EEEvSI_
    .private_segment_fixed_size: 0
    .sgpr_count:     0
    .sgpr_spill_count: 0
    .symbol:         _ZN7rocprim17ROCPRIM_400000_NS6detail17trampoline_kernelINS0_14default_configENS1_35radix_sort_onesweep_config_selectorIfNS0_10empty_typeEEEZNS1_34radix_sort_onesweep_global_offsetsIS3_Lb0EN6thrust23THRUST_200600_302600_NS6detail15normal_iteratorINS9_10device_ptrIfEEEEPS5_jNS0_19identity_decomposerEEE10hipError_tT1_T2_PT3_SK_jT4_jjP12ihipStream_tbEUlT_E0_NS1_11comp_targetILNS1_3genE9ELNS1_11target_archE1100ELNS1_3gpuE3ELNS1_3repE0EEENS1_52radix_sort_onesweep_histogram_config_static_selectorELNS0_4arch9wavefront6targetE0EEEvSI_.kd
    .uniform_work_group_size: 1
    .uses_dynamic_stack: false
    .vgpr_count:     0
    .vgpr_spill_count: 0
    .wavefront_size: 32
    .workgroup_processor_mode: 1
  - .args:
      - .address_space:  global
        .offset:         0
        .size:           8
        .value_kind:     global_buffer
    .group_segment_fixed_size: 128
    .kernarg_segment_align: 8
    .kernarg_segment_size: 8
    .language:       OpenCL C
    .language_version:
      - 2
      - 0
    .max_flat_workgroup_size: 1024
    .name:           _ZN7rocprim17ROCPRIM_400000_NS6detail17trampoline_kernelINS0_14default_configENS1_35radix_sort_onesweep_config_selectorIfNS0_10empty_typeEEEZNS1_34radix_sort_onesweep_global_offsetsIS3_Lb0EN6thrust23THRUST_200600_302600_NS6detail15normal_iteratorINS9_10device_ptrIfEEEEPS5_jNS0_19identity_decomposerEEE10hipError_tT1_T2_PT3_SK_jT4_jjP12ihipStream_tbEUlT_E0_NS1_11comp_targetILNS1_3genE8ELNS1_11target_archE1030ELNS1_3gpuE2ELNS1_3repE0EEENS1_52radix_sort_onesweep_histogram_config_static_selectorELNS0_4arch9wavefront6targetE0EEEvSI_
    .private_segment_fixed_size: 0
    .sgpr_count:     12
    .sgpr_spill_count: 0
    .symbol:         _ZN7rocprim17ROCPRIM_400000_NS6detail17trampoline_kernelINS0_14default_configENS1_35radix_sort_onesweep_config_selectorIfNS0_10empty_typeEEEZNS1_34radix_sort_onesweep_global_offsetsIS3_Lb0EN6thrust23THRUST_200600_302600_NS6detail15normal_iteratorINS9_10device_ptrIfEEEEPS5_jNS0_19identity_decomposerEEE10hipError_tT1_T2_PT3_SK_jT4_jjP12ihipStream_tbEUlT_E0_NS1_11comp_targetILNS1_3genE8ELNS1_11target_archE1030ELNS1_3gpuE2ELNS1_3repE0EEENS1_52radix_sort_onesweep_histogram_config_static_selectorELNS0_4arch9wavefront6targetE0EEEvSI_.kd
    .uniform_work_group_size: 1
    .uses_dynamic_stack: false
    .vgpr_count:     8
    .vgpr_spill_count: 0
    .wavefront_size: 32
    .workgroup_processor_mode: 1
  - .args:
      - .offset:         0
        .size:           40
        .value_kind:     by_value
    .group_segment_fixed_size: 0
    .kernarg_segment_align: 8
    .kernarg_segment_size: 40
    .language:       OpenCL C
    .language_version:
      - 2
      - 0
    .max_flat_workgroup_size: 128
    .name:           _ZN7rocprim17ROCPRIM_400000_NS6detail17trampoline_kernelINS0_14default_configENS1_25transform_config_selectorIfLb0EEEZNS1_14transform_implILb0ES3_S5_N6thrust23THRUST_200600_302600_NS6detail15normal_iteratorINS8_10device_ptrIfEEEEPfNS0_8identityIfEEEE10hipError_tT2_T3_mT4_P12ihipStream_tbEUlT_E_NS1_11comp_targetILNS1_3genE0ELNS1_11target_archE4294967295ELNS1_3gpuE0ELNS1_3repE0EEENS1_30default_config_static_selectorELNS0_4arch9wavefront6targetE0EEEvT1_
    .private_segment_fixed_size: 0
    .sgpr_count:     0
    .sgpr_spill_count: 0
    .symbol:         _ZN7rocprim17ROCPRIM_400000_NS6detail17trampoline_kernelINS0_14default_configENS1_25transform_config_selectorIfLb0EEEZNS1_14transform_implILb0ES3_S5_N6thrust23THRUST_200600_302600_NS6detail15normal_iteratorINS8_10device_ptrIfEEEEPfNS0_8identityIfEEEE10hipError_tT2_T3_mT4_P12ihipStream_tbEUlT_E_NS1_11comp_targetILNS1_3genE0ELNS1_11target_archE4294967295ELNS1_3gpuE0ELNS1_3repE0EEENS1_30default_config_static_selectorELNS0_4arch9wavefront6targetE0EEEvT1_.kd
    .uniform_work_group_size: 1
    .uses_dynamic_stack: false
    .vgpr_count:     0
    .vgpr_spill_count: 0
    .wavefront_size: 32
    .workgroup_processor_mode: 1
  - .args:
      - .offset:         0
        .size:           40
        .value_kind:     by_value
    .group_segment_fixed_size: 0
    .kernarg_segment_align: 8
    .kernarg_segment_size: 40
    .language:       OpenCL C
    .language_version:
      - 2
      - 0
    .max_flat_workgroup_size: 256
    .name:           _ZN7rocprim17ROCPRIM_400000_NS6detail17trampoline_kernelINS0_14default_configENS1_25transform_config_selectorIfLb0EEEZNS1_14transform_implILb0ES3_S5_N6thrust23THRUST_200600_302600_NS6detail15normal_iteratorINS8_10device_ptrIfEEEEPfNS0_8identityIfEEEE10hipError_tT2_T3_mT4_P12ihipStream_tbEUlT_E_NS1_11comp_targetILNS1_3genE5ELNS1_11target_archE942ELNS1_3gpuE9ELNS1_3repE0EEENS1_30default_config_static_selectorELNS0_4arch9wavefront6targetE0EEEvT1_
    .private_segment_fixed_size: 0
    .sgpr_count:     0
    .sgpr_spill_count: 0
    .symbol:         _ZN7rocprim17ROCPRIM_400000_NS6detail17trampoline_kernelINS0_14default_configENS1_25transform_config_selectorIfLb0EEEZNS1_14transform_implILb0ES3_S5_N6thrust23THRUST_200600_302600_NS6detail15normal_iteratorINS8_10device_ptrIfEEEEPfNS0_8identityIfEEEE10hipError_tT2_T3_mT4_P12ihipStream_tbEUlT_E_NS1_11comp_targetILNS1_3genE5ELNS1_11target_archE942ELNS1_3gpuE9ELNS1_3repE0EEENS1_30default_config_static_selectorELNS0_4arch9wavefront6targetE0EEEvT1_.kd
    .uniform_work_group_size: 1
    .uses_dynamic_stack: false
    .vgpr_count:     0
    .vgpr_spill_count: 0
    .wavefront_size: 32
    .workgroup_processor_mode: 1
  - .args:
      - .offset:         0
        .size:           40
        .value_kind:     by_value
    .group_segment_fixed_size: 0
    .kernarg_segment_align: 8
    .kernarg_segment_size: 40
    .language:       OpenCL C
    .language_version:
      - 2
      - 0
    .max_flat_workgroup_size: 1024
    .name:           _ZN7rocprim17ROCPRIM_400000_NS6detail17trampoline_kernelINS0_14default_configENS1_25transform_config_selectorIfLb0EEEZNS1_14transform_implILb0ES3_S5_N6thrust23THRUST_200600_302600_NS6detail15normal_iteratorINS8_10device_ptrIfEEEEPfNS0_8identityIfEEEE10hipError_tT2_T3_mT4_P12ihipStream_tbEUlT_E_NS1_11comp_targetILNS1_3genE4ELNS1_11target_archE910ELNS1_3gpuE8ELNS1_3repE0EEENS1_30default_config_static_selectorELNS0_4arch9wavefront6targetE0EEEvT1_
    .private_segment_fixed_size: 0
    .sgpr_count:     0
    .sgpr_spill_count: 0
    .symbol:         _ZN7rocprim17ROCPRIM_400000_NS6detail17trampoline_kernelINS0_14default_configENS1_25transform_config_selectorIfLb0EEEZNS1_14transform_implILb0ES3_S5_N6thrust23THRUST_200600_302600_NS6detail15normal_iteratorINS8_10device_ptrIfEEEEPfNS0_8identityIfEEEE10hipError_tT2_T3_mT4_P12ihipStream_tbEUlT_E_NS1_11comp_targetILNS1_3genE4ELNS1_11target_archE910ELNS1_3gpuE8ELNS1_3repE0EEENS1_30default_config_static_selectorELNS0_4arch9wavefront6targetE0EEEvT1_.kd
    .uniform_work_group_size: 1
    .uses_dynamic_stack: false
    .vgpr_count:     0
    .vgpr_spill_count: 0
    .wavefront_size: 32
    .workgroup_processor_mode: 1
  - .args:
      - .offset:         0
        .size:           40
        .value_kind:     by_value
    .group_segment_fixed_size: 0
    .kernarg_segment_align: 8
    .kernarg_segment_size: 40
    .language:       OpenCL C
    .language_version:
      - 2
      - 0
    .max_flat_workgroup_size: 128
    .name:           _ZN7rocprim17ROCPRIM_400000_NS6detail17trampoline_kernelINS0_14default_configENS1_25transform_config_selectorIfLb0EEEZNS1_14transform_implILb0ES3_S5_N6thrust23THRUST_200600_302600_NS6detail15normal_iteratorINS8_10device_ptrIfEEEEPfNS0_8identityIfEEEE10hipError_tT2_T3_mT4_P12ihipStream_tbEUlT_E_NS1_11comp_targetILNS1_3genE3ELNS1_11target_archE908ELNS1_3gpuE7ELNS1_3repE0EEENS1_30default_config_static_selectorELNS0_4arch9wavefront6targetE0EEEvT1_
    .private_segment_fixed_size: 0
    .sgpr_count:     0
    .sgpr_spill_count: 0
    .symbol:         _ZN7rocprim17ROCPRIM_400000_NS6detail17trampoline_kernelINS0_14default_configENS1_25transform_config_selectorIfLb0EEEZNS1_14transform_implILb0ES3_S5_N6thrust23THRUST_200600_302600_NS6detail15normal_iteratorINS8_10device_ptrIfEEEEPfNS0_8identityIfEEEE10hipError_tT2_T3_mT4_P12ihipStream_tbEUlT_E_NS1_11comp_targetILNS1_3genE3ELNS1_11target_archE908ELNS1_3gpuE7ELNS1_3repE0EEENS1_30default_config_static_selectorELNS0_4arch9wavefront6targetE0EEEvT1_.kd
    .uniform_work_group_size: 1
    .uses_dynamic_stack: false
    .vgpr_count:     0
    .vgpr_spill_count: 0
    .wavefront_size: 32
    .workgroup_processor_mode: 1
  - .args:
      - .offset:         0
        .size:           40
        .value_kind:     by_value
    .group_segment_fixed_size: 0
    .kernarg_segment_align: 8
    .kernarg_segment_size: 40
    .language:       OpenCL C
    .language_version:
      - 2
      - 0
    .max_flat_workgroup_size: 1024
    .name:           _ZN7rocprim17ROCPRIM_400000_NS6detail17trampoline_kernelINS0_14default_configENS1_25transform_config_selectorIfLb0EEEZNS1_14transform_implILb0ES3_S5_N6thrust23THRUST_200600_302600_NS6detail15normal_iteratorINS8_10device_ptrIfEEEEPfNS0_8identityIfEEEE10hipError_tT2_T3_mT4_P12ihipStream_tbEUlT_E_NS1_11comp_targetILNS1_3genE2ELNS1_11target_archE906ELNS1_3gpuE6ELNS1_3repE0EEENS1_30default_config_static_selectorELNS0_4arch9wavefront6targetE0EEEvT1_
    .private_segment_fixed_size: 0
    .sgpr_count:     0
    .sgpr_spill_count: 0
    .symbol:         _ZN7rocprim17ROCPRIM_400000_NS6detail17trampoline_kernelINS0_14default_configENS1_25transform_config_selectorIfLb0EEEZNS1_14transform_implILb0ES3_S5_N6thrust23THRUST_200600_302600_NS6detail15normal_iteratorINS8_10device_ptrIfEEEEPfNS0_8identityIfEEEE10hipError_tT2_T3_mT4_P12ihipStream_tbEUlT_E_NS1_11comp_targetILNS1_3genE2ELNS1_11target_archE906ELNS1_3gpuE6ELNS1_3repE0EEENS1_30default_config_static_selectorELNS0_4arch9wavefront6targetE0EEEvT1_.kd
    .uniform_work_group_size: 1
    .uses_dynamic_stack: false
    .vgpr_count:     0
    .vgpr_spill_count: 0
    .wavefront_size: 32
    .workgroup_processor_mode: 1
  - .args:
      - .offset:         0
        .size:           40
        .value_kind:     by_value
    .group_segment_fixed_size: 0
    .kernarg_segment_align: 8
    .kernarg_segment_size: 40
    .language:       OpenCL C
    .language_version:
      - 2
      - 0
    .max_flat_workgroup_size: 512
    .name:           _ZN7rocprim17ROCPRIM_400000_NS6detail17trampoline_kernelINS0_14default_configENS1_25transform_config_selectorIfLb0EEEZNS1_14transform_implILb0ES3_S5_N6thrust23THRUST_200600_302600_NS6detail15normal_iteratorINS8_10device_ptrIfEEEEPfNS0_8identityIfEEEE10hipError_tT2_T3_mT4_P12ihipStream_tbEUlT_E_NS1_11comp_targetILNS1_3genE10ELNS1_11target_archE1201ELNS1_3gpuE5ELNS1_3repE0EEENS1_30default_config_static_selectorELNS0_4arch9wavefront6targetE0EEEvT1_
    .private_segment_fixed_size: 0
    .sgpr_count:     0
    .sgpr_spill_count: 0
    .symbol:         _ZN7rocprim17ROCPRIM_400000_NS6detail17trampoline_kernelINS0_14default_configENS1_25transform_config_selectorIfLb0EEEZNS1_14transform_implILb0ES3_S5_N6thrust23THRUST_200600_302600_NS6detail15normal_iteratorINS8_10device_ptrIfEEEEPfNS0_8identityIfEEEE10hipError_tT2_T3_mT4_P12ihipStream_tbEUlT_E_NS1_11comp_targetILNS1_3genE10ELNS1_11target_archE1201ELNS1_3gpuE5ELNS1_3repE0EEENS1_30default_config_static_selectorELNS0_4arch9wavefront6targetE0EEEvT1_.kd
    .uniform_work_group_size: 1
    .uses_dynamic_stack: false
    .vgpr_count:     0
    .vgpr_spill_count: 0
    .wavefront_size: 32
    .workgroup_processor_mode: 1
  - .args:
      - .offset:         0
        .size:           40
        .value_kind:     by_value
    .group_segment_fixed_size: 0
    .kernarg_segment_align: 8
    .kernarg_segment_size: 40
    .language:       OpenCL C
    .language_version:
      - 2
      - 0
    .max_flat_workgroup_size: 512
    .name:           _ZN7rocprim17ROCPRIM_400000_NS6detail17trampoline_kernelINS0_14default_configENS1_25transform_config_selectorIfLb0EEEZNS1_14transform_implILb0ES3_S5_N6thrust23THRUST_200600_302600_NS6detail15normal_iteratorINS8_10device_ptrIfEEEEPfNS0_8identityIfEEEE10hipError_tT2_T3_mT4_P12ihipStream_tbEUlT_E_NS1_11comp_targetILNS1_3genE10ELNS1_11target_archE1200ELNS1_3gpuE4ELNS1_3repE0EEENS1_30default_config_static_selectorELNS0_4arch9wavefront6targetE0EEEvT1_
    .private_segment_fixed_size: 0
    .sgpr_count:     0
    .sgpr_spill_count: 0
    .symbol:         _ZN7rocprim17ROCPRIM_400000_NS6detail17trampoline_kernelINS0_14default_configENS1_25transform_config_selectorIfLb0EEEZNS1_14transform_implILb0ES3_S5_N6thrust23THRUST_200600_302600_NS6detail15normal_iteratorINS8_10device_ptrIfEEEEPfNS0_8identityIfEEEE10hipError_tT2_T3_mT4_P12ihipStream_tbEUlT_E_NS1_11comp_targetILNS1_3genE10ELNS1_11target_archE1200ELNS1_3gpuE4ELNS1_3repE0EEENS1_30default_config_static_selectorELNS0_4arch9wavefront6targetE0EEEvT1_.kd
    .uniform_work_group_size: 1
    .uses_dynamic_stack: false
    .vgpr_count:     0
    .vgpr_spill_count: 0
    .wavefront_size: 32
    .workgroup_processor_mode: 1
  - .args:
      - .offset:         0
        .size:           40
        .value_kind:     by_value
    .group_segment_fixed_size: 0
    .kernarg_segment_align: 8
    .kernarg_segment_size: 40
    .language:       OpenCL C
    .language_version:
      - 2
      - 0
    .max_flat_workgroup_size: 1024
    .name:           _ZN7rocprim17ROCPRIM_400000_NS6detail17trampoline_kernelINS0_14default_configENS1_25transform_config_selectorIfLb0EEEZNS1_14transform_implILb0ES3_S5_N6thrust23THRUST_200600_302600_NS6detail15normal_iteratorINS8_10device_ptrIfEEEEPfNS0_8identityIfEEEE10hipError_tT2_T3_mT4_P12ihipStream_tbEUlT_E_NS1_11comp_targetILNS1_3genE9ELNS1_11target_archE1100ELNS1_3gpuE3ELNS1_3repE0EEENS1_30default_config_static_selectorELNS0_4arch9wavefront6targetE0EEEvT1_
    .private_segment_fixed_size: 0
    .sgpr_count:     0
    .sgpr_spill_count: 0
    .symbol:         _ZN7rocprim17ROCPRIM_400000_NS6detail17trampoline_kernelINS0_14default_configENS1_25transform_config_selectorIfLb0EEEZNS1_14transform_implILb0ES3_S5_N6thrust23THRUST_200600_302600_NS6detail15normal_iteratorINS8_10device_ptrIfEEEEPfNS0_8identityIfEEEE10hipError_tT2_T3_mT4_P12ihipStream_tbEUlT_E_NS1_11comp_targetILNS1_3genE9ELNS1_11target_archE1100ELNS1_3gpuE3ELNS1_3repE0EEENS1_30default_config_static_selectorELNS0_4arch9wavefront6targetE0EEEvT1_.kd
    .uniform_work_group_size: 1
    .uses_dynamic_stack: false
    .vgpr_count:     0
    .vgpr_spill_count: 0
    .wavefront_size: 32
    .workgroup_processor_mode: 1
  - .args:
      - .offset:         0
        .size:           40
        .value_kind:     by_value
      - .offset:         40
        .size:           4
        .value_kind:     hidden_block_count_x
      - .offset:         44
        .size:           4
        .value_kind:     hidden_block_count_y
      - .offset:         48
        .size:           4
        .value_kind:     hidden_block_count_z
      - .offset:         52
        .size:           2
        .value_kind:     hidden_group_size_x
      - .offset:         54
        .size:           2
        .value_kind:     hidden_group_size_y
      - .offset:         56
        .size:           2
        .value_kind:     hidden_group_size_z
      - .offset:         58
        .size:           2
        .value_kind:     hidden_remainder_x
      - .offset:         60
        .size:           2
        .value_kind:     hidden_remainder_y
      - .offset:         62
        .size:           2
        .value_kind:     hidden_remainder_z
      - .offset:         80
        .size:           8
        .value_kind:     hidden_global_offset_x
      - .offset:         88
        .size:           8
        .value_kind:     hidden_global_offset_y
      - .offset:         96
        .size:           8
        .value_kind:     hidden_global_offset_z
      - .offset:         104
        .size:           2
        .value_kind:     hidden_grid_dims
    .group_segment_fixed_size: 0
    .kernarg_segment_align: 8
    .kernarg_segment_size: 296
    .language:       OpenCL C
    .language_version:
      - 2
      - 0
    .max_flat_workgroup_size: 256
    .name:           _ZN7rocprim17ROCPRIM_400000_NS6detail17trampoline_kernelINS0_14default_configENS1_25transform_config_selectorIfLb0EEEZNS1_14transform_implILb0ES3_S5_N6thrust23THRUST_200600_302600_NS6detail15normal_iteratorINS8_10device_ptrIfEEEEPfNS0_8identityIfEEEE10hipError_tT2_T3_mT4_P12ihipStream_tbEUlT_E_NS1_11comp_targetILNS1_3genE8ELNS1_11target_archE1030ELNS1_3gpuE2ELNS1_3repE0EEENS1_30default_config_static_selectorELNS0_4arch9wavefront6targetE0EEEvT1_
    .private_segment_fixed_size: 0
    .sgpr_count:     14
    .sgpr_spill_count: 0
    .symbol:         _ZN7rocprim17ROCPRIM_400000_NS6detail17trampoline_kernelINS0_14default_configENS1_25transform_config_selectorIfLb0EEEZNS1_14transform_implILb0ES3_S5_N6thrust23THRUST_200600_302600_NS6detail15normal_iteratorINS8_10device_ptrIfEEEEPfNS0_8identityIfEEEE10hipError_tT2_T3_mT4_P12ihipStream_tbEUlT_E_NS1_11comp_targetILNS1_3genE8ELNS1_11target_archE1030ELNS1_3gpuE2ELNS1_3repE0EEENS1_30default_config_static_selectorELNS0_4arch9wavefront6targetE0EEEvT1_.kd
    .uniform_work_group_size: 1
    .uses_dynamic_stack: false
    .vgpr_count:     3
    .vgpr_spill_count: 0
    .wavefront_size: 32
    .workgroup_processor_mode: 1
  - .args:
      - .offset:         0
        .size:           88
        .value_kind:     by_value
    .group_segment_fixed_size: 0
    .kernarg_segment_align: 8
    .kernarg_segment_size: 88
    .language:       OpenCL C
    .language_version:
      - 2
      - 0
    .max_flat_workgroup_size: 512
    .name:           _ZN7rocprim17ROCPRIM_400000_NS6detail17trampoline_kernelINS0_14default_configENS1_35radix_sort_onesweep_config_selectorIfNS0_10empty_typeEEEZZNS1_29radix_sort_onesweep_iterationIS3_Lb0EN6thrust23THRUST_200600_302600_NS6detail15normal_iteratorINS9_10device_ptrIfEEEESE_PS5_SF_jNS0_19identity_decomposerENS1_16block_id_wrapperIjLb1EEEEE10hipError_tT1_PNSt15iterator_traitsISK_E10value_typeET2_T3_PNSL_ISQ_E10value_typeET4_T5_PSV_SW_PNS1_23onesweep_lookback_stateEbbT6_jjT7_P12ihipStream_tbENKUlT_T0_SK_SP_E_clISE_SE_SF_SF_EEDaS13_S14_SK_SP_EUlS13_E_NS1_11comp_targetILNS1_3genE0ELNS1_11target_archE4294967295ELNS1_3gpuE0ELNS1_3repE0EEENS1_47radix_sort_onesweep_sort_config_static_selectorELNS0_4arch9wavefront6targetE0EEEvSK_
    .private_segment_fixed_size: 0
    .sgpr_count:     0
    .sgpr_spill_count: 0
    .symbol:         _ZN7rocprim17ROCPRIM_400000_NS6detail17trampoline_kernelINS0_14default_configENS1_35radix_sort_onesweep_config_selectorIfNS0_10empty_typeEEEZZNS1_29radix_sort_onesweep_iterationIS3_Lb0EN6thrust23THRUST_200600_302600_NS6detail15normal_iteratorINS9_10device_ptrIfEEEESE_PS5_SF_jNS0_19identity_decomposerENS1_16block_id_wrapperIjLb1EEEEE10hipError_tT1_PNSt15iterator_traitsISK_E10value_typeET2_T3_PNSL_ISQ_E10value_typeET4_T5_PSV_SW_PNS1_23onesweep_lookback_stateEbbT6_jjT7_P12ihipStream_tbENKUlT_T0_SK_SP_E_clISE_SE_SF_SF_EEDaS13_S14_SK_SP_EUlS13_E_NS1_11comp_targetILNS1_3genE0ELNS1_11target_archE4294967295ELNS1_3gpuE0ELNS1_3repE0EEENS1_47radix_sort_onesweep_sort_config_static_selectorELNS0_4arch9wavefront6targetE0EEEvSK_.kd
    .uniform_work_group_size: 1
    .uses_dynamic_stack: false
    .vgpr_count:     0
    .vgpr_spill_count: 0
    .wavefront_size: 32
    .workgroup_processor_mode: 1
  - .args:
      - .offset:         0
        .size:           88
        .value_kind:     by_value
    .group_segment_fixed_size: 0
    .kernarg_segment_align: 8
    .kernarg_segment_size: 88
    .language:       OpenCL C
    .language_version:
      - 2
      - 0
    .max_flat_workgroup_size: 1024
    .name:           _ZN7rocprim17ROCPRIM_400000_NS6detail17trampoline_kernelINS0_14default_configENS1_35radix_sort_onesweep_config_selectorIfNS0_10empty_typeEEEZZNS1_29radix_sort_onesweep_iterationIS3_Lb0EN6thrust23THRUST_200600_302600_NS6detail15normal_iteratorINS9_10device_ptrIfEEEESE_PS5_SF_jNS0_19identity_decomposerENS1_16block_id_wrapperIjLb1EEEEE10hipError_tT1_PNSt15iterator_traitsISK_E10value_typeET2_T3_PNSL_ISQ_E10value_typeET4_T5_PSV_SW_PNS1_23onesweep_lookback_stateEbbT6_jjT7_P12ihipStream_tbENKUlT_T0_SK_SP_E_clISE_SE_SF_SF_EEDaS13_S14_SK_SP_EUlS13_E_NS1_11comp_targetILNS1_3genE6ELNS1_11target_archE950ELNS1_3gpuE13ELNS1_3repE0EEENS1_47radix_sort_onesweep_sort_config_static_selectorELNS0_4arch9wavefront6targetE0EEEvSK_
    .private_segment_fixed_size: 0
    .sgpr_count:     0
    .sgpr_spill_count: 0
    .symbol:         _ZN7rocprim17ROCPRIM_400000_NS6detail17trampoline_kernelINS0_14default_configENS1_35radix_sort_onesweep_config_selectorIfNS0_10empty_typeEEEZZNS1_29radix_sort_onesweep_iterationIS3_Lb0EN6thrust23THRUST_200600_302600_NS6detail15normal_iteratorINS9_10device_ptrIfEEEESE_PS5_SF_jNS0_19identity_decomposerENS1_16block_id_wrapperIjLb1EEEEE10hipError_tT1_PNSt15iterator_traitsISK_E10value_typeET2_T3_PNSL_ISQ_E10value_typeET4_T5_PSV_SW_PNS1_23onesweep_lookback_stateEbbT6_jjT7_P12ihipStream_tbENKUlT_T0_SK_SP_E_clISE_SE_SF_SF_EEDaS13_S14_SK_SP_EUlS13_E_NS1_11comp_targetILNS1_3genE6ELNS1_11target_archE950ELNS1_3gpuE13ELNS1_3repE0EEENS1_47radix_sort_onesweep_sort_config_static_selectorELNS0_4arch9wavefront6targetE0EEEvSK_.kd
    .uniform_work_group_size: 1
    .uses_dynamic_stack: false
    .vgpr_count:     0
    .vgpr_spill_count: 0
    .wavefront_size: 32
    .workgroup_processor_mode: 1
  - .args:
      - .offset:         0
        .size:           88
        .value_kind:     by_value
    .group_segment_fixed_size: 0
    .kernarg_segment_align: 8
    .kernarg_segment_size: 88
    .language:       OpenCL C
    .language_version:
      - 2
      - 0
    .max_flat_workgroup_size: 1024
    .name:           _ZN7rocprim17ROCPRIM_400000_NS6detail17trampoline_kernelINS0_14default_configENS1_35radix_sort_onesweep_config_selectorIfNS0_10empty_typeEEEZZNS1_29radix_sort_onesweep_iterationIS3_Lb0EN6thrust23THRUST_200600_302600_NS6detail15normal_iteratorINS9_10device_ptrIfEEEESE_PS5_SF_jNS0_19identity_decomposerENS1_16block_id_wrapperIjLb1EEEEE10hipError_tT1_PNSt15iterator_traitsISK_E10value_typeET2_T3_PNSL_ISQ_E10value_typeET4_T5_PSV_SW_PNS1_23onesweep_lookback_stateEbbT6_jjT7_P12ihipStream_tbENKUlT_T0_SK_SP_E_clISE_SE_SF_SF_EEDaS13_S14_SK_SP_EUlS13_E_NS1_11comp_targetILNS1_3genE5ELNS1_11target_archE942ELNS1_3gpuE9ELNS1_3repE0EEENS1_47radix_sort_onesweep_sort_config_static_selectorELNS0_4arch9wavefront6targetE0EEEvSK_
    .private_segment_fixed_size: 0
    .sgpr_count:     0
    .sgpr_spill_count: 0
    .symbol:         _ZN7rocprim17ROCPRIM_400000_NS6detail17trampoline_kernelINS0_14default_configENS1_35radix_sort_onesweep_config_selectorIfNS0_10empty_typeEEEZZNS1_29radix_sort_onesweep_iterationIS3_Lb0EN6thrust23THRUST_200600_302600_NS6detail15normal_iteratorINS9_10device_ptrIfEEEESE_PS5_SF_jNS0_19identity_decomposerENS1_16block_id_wrapperIjLb1EEEEE10hipError_tT1_PNSt15iterator_traitsISK_E10value_typeET2_T3_PNSL_ISQ_E10value_typeET4_T5_PSV_SW_PNS1_23onesweep_lookback_stateEbbT6_jjT7_P12ihipStream_tbENKUlT_T0_SK_SP_E_clISE_SE_SF_SF_EEDaS13_S14_SK_SP_EUlS13_E_NS1_11comp_targetILNS1_3genE5ELNS1_11target_archE942ELNS1_3gpuE9ELNS1_3repE0EEENS1_47radix_sort_onesweep_sort_config_static_selectorELNS0_4arch9wavefront6targetE0EEEvSK_.kd
    .uniform_work_group_size: 1
    .uses_dynamic_stack: false
    .vgpr_count:     0
    .vgpr_spill_count: 0
    .wavefront_size: 32
    .workgroup_processor_mode: 1
  - .args:
      - .offset:         0
        .size:           88
        .value_kind:     by_value
    .group_segment_fixed_size: 0
    .kernarg_segment_align: 8
    .kernarg_segment_size: 88
    .language:       OpenCL C
    .language_version:
      - 2
      - 0
    .max_flat_workgroup_size: 512
    .name:           _ZN7rocprim17ROCPRIM_400000_NS6detail17trampoline_kernelINS0_14default_configENS1_35radix_sort_onesweep_config_selectorIfNS0_10empty_typeEEEZZNS1_29radix_sort_onesweep_iterationIS3_Lb0EN6thrust23THRUST_200600_302600_NS6detail15normal_iteratorINS9_10device_ptrIfEEEESE_PS5_SF_jNS0_19identity_decomposerENS1_16block_id_wrapperIjLb1EEEEE10hipError_tT1_PNSt15iterator_traitsISK_E10value_typeET2_T3_PNSL_ISQ_E10value_typeET4_T5_PSV_SW_PNS1_23onesweep_lookback_stateEbbT6_jjT7_P12ihipStream_tbENKUlT_T0_SK_SP_E_clISE_SE_SF_SF_EEDaS13_S14_SK_SP_EUlS13_E_NS1_11comp_targetILNS1_3genE2ELNS1_11target_archE906ELNS1_3gpuE6ELNS1_3repE0EEENS1_47radix_sort_onesweep_sort_config_static_selectorELNS0_4arch9wavefront6targetE0EEEvSK_
    .private_segment_fixed_size: 0
    .sgpr_count:     0
    .sgpr_spill_count: 0
    .symbol:         _ZN7rocprim17ROCPRIM_400000_NS6detail17trampoline_kernelINS0_14default_configENS1_35radix_sort_onesweep_config_selectorIfNS0_10empty_typeEEEZZNS1_29radix_sort_onesweep_iterationIS3_Lb0EN6thrust23THRUST_200600_302600_NS6detail15normal_iteratorINS9_10device_ptrIfEEEESE_PS5_SF_jNS0_19identity_decomposerENS1_16block_id_wrapperIjLb1EEEEE10hipError_tT1_PNSt15iterator_traitsISK_E10value_typeET2_T3_PNSL_ISQ_E10value_typeET4_T5_PSV_SW_PNS1_23onesweep_lookback_stateEbbT6_jjT7_P12ihipStream_tbENKUlT_T0_SK_SP_E_clISE_SE_SF_SF_EEDaS13_S14_SK_SP_EUlS13_E_NS1_11comp_targetILNS1_3genE2ELNS1_11target_archE906ELNS1_3gpuE6ELNS1_3repE0EEENS1_47radix_sort_onesweep_sort_config_static_selectorELNS0_4arch9wavefront6targetE0EEEvSK_.kd
    .uniform_work_group_size: 1
    .uses_dynamic_stack: false
    .vgpr_count:     0
    .vgpr_spill_count: 0
    .wavefront_size: 32
    .workgroup_processor_mode: 1
  - .args:
      - .offset:         0
        .size:           88
        .value_kind:     by_value
    .group_segment_fixed_size: 0
    .kernarg_segment_align: 8
    .kernarg_segment_size: 88
    .language:       OpenCL C
    .language_version:
      - 2
      - 0
    .max_flat_workgroup_size: 1024
    .name:           _ZN7rocprim17ROCPRIM_400000_NS6detail17trampoline_kernelINS0_14default_configENS1_35radix_sort_onesweep_config_selectorIfNS0_10empty_typeEEEZZNS1_29radix_sort_onesweep_iterationIS3_Lb0EN6thrust23THRUST_200600_302600_NS6detail15normal_iteratorINS9_10device_ptrIfEEEESE_PS5_SF_jNS0_19identity_decomposerENS1_16block_id_wrapperIjLb1EEEEE10hipError_tT1_PNSt15iterator_traitsISK_E10value_typeET2_T3_PNSL_ISQ_E10value_typeET4_T5_PSV_SW_PNS1_23onesweep_lookback_stateEbbT6_jjT7_P12ihipStream_tbENKUlT_T0_SK_SP_E_clISE_SE_SF_SF_EEDaS13_S14_SK_SP_EUlS13_E_NS1_11comp_targetILNS1_3genE4ELNS1_11target_archE910ELNS1_3gpuE8ELNS1_3repE0EEENS1_47radix_sort_onesweep_sort_config_static_selectorELNS0_4arch9wavefront6targetE0EEEvSK_
    .private_segment_fixed_size: 0
    .sgpr_count:     0
    .sgpr_spill_count: 0
    .symbol:         _ZN7rocprim17ROCPRIM_400000_NS6detail17trampoline_kernelINS0_14default_configENS1_35radix_sort_onesweep_config_selectorIfNS0_10empty_typeEEEZZNS1_29radix_sort_onesweep_iterationIS3_Lb0EN6thrust23THRUST_200600_302600_NS6detail15normal_iteratorINS9_10device_ptrIfEEEESE_PS5_SF_jNS0_19identity_decomposerENS1_16block_id_wrapperIjLb1EEEEE10hipError_tT1_PNSt15iterator_traitsISK_E10value_typeET2_T3_PNSL_ISQ_E10value_typeET4_T5_PSV_SW_PNS1_23onesweep_lookback_stateEbbT6_jjT7_P12ihipStream_tbENKUlT_T0_SK_SP_E_clISE_SE_SF_SF_EEDaS13_S14_SK_SP_EUlS13_E_NS1_11comp_targetILNS1_3genE4ELNS1_11target_archE910ELNS1_3gpuE8ELNS1_3repE0EEENS1_47radix_sort_onesweep_sort_config_static_selectorELNS0_4arch9wavefront6targetE0EEEvSK_.kd
    .uniform_work_group_size: 1
    .uses_dynamic_stack: false
    .vgpr_count:     0
    .vgpr_spill_count: 0
    .wavefront_size: 32
    .workgroup_processor_mode: 1
  - .args:
      - .offset:         0
        .size:           88
        .value_kind:     by_value
    .group_segment_fixed_size: 0
    .kernarg_segment_align: 8
    .kernarg_segment_size: 88
    .language:       OpenCL C
    .language_version:
      - 2
      - 0
    .max_flat_workgroup_size: 512
    .name:           _ZN7rocprim17ROCPRIM_400000_NS6detail17trampoline_kernelINS0_14default_configENS1_35radix_sort_onesweep_config_selectorIfNS0_10empty_typeEEEZZNS1_29radix_sort_onesweep_iterationIS3_Lb0EN6thrust23THRUST_200600_302600_NS6detail15normal_iteratorINS9_10device_ptrIfEEEESE_PS5_SF_jNS0_19identity_decomposerENS1_16block_id_wrapperIjLb1EEEEE10hipError_tT1_PNSt15iterator_traitsISK_E10value_typeET2_T3_PNSL_ISQ_E10value_typeET4_T5_PSV_SW_PNS1_23onesweep_lookback_stateEbbT6_jjT7_P12ihipStream_tbENKUlT_T0_SK_SP_E_clISE_SE_SF_SF_EEDaS13_S14_SK_SP_EUlS13_E_NS1_11comp_targetILNS1_3genE3ELNS1_11target_archE908ELNS1_3gpuE7ELNS1_3repE0EEENS1_47radix_sort_onesweep_sort_config_static_selectorELNS0_4arch9wavefront6targetE0EEEvSK_
    .private_segment_fixed_size: 0
    .sgpr_count:     0
    .sgpr_spill_count: 0
    .symbol:         _ZN7rocprim17ROCPRIM_400000_NS6detail17trampoline_kernelINS0_14default_configENS1_35radix_sort_onesweep_config_selectorIfNS0_10empty_typeEEEZZNS1_29radix_sort_onesweep_iterationIS3_Lb0EN6thrust23THRUST_200600_302600_NS6detail15normal_iteratorINS9_10device_ptrIfEEEESE_PS5_SF_jNS0_19identity_decomposerENS1_16block_id_wrapperIjLb1EEEEE10hipError_tT1_PNSt15iterator_traitsISK_E10value_typeET2_T3_PNSL_ISQ_E10value_typeET4_T5_PSV_SW_PNS1_23onesweep_lookback_stateEbbT6_jjT7_P12ihipStream_tbENKUlT_T0_SK_SP_E_clISE_SE_SF_SF_EEDaS13_S14_SK_SP_EUlS13_E_NS1_11comp_targetILNS1_3genE3ELNS1_11target_archE908ELNS1_3gpuE7ELNS1_3repE0EEENS1_47radix_sort_onesweep_sort_config_static_selectorELNS0_4arch9wavefront6targetE0EEEvSK_.kd
    .uniform_work_group_size: 1
    .uses_dynamic_stack: false
    .vgpr_count:     0
    .vgpr_spill_count: 0
    .wavefront_size: 32
    .workgroup_processor_mode: 1
  - .args:
      - .offset:         0
        .size:           88
        .value_kind:     by_value
    .group_segment_fixed_size: 0
    .kernarg_segment_align: 8
    .kernarg_segment_size: 88
    .language:       OpenCL C
    .language_version:
      - 2
      - 0
    .max_flat_workgroup_size: 512
    .name:           _ZN7rocprim17ROCPRIM_400000_NS6detail17trampoline_kernelINS0_14default_configENS1_35radix_sort_onesweep_config_selectorIfNS0_10empty_typeEEEZZNS1_29radix_sort_onesweep_iterationIS3_Lb0EN6thrust23THRUST_200600_302600_NS6detail15normal_iteratorINS9_10device_ptrIfEEEESE_PS5_SF_jNS0_19identity_decomposerENS1_16block_id_wrapperIjLb1EEEEE10hipError_tT1_PNSt15iterator_traitsISK_E10value_typeET2_T3_PNSL_ISQ_E10value_typeET4_T5_PSV_SW_PNS1_23onesweep_lookback_stateEbbT6_jjT7_P12ihipStream_tbENKUlT_T0_SK_SP_E_clISE_SE_SF_SF_EEDaS13_S14_SK_SP_EUlS13_E_NS1_11comp_targetILNS1_3genE10ELNS1_11target_archE1201ELNS1_3gpuE5ELNS1_3repE0EEENS1_47radix_sort_onesweep_sort_config_static_selectorELNS0_4arch9wavefront6targetE0EEEvSK_
    .private_segment_fixed_size: 0
    .sgpr_count:     0
    .sgpr_spill_count: 0
    .symbol:         _ZN7rocprim17ROCPRIM_400000_NS6detail17trampoline_kernelINS0_14default_configENS1_35radix_sort_onesweep_config_selectorIfNS0_10empty_typeEEEZZNS1_29radix_sort_onesweep_iterationIS3_Lb0EN6thrust23THRUST_200600_302600_NS6detail15normal_iteratorINS9_10device_ptrIfEEEESE_PS5_SF_jNS0_19identity_decomposerENS1_16block_id_wrapperIjLb1EEEEE10hipError_tT1_PNSt15iterator_traitsISK_E10value_typeET2_T3_PNSL_ISQ_E10value_typeET4_T5_PSV_SW_PNS1_23onesweep_lookback_stateEbbT6_jjT7_P12ihipStream_tbENKUlT_T0_SK_SP_E_clISE_SE_SF_SF_EEDaS13_S14_SK_SP_EUlS13_E_NS1_11comp_targetILNS1_3genE10ELNS1_11target_archE1201ELNS1_3gpuE5ELNS1_3repE0EEENS1_47radix_sort_onesweep_sort_config_static_selectorELNS0_4arch9wavefront6targetE0EEEvSK_.kd
    .uniform_work_group_size: 1
    .uses_dynamic_stack: false
    .vgpr_count:     0
    .vgpr_spill_count: 0
    .wavefront_size: 32
    .workgroup_processor_mode: 1
  - .args:
      - .offset:         0
        .size:           88
        .value_kind:     by_value
    .group_segment_fixed_size: 0
    .kernarg_segment_align: 8
    .kernarg_segment_size: 88
    .language:       OpenCL C
    .language_version:
      - 2
      - 0
    .max_flat_workgroup_size: 1024
    .name:           _ZN7rocprim17ROCPRIM_400000_NS6detail17trampoline_kernelINS0_14default_configENS1_35radix_sort_onesweep_config_selectorIfNS0_10empty_typeEEEZZNS1_29radix_sort_onesweep_iterationIS3_Lb0EN6thrust23THRUST_200600_302600_NS6detail15normal_iteratorINS9_10device_ptrIfEEEESE_PS5_SF_jNS0_19identity_decomposerENS1_16block_id_wrapperIjLb1EEEEE10hipError_tT1_PNSt15iterator_traitsISK_E10value_typeET2_T3_PNSL_ISQ_E10value_typeET4_T5_PSV_SW_PNS1_23onesweep_lookback_stateEbbT6_jjT7_P12ihipStream_tbENKUlT_T0_SK_SP_E_clISE_SE_SF_SF_EEDaS13_S14_SK_SP_EUlS13_E_NS1_11comp_targetILNS1_3genE9ELNS1_11target_archE1100ELNS1_3gpuE3ELNS1_3repE0EEENS1_47radix_sort_onesweep_sort_config_static_selectorELNS0_4arch9wavefront6targetE0EEEvSK_
    .private_segment_fixed_size: 0
    .sgpr_count:     0
    .sgpr_spill_count: 0
    .symbol:         _ZN7rocprim17ROCPRIM_400000_NS6detail17trampoline_kernelINS0_14default_configENS1_35radix_sort_onesweep_config_selectorIfNS0_10empty_typeEEEZZNS1_29radix_sort_onesweep_iterationIS3_Lb0EN6thrust23THRUST_200600_302600_NS6detail15normal_iteratorINS9_10device_ptrIfEEEESE_PS5_SF_jNS0_19identity_decomposerENS1_16block_id_wrapperIjLb1EEEEE10hipError_tT1_PNSt15iterator_traitsISK_E10value_typeET2_T3_PNSL_ISQ_E10value_typeET4_T5_PSV_SW_PNS1_23onesweep_lookback_stateEbbT6_jjT7_P12ihipStream_tbENKUlT_T0_SK_SP_E_clISE_SE_SF_SF_EEDaS13_S14_SK_SP_EUlS13_E_NS1_11comp_targetILNS1_3genE9ELNS1_11target_archE1100ELNS1_3gpuE3ELNS1_3repE0EEENS1_47radix_sort_onesweep_sort_config_static_selectorELNS0_4arch9wavefront6targetE0EEEvSK_.kd
    .uniform_work_group_size: 1
    .uses_dynamic_stack: false
    .vgpr_count:     0
    .vgpr_spill_count: 0
    .wavefront_size: 32
    .workgroup_processor_mode: 1
  - .args:
      - .offset:         0
        .size:           88
        .value_kind:     by_value
      - .offset:         88
        .size:           4
        .value_kind:     hidden_block_count_x
      - .offset:         92
        .size:           4
        .value_kind:     hidden_block_count_y
      - .offset:         96
        .size:           4
        .value_kind:     hidden_block_count_z
      - .offset:         100
        .size:           2
        .value_kind:     hidden_group_size_x
      - .offset:         102
        .size:           2
        .value_kind:     hidden_group_size_y
      - .offset:         104
        .size:           2
        .value_kind:     hidden_group_size_z
      - .offset:         106
        .size:           2
        .value_kind:     hidden_remainder_x
      - .offset:         108
        .size:           2
        .value_kind:     hidden_remainder_y
      - .offset:         110
        .size:           2
        .value_kind:     hidden_remainder_z
      - .offset:         128
        .size:           8
        .value_kind:     hidden_global_offset_x
      - .offset:         136
        .size:           8
        .value_kind:     hidden_global_offset_y
      - .offset:         144
        .size:           8
        .value_kind:     hidden_global_offset_z
      - .offset:         152
        .size:           2
        .value_kind:     hidden_grid_dims
    .group_segment_fixed_size: 37000
    .kernarg_segment_align: 8
    .kernarg_segment_size: 344
    .language:       OpenCL C
    .language_version:
      - 2
      - 0
    .max_flat_workgroup_size: 1024
    .name:           _ZN7rocprim17ROCPRIM_400000_NS6detail17trampoline_kernelINS0_14default_configENS1_35radix_sort_onesweep_config_selectorIfNS0_10empty_typeEEEZZNS1_29radix_sort_onesweep_iterationIS3_Lb0EN6thrust23THRUST_200600_302600_NS6detail15normal_iteratorINS9_10device_ptrIfEEEESE_PS5_SF_jNS0_19identity_decomposerENS1_16block_id_wrapperIjLb1EEEEE10hipError_tT1_PNSt15iterator_traitsISK_E10value_typeET2_T3_PNSL_ISQ_E10value_typeET4_T5_PSV_SW_PNS1_23onesweep_lookback_stateEbbT6_jjT7_P12ihipStream_tbENKUlT_T0_SK_SP_E_clISE_SE_SF_SF_EEDaS13_S14_SK_SP_EUlS13_E_NS1_11comp_targetILNS1_3genE8ELNS1_11target_archE1030ELNS1_3gpuE2ELNS1_3repE0EEENS1_47radix_sort_onesweep_sort_config_static_selectorELNS0_4arch9wavefront6targetE0EEEvSK_
    .private_segment_fixed_size: 0
    .sgpr_count:     30
    .sgpr_spill_count: 0
    .symbol:         _ZN7rocprim17ROCPRIM_400000_NS6detail17trampoline_kernelINS0_14default_configENS1_35radix_sort_onesweep_config_selectorIfNS0_10empty_typeEEEZZNS1_29radix_sort_onesweep_iterationIS3_Lb0EN6thrust23THRUST_200600_302600_NS6detail15normal_iteratorINS9_10device_ptrIfEEEESE_PS5_SF_jNS0_19identity_decomposerENS1_16block_id_wrapperIjLb1EEEEE10hipError_tT1_PNSt15iterator_traitsISK_E10value_typeET2_T3_PNSL_ISQ_E10value_typeET4_T5_PSV_SW_PNS1_23onesweep_lookback_stateEbbT6_jjT7_P12ihipStream_tbENKUlT_T0_SK_SP_E_clISE_SE_SF_SF_EEDaS13_S14_SK_SP_EUlS13_E_NS1_11comp_targetILNS1_3genE8ELNS1_11target_archE1030ELNS1_3gpuE2ELNS1_3repE0EEENS1_47radix_sort_onesweep_sort_config_static_selectorELNS0_4arch9wavefront6targetE0EEEvSK_.kd
    .uniform_work_group_size: 1
    .uses_dynamic_stack: false
    .vgpr_count:     42
    .vgpr_spill_count: 0
    .wavefront_size: 32
    .workgroup_processor_mode: 1
  - .args:
      - .offset:         0
        .size:           88
        .value_kind:     by_value
    .group_segment_fixed_size: 0
    .kernarg_segment_align: 8
    .kernarg_segment_size: 88
    .language:       OpenCL C
    .language_version:
      - 2
      - 0
    .max_flat_workgroup_size: 512
    .name:           _ZN7rocprim17ROCPRIM_400000_NS6detail17trampoline_kernelINS0_14default_configENS1_35radix_sort_onesweep_config_selectorIfNS0_10empty_typeEEEZZNS1_29radix_sort_onesweep_iterationIS3_Lb0EN6thrust23THRUST_200600_302600_NS6detail15normal_iteratorINS9_10device_ptrIfEEEESE_PS5_SF_jNS0_19identity_decomposerENS1_16block_id_wrapperIjLb1EEEEE10hipError_tT1_PNSt15iterator_traitsISK_E10value_typeET2_T3_PNSL_ISQ_E10value_typeET4_T5_PSV_SW_PNS1_23onesweep_lookback_stateEbbT6_jjT7_P12ihipStream_tbENKUlT_T0_SK_SP_E_clISE_PfSF_SF_EEDaS13_S14_SK_SP_EUlS13_E_NS1_11comp_targetILNS1_3genE0ELNS1_11target_archE4294967295ELNS1_3gpuE0ELNS1_3repE0EEENS1_47radix_sort_onesweep_sort_config_static_selectorELNS0_4arch9wavefront6targetE0EEEvSK_
    .private_segment_fixed_size: 0
    .sgpr_count:     0
    .sgpr_spill_count: 0
    .symbol:         _ZN7rocprim17ROCPRIM_400000_NS6detail17trampoline_kernelINS0_14default_configENS1_35radix_sort_onesweep_config_selectorIfNS0_10empty_typeEEEZZNS1_29radix_sort_onesweep_iterationIS3_Lb0EN6thrust23THRUST_200600_302600_NS6detail15normal_iteratorINS9_10device_ptrIfEEEESE_PS5_SF_jNS0_19identity_decomposerENS1_16block_id_wrapperIjLb1EEEEE10hipError_tT1_PNSt15iterator_traitsISK_E10value_typeET2_T3_PNSL_ISQ_E10value_typeET4_T5_PSV_SW_PNS1_23onesweep_lookback_stateEbbT6_jjT7_P12ihipStream_tbENKUlT_T0_SK_SP_E_clISE_PfSF_SF_EEDaS13_S14_SK_SP_EUlS13_E_NS1_11comp_targetILNS1_3genE0ELNS1_11target_archE4294967295ELNS1_3gpuE0ELNS1_3repE0EEENS1_47radix_sort_onesweep_sort_config_static_selectorELNS0_4arch9wavefront6targetE0EEEvSK_.kd
    .uniform_work_group_size: 1
    .uses_dynamic_stack: false
    .vgpr_count:     0
    .vgpr_spill_count: 0
    .wavefront_size: 32
    .workgroup_processor_mode: 1
  - .args:
      - .offset:         0
        .size:           88
        .value_kind:     by_value
    .group_segment_fixed_size: 0
    .kernarg_segment_align: 8
    .kernarg_segment_size: 88
    .language:       OpenCL C
    .language_version:
      - 2
      - 0
    .max_flat_workgroup_size: 1024
    .name:           _ZN7rocprim17ROCPRIM_400000_NS6detail17trampoline_kernelINS0_14default_configENS1_35radix_sort_onesweep_config_selectorIfNS0_10empty_typeEEEZZNS1_29radix_sort_onesweep_iterationIS3_Lb0EN6thrust23THRUST_200600_302600_NS6detail15normal_iteratorINS9_10device_ptrIfEEEESE_PS5_SF_jNS0_19identity_decomposerENS1_16block_id_wrapperIjLb1EEEEE10hipError_tT1_PNSt15iterator_traitsISK_E10value_typeET2_T3_PNSL_ISQ_E10value_typeET4_T5_PSV_SW_PNS1_23onesweep_lookback_stateEbbT6_jjT7_P12ihipStream_tbENKUlT_T0_SK_SP_E_clISE_PfSF_SF_EEDaS13_S14_SK_SP_EUlS13_E_NS1_11comp_targetILNS1_3genE6ELNS1_11target_archE950ELNS1_3gpuE13ELNS1_3repE0EEENS1_47radix_sort_onesweep_sort_config_static_selectorELNS0_4arch9wavefront6targetE0EEEvSK_
    .private_segment_fixed_size: 0
    .sgpr_count:     0
    .sgpr_spill_count: 0
    .symbol:         _ZN7rocprim17ROCPRIM_400000_NS6detail17trampoline_kernelINS0_14default_configENS1_35radix_sort_onesweep_config_selectorIfNS0_10empty_typeEEEZZNS1_29radix_sort_onesweep_iterationIS3_Lb0EN6thrust23THRUST_200600_302600_NS6detail15normal_iteratorINS9_10device_ptrIfEEEESE_PS5_SF_jNS0_19identity_decomposerENS1_16block_id_wrapperIjLb1EEEEE10hipError_tT1_PNSt15iterator_traitsISK_E10value_typeET2_T3_PNSL_ISQ_E10value_typeET4_T5_PSV_SW_PNS1_23onesweep_lookback_stateEbbT6_jjT7_P12ihipStream_tbENKUlT_T0_SK_SP_E_clISE_PfSF_SF_EEDaS13_S14_SK_SP_EUlS13_E_NS1_11comp_targetILNS1_3genE6ELNS1_11target_archE950ELNS1_3gpuE13ELNS1_3repE0EEENS1_47radix_sort_onesweep_sort_config_static_selectorELNS0_4arch9wavefront6targetE0EEEvSK_.kd
    .uniform_work_group_size: 1
    .uses_dynamic_stack: false
    .vgpr_count:     0
    .vgpr_spill_count: 0
    .wavefront_size: 32
    .workgroup_processor_mode: 1
  - .args:
      - .offset:         0
        .size:           88
        .value_kind:     by_value
    .group_segment_fixed_size: 0
    .kernarg_segment_align: 8
    .kernarg_segment_size: 88
    .language:       OpenCL C
    .language_version:
      - 2
      - 0
    .max_flat_workgroup_size: 1024
    .name:           _ZN7rocprim17ROCPRIM_400000_NS6detail17trampoline_kernelINS0_14default_configENS1_35radix_sort_onesweep_config_selectorIfNS0_10empty_typeEEEZZNS1_29radix_sort_onesweep_iterationIS3_Lb0EN6thrust23THRUST_200600_302600_NS6detail15normal_iteratorINS9_10device_ptrIfEEEESE_PS5_SF_jNS0_19identity_decomposerENS1_16block_id_wrapperIjLb1EEEEE10hipError_tT1_PNSt15iterator_traitsISK_E10value_typeET2_T3_PNSL_ISQ_E10value_typeET4_T5_PSV_SW_PNS1_23onesweep_lookback_stateEbbT6_jjT7_P12ihipStream_tbENKUlT_T0_SK_SP_E_clISE_PfSF_SF_EEDaS13_S14_SK_SP_EUlS13_E_NS1_11comp_targetILNS1_3genE5ELNS1_11target_archE942ELNS1_3gpuE9ELNS1_3repE0EEENS1_47radix_sort_onesweep_sort_config_static_selectorELNS0_4arch9wavefront6targetE0EEEvSK_
    .private_segment_fixed_size: 0
    .sgpr_count:     0
    .sgpr_spill_count: 0
    .symbol:         _ZN7rocprim17ROCPRIM_400000_NS6detail17trampoline_kernelINS0_14default_configENS1_35radix_sort_onesweep_config_selectorIfNS0_10empty_typeEEEZZNS1_29radix_sort_onesweep_iterationIS3_Lb0EN6thrust23THRUST_200600_302600_NS6detail15normal_iteratorINS9_10device_ptrIfEEEESE_PS5_SF_jNS0_19identity_decomposerENS1_16block_id_wrapperIjLb1EEEEE10hipError_tT1_PNSt15iterator_traitsISK_E10value_typeET2_T3_PNSL_ISQ_E10value_typeET4_T5_PSV_SW_PNS1_23onesweep_lookback_stateEbbT6_jjT7_P12ihipStream_tbENKUlT_T0_SK_SP_E_clISE_PfSF_SF_EEDaS13_S14_SK_SP_EUlS13_E_NS1_11comp_targetILNS1_3genE5ELNS1_11target_archE942ELNS1_3gpuE9ELNS1_3repE0EEENS1_47radix_sort_onesweep_sort_config_static_selectorELNS0_4arch9wavefront6targetE0EEEvSK_.kd
    .uniform_work_group_size: 1
    .uses_dynamic_stack: false
    .vgpr_count:     0
    .vgpr_spill_count: 0
    .wavefront_size: 32
    .workgroup_processor_mode: 1
  - .args:
      - .offset:         0
        .size:           88
        .value_kind:     by_value
    .group_segment_fixed_size: 0
    .kernarg_segment_align: 8
    .kernarg_segment_size: 88
    .language:       OpenCL C
    .language_version:
      - 2
      - 0
    .max_flat_workgroup_size: 512
    .name:           _ZN7rocprim17ROCPRIM_400000_NS6detail17trampoline_kernelINS0_14default_configENS1_35radix_sort_onesweep_config_selectorIfNS0_10empty_typeEEEZZNS1_29radix_sort_onesweep_iterationIS3_Lb0EN6thrust23THRUST_200600_302600_NS6detail15normal_iteratorINS9_10device_ptrIfEEEESE_PS5_SF_jNS0_19identity_decomposerENS1_16block_id_wrapperIjLb1EEEEE10hipError_tT1_PNSt15iterator_traitsISK_E10value_typeET2_T3_PNSL_ISQ_E10value_typeET4_T5_PSV_SW_PNS1_23onesweep_lookback_stateEbbT6_jjT7_P12ihipStream_tbENKUlT_T0_SK_SP_E_clISE_PfSF_SF_EEDaS13_S14_SK_SP_EUlS13_E_NS1_11comp_targetILNS1_3genE2ELNS1_11target_archE906ELNS1_3gpuE6ELNS1_3repE0EEENS1_47radix_sort_onesweep_sort_config_static_selectorELNS0_4arch9wavefront6targetE0EEEvSK_
    .private_segment_fixed_size: 0
    .sgpr_count:     0
    .sgpr_spill_count: 0
    .symbol:         _ZN7rocprim17ROCPRIM_400000_NS6detail17trampoline_kernelINS0_14default_configENS1_35radix_sort_onesweep_config_selectorIfNS0_10empty_typeEEEZZNS1_29radix_sort_onesweep_iterationIS3_Lb0EN6thrust23THRUST_200600_302600_NS6detail15normal_iteratorINS9_10device_ptrIfEEEESE_PS5_SF_jNS0_19identity_decomposerENS1_16block_id_wrapperIjLb1EEEEE10hipError_tT1_PNSt15iterator_traitsISK_E10value_typeET2_T3_PNSL_ISQ_E10value_typeET4_T5_PSV_SW_PNS1_23onesweep_lookback_stateEbbT6_jjT7_P12ihipStream_tbENKUlT_T0_SK_SP_E_clISE_PfSF_SF_EEDaS13_S14_SK_SP_EUlS13_E_NS1_11comp_targetILNS1_3genE2ELNS1_11target_archE906ELNS1_3gpuE6ELNS1_3repE0EEENS1_47radix_sort_onesweep_sort_config_static_selectorELNS0_4arch9wavefront6targetE0EEEvSK_.kd
    .uniform_work_group_size: 1
    .uses_dynamic_stack: false
    .vgpr_count:     0
    .vgpr_spill_count: 0
    .wavefront_size: 32
    .workgroup_processor_mode: 1
  - .args:
      - .offset:         0
        .size:           88
        .value_kind:     by_value
    .group_segment_fixed_size: 0
    .kernarg_segment_align: 8
    .kernarg_segment_size: 88
    .language:       OpenCL C
    .language_version:
      - 2
      - 0
    .max_flat_workgroup_size: 1024
    .name:           _ZN7rocprim17ROCPRIM_400000_NS6detail17trampoline_kernelINS0_14default_configENS1_35radix_sort_onesweep_config_selectorIfNS0_10empty_typeEEEZZNS1_29radix_sort_onesweep_iterationIS3_Lb0EN6thrust23THRUST_200600_302600_NS6detail15normal_iteratorINS9_10device_ptrIfEEEESE_PS5_SF_jNS0_19identity_decomposerENS1_16block_id_wrapperIjLb1EEEEE10hipError_tT1_PNSt15iterator_traitsISK_E10value_typeET2_T3_PNSL_ISQ_E10value_typeET4_T5_PSV_SW_PNS1_23onesweep_lookback_stateEbbT6_jjT7_P12ihipStream_tbENKUlT_T0_SK_SP_E_clISE_PfSF_SF_EEDaS13_S14_SK_SP_EUlS13_E_NS1_11comp_targetILNS1_3genE4ELNS1_11target_archE910ELNS1_3gpuE8ELNS1_3repE0EEENS1_47radix_sort_onesweep_sort_config_static_selectorELNS0_4arch9wavefront6targetE0EEEvSK_
    .private_segment_fixed_size: 0
    .sgpr_count:     0
    .sgpr_spill_count: 0
    .symbol:         _ZN7rocprim17ROCPRIM_400000_NS6detail17trampoline_kernelINS0_14default_configENS1_35radix_sort_onesweep_config_selectorIfNS0_10empty_typeEEEZZNS1_29radix_sort_onesweep_iterationIS3_Lb0EN6thrust23THRUST_200600_302600_NS6detail15normal_iteratorINS9_10device_ptrIfEEEESE_PS5_SF_jNS0_19identity_decomposerENS1_16block_id_wrapperIjLb1EEEEE10hipError_tT1_PNSt15iterator_traitsISK_E10value_typeET2_T3_PNSL_ISQ_E10value_typeET4_T5_PSV_SW_PNS1_23onesweep_lookback_stateEbbT6_jjT7_P12ihipStream_tbENKUlT_T0_SK_SP_E_clISE_PfSF_SF_EEDaS13_S14_SK_SP_EUlS13_E_NS1_11comp_targetILNS1_3genE4ELNS1_11target_archE910ELNS1_3gpuE8ELNS1_3repE0EEENS1_47radix_sort_onesweep_sort_config_static_selectorELNS0_4arch9wavefront6targetE0EEEvSK_.kd
    .uniform_work_group_size: 1
    .uses_dynamic_stack: false
    .vgpr_count:     0
    .vgpr_spill_count: 0
    .wavefront_size: 32
    .workgroup_processor_mode: 1
  - .args:
      - .offset:         0
        .size:           88
        .value_kind:     by_value
    .group_segment_fixed_size: 0
    .kernarg_segment_align: 8
    .kernarg_segment_size: 88
    .language:       OpenCL C
    .language_version:
      - 2
      - 0
    .max_flat_workgroup_size: 512
    .name:           _ZN7rocprim17ROCPRIM_400000_NS6detail17trampoline_kernelINS0_14default_configENS1_35radix_sort_onesweep_config_selectorIfNS0_10empty_typeEEEZZNS1_29radix_sort_onesweep_iterationIS3_Lb0EN6thrust23THRUST_200600_302600_NS6detail15normal_iteratorINS9_10device_ptrIfEEEESE_PS5_SF_jNS0_19identity_decomposerENS1_16block_id_wrapperIjLb1EEEEE10hipError_tT1_PNSt15iterator_traitsISK_E10value_typeET2_T3_PNSL_ISQ_E10value_typeET4_T5_PSV_SW_PNS1_23onesweep_lookback_stateEbbT6_jjT7_P12ihipStream_tbENKUlT_T0_SK_SP_E_clISE_PfSF_SF_EEDaS13_S14_SK_SP_EUlS13_E_NS1_11comp_targetILNS1_3genE3ELNS1_11target_archE908ELNS1_3gpuE7ELNS1_3repE0EEENS1_47radix_sort_onesweep_sort_config_static_selectorELNS0_4arch9wavefront6targetE0EEEvSK_
    .private_segment_fixed_size: 0
    .sgpr_count:     0
    .sgpr_spill_count: 0
    .symbol:         _ZN7rocprim17ROCPRIM_400000_NS6detail17trampoline_kernelINS0_14default_configENS1_35radix_sort_onesweep_config_selectorIfNS0_10empty_typeEEEZZNS1_29radix_sort_onesweep_iterationIS3_Lb0EN6thrust23THRUST_200600_302600_NS6detail15normal_iteratorINS9_10device_ptrIfEEEESE_PS5_SF_jNS0_19identity_decomposerENS1_16block_id_wrapperIjLb1EEEEE10hipError_tT1_PNSt15iterator_traitsISK_E10value_typeET2_T3_PNSL_ISQ_E10value_typeET4_T5_PSV_SW_PNS1_23onesweep_lookback_stateEbbT6_jjT7_P12ihipStream_tbENKUlT_T0_SK_SP_E_clISE_PfSF_SF_EEDaS13_S14_SK_SP_EUlS13_E_NS1_11comp_targetILNS1_3genE3ELNS1_11target_archE908ELNS1_3gpuE7ELNS1_3repE0EEENS1_47radix_sort_onesweep_sort_config_static_selectorELNS0_4arch9wavefront6targetE0EEEvSK_.kd
    .uniform_work_group_size: 1
    .uses_dynamic_stack: false
    .vgpr_count:     0
    .vgpr_spill_count: 0
    .wavefront_size: 32
    .workgroup_processor_mode: 1
  - .args:
      - .offset:         0
        .size:           88
        .value_kind:     by_value
    .group_segment_fixed_size: 0
    .kernarg_segment_align: 8
    .kernarg_segment_size: 88
    .language:       OpenCL C
    .language_version:
      - 2
      - 0
    .max_flat_workgroup_size: 512
    .name:           _ZN7rocprim17ROCPRIM_400000_NS6detail17trampoline_kernelINS0_14default_configENS1_35radix_sort_onesweep_config_selectorIfNS0_10empty_typeEEEZZNS1_29radix_sort_onesweep_iterationIS3_Lb0EN6thrust23THRUST_200600_302600_NS6detail15normal_iteratorINS9_10device_ptrIfEEEESE_PS5_SF_jNS0_19identity_decomposerENS1_16block_id_wrapperIjLb1EEEEE10hipError_tT1_PNSt15iterator_traitsISK_E10value_typeET2_T3_PNSL_ISQ_E10value_typeET4_T5_PSV_SW_PNS1_23onesweep_lookback_stateEbbT6_jjT7_P12ihipStream_tbENKUlT_T0_SK_SP_E_clISE_PfSF_SF_EEDaS13_S14_SK_SP_EUlS13_E_NS1_11comp_targetILNS1_3genE10ELNS1_11target_archE1201ELNS1_3gpuE5ELNS1_3repE0EEENS1_47radix_sort_onesweep_sort_config_static_selectorELNS0_4arch9wavefront6targetE0EEEvSK_
    .private_segment_fixed_size: 0
    .sgpr_count:     0
    .sgpr_spill_count: 0
    .symbol:         _ZN7rocprim17ROCPRIM_400000_NS6detail17trampoline_kernelINS0_14default_configENS1_35radix_sort_onesweep_config_selectorIfNS0_10empty_typeEEEZZNS1_29radix_sort_onesweep_iterationIS3_Lb0EN6thrust23THRUST_200600_302600_NS6detail15normal_iteratorINS9_10device_ptrIfEEEESE_PS5_SF_jNS0_19identity_decomposerENS1_16block_id_wrapperIjLb1EEEEE10hipError_tT1_PNSt15iterator_traitsISK_E10value_typeET2_T3_PNSL_ISQ_E10value_typeET4_T5_PSV_SW_PNS1_23onesweep_lookback_stateEbbT6_jjT7_P12ihipStream_tbENKUlT_T0_SK_SP_E_clISE_PfSF_SF_EEDaS13_S14_SK_SP_EUlS13_E_NS1_11comp_targetILNS1_3genE10ELNS1_11target_archE1201ELNS1_3gpuE5ELNS1_3repE0EEENS1_47radix_sort_onesweep_sort_config_static_selectorELNS0_4arch9wavefront6targetE0EEEvSK_.kd
    .uniform_work_group_size: 1
    .uses_dynamic_stack: false
    .vgpr_count:     0
    .vgpr_spill_count: 0
    .wavefront_size: 32
    .workgroup_processor_mode: 1
  - .args:
      - .offset:         0
        .size:           88
        .value_kind:     by_value
    .group_segment_fixed_size: 0
    .kernarg_segment_align: 8
    .kernarg_segment_size: 88
    .language:       OpenCL C
    .language_version:
      - 2
      - 0
    .max_flat_workgroup_size: 1024
    .name:           _ZN7rocprim17ROCPRIM_400000_NS6detail17trampoline_kernelINS0_14default_configENS1_35radix_sort_onesweep_config_selectorIfNS0_10empty_typeEEEZZNS1_29radix_sort_onesweep_iterationIS3_Lb0EN6thrust23THRUST_200600_302600_NS6detail15normal_iteratorINS9_10device_ptrIfEEEESE_PS5_SF_jNS0_19identity_decomposerENS1_16block_id_wrapperIjLb1EEEEE10hipError_tT1_PNSt15iterator_traitsISK_E10value_typeET2_T3_PNSL_ISQ_E10value_typeET4_T5_PSV_SW_PNS1_23onesweep_lookback_stateEbbT6_jjT7_P12ihipStream_tbENKUlT_T0_SK_SP_E_clISE_PfSF_SF_EEDaS13_S14_SK_SP_EUlS13_E_NS1_11comp_targetILNS1_3genE9ELNS1_11target_archE1100ELNS1_3gpuE3ELNS1_3repE0EEENS1_47radix_sort_onesweep_sort_config_static_selectorELNS0_4arch9wavefront6targetE0EEEvSK_
    .private_segment_fixed_size: 0
    .sgpr_count:     0
    .sgpr_spill_count: 0
    .symbol:         _ZN7rocprim17ROCPRIM_400000_NS6detail17trampoline_kernelINS0_14default_configENS1_35radix_sort_onesweep_config_selectorIfNS0_10empty_typeEEEZZNS1_29radix_sort_onesweep_iterationIS3_Lb0EN6thrust23THRUST_200600_302600_NS6detail15normal_iteratorINS9_10device_ptrIfEEEESE_PS5_SF_jNS0_19identity_decomposerENS1_16block_id_wrapperIjLb1EEEEE10hipError_tT1_PNSt15iterator_traitsISK_E10value_typeET2_T3_PNSL_ISQ_E10value_typeET4_T5_PSV_SW_PNS1_23onesweep_lookback_stateEbbT6_jjT7_P12ihipStream_tbENKUlT_T0_SK_SP_E_clISE_PfSF_SF_EEDaS13_S14_SK_SP_EUlS13_E_NS1_11comp_targetILNS1_3genE9ELNS1_11target_archE1100ELNS1_3gpuE3ELNS1_3repE0EEENS1_47radix_sort_onesweep_sort_config_static_selectorELNS0_4arch9wavefront6targetE0EEEvSK_.kd
    .uniform_work_group_size: 1
    .uses_dynamic_stack: false
    .vgpr_count:     0
    .vgpr_spill_count: 0
    .wavefront_size: 32
    .workgroup_processor_mode: 1
  - .args:
      - .offset:         0
        .size:           88
        .value_kind:     by_value
      - .offset:         88
        .size:           4
        .value_kind:     hidden_block_count_x
      - .offset:         92
        .size:           4
        .value_kind:     hidden_block_count_y
      - .offset:         96
        .size:           4
        .value_kind:     hidden_block_count_z
      - .offset:         100
        .size:           2
        .value_kind:     hidden_group_size_x
      - .offset:         102
        .size:           2
        .value_kind:     hidden_group_size_y
      - .offset:         104
        .size:           2
        .value_kind:     hidden_group_size_z
      - .offset:         106
        .size:           2
        .value_kind:     hidden_remainder_x
      - .offset:         108
        .size:           2
        .value_kind:     hidden_remainder_y
      - .offset:         110
        .size:           2
        .value_kind:     hidden_remainder_z
      - .offset:         128
        .size:           8
        .value_kind:     hidden_global_offset_x
      - .offset:         136
        .size:           8
        .value_kind:     hidden_global_offset_y
      - .offset:         144
        .size:           8
        .value_kind:     hidden_global_offset_z
      - .offset:         152
        .size:           2
        .value_kind:     hidden_grid_dims
    .group_segment_fixed_size: 37000
    .kernarg_segment_align: 8
    .kernarg_segment_size: 344
    .language:       OpenCL C
    .language_version:
      - 2
      - 0
    .max_flat_workgroup_size: 1024
    .name:           _ZN7rocprim17ROCPRIM_400000_NS6detail17trampoline_kernelINS0_14default_configENS1_35radix_sort_onesweep_config_selectorIfNS0_10empty_typeEEEZZNS1_29radix_sort_onesweep_iterationIS3_Lb0EN6thrust23THRUST_200600_302600_NS6detail15normal_iteratorINS9_10device_ptrIfEEEESE_PS5_SF_jNS0_19identity_decomposerENS1_16block_id_wrapperIjLb1EEEEE10hipError_tT1_PNSt15iterator_traitsISK_E10value_typeET2_T3_PNSL_ISQ_E10value_typeET4_T5_PSV_SW_PNS1_23onesweep_lookback_stateEbbT6_jjT7_P12ihipStream_tbENKUlT_T0_SK_SP_E_clISE_PfSF_SF_EEDaS13_S14_SK_SP_EUlS13_E_NS1_11comp_targetILNS1_3genE8ELNS1_11target_archE1030ELNS1_3gpuE2ELNS1_3repE0EEENS1_47radix_sort_onesweep_sort_config_static_selectorELNS0_4arch9wavefront6targetE0EEEvSK_
    .private_segment_fixed_size: 0
    .sgpr_count:     30
    .sgpr_spill_count: 0
    .symbol:         _ZN7rocprim17ROCPRIM_400000_NS6detail17trampoline_kernelINS0_14default_configENS1_35radix_sort_onesweep_config_selectorIfNS0_10empty_typeEEEZZNS1_29radix_sort_onesweep_iterationIS3_Lb0EN6thrust23THRUST_200600_302600_NS6detail15normal_iteratorINS9_10device_ptrIfEEEESE_PS5_SF_jNS0_19identity_decomposerENS1_16block_id_wrapperIjLb1EEEEE10hipError_tT1_PNSt15iterator_traitsISK_E10value_typeET2_T3_PNSL_ISQ_E10value_typeET4_T5_PSV_SW_PNS1_23onesweep_lookback_stateEbbT6_jjT7_P12ihipStream_tbENKUlT_T0_SK_SP_E_clISE_PfSF_SF_EEDaS13_S14_SK_SP_EUlS13_E_NS1_11comp_targetILNS1_3genE8ELNS1_11target_archE1030ELNS1_3gpuE2ELNS1_3repE0EEENS1_47radix_sort_onesweep_sort_config_static_selectorELNS0_4arch9wavefront6targetE0EEEvSK_.kd
    .uniform_work_group_size: 1
    .uses_dynamic_stack: false
    .vgpr_count:     42
    .vgpr_spill_count: 0
    .wavefront_size: 32
    .workgroup_processor_mode: 1
  - .args:
      - .offset:         0
        .size:           88
        .value_kind:     by_value
    .group_segment_fixed_size: 0
    .kernarg_segment_align: 8
    .kernarg_segment_size: 88
    .language:       OpenCL C
    .language_version:
      - 2
      - 0
    .max_flat_workgroup_size: 512
    .name:           _ZN7rocprim17ROCPRIM_400000_NS6detail17trampoline_kernelINS0_14default_configENS1_35radix_sort_onesweep_config_selectorIfNS0_10empty_typeEEEZZNS1_29radix_sort_onesweep_iterationIS3_Lb0EN6thrust23THRUST_200600_302600_NS6detail15normal_iteratorINS9_10device_ptrIfEEEESE_PS5_SF_jNS0_19identity_decomposerENS1_16block_id_wrapperIjLb1EEEEE10hipError_tT1_PNSt15iterator_traitsISK_E10value_typeET2_T3_PNSL_ISQ_E10value_typeET4_T5_PSV_SW_PNS1_23onesweep_lookback_stateEbbT6_jjT7_P12ihipStream_tbENKUlT_T0_SK_SP_E_clIPfSE_SF_SF_EEDaS13_S14_SK_SP_EUlS13_E_NS1_11comp_targetILNS1_3genE0ELNS1_11target_archE4294967295ELNS1_3gpuE0ELNS1_3repE0EEENS1_47radix_sort_onesweep_sort_config_static_selectorELNS0_4arch9wavefront6targetE0EEEvSK_
    .private_segment_fixed_size: 0
    .sgpr_count:     0
    .sgpr_spill_count: 0
    .symbol:         _ZN7rocprim17ROCPRIM_400000_NS6detail17trampoline_kernelINS0_14default_configENS1_35radix_sort_onesweep_config_selectorIfNS0_10empty_typeEEEZZNS1_29radix_sort_onesweep_iterationIS3_Lb0EN6thrust23THRUST_200600_302600_NS6detail15normal_iteratorINS9_10device_ptrIfEEEESE_PS5_SF_jNS0_19identity_decomposerENS1_16block_id_wrapperIjLb1EEEEE10hipError_tT1_PNSt15iterator_traitsISK_E10value_typeET2_T3_PNSL_ISQ_E10value_typeET4_T5_PSV_SW_PNS1_23onesweep_lookback_stateEbbT6_jjT7_P12ihipStream_tbENKUlT_T0_SK_SP_E_clIPfSE_SF_SF_EEDaS13_S14_SK_SP_EUlS13_E_NS1_11comp_targetILNS1_3genE0ELNS1_11target_archE4294967295ELNS1_3gpuE0ELNS1_3repE0EEENS1_47radix_sort_onesweep_sort_config_static_selectorELNS0_4arch9wavefront6targetE0EEEvSK_.kd
    .uniform_work_group_size: 1
    .uses_dynamic_stack: false
    .vgpr_count:     0
    .vgpr_spill_count: 0
    .wavefront_size: 32
    .workgroup_processor_mode: 1
  - .args:
      - .offset:         0
        .size:           88
        .value_kind:     by_value
    .group_segment_fixed_size: 0
    .kernarg_segment_align: 8
    .kernarg_segment_size: 88
    .language:       OpenCL C
    .language_version:
      - 2
      - 0
    .max_flat_workgroup_size: 1024
    .name:           _ZN7rocprim17ROCPRIM_400000_NS6detail17trampoline_kernelINS0_14default_configENS1_35radix_sort_onesweep_config_selectorIfNS0_10empty_typeEEEZZNS1_29radix_sort_onesweep_iterationIS3_Lb0EN6thrust23THRUST_200600_302600_NS6detail15normal_iteratorINS9_10device_ptrIfEEEESE_PS5_SF_jNS0_19identity_decomposerENS1_16block_id_wrapperIjLb1EEEEE10hipError_tT1_PNSt15iterator_traitsISK_E10value_typeET2_T3_PNSL_ISQ_E10value_typeET4_T5_PSV_SW_PNS1_23onesweep_lookback_stateEbbT6_jjT7_P12ihipStream_tbENKUlT_T0_SK_SP_E_clIPfSE_SF_SF_EEDaS13_S14_SK_SP_EUlS13_E_NS1_11comp_targetILNS1_3genE6ELNS1_11target_archE950ELNS1_3gpuE13ELNS1_3repE0EEENS1_47radix_sort_onesweep_sort_config_static_selectorELNS0_4arch9wavefront6targetE0EEEvSK_
    .private_segment_fixed_size: 0
    .sgpr_count:     0
    .sgpr_spill_count: 0
    .symbol:         _ZN7rocprim17ROCPRIM_400000_NS6detail17trampoline_kernelINS0_14default_configENS1_35radix_sort_onesweep_config_selectorIfNS0_10empty_typeEEEZZNS1_29radix_sort_onesweep_iterationIS3_Lb0EN6thrust23THRUST_200600_302600_NS6detail15normal_iteratorINS9_10device_ptrIfEEEESE_PS5_SF_jNS0_19identity_decomposerENS1_16block_id_wrapperIjLb1EEEEE10hipError_tT1_PNSt15iterator_traitsISK_E10value_typeET2_T3_PNSL_ISQ_E10value_typeET4_T5_PSV_SW_PNS1_23onesweep_lookback_stateEbbT6_jjT7_P12ihipStream_tbENKUlT_T0_SK_SP_E_clIPfSE_SF_SF_EEDaS13_S14_SK_SP_EUlS13_E_NS1_11comp_targetILNS1_3genE6ELNS1_11target_archE950ELNS1_3gpuE13ELNS1_3repE0EEENS1_47radix_sort_onesweep_sort_config_static_selectorELNS0_4arch9wavefront6targetE0EEEvSK_.kd
    .uniform_work_group_size: 1
    .uses_dynamic_stack: false
    .vgpr_count:     0
    .vgpr_spill_count: 0
    .wavefront_size: 32
    .workgroup_processor_mode: 1
  - .args:
      - .offset:         0
        .size:           88
        .value_kind:     by_value
    .group_segment_fixed_size: 0
    .kernarg_segment_align: 8
    .kernarg_segment_size: 88
    .language:       OpenCL C
    .language_version:
      - 2
      - 0
    .max_flat_workgroup_size: 1024
    .name:           _ZN7rocprim17ROCPRIM_400000_NS6detail17trampoline_kernelINS0_14default_configENS1_35radix_sort_onesweep_config_selectorIfNS0_10empty_typeEEEZZNS1_29radix_sort_onesweep_iterationIS3_Lb0EN6thrust23THRUST_200600_302600_NS6detail15normal_iteratorINS9_10device_ptrIfEEEESE_PS5_SF_jNS0_19identity_decomposerENS1_16block_id_wrapperIjLb1EEEEE10hipError_tT1_PNSt15iterator_traitsISK_E10value_typeET2_T3_PNSL_ISQ_E10value_typeET4_T5_PSV_SW_PNS1_23onesweep_lookback_stateEbbT6_jjT7_P12ihipStream_tbENKUlT_T0_SK_SP_E_clIPfSE_SF_SF_EEDaS13_S14_SK_SP_EUlS13_E_NS1_11comp_targetILNS1_3genE5ELNS1_11target_archE942ELNS1_3gpuE9ELNS1_3repE0EEENS1_47radix_sort_onesweep_sort_config_static_selectorELNS0_4arch9wavefront6targetE0EEEvSK_
    .private_segment_fixed_size: 0
    .sgpr_count:     0
    .sgpr_spill_count: 0
    .symbol:         _ZN7rocprim17ROCPRIM_400000_NS6detail17trampoline_kernelINS0_14default_configENS1_35radix_sort_onesweep_config_selectorIfNS0_10empty_typeEEEZZNS1_29radix_sort_onesweep_iterationIS3_Lb0EN6thrust23THRUST_200600_302600_NS6detail15normal_iteratorINS9_10device_ptrIfEEEESE_PS5_SF_jNS0_19identity_decomposerENS1_16block_id_wrapperIjLb1EEEEE10hipError_tT1_PNSt15iterator_traitsISK_E10value_typeET2_T3_PNSL_ISQ_E10value_typeET4_T5_PSV_SW_PNS1_23onesweep_lookback_stateEbbT6_jjT7_P12ihipStream_tbENKUlT_T0_SK_SP_E_clIPfSE_SF_SF_EEDaS13_S14_SK_SP_EUlS13_E_NS1_11comp_targetILNS1_3genE5ELNS1_11target_archE942ELNS1_3gpuE9ELNS1_3repE0EEENS1_47radix_sort_onesweep_sort_config_static_selectorELNS0_4arch9wavefront6targetE0EEEvSK_.kd
    .uniform_work_group_size: 1
    .uses_dynamic_stack: false
    .vgpr_count:     0
    .vgpr_spill_count: 0
    .wavefront_size: 32
    .workgroup_processor_mode: 1
  - .args:
      - .offset:         0
        .size:           88
        .value_kind:     by_value
    .group_segment_fixed_size: 0
    .kernarg_segment_align: 8
    .kernarg_segment_size: 88
    .language:       OpenCL C
    .language_version:
      - 2
      - 0
    .max_flat_workgroup_size: 512
    .name:           _ZN7rocprim17ROCPRIM_400000_NS6detail17trampoline_kernelINS0_14default_configENS1_35radix_sort_onesweep_config_selectorIfNS0_10empty_typeEEEZZNS1_29radix_sort_onesweep_iterationIS3_Lb0EN6thrust23THRUST_200600_302600_NS6detail15normal_iteratorINS9_10device_ptrIfEEEESE_PS5_SF_jNS0_19identity_decomposerENS1_16block_id_wrapperIjLb1EEEEE10hipError_tT1_PNSt15iterator_traitsISK_E10value_typeET2_T3_PNSL_ISQ_E10value_typeET4_T5_PSV_SW_PNS1_23onesweep_lookback_stateEbbT6_jjT7_P12ihipStream_tbENKUlT_T0_SK_SP_E_clIPfSE_SF_SF_EEDaS13_S14_SK_SP_EUlS13_E_NS1_11comp_targetILNS1_3genE2ELNS1_11target_archE906ELNS1_3gpuE6ELNS1_3repE0EEENS1_47radix_sort_onesweep_sort_config_static_selectorELNS0_4arch9wavefront6targetE0EEEvSK_
    .private_segment_fixed_size: 0
    .sgpr_count:     0
    .sgpr_spill_count: 0
    .symbol:         _ZN7rocprim17ROCPRIM_400000_NS6detail17trampoline_kernelINS0_14default_configENS1_35radix_sort_onesweep_config_selectorIfNS0_10empty_typeEEEZZNS1_29radix_sort_onesweep_iterationIS3_Lb0EN6thrust23THRUST_200600_302600_NS6detail15normal_iteratorINS9_10device_ptrIfEEEESE_PS5_SF_jNS0_19identity_decomposerENS1_16block_id_wrapperIjLb1EEEEE10hipError_tT1_PNSt15iterator_traitsISK_E10value_typeET2_T3_PNSL_ISQ_E10value_typeET4_T5_PSV_SW_PNS1_23onesweep_lookback_stateEbbT6_jjT7_P12ihipStream_tbENKUlT_T0_SK_SP_E_clIPfSE_SF_SF_EEDaS13_S14_SK_SP_EUlS13_E_NS1_11comp_targetILNS1_3genE2ELNS1_11target_archE906ELNS1_3gpuE6ELNS1_3repE0EEENS1_47radix_sort_onesweep_sort_config_static_selectorELNS0_4arch9wavefront6targetE0EEEvSK_.kd
    .uniform_work_group_size: 1
    .uses_dynamic_stack: false
    .vgpr_count:     0
    .vgpr_spill_count: 0
    .wavefront_size: 32
    .workgroup_processor_mode: 1
  - .args:
      - .offset:         0
        .size:           88
        .value_kind:     by_value
    .group_segment_fixed_size: 0
    .kernarg_segment_align: 8
    .kernarg_segment_size: 88
    .language:       OpenCL C
    .language_version:
      - 2
      - 0
    .max_flat_workgroup_size: 1024
    .name:           _ZN7rocprim17ROCPRIM_400000_NS6detail17trampoline_kernelINS0_14default_configENS1_35radix_sort_onesweep_config_selectorIfNS0_10empty_typeEEEZZNS1_29radix_sort_onesweep_iterationIS3_Lb0EN6thrust23THRUST_200600_302600_NS6detail15normal_iteratorINS9_10device_ptrIfEEEESE_PS5_SF_jNS0_19identity_decomposerENS1_16block_id_wrapperIjLb1EEEEE10hipError_tT1_PNSt15iterator_traitsISK_E10value_typeET2_T3_PNSL_ISQ_E10value_typeET4_T5_PSV_SW_PNS1_23onesweep_lookback_stateEbbT6_jjT7_P12ihipStream_tbENKUlT_T0_SK_SP_E_clIPfSE_SF_SF_EEDaS13_S14_SK_SP_EUlS13_E_NS1_11comp_targetILNS1_3genE4ELNS1_11target_archE910ELNS1_3gpuE8ELNS1_3repE0EEENS1_47radix_sort_onesweep_sort_config_static_selectorELNS0_4arch9wavefront6targetE0EEEvSK_
    .private_segment_fixed_size: 0
    .sgpr_count:     0
    .sgpr_spill_count: 0
    .symbol:         _ZN7rocprim17ROCPRIM_400000_NS6detail17trampoline_kernelINS0_14default_configENS1_35radix_sort_onesweep_config_selectorIfNS0_10empty_typeEEEZZNS1_29radix_sort_onesweep_iterationIS3_Lb0EN6thrust23THRUST_200600_302600_NS6detail15normal_iteratorINS9_10device_ptrIfEEEESE_PS5_SF_jNS0_19identity_decomposerENS1_16block_id_wrapperIjLb1EEEEE10hipError_tT1_PNSt15iterator_traitsISK_E10value_typeET2_T3_PNSL_ISQ_E10value_typeET4_T5_PSV_SW_PNS1_23onesweep_lookback_stateEbbT6_jjT7_P12ihipStream_tbENKUlT_T0_SK_SP_E_clIPfSE_SF_SF_EEDaS13_S14_SK_SP_EUlS13_E_NS1_11comp_targetILNS1_3genE4ELNS1_11target_archE910ELNS1_3gpuE8ELNS1_3repE0EEENS1_47radix_sort_onesweep_sort_config_static_selectorELNS0_4arch9wavefront6targetE0EEEvSK_.kd
    .uniform_work_group_size: 1
    .uses_dynamic_stack: false
    .vgpr_count:     0
    .vgpr_spill_count: 0
    .wavefront_size: 32
    .workgroup_processor_mode: 1
  - .args:
      - .offset:         0
        .size:           88
        .value_kind:     by_value
    .group_segment_fixed_size: 0
    .kernarg_segment_align: 8
    .kernarg_segment_size: 88
    .language:       OpenCL C
    .language_version:
      - 2
      - 0
    .max_flat_workgroup_size: 512
    .name:           _ZN7rocprim17ROCPRIM_400000_NS6detail17trampoline_kernelINS0_14default_configENS1_35radix_sort_onesweep_config_selectorIfNS0_10empty_typeEEEZZNS1_29radix_sort_onesweep_iterationIS3_Lb0EN6thrust23THRUST_200600_302600_NS6detail15normal_iteratorINS9_10device_ptrIfEEEESE_PS5_SF_jNS0_19identity_decomposerENS1_16block_id_wrapperIjLb1EEEEE10hipError_tT1_PNSt15iterator_traitsISK_E10value_typeET2_T3_PNSL_ISQ_E10value_typeET4_T5_PSV_SW_PNS1_23onesweep_lookback_stateEbbT6_jjT7_P12ihipStream_tbENKUlT_T0_SK_SP_E_clIPfSE_SF_SF_EEDaS13_S14_SK_SP_EUlS13_E_NS1_11comp_targetILNS1_3genE3ELNS1_11target_archE908ELNS1_3gpuE7ELNS1_3repE0EEENS1_47radix_sort_onesweep_sort_config_static_selectorELNS0_4arch9wavefront6targetE0EEEvSK_
    .private_segment_fixed_size: 0
    .sgpr_count:     0
    .sgpr_spill_count: 0
    .symbol:         _ZN7rocprim17ROCPRIM_400000_NS6detail17trampoline_kernelINS0_14default_configENS1_35radix_sort_onesweep_config_selectorIfNS0_10empty_typeEEEZZNS1_29radix_sort_onesweep_iterationIS3_Lb0EN6thrust23THRUST_200600_302600_NS6detail15normal_iteratorINS9_10device_ptrIfEEEESE_PS5_SF_jNS0_19identity_decomposerENS1_16block_id_wrapperIjLb1EEEEE10hipError_tT1_PNSt15iterator_traitsISK_E10value_typeET2_T3_PNSL_ISQ_E10value_typeET4_T5_PSV_SW_PNS1_23onesweep_lookback_stateEbbT6_jjT7_P12ihipStream_tbENKUlT_T0_SK_SP_E_clIPfSE_SF_SF_EEDaS13_S14_SK_SP_EUlS13_E_NS1_11comp_targetILNS1_3genE3ELNS1_11target_archE908ELNS1_3gpuE7ELNS1_3repE0EEENS1_47radix_sort_onesweep_sort_config_static_selectorELNS0_4arch9wavefront6targetE0EEEvSK_.kd
    .uniform_work_group_size: 1
    .uses_dynamic_stack: false
    .vgpr_count:     0
    .vgpr_spill_count: 0
    .wavefront_size: 32
    .workgroup_processor_mode: 1
  - .args:
      - .offset:         0
        .size:           88
        .value_kind:     by_value
    .group_segment_fixed_size: 0
    .kernarg_segment_align: 8
    .kernarg_segment_size: 88
    .language:       OpenCL C
    .language_version:
      - 2
      - 0
    .max_flat_workgroup_size: 512
    .name:           _ZN7rocprim17ROCPRIM_400000_NS6detail17trampoline_kernelINS0_14default_configENS1_35radix_sort_onesweep_config_selectorIfNS0_10empty_typeEEEZZNS1_29radix_sort_onesweep_iterationIS3_Lb0EN6thrust23THRUST_200600_302600_NS6detail15normal_iteratorINS9_10device_ptrIfEEEESE_PS5_SF_jNS0_19identity_decomposerENS1_16block_id_wrapperIjLb1EEEEE10hipError_tT1_PNSt15iterator_traitsISK_E10value_typeET2_T3_PNSL_ISQ_E10value_typeET4_T5_PSV_SW_PNS1_23onesweep_lookback_stateEbbT6_jjT7_P12ihipStream_tbENKUlT_T0_SK_SP_E_clIPfSE_SF_SF_EEDaS13_S14_SK_SP_EUlS13_E_NS1_11comp_targetILNS1_3genE10ELNS1_11target_archE1201ELNS1_3gpuE5ELNS1_3repE0EEENS1_47radix_sort_onesweep_sort_config_static_selectorELNS0_4arch9wavefront6targetE0EEEvSK_
    .private_segment_fixed_size: 0
    .sgpr_count:     0
    .sgpr_spill_count: 0
    .symbol:         _ZN7rocprim17ROCPRIM_400000_NS6detail17trampoline_kernelINS0_14default_configENS1_35radix_sort_onesweep_config_selectorIfNS0_10empty_typeEEEZZNS1_29radix_sort_onesweep_iterationIS3_Lb0EN6thrust23THRUST_200600_302600_NS6detail15normal_iteratorINS9_10device_ptrIfEEEESE_PS5_SF_jNS0_19identity_decomposerENS1_16block_id_wrapperIjLb1EEEEE10hipError_tT1_PNSt15iterator_traitsISK_E10value_typeET2_T3_PNSL_ISQ_E10value_typeET4_T5_PSV_SW_PNS1_23onesweep_lookback_stateEbbT6_jjT7_P12ihipStream_tbENKUlT_T0_SK_SP_E_clIPfSE_SF_SF_EEDaS13_S14_SK_SP_EUlS13_E_NS1_11comp_targetILNS1_3genE10ELNS1_11target_archE1201ELNS1_3gpuE5ELNS1_3repE0EEENS1_47radix_sort_onesweep_sort_config_static_selectorELNS0_4arch9wavefront6targetE0EEEvSK_.kd
    .uniform_work_group_size: 1
    .uses_dynamic_stack: false
    .vgpr_count:     0
    .vgpr_spill_count: 0
    .wavefront_size: 32
    .workgroup_processor_mode: 1
  - .args:
      - .offset:         0
        .size:           88
        .value_kind:     by_value
    .group_segment_fixed_size: 0
    .kernarg_segment_align: 8
    .kernarg_segment_size: 88
    .language:       OpenCL C
    .language_version:
      - 2
      - 0
    .max_flat_workgroup_size: 1024
    .name:           _ZN7rocprim17ROCPRIM_400000_NS6detail17trampoline_kernelINS0_14default_configENS1_35radix_sort_onesweep_config_selectorIfNS0_10empty_typeEEEZZNS1_29radix_sort_onesweep_iterationIS3_Lb0EN6thrust23THRUST_200600_302600_NS6detail15normal_iteratorINS9_10device_ptrIfEEEESE_PS5_SF_jNS0_19identity_decomposerENS1_16block_id_wrapperIjLb1EEEEE10hipError_tT1_PNSt15iterator_traitsISK_E10value_typeET2_T3_PNSL_ISQ_E10value_typeET4_T5_PSV_SW_PNS1_23onesweep_lookback_stateEbbT6_jjT7_P12ihipStream_tbENKUlT_T0_SK_SP_E_clIPfSE_SF_SF_EEDaS13_S14_SK_SP_EUlS13_E_NS1_11comp_targetILNS1_3genE9ELNS1_11target_archE1100ELNS1_3gpuE3ELNS1_3repE0EEENS1_47radix_sort_onesweep_sort_config_static_selectorELNS0_4arch9wavefront6targetE0EEEvSK_
    .private_segment_fixed_size: 0
    .sgpr_count:     0
    .sgpr_spill_count: 0
    .symbol:         _ZN7rocprim17ROCPRIM_400000_NS6detail17trampoline_kernelINS0_14default_configENS1_35radix_sort_onesweep_config_selectorIfNS0_10empty_typeEEEZZNS1_29radix_sort_onesweep_iterationIS3_Lb0EN6thrust23THRUST_200600_302600_NS6detail15normal_iteratorINS9_10device_ptrIfEEEESE_PS5_SF_jNS0_19identity_decomposerENS1_16block_id_wrapperIjLb1EEEEE10hipError_tT1_PNSt15iterator_traitsISK_E10value_typeET2_T3_PNSL_ISQ_E10value_typeET4_T5_PSV_SW_PNS1_23onesweep_lookback_stateEbbT6_jjT7_P12ihipStream_tbENKUlT_T0_SK_SP_E_clIPfSE_SF_SF_EEDaS13_S14_SK_SP_EUlS13_E_NS1_11comp_targetILNS1_3genE9ELNS1_11target_archE1100ELNS1_3gpuE3ELNS1_3repE0EEENS1_47radix_sort_onesweep_sort_config_static_selectorELNS0_4arch9wavefront6targetE0EEEvSK_.kd
    .uniform_work_group_size: 1
    .uses_dynamic_stack: false
    .vgpr_count:     0
    .vgpr_spill_count: 0
    .wavefront_size: 32
    .workgroup_processor_mode: 1
  - .args:
      - .offset:         0
        .size:           88
        .value_kind:     by_value
      - .offset:         88
        .size:           4
        .value_kind:     hidden_block_count_x
      - .offset:         92
        .size:           4
        .value_kind:     hidden_block_count_y
      - .offset:         96
        .size:           4
        .value_kind:     hidden_block_count_z
      - .offset:         100
        .size:           2
        .value_kind:     hidden_group_size_x
      - .offset:         102
        .size:           2
        .value_kind:     hidden_group_size_y
      - .offset:         104
        .size:           2
        .value_kind:     hidden_group_size_z
      - .offset:         106
        .size:           2
        .value_kind:     hidden_remainder_x
      - .offset:         108
        .size:           2
        .value_kind:     hidden_remainder_y
      - .offset:         110
        .size:           2
        .value_kind:     hidden_remainder_z
      - .offset:         128
        .size:           8
        .value_kind:     hidden_global_offset_x
      - .offset:         136
        .size:           8
        .value_kind:     hidden_global_offset_y
      - .offset:         144
        .size:           8
        .value_kind:     hidden_global_offset_z
      - .offset:         152
        .size:           2
        .value_kind:     hidden_grid_dims
    .group_segment_fixed_size: 37000
    .kernarg_segment_align: 8
    .kernarg_segment_size: 344
    .language:       OpenCL C
    .language_version:
      - 2
      - 0
    .max_flat_workgroup_size: 1024
    .name:           _ZN7rocprim17ROCPRIM_400000_NS6detail17trampoline_kernelINS0_14default_configENS1_35radix_sort_onesweep_config_selectorIfNS0_10empty_typeEEEZZNS1_29radix_sort_onesweep_iterationIS3_Lb0EN6thrust23THRUST_200600_302600_NS6detail15normal_iteratorINS9_10device_ptrIfEEEESE_PS5_SF_jNS0_19identity_decomposerENS1_16block_id_wrapperIjLb1EEEEE10hipError_tT1_PNSt15iterator_traitsISK_E10value_typeET2_T3_PNSL_ISQ_E10value_typeET4_T5_PSV_SW_PNS1_23onesweep_lookback_stateEbbT6_jjT7_P12ihipStream_tbENKUlT_T0_SK_SP_E_clIPfSE_SF_SF_EEDaS13_S14_SK_SP_EUlS13_E_NS1_11comp_targetILNS1_3genE8ELNS1_11target_archE1030ELNS1_3gpuE2ELNS1_3repE0EEENS1_47radix_sort_onesweep_sort_config_static_selectorELNS0_4arch9wavefront6targetE0EEEvSK_
    .private_segment_fixed_size: 0
    .sgpr_count:     30
    .sgpr_spill_count: 0
    .symbol:         _ZN7rocprim17ROCPRIM_400000_NS6detail17trampoline_kernelINS0_14default_configENS1_35radix_sort_onesweep_config_selectorIfNS0_10empty_typeEEEZZNS1_29radix_sort_onesweep_iterationIS3_Lb0EN6thrust23THRUST_200600_302600_NS6detail15normal_iteratorINS9_10device_ptrIfEEEESE_PS5_SF_jNS0_19identity_decomposerENS1_16block_id_wrapperIjLb1EEEEE10hipError_tT1_PNSt15iterator_traitsISK_E10value_typeET2_T3_PNSL_ISQ_E10value_typeET4_T5_PSV_SW_PNS1_23onesweep_lookback_stateEbbT6_jjT7_P12ihipStream_tbENKUlT_T0_SK_SP_E_clIPfSE_SF_SF_EEDaS13_S14_SK_SP_EUlS13_E_NS1_11comp_targetILNS1_3genE8ELNS1_11target_archE1030ELNS1_3gpuE2ELNS1_3repE0EEENS1_47radix_sort_onesweep_sort_config_static_selectorELNS0_4arch9wavefront6targetE0EEEvSK_.kd
    .uniform_work_group_size: 1
    .uses_dynamic_stack: false
    .vgpr_count:     42
    .vgpr_spill_count: 0
    .wavefront_size: 32
    .workgroup_processor_mode: 1
  - .args:
      - .offset:         0
        .size:           88
        .value_kind:     by_value
    .group_segment_fixed_size: 0
    .kernarg_segment_align: 8
    .kernarg_segment_size: 88
    .language:       OpenCL C
    .language_version:
      - 2
      - 0
    .max_flat_workgroup_size: 512
    .name:           _ZN7rocprim17ROCPRIM_400000_NS6detail17trampoline_kernelINS0_14default_configENS1_35radix_sort_onesweep_config_selectorIfNS0_10empty_typeEEEZZNS1_29radix_sort_onesweep_iterationIS3_Lb0EN6thrust23THRUST_200600_302600_NS6detail15normal_iteratorINS9_10device_ptrIfEEEESE_PS5_SF_jNS0_19identity_decomposerENS1_16block_id_wrapperIjLb0EEEEE10hipError_tT1_PNSt15iterator_traitsISK_E10value_typeET2_T3_PNSL_ISQ_E10value_typeET4_T5_PSV_SW_PNS1_23onesweep_lookback_stateEbbT6_jjT7_P12ihipStream_tbENKUlT_T0_SK_SP_E_clISE_SE_SF_SF_EEDaS13_S14_SK_SP_EUlS13_E_NS1_11comp_targetILNS1_3genE0ELNS1_11target_archE4294967295ELNS1_3gpuE0ELNS1_3repE0EEENS1_47radix_sort_onesweep_sort_config_static_selectorELNS0_4arch9wavefront6targetE0EEEvSK_
    .private_segment_fixed_size: 0
    .sgpr_count:     0
    .sgpr_spill_count: 0
    .symbol:         _ZN7rocprim17ROCPRIM_400000_NS6detail17trampoline_kernelINS0_14default_configENS1_35radix_sort_onesweep_config_selectorIfNS0_10empty_typeEEEZZNS1_29radix_sort_onesweep_iterationIS3_Lb0EN6thrust23THRUST_200600_302600_NS6detail15normal_iteratorINS9_10device_ptrIfEEEESE_PS5_SF_jNS0_19identity_decomposerENS1_16block_id_wrapperIjLb0EEEEE10hipError_tT1_PNSt15iterator_traitsISK_E10value_typeET2_T3_PNSL_ISQ_E10value_typeET4_T5_PSV_SW_PNS1_23onesweep_lookback_stateEbbT6_jjT7_P12ihipStream_tbENKUlT_T0_SK_SP_E_clISE_SE_SF_SF_EEDaS13_S14_SK_SP_EUlS13_E_NS1_11comp_targetILNS1_3genE0ELNS1_11target_archE4294967295ELNS1_3gpuE0ELNS1_3repE0EEENS1_47radix_sort_onesweep_sort_config_static_selectorELNS0_4arch9wavefront6targetE0EEEvSK_.kd
    .uniform_work_group_size: 1
    .uses_dynamic_stack: false
    .vgpr_count:     0
    .vgpr_spill_count: 0
    .wavefront_size: 32
    .workgroup_processor_mode: 1
  - .args:
      - .offset:         0
        .size:           88
        .value_kind:     by_value
    .group_segment_fixed_size: 0
    .kernarg_segment_align: 8
    .kernarg_segment_size: 88
    .language:       OpenCL C
    .language_version:
      - 2
      - 0
    .max_flat_workgroup_size: 1024
    .name:           _ZN7rocprim17ROCPRIM_400000_NS6detail17trampoline_kernelINS0_14default_configENS1_35radix_sort_onesweep_config_selectorIfNS0_10empty_typeEEEZZNS1_29radix_sort_onesweep_iterationIS3_Lb0EN6thrust23THRUST_200600_302600_NS6detail15normal_iteratorINS9_10device_ptrIfEEEESE_PS5_SF_jNS0_19identity_decomposerENS1_16block_id_wrapperIjLb0EEEEE10hipError_tT1_PNSt15iterator_traitsISK_E10value_typeET2_T3_PNSL_ISQ_E10value_typeET4_T5_PSV_SW_PNS1_23onesweep_lookback_stateEbbT6_jjT7_P12ihipStream_tbENKUlT_T0_SK_SP_E_clISE_SE_SF_SF_EEDaS13_S14_SK_SP_EUlS13_E_NS1_11comp_targetILNS1_3genE6ELNS1_11target_archE950ELNS1_3gpuE13ELNS1_3repE0EEENS1_47radix_sort_onesweep_sort_config_static_selectorELNS0_4arch9wavefront6targetE0EEEvSK_
    .private_segment_fixed_size: 0
    .sgpr_count:     0
    .sgpr_spill_count: 0
    .symbol:         _ZN7rocprim17ROCPRIM_400000_NS6detail17trampoline_kernelINS0_14default_configENS1_35radix_sort_onesweep_config_selectorIfNS0_10empty_typeEEEZZNS1_29radix_sort_onesweep_iterationIS3_Lb0EN6thrust23THRUST_200600_302600_NS6detail15normal_iteratorINS9_10device_ptrIfEEEESE_PS5_SF_jNS0_19identity_decomposerENS1_16block_id_wrapperIjLb0EEEEE10hipError_tT1_PNSt15iterator_traitsISK_E10value_typeET2_T3_PNSL_ISQ_E10value_typeET4_T5_PSV_SW_PNS1_23onesweep_lookback_stateEbbT6_jjT7_P12ihipStream_tbENKUlT_T0_SK_SP_E_clISE_SE_SF_SF_EEDaS13_S14_SK_SP_EUlS13_E_NS1_11comp_targetILNS1_3genE6ELNS1_11target_archE950ELNS1_3gpuE13ELNS1_3repE0EEENS1_47radix_sort_onesweep_sort_config_static_selectorELNS0_4arch9wavefront6targetE0EEEvSK_.kd
    .uniform_work_group_size: 1
    .uses_dynamic_stack: false
    .vgpr_count:     0
    .vgpr_spill_count: 0
    .wavefront_size: 32
    .workgroup_processor_mode: 1
  - .args:
      - .offset:         0
        .size:           88
        .value_kind:     by_value
    .group_segment_fixed_size: 0
    .kernarg_segment_align: 8
    .kernarg_segment_size: 88
    .language:       OpenCL C
    .language_version:
      - 2
      - 0
    .max_flat_workgroup_size: 1024
    .name:           _ZN7rocprim17ROCPRIM_400000_NS6detail17trampoline_kernelINS0_14default_configENS1_35radix_sort_onesweep_config_selectorIfNS0_10empty_typeEEEZZNS1_29radix_sort_onesweep_iterationIS3_Lb0EN6thrust23THRUST_200600_302600_NS6detail15normal_iteratorINS9_10device_ptrIfEEEESE_PS5_SF_jNS0_19identity_decomposerENS1_16block_id_wrapperIjLb0EEEEE10hipError_tT1_PNSt15iterator_traitsISK_E10value_typeET2_T3_PNSL_ISQ_E10value_typeET4_T5_PSV_SW_PNS1_23onesweep_lookback_stateEbbT6_jjT7_P12ihipStream_tbENKUlT_T0_SK_SP_E_clISE_SE_SF_SF_EEDaS13_S14_SK_SP_EUlS13_E_NS1_11comp_targetILNS1_3genE5ELNS1_11target_archE942ELNS1_3gpuE9ELNS1_3repE0EEENS1_47radix_sort_onesweep_sort_config_static_selectorELNS0_4arch9wavefront6targetE0EEEvSK_
    .private_segment_fixed_size: 0
    .sgpr_count:     0
    .sgpr_spill_count: 0
    .symbol:         _ZN7rocprim17ROCPRIM_400000_NS6detail17trampoline_kernelINS0_14default_configENS1_35radix_sort_onesweep_config_selectorIfNS0_10empty_typeEEEZZNS1_29radix_sort_onesweep_iterationIS3_Lb0EN6thrust23THRUST_200600_302600_NS6detail15normal_iteratorINS9_10device_ptrIfEEEESE_PS5_SF_jNS0_19identity_decomposerENS1_16block_id_wrapperIjLb0EEEEE10hipError_tT1_PNSt15iterator_traitsISK_E10value_typeET2_T3_PNSL_ISQ_E10value_typeET4_T5_PSV_SW_PNS1_23onesweep_lookback_stateEbbT6_jjT7_P12ihipStream_tbENKUlT_T0_SK_SP_E_clISE_SE_SF_SF_EEDaS13_S14_SK_SP_EUlS13_E_NS1_11comp_targetILNS1_3genE5ELNS1_11target_archE942ELNS1_3gpuE9ELNS1_3repE0EEENS1_47radix_sort_onesweep_sort_config_static_selectorELNS0_4arch9wavefront6targetE0EEEvSK_.kd
    .uniform_work_group_size: 1
    .uses_dynamic_stack: false
    .vgpr_count:     0
    .vgpr_spill_count: 0
    .wavefront_size: 32
    .workgroup_processor_mode: 1
  - .args:
      - .offset:         0
        .size:           88
        .value_kind:     by_value
    .group_segment_fixed_size: 0
    .kernarg_segment_align: 8
    .kernarg_segment_size: 88
    .language:       OpenCL C
    .language_version:
      - 2
      - 0
    .max_flat_workgroup_size: 512
    .name:           _ZN7rocprim17ROCPRIM_400000_NS6detail17trampoline_kernelINS0_14default_configENS1_35radix_sort_onesweep_config_selectorIfNS0_10empty_typeEEEZZNS1_29radix_sort_onesweep_iterationIS3_Lb0EN6thrust23THRUST_200600_302600_NS6detail15normal_iteratorINS9_10device_ptrIfEEEESE_PS5_SF_jNS0_19identity_decomposerENS1_16block_id_wrapperIjLb0EEEEE10hipError_tT1_PNSt15iterator_traitsISK_E10value_typeET2_T3_PNSL_ISQ_E10value_typeET4_T5_PSV_SW_PNS1_23onesweep_lookback_stateEbbT6_jjT7_P12ihipStream_tbENKUlT_T0_SK_SP_E_clISE_SE_SF_SF_EEDaS13_S14_SK_SP_EUlS13_E_NS1_11comp_targetILNS1_3genE2ELNS1_11target_archE906ELNS1_3gpuE6ELNS1_3repE0EEENS1_47radix_sort_onesweep_sort_config_static_selectorELNS0_4arch9wavefront6targetE0EEEvSK_
    .private_segment_fixed_size: 0
    .sgpr_count:     0
    .sgpr_spill_count: 0
    .symbol:         _ZN7rocprim17ROCPRIM_400000_NS6detail17trampoline_kernelINS0_14default_configENS1_35radix_sort_onesweep_config_selectorIfNS0_10empty_typeEEEZZNS1_29radix_sort_onesweep_iterationIS3_Lb0EN6thrust23THRUST_200600_302600_NS6detail15normal_iteratorINS9_10device_ptrIfEEEESE_PS5_SF_jNS0_19identity_decomposerENS1_16block_id_wrapperIjLb0EEEEE10hipError_tT1_PNSt15iterator_traitsISK_E10value_typeET2_T3_PNSL_ISQ_E10value_typeET4_T5_PSV_SW_PNS1_23onesweep_lookback_stateEbbT6_jjT7_P12ihipStream_tbENKUlT_T0_SK_SP_E_clISE_SE_SF_SF_EEDaS13_S14_SK_SP_EUlS13_E_NS1_11comp_targetILNS1_3genE2ELNS1_11target_archE906ELNS1_3gpuE6ELNS1_3repE0EEENS1_47radix_sort_onesweep_sort_config_static_selectorELNS0_4arch9wavefront6targetE0EEEvSK_.kd
    .uniform_work_group_size: 1
    .uses_dynamic_stack: false
    .vgpr_count:     0
    .vgpr_spill_count: 0
    .wavefront_size: 32
    .workgroup_processor_mode: 1
  - .args:
      - .offset:         0
        .size:           88
        .value_kind:     by_value
    .group_segment_fixed_size: 0
    .kernarg_segment_align: 8
    .kernarg_segment_size: 88
    .language:       OpenCL C
    .language_version:
      - 2
      - 0
    .max_flat_workgroup_size: 1024
    .name:           _ZN7rocprim17ROCPRIM_400000_NS6detail17trampoline_kernelINS0_14default_configENS1_35radix_sort_onesweep_config_selectorIfNS0_10empty_typeEEEZZNS1_29radix_sort_onesweep_iterationIS3_Lb0EN6thrust23THRUST_200600_302600_NS6detail15normal_iteratorINS9_10device_ptrIfEEEESE_PS5_SF_jNS0_19identity_decomposerENS1_16block_id_wrapperIjLb0EEEEE10hipError_tT1_PNSt15iterator_traitsISK_E10value_typeET2_T3_PNSL_ISQ_E10value_typeET4_T5_PSV_SW_PNS1_23onesweep_lookback_stateEbbT6_jjT7_P12ihipStream_tbENKUlT_T0_SK_SP_E_clISE_SE_SF_SF_EEDaS13_S14_SK_SP_EUlS13_E_NS1_11comp_targetILNS1_3genE4ELNS1_11target_archE910ELNS1_3gpuE8ELNS1_3repE0EEENS1_47radix_sort_onesweep_sort_config_static_selectorELNS0_4arch9wavefront6targetE0EEEvSK_
    .private_segment_fixed_size: 0
    .sgpr_count:     0
    .sgpr_spill_count: 0
    .symbol:         _ZN7rocprim17ROCPRIM_400000_NS6detail17trampoline_kernelINS0_14default_configENS1_35radix_sort_onesweep_config_selectorIfNS0_10empty_typeEEEZZNS1_29radix_sort_onesweep_iterationIS3_Lb0EN6thrust23THRUST_200600_302600_NS6detail15normal_iteratorINS9_10device_ptrIfEEEESE_PS5_SF_jNS0_19identity_decomposerENS1_16block_id_wrapperIjLb0EEEEE10hipError_tT1_PNSt15iterator_traitsISK_E10value_typeET2_T3_PNSL_ISQ_E10value_typeET4_T5_PSV_SW_PNS1_23onesweep_lookback_stateEbbT6_jjT7_P12ihipStream_tbENKUlT_T0_SK_SP_E_clISE_SE_SF_SF_EEDaS13_S14_SK_SP_EUlS13_E_NS1_11comp_targetILNS1_3genE4ELNS1_11target_archE910ELNS1_3gpuE8ELNS1_3repE0EEENS1_47radix_sort_onesweep_sort_config_static_selectorELNS0_4arch9wavefront6targetE0EEEvSK_.kd
    .uniform_work_group_size: 1
    .uses_dynamic_stack: false
    .vgpr_count:     0
    .vgpr_spill_count: 0
    .wavefront_size: 32
    .workgroup_processor_mode: 1
  - .args:
      - .offset:         0
        .size:           88
        .value_kind:     by_value
    .group_segment_fixed_size: 0
    .kernarg_segment_align: 8
    .kernarg_segment_size: 88
    .language:       OpenCL C
    .language_version:
      - 2
      - 0
    .max_flat_workgroup_size: 512
    .name:           _ZN7rocprim17ROCPRIM_400000_NS6detail17trampoline_kernelINS0_14default_configENS1_35radix_sort_onesweep_config_selectorIfNS0_10empty_typeEEEZZNS1_29radix_sort_onesweep_iterationIS3_Lb0EN6thrust23THRUST_200600_302600_NS6detail15normal_iteratorINS9_10device_ptrIfEEEESE_PS5_SF_jNS0_19identity_decomposerENS1_16block_id_wrapperIjLb0EEEEE10hipError_tT1_PNSt15iterator_traitsISK_E10value_typeET2_T3_PNSL_ISQ_E10value_typeET4_T5_PSV_SW_PNS1_23onesweep_lookback_stateEbbT6_jjT7_P12ihipStream_tbENKUlT_T0_SK_SP_E_clISE_SE_SF_SF_EEDaS13_S14_SK_SP_EUlS13_E_NS1_11comp_targetILNS1_3genE3ELNS1_11target_archE908ELNS1_3gpuE7ELNS1_3repE0EEENS1_47radix_sort_onesweep_sort_config_static_selectorELNS0_4arch9wavefront6targetE0EEEvSK_
    .private_segment_fixed_size: 0
    .sgpr_count:     0
    .sgpr_spill_count: 0
    .symbol:         _ZN7rocprim17ROCPRIM_400000_NS6detail17trampoline_kernelINS0_14default_configENS1_35radix_sort_onesweep_config_selectorIfNS0_10empty_typeEEEZZNS1_29radix_sort_onesweep_iterationIS3_Lb0EN6thrust23THRUST_200600_302600_NS6detail15normal_iteratorINS9_10device_ptrIfEEEESE_PS5_SF_jNS0_19identity_decomposerENS1_16block_id_wrapperIjLb0EEEEE10hipError_tT1_PNSt15iterator_traitsISK_E10value_typeET2_T3_PNSL_ISQ_E10value_typeET4_T5_PSV_SW_PNS1_23onesweep_lookback_stateEbbT6_jjT7_P12ihipStream_tbENKUlT_T0_SK_SP_E_clISE_SE_SF_SF_EEDaS13_S14_SK_SP_EUlS13_E_NS1_11comp_targetILNS1_3genE3ELNS1_11target_archE908ELNS1_3gpuE7ELNS1_3repE0EEENS1_47radix_sort_onesweep_sort_config_static_selectorELNS0_4arch9wavefront6targetE0EEEvSK_.kd
    .uniform_work_group_size: 1
    .uses_dynamic_stack: false
    .vgpr_count:     0
    .vgpr_spill_count: 0
    .wavefront_size: 32
    .workgroup_processor_mode: 1
  - .args:
      - .offset:         0
        .size:           88
        .value_kind:     by_value
    .group_segment_fixed_size: 0
    .kernarg_segment_align: 8
    .kernarg_segment_size: 88
    .language:       OpenCL C
    .language_version:
      - 2
      - 0
    .max_flat_workgroup_size: 512
    .name:           _ZN7rocprim17ROCPRIM_400000_NS6detail17trampoline_kernelINS0_14default_configENS1_35radix_sort_onesweep_config_selectorIfNS0_10empty_typeEEEZZNS1_29radix_sort_onesweep_iterationIS3_Lb0EN6thrust23THRUST_200600_302600_NS6detail15normal_iteratorINS9_10device_ptrIfEEEESE_PS5_SF_jNS0_19identity_decomposerENS1_16block_id_wrapperIjLb0EEEEE10hipError_tT1_PNSt15iterator_traitsISK_E10value_typeET2_T3_PNSL_ISQ_E10value_typeET4_T5_PSV_SW_PNS1_23onesweep_lookback_stateEbbT6_jjT7_P12ihipStream_tbENKUlT_T0_SK_SP_E_clISE_SE_SF_SF_EEDaS13_S14_SK_SP_EUlS13_E_NS1_11comp_targetILNS1_3genE10ELNS1_11target_archE1201ELNS1_3gpuE5ELNS1_3repE0EEENS1_47radix_sort_onesweep_sort_config_static_selectorELNS0_4arch9wavefront6targetE0EEEvSK_
    .private_segment_fixed_size: 0
    .sgpr_count:     0
    .sgpr_spill_count: 0
    .symbol:         _ZN7rocprim17ROCPRIM_400000_NS6detail17trampoline_kernelINS0_14default_configENS1_35radix_sort_onesweep_config_selectorIfNS0_10empty_typeEEEZZNS1_29radix_sort_onesweep_iterationIS3_Lb0EN6thrust23THRUST_200600_302600_NS6detail15normal_iteratorINS9_10device_ptrIfEEEESE_PS5_SF_jNS0_19identity_decomposerENS1_16block_id_wrapperIjLb0EEEEE10hipError_tT1_PNSt15iterator_traitsISK_E10value_typeET2_T3_PNSL_ISQ_E10value_typeET4_T5_PSV_SW_PNS1_23onesweep_lookback_stateEbbT6_jjT7_P12ihipStream_tbENKUlT_T0_SK_SP_E_clISE_SE_SF_SF_EEDaS13_S14_SK_SP_EUlS13_E_NS1_11comp_targetILNS1_3genE10ELNS1_11target_archE1201ELNS1_3gpuE5ELNS1_3repE0EEENS1_47radix_sort_onesweep_sort_config_static_selectorELNS0_4arch9wavefront6targetE0EEEvSK_.kd
    .uniform_work_group_size: 1
    .uses_dynamic_stack: false
    .vgpr_count:     0
    .vgpr_spill_count: 0
    .wavefront_size: 32
    .workgroup_processor_mode: 1
  - .args:
      - .offset:         0
        .size:           88
        .value_kind:     by_value
    .group_segment_fixed_size: 0
    .kernarg_segment_align: 8
    .kernarg_segment_size: 88
    .language:       OpenCL C
    .language_version:
      - 2
      - 0
    .max_flat_workgroup_size: 1024
    .name:           _ZN7rocprim17ROCPRIM_400000_NS6detail17trampoline_kernelINS0_14default_configENS1_35radix_sort_onesweep_config_selectorIfNS0_10empty_typeEEEZZNS1_29radix_sort_onesweep_iterationIS3_Lb0EN6thrust23THRUST_200600_302600_NS6detail15normal_iteratorINS9_10device_ptrIfEEEESE_PS5_SF_jNS0_19identity_decomposerENS1_16block_id_wrapperIjLb0EEEEE10hipError_tT1_PNSt15iterator_traitsISK_E10value_typeET2_T3_PNSL_ISQ_E10value_typeET4_T5_PSV_SW_PNS1_23onesweep_lookback_stateEbbT6_jjT7_P12ihipStream_tbENKUlT_T0_SK_SP_E_clISE_SE_SF_SF_EEDaS13_S14_SK_SP_EUlS13_E_NS1_11comp_targetILNS1_3genE9ELNS1_11target_archE1100ELNS1_3gpuE3ELNS1_3repE0EEENS1_47radix_sort_onesweep_sort_config_static_selectorELNS0_4arch9wavefront6targetE0EEEvSK_
    .private_segment_fixed_size: 0
    .sgpr_count:     0
    .sgpr_spill_count: 0
    .symbol:         _ZN7rocprim17ROCPRIM_400000_NS6detail17trampoline_kernelINS0_14default_configENS1_35radix_sort_onesweep_config_selectorIfNS0_10empty_typeEEEZZNS1_29radix_sort_onesweep_iterationIS3_Lb0EN6thrust23THRUST_200600_302600_NS6detail15normal_iteratorINS9_10device_ptrIfEEEESE_PS5_SF_jNS0_19identity_decomposerENS1_16block_id_wrapperIjLb0EEEEE10hipError_tT1_PNSt15iterator_traitsISK_E10value_typeET2_T3_PNSL_ISQ_E10value_typeET4_T5_PSV_SW_PNS1_23onesweep_lookback_stateEbbT6_jjT7_P12ihipStream_tbENKUlT_T0_SK_SP_E_clISE_SE_SF_SF_EEDaS13_S14_SK_SP_EUlS13_E_NS1_11comp_targetILNS1_3genE9ELNS1_11target_archE1100ELNS1_3gpuE3ELNS1_3repE0EEENS1_47radix_sort_onesweep_sort_config_static_selectorELNS0_4arch9wavefront6targetE0EEEvSK_.kd
    .uniform_work_group_size: 1
    .uses_dynamic_stack: false
    .vgpr_count:     0
    .vgpr_spill_count: 0
    .wavefront_size: 32
    .workgroup_processor_mode: 1
  - .args:
      - .offset:         0
        .size:           88
        .value_kind:     by_value
      - .offset:         88
        .size:           4
        .value_kind:     hidden_block_count_x
      - .offset:         92
        .size:           4
        .value_kind:     hidden_block_count_y
      - .offset:         96
        .size:           4
        .value_kind:     hidden_block_count_z
      - .offset:         100
        .size:           2
        .value_kind:     hidden_group_size_x
      - .offset:         102
        .size:           2
        .value_kind:     hidden_group_size_y
      - .offset:         104
        .size:           2
        .value_kind:     hidden_group_size_z
      - .offset:         106
        .size:           2
        .value_kind:     hidden_remainder_x
      - .offset:         108
        .size:           2
        .value_kind:     hidden_remainder_y
      - .offset:         110
        .size:           2
        .value_kind:     hidden_remainder_z
      - .offset:         128
        .size:           8
        .value_kind:     hidden_global_offset_x
      - .offset:         136
        .size:           8
        .value_kind:     hidden_global_offset_y
      - .offset:         144
        .size:           8
        .value_kind:     hidden_global_offset_z
      - .offset:         152
        .size:           2
        .value_kind:     hidden_grid_dims
    .group_segment_fixed_size: 37000
    .kernarg_segment_align: 8
    .kernarg_segment_size: 344
    .language:       OpenCL C
    .language_version:
      - 2
      - 0
    .max_flat_workgroup_size: 1024
    .name:           _ZN7rocprim17ROCPRIM_400000_NS6detail17trampoline_kernelINS0_14default_configENS1_35radix_sort_onesweep_config_selectorIfNS0_10empty_typeEEEZZNS1_29radix_sort_onesweep_iterationIS3_Lb0EN6thrust23THRUST_200600_302600_NS6detail15normal_iteratorINS9_10device_ptrIfEEEESE_PS5_SF_jNS0_19identity_decomposerENS1_16block_id_wrapperIjLb0EEEEE10hipError_tT1_PNSt15iterator_traitsISK_E10value_typeET2_T3_PNSL_ISQ_E10value_typeET4_T5_PSV_SW_PNS1_23onesweep_lookback_stateEbbT6_jjT7_P12ihipStream_tbENKUlT_T0_SK_SP_E_clISE_SE_SF_SF_EEDaS13_S14_SK_SP_EUlS13_E_NS1_11comp_targetILNS1_3genE8ELNS1_11target_archE1030ELNS1_3gpuE2ELNS1_3repE0EEENS1_47radix_sort_onesweep_sort_config_static_selectorELNS0_4arch9wavefront6targetE0EEEvSK_
    .private_segment_fixed_size: 0
    .sgpr_count:     28
    .sgpr_spill_count: 0
    .symbol:         _ZN7rocprim17ROCPRIM_400000_NS6detail17trampoline_kernelINS0_14default_configENS1_35radix_sort_onesweep_config_selectorIfNS0_10empty_typeEEEZZNS1_29radix_sort_onesweep_iterationIS3_Lb0EN6thrust23THRUST_200600_302600_NS6detail15normal_iteratorINS9_10device_ptrIfEEEESE_PS5_SF_jNS0_19identity_decomposerENS1_16block_id_wrapperIjLb0EEEEE10hipError_tT1_PNSt15iterator_traitsISK_E10value_typeET2_T3_PNSL_ISQ_E10value_typeET4_T5_PSV_SW_PNS1_23onesweep_lookback_stateEbbT6_jjT7_P12ihipStream_tbENKUlT_T0_SK_SP_E_clISE_SE_SF_SF_EEDaS13_S14_SK_SP_EUlS13_E_NS1_11comp_targetILNS1_3genE8ELNS1_11target_archE1030ELNS1_3gpuE2ELNS1_3repE0EEENS1_47radix_sort_onesweep_sort_config_static_selectorELNS0_4arch9wavefront6targetE0EEEvSK_.kd
    .uniform_work_group_size: 1
    .uses_dynamic_stack: false
    .vgpr_count:     42
    .vgpr_spill_count: 0
    .wavefront_size: 32
    .workgroup_processor_mode: 1
  - .args:
      - .offset:         0
        .size:           88
        .value_kind:     by_value
    .group_segment_fixed_size: 0
    .kernarg_segment_align: 8
    .kernarg_segment_size: 88
    .language:       OpenCL C
    .language_version:
      - 2
      - 0
    .max_flat_workgroup_size: 512
    .name:           _ZN7rocprim17ROCPRIM_400000_NS6detail17trampoline_kernelINS0_14default_configENS1_35radix_sort_onesweep_config_selectorIfNS0_10empty_typeEEEZZNS1_29radix_sort_onesweep_iterationIS3_Lb0EN6thrust23THRUST_200600_302600_NS6detail15normal_iteratorINS9_10device_ptrIfEEEESE_PS5_SF_jNS0_19identity_decomposerENS1_16block_id_wrapperIjLb0EEEEE10hipError_tT1_PNSt15iterator_traitsISK_E10value_typeET2_T3_PNSL_ISQ_E10value_typeET4_T5_PSV_SW_PNS1_23onesweep_lookback_stateEbbT6_jjT7_P12ihipStream_tbENKUlT_T0_SK_SP_E_clISE_PfSF_SF_EEDaS13_S14_SK_SP_EUlS13_E_NS1_11comp_targetILNS1_3genE0ELNS1_11target_archE4294967295ELNS1_3gpuE0ELNS1_3repE0EEENS1_47radix_sort_onesweep_sort_config_static_selectorELNS0_4arch9wavefront6targetE0EEEvSK_
    .private_segment_fixed_size: 0
    .sgpr_count:     0
    .sgpr_spill_count: 0
    .symbol:         _ZN7rocprim17ROCPRIM_400000_NS6detail17trampoline_kernelINS0_14default_configENS1_35radix_sort_onesweep_config_selectorIfNS0_10empty_typeEEEZZNS1_29radix_sort_onesweep_iterationIS3_Lb0EN6thrust23THRUST_200600_302600_NS6detail15normal_iteratorINS9_10device_ptrIfEEEESE_PS5_SF_jNS0_19identity_decomposerENS1_16block_id_wrapperIjLb0EEEEE10hipError_tT1_PNSt15iterator_traitsISK_E10value_typeET2_T3_PNSL_ISQ_E10value_typeET4_T5_PSV_SW_PNS1_23onesweep_lookback_stateEbbT6_jjT7_P12ihipStream_tbENKUlT_T0_SK_SP_E_clISE_PfSF_SF_EEDaS13_S14_SK_SP_EUlS13_E_NS1_11comp_targetILNS1_3genE0ELNS1_11target_archE4294967295ELNS1_3gpuE0ELNS1_3repE0EEENS1_47radix_sort_onesweep_sort_config_static_selectorELNS0_4arch9wavefront6targetE0EEEvSK_.kd
    .uniform_work_group_size: 1
    .uses_dynamic_stack: false
    .vgpr_count:     0
    .vgpr_spill_count: 0
    .wavefront_size: 32
    .workgroup_processor_mode: 1
  - .args:
      - .offset:         0
        .size:           88
        .value_kind:     by_value
    .group_segment_fixed_size: 0
    .kernarg_segment_align: 8
    .kernarg_segment_size: 88
    .language:       OpenCL C
    .language_version:
      - 2
      - 0
    .max_flat_workgroup_size: 1024
    .name:           _ZN7rocprim17ROCPRIM_400000_NS6detail17trampoline_kernelINS0_14default_configENS1_35radix_sort_onesweep_config_selectorIfNS0_10empty_typeEEEZZNS1_29radix_sort_onesweep_iterationIS3_Lb0EN6thrust23THRUST_200600_302600_NS6detail15normal_iteratorINS9_10device_ptrIfEEEESE_PS5_SF_jNS0_19identity_decomposerENS1_16block_id_wrapperIjLb0EEEEE10hipError_tT1_PNSt15iterator_traitsISK_E10value_typeET2_T3_PNSL_ISQ_E10value_typeET4_T5_PSV_SW_PNS1_23onesweep_lookback_stateEbbT6_jjT7_P12ihipStream_tbENKUlT_T0_SK_SP_E_clISE_PfSF_SF_EEDaS13_S14_SK_SP_EUlS13_E_NS1_11comp_targetILNS1_3genE6ELNS1_11target_archE950ELNS1_3gpuE13ELNS1_3repE0EEENS1_47radix_sort_onesweep_sort_config_static_selectorELNS0_4arch9wavefront6targetE0EEEvSK_
    .private_segment_fixed_size: 0
    .sgpr_count:     0
    .sgpr_spill_count: 0
    .symbol:         _ZN7rocprim17ROCPRIM_400000_NS6detail17trampoline_kernelINS0_14default_configENS1_35radix_sort_onesweep_config_selectorIfNS0_10empty_typeEEEZZNS1_29radix_sort_onesweep_iterationIS3_Lb0EN6thrust23THRUST_200600_302600_NS6detail15normal_iteratorINS9_10device_ptrIfEEEESE_PS5_SF_jNS0_19identity_decomposerENS1_16block_id_wrapperIjLb0EEEEE10hipError_tT1_PNSt15iterator_traitsISK_E10value_typeET2_T3_PNSL_ISQ_E10value_typeET4_T5_PSV_SW_PNS1_23onesweep_lookback_stateEbbT6_jjT7_P12ihipStream_tbENKUlT_T0_SK_SP_E_clISE_PfSF_SF_EEDaS13_S14_SK_SP_EUlS13_E_NS1_11comp_targetILNS1_3genE6ELNS1_11target_archE950ELNS1_3gpuE13ELNS1_3repE0EEENS1_47radix_sort_onesweep_sort_config_static_selectorELNS0_4arch9wavefront6targetE0EEEvSK_.kd
    .uniform_work_group_size: 1
    .uses_dynamic_stack: false
    .vgpr_count:     0
    .vgpr_spill_count: 0
    .wavefront_size: 32
    .workgroup_processor_mode: 1
  - .args:
      - .offset:         0
        .size:           88
        .value_kind:     by_value
    .group_segment_fixed_size: 0
    .kernarg_segment_align: 8
    .kernarg_segment_size: 88
    .language:       OpenCL C
    .language_version:
      - 2
      - 0
    .max_flat_workgroup_size: 1024
    .name:           _ZN7rocprim17ROCPRIM_400000_NS6detail17trampoline_kernelINS0_14default_configENS1_35radix_sort_onesweep_config_selectorIfNS0_10empty_typeEEEZZNS1_29radix_sort_onesweep_iterationIS3_Lb0EN6thrust23THRUST_200600_302600_NS6detail15normal_iteratorINS9_10device_ptrIfEEEESE_PS5_SF_jNS0_19identity_decomposerENS1_16block_id_wrapperIjLb0EEEEE10hipError_tT1_PNSt15iterator_traitsISK_E10value_typeET2_T3_PNSL_ISQ_E10value_typeET4_T5_PSV_SW_PNS1_23onesweep_lookback_stateEbbT6_jjT7_P12ihipStream_tbENKUlT_T0_SK_SP_E_clISE_PfSF_SF_EEDaS13_S14_SK_SP_EUlS13_E_NS1_11comp_targetILNS1_3genE5ELNS1_11target_archE942ELNS1_3gpuE9ELNS1_3repE0EEENS1_47radix_sort_onesweep_sort_config_static_selectorELNS0_4arch9wavefront6targetE0EEEvSK_
    .private_segment_fixed_size: 0
    .sgpr_count:     0
    .sgpr_spill_count: 0
    .symbol:         _ZN7rocprim17ROCPRIM_400000_NS6detail17trampoline_kernelINS0_14default_configENS1_35radix_sort_onesweep_config_selectorIfNS0_10empty_typeEEEZZNS1_29radix_sort_onesweep_iterationIS3_Lb0EN6thrust23THRUST_200600_302600_NS6detail15normal_iteratorINS9_10device_ptrIfEEEESE_PS5_SF_jNS0_19identity_decomposerENS1_16block_id_wrapperIjLb0EEEEE10hipError_tT1_PNSt15iterator_traitsISK_E10value_typeET2_T3_PNSL_ISQ_E10value_typeET4_T5_PSV_SW_PNS1_23onesweep_lookback_stateEbbT6_jjT7_P12ihipStream_tbENKUlT_T0_SK_SP_E_clISE_PfSF_SF_EEDaS13_S14_SK_SP_EUlS13_E_NS1_11comp_targetILNS1_3genE5ELNS1_11target_archE942ELNS1_3gpuE9ELNS1_3repE0EEENS1_47radix_sort_onesweep_sort_config_static_selectorELNS0_4arch9wavefront6targetE0EEEvSK_.kd
    .uniform_work_group_size: 1
    .uses_dynamic_stack: false
    .vgpr_count:     0
    .vgpr_spill_count: 0
    .wavefront_size: 32
    .workgroup_processor_mode: 1
  - .args:
      - .offset:         0
        .size:           88
        .value_kind:     by_value
    .group_segment_fixed_size: 0
    .kernarg_segment_align: 8
    .kernarg_segment_size: 88
    .language:       OpenCL C
    .language_version:
      - 2
      - 0
    .max_flat_workgroup_size: 512
    .name:           _ZN7rocprim17ROCPRIM_400000_NS6detail17trampoline_kernelINS0_14default_configENS1_35radix_sort_onesweep_config_selectorIfNS0_10empty_typeEEEZZNS1_29radix_sort_onesweep_iterationIS3_Lb0EN6thrust23THRUST_200600_302600_NS6detail15normal_iteratorINS9_10device_ptrIfEEEESE_PS5_SF_jNS0_19identity_decomposerENS1_16block_id_wrapperIjLb0EEEEE10hipError_tT1_PNSt15iterator_traitsISK_E10value_typeET2_T3_PNSL_ISQ_E10value_typeET4_T5_PSV_SW_PNS1_23onesweep_lookback_stateEbbT6_jjT7_P12ihipStream_tbENKUlT_T0_SK_SP_E_clISE_PfSF_SF_EEDaS13_S14_SK_SP_EUlS13_E_NS1_11comp_targetILNS1_3genE2ELNS1_11target_archE906ELNS1_3gpuE6ELNS1_3repE0EEENS1_47radix_sort_onesweep_sort_config_static_selectorELNS0_4arch9wavefront6targetE0EEEvSK_
    .private_segment_fixed_size: 0
    .sgpr_count:     0
    .sgpr_spill_count: 0
    .symbol:         _ZN7rocprim17ROCPRIM_400000_NS6detail17trampoline_kernelINS0_14default_configENS1_35radix_sort_onesweep_config_selectorIfNS0_10empty_typeEEEZZNS1_29radix_sort_onesweep_iterationIS3_Lb0EN6thrust23THRUST_200600_302600_NS6detail15normal_iteratorINS9_10device_ptrIfEEEESE_PS5_SF_jNS0_19identity_decomposerENS1_16block_id_wrapperIjLb0EEEEE10hipError_tT1_PNSt15iterator_traitsISK_E10value_typeET2_T3_PNSL_ISQ_E10value_typeET4_T5_PSV_SW_PNS1_23onesweep_lookback_stateEbbT6_jjT7_P12ihipStream_tbENKUlT_T0_SK_SP_E_clISE_PfSF_SF_EEDaS13_S14_SK_SP_EUlS13_E_NS1_11comp_targetILNS1_3genE2ELNS1_11target_archE906ELNS1_3gpuE6ELNS1_3repE0EEENS1_47radix_sort_onesweep_sort_config_static_selectorELNS0_4arch9wavefront6targetE0EEEvSK_.kd
    .uniform_work_group_size: 1
    .uses_dynamic_stack: false
    .vgpr_count:     0
    .vgpr_spill_count: 0
    .wavefront_size: 32
    .workgroup_processor_mode: 1
  - .args:
      - .offset:         0
        .size:           88
        .value_kind:     by_value
    .group_segment_fixed_size: 0
    .kernarg_segment_align: 8
    .kernarg_segment_size: 88
    .language:       OpenCL C
    .language_version:
      - 2
      - 0
    .max_flat_workgroup_size: 1024
    .name:           _ZN7rocprim17ROCPRIM_400000_NS6detail17trampoline_kernelINS0_14default_configENS1_35radix_sort_onesweep_config_selectorIfNS0_10empty_typeEEEZZNS1_29radix_sort_onesweep_iterationIS3_Lb0EN6thrust23THRUST_200600_302600_NS6detail15normal_iteratorINS9_10device_ptrIfEEEESE_PS5_SF_jNS0_19identity_decomposerENS1_16block_id_wrapperIjLb0EEEEE10hipError_tT1_PNSt15iterator_traitsISK_E10value_typeET2_T3_PNSL_ISQ_E10value_typeET4_T5_PSV_SW_PNS1_23onesweep_lookback_stateEbbT6_jjT7_P12ihipStream_tbENKUlT_T0_SK_SP_E_clISE_PfSF_SF_EEDaS13_S14_SK_SP_EUlS13_E_NS1_11comp_targetILNS1_3genE4ELNS1_11target_archE910ELNS1_3gpuE8ELNS1_3repE0EEENS1_47radix_sort_onesweep_sort_config_static_selectorELNS0_4arch9wavefront6targetE0EEEvSK_
    .private_segment_fixed_size: 0
    .sgpr_count:     0
    .sgpr_spill_count: 0
    .symbol:         _ZN7rocprim17ROCPRIM_400000_NS6detail17trampoline_kernelINS0_14default_configENS1_35radix_sort_onesweep_config_selectorIfNS0_10empty_typeEEEZZNS1_29radix_sort_onesweep_iterationIS3_Lb0EN6thrust23THRUST_200600_302600_NS6detail15normal_iteratorINS9_10device_ptrIfEEEESE_PS5_SF_jNS0_19identity_decomposerENS1_16block_id_wrapperIjLb0EEEEE10hipError_tT1_PNSt15iterator_traitsISK_E10value_typeET2_T3_PNSL_ISQ_E10value_typeET4_T5_PSV_SW_PNS1_23onesweep_lookback_stateEbbT6_jjT7_P12ihipStream_tbENKUlT_T0_SK_SP_E_clISE_PfSF_SF_EEDaS13_S14_SK_SP_EUlS13_E_NS1_11comp_targetILNS1_3genE4ELNS1_11target_archE910ELNS1_3gpuE8ELNS1_3repE0EEENS1_47radix_sort_onesweep_sort_config_static_selectorELNS0_4arch9wavefront6targetE0EEEvSK_.kd
    .uniform_work_group_size: 1
    .uses_dynamic_stack: false
    .vgpr_count:     0
    .vgpr_spill_count: 0
    .wavefront_size: 32
    .workgroup_processor_mode: 1
  - .args:
      - .offset:         0
        .size:           88
        .value_kind:     by_value
    .group_segment_fixed_size: 0
    .kernarg_segment_align: 8
    .kernarg_segment_size: 88
    .language:       OpenCL C
    .language_version:
      - 2
      - 0
    .max_flat_workgroup_size: 512
    .name:           _ZN7rocprim17ROCPRIM_400000_NS6detail17trampoline_kernelINS0_14default_configENS1_35radix_sort_onesweep_config_selectorIfNS0_10empty_typeEEEZZNS1_29radix_sort_onesweep_iterationIS3_Lb0EN6thrust23THRUST_200600_302600_NS6detail15normal_iteratorINS9_10device_ptrIfEEEESE_PS5_SF_jNS0_19identity_decomposerENS1_16block_id_wrapperIjLb0EEEEE10hipError_tT1_PNSt15iterator_traitsISK_E10value_typeET2_T3_PNSL_ISQ_E10value_typeET4_T5_PSV_SW_PNS1_23onesweep_lookback_stateEbbT6_jjT7_P12ihipStream_tbENKUlT_T0_SK_SP_E_clISE_PfSF_SF_EEDaS13_S14_SK_SP_EUlS13_E_NS1_11comp_targetILNS1_3genE3ELNS1_11target_archE908ELNS1_3gpuE7ELNS1_3repE0EEENS1_47radix_sort_onesweep_sort_config_static_selectorELNS0_4arch9wavefront6targetE0EEEvSK_
    .private_segment_fixed_size: 0
    .sgpr_count:     0
    .sgpr_spill_count: 0
    .symbol:         _ZN7rocprim17ROCPRIM_400000_NS6detail17trampoline_kernelINS0_14default_configENS1_35radix_sort_onesweep_config_selectorIfNS0_10empty_typeEEEZZNS1_29radix_sort_onesweep_iterationIS3_Lb0EN6thrust23THRUST_200600_302600_NS6detail15normal_iteratorINS9_10device_ptrIfEEEESE_PS5_SF_jNS0_19identity_decomposerENS1_16block_id_wrapperIjLb0EEEEE10hipError_tT1_PNSt15iterator_traitsISK_E10value_typeET2_T3_PNSL_ISQ_E10value_typeET4_T5_PSV_SW_PNS1_23onesweep_lookback_stateEbbT6_jjT7_P12ihipStream_tbENKUlT_T0_SK_SP_E_clISE_PfSF_SF_EEDaS13_S14_SK_SP_EUlS13_E_NS1_11comp_targetILNS1_3genE3ELNS1_11target_archE908ELNS1_3gpuE7ELNS1_3repE0EEENS1_47radix_sort_onesweep_sort_config_static_selectorELNS0_4arch9wavefront6targetE0EEEvSK_.kd
    .uniform_work_group_size: 1
    .uses_dynamic_stack: false
    .vgpr_count:     0
    .vgpr_spill_count: 0
    .wavefront_size: 32
    .workgroup_processor_mode: 1
  - .args:
      - .offset:         0
        .size:           88
        .value_kind:     by_value
    .group_segment_fixed_size: 0
    .kernarg_segment_align: 8
    .kernarg_segment_size: 88
    .language:       OpenCL C
    .language_version:
      - 2
      - 0
    .max_flat_workgroup_size: 512
    .name:           _ZN7rocprim17ROCPRIM_400000_NS6detail17trampoline_kernelINS0_14default_configENS1_35radix_sort_onesweep_config_selectorIfNS0_10empty_typeEEEZZNS1_29radix_sort_onesweep_iterationIS3_Lb0EN6thrust23THRUST_200600_302600_NS6detail15normal_iteratorINS9_10device_ptrIfEEEESE_PS5_SF_jNS0_19identity_decomposerENS1_16block_id_wrapperIjLb0EEEEE10hipError_tT1_PNSt15iterator_traitsISK_E10value_typeET2_T3_PNSL_ISQ_E10value_typeET4_T5_PSV_SW_PNS1_23onesweep_lookback_stateEbbT6_jjT7_P12ihipStream_tbENKUlT_T0_SK_SP_E_clISE_PfSF_SF_EEDaS13_S14_SK_SP_EUlS13_E_NS1_11comp_targetILNS1_3genE10ELNS1_11target_archE1201ELNS1_3gpuE5ELNS1_3repE0EEENS1_47radix_sort_onesweep_sort_config_static_selectorELNS0_4arch9wavefront6targetE0EEEvSK_
    .private_segment_fixed_size: 0
    .sgpr_count:     0
    .sgpr_spill_count: 0
    .symbol:         _ZN7rocprim17ROCPRIM_400000_NS6detail17trampoline_kernelINS0_14default_configENS1_35radix_sort_onesweep_config_selectorIfNS0_10empty_typeEEEZZNS1_29radix_sort_onesweep_iterationIS3_Lb0EN6thrust23THRUST_200600_302600_NS6detail15normal_iteratorINS9_10device_ptrIfEEEESE_PS5_SF_jNS0_19identity_decomposerENS1_16block_id_wrapperIjLb0EEEEE10hipError_tT1_PNSt15iterator_traitsISK_E10value_typeET2_T3_PNSL_ISQ_E10value_typeET4_T5_PSV_SW_PNS1_23onesweep_lookback_stateEbbT6_jjT7_P12ihipStream_tbENKUlT_T0_SK_SP_E_clISE_PfSF_SF_EEDaS13_S14_SK_SP_EUlS13_E_NS1_11comp_targetILNS1_3genE10ELNS1_11target_archE1201ELNS1_3gpuE5ELNS1_3repE0EEENS1_47radix_sort_onesweep_sort_config_static_selectorELNS0_4arch9wavefront6targetE0EEEvSK_.kd
    .uniform_work_group_size: 1
    .uses_dynamic_stack: false
    .vgpr_count:     0
    .vgpr_spill_count: 0
    .wavefront_size: 32
    .workgroup_processor_mode: 1
  - .args:
      - .offset:         0
        .size:           88
        .value_kind:     by_value
    .group_segment_fixed_size: 0
    .kernarg_segment_align: 8
    .kernarg_segment_size: 88
    .language:       OpenCL C
    .language_version:
      - 2
      - 0
    .max_flat_workgroup_size: 1024
    .name:           _ZN7rocprim17ROCPRIM_400000_NS6detail17trampoline_kernelINS0_14default_configENS1_35radix_sort_onesweep_config_selectorIfNS0_10empty_typeEEEZZNS1_29radix_sort_onesweep_iterationIS3_Lb0EN6thrust23THRUST_200600_302600_NS6detail15normal_iteratorINS9_10device_ptrIfEEEESE_PS5_SF_jNS0_19identity_decomposerENS1_16block_id_wrapperIjLb0EEEEE10hipError_tT1_PNSt15iterator_traitsISK_E10value_typeET2_T3_PNSL_ISQ_E10value_typeET4_T5_PSV_SW_PNS1_23onesweep_lookback_stateEbbT6_jjT7_P12ihipStream_tbENKUlT_T0_SK_SP_E_clISE_PfSF_SF_EEDaS13_S14_SK_SP_EUlS13_E_NS1_11comp_targetILNS1_3genE9ELNS1_11target_archE1100ELNS1_3gpuE3ELNS1_3repE0EEENS1_47radix_sort_onesweep_sort_config_static_selectorELNS0_4arch9wavefront6targetE0EEEvSK_
    .private_segment_fixed_size: 0
    .sgpr_count:     0
    .sgpr_spill_count: 0
    .symbol:         _ZN7rocprim17ROCPRIM_400000_NS6detail17trampoline_kernelINS0_14default_configENS1_35radix_sort_onesweep_config_selectorIfNS0_10empty_typeEEEZZNS1_29radix_sort_onesweep_iterationIS3_Lb0EN6thrust23THRUST_200600_302600_NS6detail15normal_iteratorINS9_10device_ptrIfEEEESE_PS5_SF_jNS0_19identity_decomposerENS1_16block_id_wrapperIjLb0EEEEE10hipError_tT1_PNSt15iterator_traitsISK_E10value_typeET2_T3_PNSL_ISQ_E10value_typeET4_T5_PSV_SW_PNS1_23onesweep_lookback_stateEbbT6_jjT7_P12ihipStream_tbENKUlT_T0_SK_SP_E_clISE_PfSF_SF_EEDaS13_S14_SK_SP_EUlS13_E_NS1_11comp_targetILNS1_3genE9ELNS1_11target_archE1100ELNS1_3gpuE3ELNS1_3repE0EEENS1_47radix_sort_onesweep_sort_config_static_selectorELNS0_4arch9wavefront6targetE0EEEvSK_.kd
    .uniform_work_group_size: 1
    .uses_dynamic_stack: false
    .vgpr_count:     0
    .vgpr_spill_count: 0
    .wavefront_size: 32
    .workgroup_processor_mode: 1
  - .args:
      - .offset:         0
        .size:           88
        .value_kind:     by_value
      - .offset:         88
        .size:           4
        .value_kind:     hidden_block_count_x
      - .offset:         92
        .size:           4
        .value_kind:     hidden_block_count_y
      - .offset:         96
        .size:           4
        .value_kind:     hidden_block_count_z
      - .offset:         100
        .size:           2
        .value_kind:     hidden_group_size_x
      - .offset:         102
        .size:           2
        .value_kind:     hidden_group_size_y
      - .offset:         104
        .size:           2
        .value_kind:     hidden_group_size_z
      - .offset:         106
        .size:           2
        .value_kind:     hidden_remainder_x
      - .offset:         108
        .size:           2
        .value_kind:     hidden_remainder_y
      - .offset:         110
        .size:           2
        .value_kind:     hidden_remainder_z
      - .offset:         128
        .size:           8
        .value_kind:     hidden_global_offset_x
      - .offset:         136
        .size:           8
        .value_kind:     hidden_global_offset_y
      - .offset:         144
        .size:           8
        .value_kind:     hidden_global_offset_z
      - .offset:         152
        .size:           2
        .value_kind:     hidden_grid_dims
    .group_segment_fixed_size: 37000
    .kernarg_segment_align: 8
    .kernarg_segment_size: 344
    .language:       OpenCL C
    .language_version:
      - 2
      - 0
    .max_flat_workgroup_size: 1024
    .name:           _ZN7rocprim17ROCPRIM_400000_NS6detail17trampoline_kernelINS0_14default_configENS1_35radix_sort_onesweep_config_selectorIfNS0_10empty_typeEEEZZNS1_29radix_sort_onesweep_iterationIS3_Lb0EN6thrust23THRUST_200600_302600_NS6detail15normal_iteratorINS9_10device_ptrIfEEEESE_PS5_SF_jNS0_19identity_decomposerENS1_16block_id_wrapperIjLb0EEEEE10hipError_tT1_PNSt15iterator_traitsISK_E10value_typeET2_T3_PNSL_ISQ_E10value_typeET4_T5_PSV_SW_PNS1_23onesweep_lookback_stateEbbT6_jjT7_P12ihipStream_tbENKUlT_T0_SK_SP_E_clISE_PfSF_SF_EEDaS13_S14_SK_SP_EUlS13_E_NS1_11comp_targetILNS1_3genE8ELNS1_11target_archE1030ELNS1_3gpuE2ELNS1_3repE0EEENS1_47radix_sort_onesweep_sort_config_static_selectorELNS0_4arch9wavefront6targetE0EEEvSK_
    .private_segment_fixed_size: 0
    .sgpr_count:     28
    .sgpr_spill_count: 0
    .symbol:         _ZN7rocprim17ROCPRIM_400000_NS6detail17trampoline_kernelINS0_14default_configENS1_35radix_sort_onesweep_config_selectorIfNS0_10empty_typeEEEZZNS1_29radix_sort_onesweep_iterationIS3_Lb0EN6thrust23THRUST_200600_302600_NS6detail15normal_iteratorINS9_10device_ptrIfEEEESE_PS5_SF_jNS0_19identity_decomposerENS1_16block_id_wrapperIjLb0EEEEE10hipError_tT1_PNSt15iterator_traitsISK_E10value_typeET2_T3_PNSL_ISQ_E10value_typeET4_T5_PSV_SW_PNS1_23onesweep_lookback_stateEbbT6_jjT7_P12ihipStream_tbENKUlT_T0_SK_SP_E_clISE_PfSF_SF_EEDaS13_S14_SK_SP_EUlS13_E_NS1_11comp_targetILNS1_3genE8ELNS1_11target_archE1030ELNS1_3gpuE2ELNS1_3repE0EEENS1_47radix_sort_onesweep_sort_config_static_selectorELNS0_4arch9wavefront6targetE0EEEvSK_.kd
    .uniform_work_group_size: 1
    .uses_dynamic_stack: false
    .vgpr_count:     42
    .vgpr_spill_count: 0
    .wavefront_size: 32
    .workgroup_processor_mode: 1
  - .args:
      - .offset:         0
        .size:           88
        .value_kind:     by_value
    .group_segment_fixed_size: 0
    .kernarg_segment_align: 8
    .kernarg_segment_size: 88
    .language:       OpenCL C
    .language_version:
      - 2
      - 0
    .max_flat_workgroup_size: 512
    .name:           _ZN7rocprim17ROCPRIM_400000_NS6detail17trampoline_kernelINS0_14default_configENS1_35radix_sort_onesweep_config_selectorIfNS0_10empty_typeEEEZZNS1_29radix_sort_onesweep_iterationIS3_Lb0EN6thrust23THRUST_200600_302600_NS6detail15normal_iteratorINS9_10device_ptrIfEEEESE_PS5_SF_jNS0_19identity_decomposerENS1_16block_id_wrapperIjLb0EEEEE10hipError_tT1_PNSt15iterator_traitsISK_E10value_typeET2_T3_PNSL_ISQ_E10value_typeET4_T5_PSV_SW_PNS1_23onesweep_lookback_stateEbbT6_jjT7_P12ihipStream_tbENKUlT_T0_SK_SP_E_clIPfSE_SF_SF_EEDaS13_S14_SK_SP_EUlS13_E_NS1_11comp_targetILNS1_3genE0ELNS1_11target_archE4294967295ELNS1_3gpuE0ELNS1_3repE0EEENS1_47radix_sort_onesweep_sort_config_static_selectorELNS0_4arch9wavefront6targetE0EEEvSK_
    .private_segment_fixed_size: 0
    .sgpr_count:     0
    .sgpr_spill_count: 0
    .symbol:         _ZN7rocprim17ROCPRIM_400000_NS6detail17trampoline_kernelINS0_14default_configENS1_35radix_sort_onesweep_config_selectorIfNS0_10empty_typeEEEZZNS1_29radix_sort_onesweep_iterationIS3_Lb0EN6thrust23THRUST_200600_302600_NS6detail15normal_iteratorINS9_10device_ptrIfEEEESE_PS5_SF_jNS0_19identity_decomposerENS1_16block_id_wrapperIjLb0EEEEE10hipError_tT1_PNSt15iterator_traitsISK_E10value_typeET2_T3_PNSL_ISQ_E10value_typeET4_T5_PSV_SW_PNS1_23onesweep_lookback_stateEbbT6_jjT7_P12ihipStream_tbENKUlT_T0_SK_SP_E_clIPfSE_SF_SF_EEDaS13_S14_SK_SP_EUlS13_E_NS1_11comp_targetILNS1_3genE0ELNS1_11target_archE4294967295ELNS1_3gpuE0ELNS1_3repE0EEENS1_47radix_sort_onesweep_sort_config_static_selectorELNS0_4arch9wavefront6targetE0EEEvSK_.kd
    .uniform_work_group_size: 1
    .uses_dynamic_stack: false
    .vgpr_count:     0
    .vgpr_spill_count: 0
    .wavefront_size: 32
    .workgroup_processor_mode: 1
  - .args:
      - .offset:         0
        .size:           88
        .value_kind:     by_value
    .group_segment_fixed_size: 0
    .kernarg_segment_align: 8
    .kernarg_segment_size: 88
    .language:       OpenCL C
    .language_version:
      - 2
      - 0
    .max_flat_workgroup_size: 1024
    .name:           _ZN7rocprim17ROCPRIM_400000_NS6detail17trampoline_kernelINS0_14default_configENS1_35radix_sort_onesweep_config_selectorIfNS0_10empty_typeEEEZZNS1_29radix_sort_onesweep_iterationIS3_Lb0EN6thrust23THRUST_200600_302600_NS6detail15normal_iteratorINS9_10device_ptrIfEEEESE_PS5_SF_jNS0_19identity_decomposerENS1_16block_id_wrapperIjLb0EEEEE10hipError_tT1_PNSt15iterator_traitsISK_E10value_typeET2_T3_PNSL_ISQ_E10value_typeET4_T5_PSV_SW_PNS1_23onesweep_lookback_stateEbbT6_jjT7_P12ihipStream_tbENKUlT_T0_SK_SP_E_clIPfSE_SF_SF_EEDaS13_S14_SK_SP_EUlS13_E_NS1_11comp_targetILNS1_3genE6ELNS1_11target_archE950ELNS1_3gpuE13ELNS1_3repE0EEENS1_47radix_sort_onesweep_sort_config_static_selectorELNS0_4arch9wavefront6targetE0EEEvSK_
    .private_segment_fixed_size: 0
    .sgpr_count:     0
    .sgpr_spill_count: 0
    .symbol:         _ZN7rocprim17ROCPRIM_400000_NS6detail17trampoline_kernelINS0_14default_configENS1_35radix_sort_onesweep_config_selectorIfNS0_10empty_typeEEEZZNS1_29radix_sort_onesweep_iterationIS3_Lb0EN6thrust23THRUST_200600_302600_NS6detail15normal_iteratorINS9_10device_ptrIfEEEESE_PS5_SF_jNS0_19identity_decomposerENS1_16block_id_wrapperIjLb0EEEEE10hipError_tT1_PNSt15iterator_traitsISK_E10value_typeET2_T3_PNSL_ISQ_E10value_typeET4_T5_PSV_SW_PNS1_23onesweep_lookback_stateEbbT6_jjT7_P12ihipStream_tbENKUlT_T0_SK_SP_E_clIPfSE_SF_SF_EEDaS13_S14_SK_SP_EUlS13_E_NS1_11comp_targetILNS1_3genE6ELNS1_11target_archE950ELNS1_3gpuE13ELNS1_3repE0EEENS1_47radix_sort_onesweep_sort_config_static_selectorELNS0_4arch9wavefront6targetE0EEEvSK_.kd
    .uniform_work_group_size: 1
    .uses_dynamic_stack: false
    .vgpr_count:     0
    .vgpr_spill_count: 0
    .wavefront_size: 32
    .workgroup_processor_mode: 1
  - .args:
      - .offset:         0
        .size:           88
        .value_kind:     by_value
    .group_segment_fixed_size: 0
    .kernarg_segment_align: 8
    .kernarg_segment_size: 88
    .language:       OpenCL C
    .language_version:
      - 2
      - 0
    .max_flat_workgroup_size: 1024
    .name:           _ZN7rocprim17ROCPRIM_400000_NS6detail17trampoline_kernelINS0_14default_configENS1_35radix_sort_onesweep_config_selectorIfNS0_10empty_typeEEEZZNS1_29radix_sort_onesweep_iterationIS3_Lb0EN6thrust23THRUST_200600_302600_NS6detail15normal_iteratorINS9_10device_ptrIfEEEESE_PS5_SF_jNS0_19identity_decomposerENS1_16block_id_wrapperIjLb0EEEEE10hipError_tT1_PNSt15iterator_traitsISK_E10value_typeET2_T3_PNSL_ISQ_E10value_typeET4_T5_PSV_SW_PNS1_23onesweep_lookback_stateEbbT6_jjT7_P12ihipStream_tbENKUlT_T0_SK_SP_E_clIPfSE_SF_SF_EEDaS13_S14_SK_SP_EUlS13_E_NS1_11comp_targetILNS1_3genE5ELNS1_11target_archE942ELNS1_3gpuE9ELNS1_3repE0EEENS1_47radix_sort_onesweep_sort_config_static_selectorELNS0_4arch9wavefront6targetE0EEEvSK_
    .private_segment_fixed_size: 0
    .sgpr_count:     0
    .sgpr_spill_count: 0
    .symbol:         _ZN7rocprim17ROCPRIM_400000_NS6detail17trampoline_kernelINS0_14default_configENS1_35radix_sort_onesweep_config_selectorIfNS0_10empty_typeEEEZZNS1_29radix_sort_onesweep_iterationIS3_Lb0EN6thrust23THRUST_200600_302600_NS6detail15normal_iteratorINS9_10device_ptrIfEEEESE_PS5_SF_jNS0_19identity_decomposerENS1_16block_id_wrapperIjLb0EEEEE10hipError_tT1_PNSt15iterator_traitsISK_E10value_typeET2_T3_PNSL_ISQ_E10value_typeET4_T5_PSV_SW_PNS1_23onesweep_lookback_stateEbbT6_jjT7_P12ihipStream_tbENKUlT_T0_SK_SP_E_clIPfSE_SF_SF_EEDaS13_S14_SK_SP_EUlS13_E_NS1_11comp_targetILNS1_3genE5ELNS1_11target_archE942ELNS1_3gpuE9ELNS1_3repE0EEENS1_47radix_sort_onesweep_sort_config_static_selectorELNS0_4arch9wavefront6targetE0EEEvSK_.kd
    .uniform_work_group_size: 1
    .uses_dynamic_stack: false
    .vgpr_count:     0
    .vgpr_spill_count: 0
    .wavefront_size: 32
    .workgroup_processor_mode: 1
  - .args:
      - .offset:         0
        .size:           88
        .value_kind:     by_value
    .group_segment_fixed_size: 0
    .kernarg_segment_align: 8
    .kernarg_segment_size: 88
    .language:       OpenCL C
    .language_version:
      - 2
      - 0
    .max_flat_workgroup_size: 512
    .name:           _ZN7rocprim17ROCPRIM_400000_NS6detail17trampoline_kernelINS0_14default_configENS1_35radix_sort_onesweep_config_selectorIfNS0_10empty_typeEEEZZNS1_29radix_sort_onesweep_iterationIS3_Lb0EN6thrust23THRUST_200600_302600_NS6detail15normal_iteratorINS9_10device_ptrIfEEEESE_PS5_SF_jNS0_19identity_decomposerENS1_16block_id_wrapperIjLb0EEEEE10hipError_tT1_PNSt15iterator_traitsISK_E10value_typeET2_T3_PNSL_ISQ_E10value_typeET4_T5_PSV_SW_PNS1_23onesweep_lookback_stateEbbT6_jjT7_P12ihipStream_tbENKUlT_T0_SK_SP_E_clIPfSE_SF_SF_EEDaS13_S14_SK_SP_EUlS13_E_NS1_11comp_targetILNS1_3genE2ELNS1_11target_archE906ELNS1_3gpuE6ELNS1_3repE0EEENS1_47radix_sort_onesweep_sort_config_static_selectorELNS0_4arch9wavefront6targetE0EEEvSK_
    .private_segment_fixed_size: 0
    .sgpr_count:     0
    .sgpr_spill_count: 0
    .symbol:         _ZN7rocprim17ROCPRIM_400000_NS6detail17trampoline_kernelINS0_14default_configENS1_35radix_sort_onesweep_config_selectorIfNS0_10empty_typeEEEZZNS1_29radix_sort_onesweep_iterationIS3_Lb0EN6thrust23THRUST_200600_302600_NS6detail15normal_iteratorINS9_10device_ptrIfEEEESE_PS5_SF_jNS0_19identity_decomposerENS1_16block_id_wrapperIjLb0EEEEE10hipError_tT1_PNSt15iterator_traitsISK_E10value_typeET2_T3_PNSL_ISQ_E10value_typeET4_T5_PSV_SW_PNS1_23onesweep_lookback_stateEbbT6_jjT7_P12ihipStream_tbENKUlT_T0_SK_SP_E_clIPfSE_SF_SF_EEDaS13_S14_SK_SP_EUlS13_E_NS1_11comp_targetILNS1_3genE2ELNS1_11target_archE906ELNS1_3gpuE6ELNS1_3repE0EEENS1_47radix_sort_onesweep_sort_config_static_selectorELNS0_4arch9wavefront6targetE0EEEvSK_.kd
    .uniform_work_group_size: 1
    .uses_dynamic_stack: false
    .vgpr_count:     0
    .vgpr_spill_count: 0
    .wavefront_size: 32
    .workgroup_processor_mode: 1
  - .args:
      - .offset:         0
        .size:           88
        .value_kind:     by_value
    .group_segment_fixed_size: 0
    .kernarg_segment_align: 8
    .kernarg_segment_size: 88
    .language:       OpenCL C
    .language_version:
      - 2
      - 0
    .max_flat_workgroup_size: 1024
    .name:           _ZN7rocprim17ROCPRIM_400000_NS6detail17trampoline_kernelINS0_14default_configENS1_35radix_sort_onesweep_config_selectorIfNS0_10empty_typeEEEZZNS1_29radix_sort_onesweep_iterationIS3_Lb0EN6thrust23THRUST_200600_302600_NS6detail15normal_iteratorINS9_10device_ptrIfEEEESE_PS5_SF_jNS0_19identity_decomposerENS1_16block_id_wrapperIjLb0EEEEE10hipError_tT1_PNSt15iterator_traitsISK_E10value_typeET2_T3_PNSL_ISQ_E10value_typeET4_T5_PSV_SW_PNS1_23onesweep_lookback_stateEbbT6_jjT7_P12ihipStream_tbENKUlT_T0_SK_SP_E_clIPfSE_SF_SF_EEDaS13_S14_SK_SP_EUlS13_E_NS1_11comp_targetILNS1_3genE4ELNS1_11target_archE910ELNS1_3gpuE8ELNS1_3repE0EEENS1_47radix_sort_onesweep_sort_config_static_selectorELNS0_4arch9wavefront6targetE0EEEvSK_
    .private_segment_fixed_size: 0
    .sgpr_count:     0
    .sgpr_spill_count: 0
    .symbol:         _ZN7rocprim17ROCPRIM_400000_NS6detail17trampoline_kernelINS0_14default_configENS1_35radix_sort_onesweep_config_selectorIfNS0_10empty_typeEEEZZNS1_29radix_sort_onesweep_iterationIS3_Lb0EN6thrust23THRUST_200600_302600_NS6detail15normal_iteratorINS9_10device_ptrIfEEEESE_PS5_SF_jNS0_19identity_decomposerENS1_16block_id_wrapperIjLb0EEEEE10hipError_tT1_PNSt15iterator_traitsISK_E10value_typeET2_T3_PNSL_ISQ_E10value_typeET4_T5_PSV_SW_PNS1_23onesweep_lookback_stateEbbT6_jjT7_P12ihipStream_tbENKUlT_T0_SK_SP_E_clIPfSE_SF_SF_EEDaS13_S14_SK_SP_EUlS13_E_NS1_11comp_targetILNS1_3genE4ELNS1_11target_archE910ELNS1_3gpuE8ELNS1_3repE0EEENS1_47radix_sort_onesweep_sort_config_static_selectorELNS0_4arch9wavefront6targetE0EEEvSK_.kd
    .uniform_work_group_size: 1
    .uses_dynamic_stack: false
    .vgpr_count:     0
    .vgpr_spill_count: 0
    .wavefront_size: 32
    .workgroup_processor_mode: 1
  - .args:
      - .offset:         0
        .size:           88
        .value_kind:     by_value
    .group_segment_fixed_size: 0
    .kernarg_segment_align: 8
    .kernarg_segment_size: 88
    .language:       OpenCL C
    .language_version:
      - 2
      - 0
    .max_flat_workgroup_size: 512
    .name:           _ZN7rocprim17ROCPRIM_400000_NS6detail17trampoline_kernelINS0_14default_configENS1_35radix_sort_onesweep_config_selectorIfNS0_10empty_typeEEEZZNS1_29radix_sort_onesweep_iterationIS3_Lb0EN6thrust23THRUST_200600_302600_NS6detail15normal_iteratorINS9_10device_ptrIfEEEESE_PS5_SF_jNS0_19identity_decomposerENS1_16block_id_wrapperIjLb0EEEEE10hipError_tT1_PNSt15iterator_traitsISK_E10value_typeET2_T3_PNSL_ISQ_E10value_typeET4_T5_PSV_SW_PNS1_23onesweep_lookback_stateEbbT6_jjT7_P12ihipStream_tbENKUlT_T0_SK_SP_E_clIPfSE_SF_SF_EEDaS13_S14_SK_SP_EUlS13_E_NS1_11comp_targetILNS1_3genE3ELNS1_11target_archE908ELNS1_3gpuE7ELNS1_3repE0EEENS1_47radix_sort_onesweep_sort_config_static_selectorELNS0_4arch9wavefront6targetE0EEEvSK_
    .private_segment_fixed_size: 0
    .sgpr_count:     0
    .sgpr_spill_count: 0
    .symbol:         _ZN7rocprim17ROCPRIM_400000_NS6detail17trampoline_kernelINS0_14default_configENS1_35radix_sort_onesweep_config_selectorIfNS0_10empty_typeEEEZZNS1_29radix_sort_onesweep_iterationIS3_Lb0EN6thrust23THRUST_200600_302600_NS6detail15normal_iteratorINS9_10device_ptrIfEEEESE_PS5_SF_jNS0_19identity_decomposerENS1_16block_id_wrapperIjLb0EEEEE10hipError_tT1_PNSt15iterator_traitsISK_E10value_typeET2_T3_PNSL_ISQ_E10value_typeET4_T5_PSV_SW_PNS1_23onesweep_lookback_stateEbbT6_jjT7_P12ihipStream_tbENKUlT_T0_SK_SP_E_clIPfSE_SF_SF_EEDaS13_S14_SK_SP_EUlS13_E_NS1_11comp_targetILNS1_3genE3ELNS1_11target_archE908ELNS1_3gpuE7ELNS1_3repE0EEENS1_47radix_sort_onesweep_sort_config_static_selectorELNS0_4arch9wavefront6targetE0EEEvSK_.kd
    .uniform_work_group_size: 1
    .uses_dynamic_stack: false
    .vgpr_count:     0
    .vgpr_spill_count: 0
    .wavefront_size: 32
    .workgroup_processor_mode: 1
  - .args:
      - .offset:         0
        .size:           88
        .value_kind:     by_value
    .group_segment_fixed_size: 0
    .kernarg_segment_align: 8
    .kernarg_segment_size: 88
    .language:       OpenCL C
    .language_version:
      - 2
      - 0
    .max_flat_workgroup_size: 512
    .name:           _ZN7rocprim17ROCPRIM_400000_NS6detail17trampoline_kernelINS0_14default_configENS1_35radix_sort_onesweep_config_selectorIfNS0_10empty_typeEEEZZNS1_29radix_sort_onesweep_iterationIS3_Lb0EN6thrust23THRUST_200600_302600_NS6detail15normal_iteratorINS9_10device_ptrIfEEEESE_PS5_SF_jNS0_19identity_decomposerENS1_16block_id_wrapperIjLb0EEEEE10hipError_tT1_PNSt15iterator_traitsISK_E10value_typeET2_T3_PNSL_ISQ_E10value_typeET4_T5_PSV_SW_PNS1_23onesweep_lookback_stateEbbT6_jjT7_P12ihipStream_tbENKUlT_T0_SK_SP_E_clIPfSE_SF_SF_EEDaS13_S14_SK_SP_EUlS13_E_NS1_11comp_targetILNS1_3genE10ELNS1_11target_archE1201ELNS1_3gpuE5ELNS1_3repE0EEENS1_47radix_sort_onesweep_sort_config_static_selectorELNS0_4arch9wavefront6targetE0EEEvSK_
    .private_segment_fixed_size: 0
    .sgpr_count:     0
    .sgpr_spill_count: 0
    .symbol:         _ZN7rocprim17ROCPRIM_400000_NS6detail17trampoline_kernelINS0_14default_configENS1_35radix_sort_onesweep_config_selectorIfNS0_10empty_typeEEEZZNS1_29radix_sort_onesweep_iterationIS3_Lb0EN6thrust23THRUST_200600_302600_NS6detail15normal_iteratorINS9_10device_ptrIfEEEESE_PS5_SF_jNS0_19identity_decomposerENS1_16block_id_wrapperIjLb0EEEEE10hipError_tT1_PNSt15iterator_traitsISK_E10value_typeET2_T3_PNSL_ISQ_E10value_typeET4_T5_PSV_SW_PNS1_23onesweep_lookback_stateEbbT6_jjT7_P12ihipStream_tbENKUlT_T0_SK_SP_E_clIPfSE_SF_SF_EEDaS13_S14_SK_SP_EUlS13_E_NS1_11comp_targetILNS1_3genE10ELNS1_11target_archE1201ELNS1_3gpuE5ELNS1_3repE0EEENS1_47radix_sort_onesweep_sort_config_static_selectorELNS0_4arch9wavefront6targetE0EEEvSK_.kd
    .uniform_work_group_size: 1
    .uses_dynamic_stack: false
    .vgpr_count:     0
    .vgpr_spill_count: 0
    .wavefront_size: 32
    .workgroup_processor_mode: 1
  - .args:
      - .offset:         0
        .size:           88
        .value_kind:     by_value
    .group_segment_fixed_size: 0
    .kernarg_segment_align: 8
    .kernarg_segment_size: 88
    .language:       OpenCL C
    .language_version:
      - 2
      - 0
    .max_flat_workgroup_size: 1024
    .name:           _ZN7rocprim17ROCPRIM_400000_NS6detail17trampoline_kernelINS0_14default_configENS1_35radix_sort_onesweep_config_selectorIfNS0_10empty_typeEEEZZNS1_29radix_sort_onesweep_iterationIS3_Lb0EN6thrust23THRUST_200600_302600_NS6detail15normal_iteratorINS9_10device_ptrIfEEEESE_PS5_SF_jNS0_19identity_decomposerENS1_16block_id_wrapperIjLb0EEEEE10hipError_tT1_PNSt15iterator_traitsISK_E10value_typeET2_T3_PNSL_ISQ_E10value_typeET4_T5_PSV_SW_PNS1_23onesweep_lookback_stateEbbT6_jjT7_P12ihipStream_tbENKUlT_T0_SK_SP_E_clIPfSE_SF_SF_EEDaS13_S14_SK_SP_EUlS13_E_NS1_11comp_targetILNS1_3genE9ELNS1_11target_archE1100ELNS1_3gpuE3ELNS1_3repE0EEENS1_47radix_sort_onesweep_sort_config_static_selectorELNS0_4arch9wavefront6targetE0EEEvSK_
    .private_segment_fixed_size: 0
    .sgpr_count:     0
    .sgpr_spill_count: 0
    .symbol:         _ZN7rocprim17ROCPRIM_400000_NS6detail17trampoline_kernelINS0_14default_configENS1_35radix_sort_onesweep_config_selectorIfNS0_10empty_typeEEEZZNS1_29radix_sort_onesweep_iterationIS3_Lb0EN6thrust23THRUST_200600_302600_NS6detail15normal_iteratorINS9_10device_ptrIfEEEESE_PS5_SF_jNS0_19identity_decomposerENS1_16block_id_wrapperIjLb0EEEEE10hipError_tT1_PNSt15iterator_traitsISK_E10value_typeET2_T3_PNSL_ISQ_E10value_typeET4_T5_PSV_SW_PNS1_23onesweep_lookback_stateEbbT6_jjT7_P12ihipStream_tbENKUlT_T0_SK_SP_E_clIPfSE_SF_SF_EEDaS13_S14_SK_SP_EUlS13_E_NS1_11comp_targetILNS1_3genE9ELNS1_11target_archE1100ELNS1_3gpuE3ELNS1_3repE0EEENS1_47radix_sort_onesweep_sort_config_static_selectorELNS0_4arch9wavefront6targetE0EEEvSK_.kd
    .uniform_work_group_size: 1
    .uses_dynamic_stack: false
    .vgpr_count:     0
    .vgpr_spill_count: 0
    .wavefront_size: 32
    .workgroup_processor_mode: 1
  - .args:
      - .offset:         0
        .size:           88
        .value_kind:     by_value
      - .offset:         88
        .size:           4
        .value_kind:     hidden_block_count_x
      - .offset:         92
        .size:           4
        .value_kind:     hidden_block_count_y
      - .offset:         96
        .size:           4
        .value_kind:     hidden_block_count_z
      - .offset:         100
        .size:           2
        .value_kind:     hidden_group_size_x
      - .offset:         102
        .size:           2
        .value_kind:     hidden_group_size_y
      - .offset:         104
        .size:           2
        .value_kind:     hidden_group_size_z
      - .offset:         106
        .size:           2
        .value_kind:     hidden_remainder_x
      - .offset:         108
        .size:           2
        .value_kind:     hidden_remainder_y
      - .offset:         110
        .size:           2
        .value_kind:     hidden_remainder_z
      - .offset:         128
        .size:           8
        .value_kind:     hidden_global_offset_x
      - .offset:         136
        .size:           8
        .value_kind:     hidden_global_offset_y
      - .offset:         144
        .size:           8
        .value_kind:     hidden_global_offset_z
      - .offset:         152
        .size:           2
        .value_kind:     hidden_grid_dims
    .group_segment_fixed_size: 37000
    .kernarg_segment_align: 8
    .kernarg_segment_size: 344
    .language:       OpenCL C
    .language_version:
      - 2
      - 0
    .max_flat_workgroup_size: 1024
    .name:           _ZN7rocprim17ROCPRIM_400000_NS6detail17trampoline_kernelINS0_14default_configENS1_35radix_sort_onesweep_config_selectorIfNS0_10empty_typeEEEZZNS1_29radix_sort_onesweep_iterationIS3_Lb0EN6thrust23THRUST_200600_302600_NS6detail15normal_iteratorINS9_10device_ptrIfEEEESE_PS5_SF_jNS0_19identity_decomposerENS1_16block_id_wrapperIjLb0EEEEE10hipError_tT1_PNSt15iterator_traitsISK_E10value_typeET2_T3_PNSL_ISQ_E10value_typeET4_T5_PSV_SW_PNS1_23onesweep_lookback_stateEbbT6_jjT7_P12ihipStream_tbENKUlT_T0_SK_SP_E_clIPfSE_SF_SF_EEDaS13_S14_SK_SP_EUlS13_E_NS1_11comp_targetILNS1_3genE8ELNS1_11target_archE1030ELNS1_3gpuE2ELNS1_3repE0EEENS1_47radix_sort_onesweep_sort_config_static_selectorELNS0_4arch9wavefront6targetE0EEEvSK_
    .private_segment_fixed_size: 0
    .sgpr_count:     28
    .sgpr_spill_count: 0
    .symbol:         _ZN7rocprim17ROCPRIM_400000_NS6detail17trampoline_kernelINS0_14default_configENS1_35radix_sort_onesweep_config_selectorIfNS0_10empty_typeEEEZZNS1_29radix_sort_onesweep_iterationIS3_Lb0EN6thrust23THRUST_200600_302600_NS6detail15normal_iteratorINS9_10device_ptrIfEEEESE_PS5_SF_jNS0_19identity_decomposerENS1_16block_id_wrapperIjLb0EEEEE10hipError_tT1_PNSt15iterator_traitsISK_E10value_typeET2_T3_PNSL_ISQ_E10value_typeET4_T5_PSV_SW_PNS1_23onesweep_lookback_stateEbbT6_jjT7_P12ihipStream_tbENKUlT_T0_SK_SP_E_clIPfSE_SF_SF_EEDaS13_S14_SK_SP_EUlS13_E_NS1_11comp_targetILNS1_3genE8ELNS1_11target_archE1030ELNS1_3gpuE2ELNS1_3repE0EEENS1_47radix_sort_onesweep_sort_config_static_selectorELNS0_4arch9wavefront6targetE0EEEvSK_.kd
    .uniform_work_group_size: 1
    .uses_dynamic_stack: false
    .vgpr_count:     42
    .vgpr_spill_count: 0
    .wavefront_size: 32
    .workgroup_processor_mode: 1
  - .args:
      - .offset:         0
        .size:           16
        .value_kind:     by_value
      - .offset:         16
        .size:           8
        .value_kind:     by_value
      - .offset:         24
        .size:           8
        .value_kind:     by_value
    .group_segment_fixed_size: 0
    .kernarg_segment_align: 8
    .kernarg_segment_size: 32
    .language:       OpenCL C
    .language_version:
      - 2
      - 0
    .max_flat_workgroup_size: 256
    .name:           _ZN6thrust23THRUST_200600_302600_NS11hip_rocprim14__parallel_for6kernelILj256ENS1_10for_each_fINS0_10device_ptrINS0_4pairIiiEEEENS0_6detail16wrapped_functionINS9_23allocator_traits_detail24construct1_via_allocatorINS0_16device_allocatorIS7_EEEEvEEEEmLj1EEEvT0_T1_SJ_
    .private_segment_fixed_size: 0
    .sgpr_count:     14
    .sgpr_spill_count: 0
    .symbol:         _ZN6thrust23THRUST_200600_302600_NS11hip_rocprim14__parallel_for6kernelILj256ENS1_10for_each_fINS0_10device_ptrINS0_4pairIiiEEEENS0_6detail16wrapped_functionINS9_23allocator_traits_detail24construct1_via_allocatorINS0_16device_allocatorIS7_EEEEvEEEEmLj1EEEvT0_T1_SJ_.kd
    .uniform_work_group_size: 1
    .uses_dynamic_stack: false
    .vgpr_count:     5
    .vgpr_spill_count: 0
    .wavefront_size: 32
    .workgroup_processor_mode: 1
  - .args:
      - .offset:         0
        .size:           16
        .value_kind:     by_value
      - .offset:         16
        .size:           8
        .value_kind:     by_value
      - .offset:         24
        .size:           8
        .value_kind:     by_value
    .group_segment_fixed_size: 0
    .kernarg_segment_align: 8
    .kernarg_segment_size: 32
    .language:       OpenCL C
    .language_version:
      - 2
      - 0
    .max_flat_workgroup_size: 256
    .name:           _ZN6thrust23THRUST_200600_302600_NS11hip_rocprim14__parallel_for6kernelILj256ENS1_10for_each_fINS0_10device_ptrINS0_4pairIiiEEEENS0_6detail16wrapped_functionINS9_23allocator_traits_detail5gozerEvEEEElLj1EEEvT0_T1_SG_
    .private_segment_fixed_size: 0
    .sgpr_count:     0
    .sgpr_spill_count: 0
    .symbol:         _ZN6thrust23THRUST_200600_302600_NS11hip_rocprim14__parallel_for6kernelILj256ENS1_10for_each_fINS0_10device_ptrINS0_4pairIiiEEEENS0_6detail16wrapped_functionINS9_23allocator_traits_detail5gozerEvEEEElLj1EEEvT0_T1_SG_.kd
    .uniform_work_group_size: 1
    .uses_dynamic_stack: false
    .vgpr_count:     0
    .vgpr_spill_count: 0
    .wavefront_size: 32
    .workgroup_processor_mode: 1
  - .args:           []
    .group_segment_fixed_size: 0
    .kernarg_segment_align: 4
    .kernarg_segment_size: 0
    .language:       OpenCL C
    .language_version:
      - 2
      - 0
    .max_flat_workgroup_size: 1024
    .name:           _ZN7rocprim17ROCPRIM_400000_NS6detail44device_merge_sort_compile_time_verifier_archINS1_11comp_targetILNS1_3genE0ELNS1_11target_archE4294967295ELNS1_3gpuE0ELNS1_3repE0EEES8_NS0_14default_configES9_NS1_37merge_sort_block_sort_config_selectorIN6thrust23THRUST_200600_302600_NS4pairIiiEENS0_10empty_typeEEENS1_38merge_sort_block_merge_config_selectorISE_SF_EEEEvv
    .private_segment_fixed_size: 0
    .sgpr_count:     0
    .sgpr_spill_count: 0
    .symbol:         _ZN7rocprim17ROCPRIM_400000_NS6detail44device_merge_sort_compile_time_verifier_archINS1_11comp_targetILNS1_3genE0ELNS1_11target_archE4294967295ELNS1_3gpuE0ELNS1_3repE0EEES8_NS0_14default_configES9_NS1_37merge_sort_block_sort_config_selectorIN6thrust23THRUST_200600_302600_NS4pairIiiEENS0_10empty_typeEEENS1_38merge_sort_block_merge_config_selectorISE_SF_EEEEvv.kd
    .uniform_work_group_size: 1
    .uses_dynamic_stack: false
    .vgpr_count:     0
    .vgpr_spill_count: 0
    .wavefront_size: 32
    .workgroup_processor_mode: 1
  - .args:           []
    .group_segment_fixed_size: 0
    .kernarg_segment_align: 4
    .kernarg_segment_size: 0
    .language:       OpenCL C
    .language_version:
      - 2
      - 0
    .max_flat_workgroup_size: 1024
    .name:           _ZN7rocprim17ROCPRIM_400000_NS6detail44device_merge_sort_compile_time_verifier_archINS1_11comp_targetILNS1_3genE5ELNS1_11target_archE942ELNS1_3gpuE9ELNS1_3repE0EEES8_NS0_14default_configES9_NS1_37merge_sort_block_sort_config_selectorIN6thrust23THRUST_200600_302600_NS4pairIiiEENS0_10empty_typeEEENS1_38merge_sort_block_merge_config_selectorISE_SF_EEEEvv
    .private_segment_fixed_size: 0
    .sgpr_count:     0
    .sgpr_spill_count: 0
    .symbol:         _ZN7rocprim17ROCPRIM_400000_NS6detail44device_merge_sort_compile_time_verifier_archINS1_11comp_targetILNS1_3genE5ELNS1_11target_archE942ELNS1_3gpuE9ELNS1_3repE0EEES8_NS0_14default_configES9_NS1_37merge_sort_block_sort_config_selectorIN6thrust23THRUST_200600_302600_NS4pairIiiEENS0_10empty_typeEEENS1_38merge_sort_block_merge_config_selectorISE_SF_EEEEvv.kd
    .uniform_work_group_size: 1
    .uses_dynamic_stack: false
    .vgpr_count:     0
    .vgpr_spill_count: 0
    .wavefront_size: 32
    .workgroup_processor_mode: 1
  - .args:           []
    .group_segment_fixed_size: 0
    .kernarg_segment_align: 4
    .kernarg_segment_size: 0
    .language:       OpenCL C
    .language_version:
      - 2
      - 0
    .max_flat_workgroup_size: 1024
    .name:           _ZN7rocprim17ROCPRIM_400000_NS6detail44device_merge_sort_compile_time_verifier_archINS1_11comp_targetILNS1_3genE4ELNS1_11target_archE910ELNS1_3gpuE8ELNS1_3repE0EEES8_NS0_14default_configES9_NS1_37merge_sort_block_sort_config_selectorIN6thrust23THRUST_200600_302600_NS4pairIiiEENS0_10empty_typeEEENS1_38merge_sort_block_merge_config_selectorISE_SF_EEEEvv
    .private_segment_fixed_size: 0
    .sgpr_count:     0
    .sgpr_spill_count: 0
    .symbol:         _ZN7rocprim17ROCPRIM_400000_NS6detail44device_merge_sort_compile_time_verifier_archINS1_11comp_targetILNS1_3genE4ELNS1_11target_archE910ELNS1_3gpuE8ELNS1_3repE0EEES8_NS0_14default_configES9_NS1_37merge_sort_block_sort_config_selectorIN6thrust23THRUST_200600_302600_NS4pairIiiEENS0_10empty_typeEEENS1_38merge_sort_block_merge_config_selectorISE_SF_EEEEvv.kd
    .uniform_work_group_size: 1
    .uses_dynamic_stack: false
    .vgpr_count:     0
    .vgpr_spill_count: 0
    .wavefront_size: 32
    .workgroup_processor_mode: 1
  - .args:           []
    .group_segment_fixed_size: 0
    .kernarg_segment_align: 4
    .kernarg_segment_size: 0
    .language:       OpenCL C
    .language_version:
      - 2
      - 0
    .max_flat_workgroup_size: 1024
    .name:           _ZN7rocprim17ROCPRIM_400000_NS6detail44device_merge_sort_compile_time_verifier_archINS1_11comp_targetILNS1_3genE3ELNS1_11target_archE908ELNS1_3gpuE7ELNS1_3repE0EEES8_NS0_14default_configES9_NS1_37merge_sort_block_sort_config_selectorIN6thrust23THRUST_200600_302600_NS4pairIiiEENS0_10empty_typeEEENS1_38merge_sort_block_merge_config_selectorISE_SF_EEEEvv
    .private_segment_fixed_size: 0
    .sgpr_count:     0
    .sgpr_spill_count: 0
    .symbol:         _ZN7rocprim17ROCPRIM_400000_NS6detail44device_merge_sort_compile_time_verifier_archINS1_11comp_targetILNS1_3genE3ELNS1_11target_archE908ELNS1_3gpuE7ELNS1_3repE0EEES8_NS0_14default_configES9_NS1_37merge_sort_block_sort_config_selectorIN6thrust23THRUST_200600_302600_NS4pairIiiEENS0_10empty_typeEEENS1_38merge_sort_block_merge_config_selectorISE_SF_EEEEvv.kd
    .uniform_work_group_size: 1
    .uses_dynamic_stack: false
    .vgpr_count:     0
    .vgpr_spill_count: 0
    .wavefront_size: 32
    .workgroup_processor_mode: 1
  - .args:           []
    .group_segment_fixed_size: 0
    .kernarg_segment_align: 4
    .kernarg_segment_size: 0
    .language:       OpenCL C
    .language_version:
      - 2
      - 0
    .max_flat_workgroup_size: 1024
    .name:           _ZN7rocprim17ROCPRIM_400000_NS6detail44device_merge_sort_compile_time_verifier_archINS1_11comp_targetILNS1_3genE2ELNS1_11target_archE906ELNS1_3gpuE6ELNS1_3repE0EEES8_NS0_14default_configES9_NS1_37merge_sort_block_sort_config_selectorIN6thrust23THRUST_200600_302600_NS4pairIiiEENS0_10empty_typeEEENS1_38merge_sort_block_merge_config_selectorISE_SF_EEEEvv
    .private_segment_fixed_size: 0
    .sgpr_count:     0
    .sgpr_spill_count: 0
    .symbol:         _ZN7rocprim17ROCPRIM_400000_NS6detail44device_merge_sort_compile_time_verifier_archINS1_11comp_targetILNS1_3genE2ELNS1_11target_archE906ELNS1_3gpuE6ELNS1_3repE0EEES8_NS0_14default_configES9_NS1_37merge_sort_block_sort_config_selectorIN6thrust23THRUST_200600_302600_NS4pairIiiEENS0_10empty_typeEEENS1_38merge_sort_block_merge_config_selectorISE_SF_EEEEvv.kd
    .uniform_work_group_size: 1
    .uses_dynamic_stack: false
    .vgpr_count:     0
    .vgpr_spill_count: 0
    .wavefront_size: 32
    .workgroup_processor_mode: 1
  - .args:           []
    .group_segment_fixed_size: 0
    .kernarg_segment_align: 4
    .kernarg_segment_size: 0
    .language:       OpenCL C
    .language_version:
      - 2
      - 0
    .max_flat_workgroup_size: 1024
    .name:           _ZN7rocprim17ROCPRIM_400000_NS6detail44device_merge_sort_compile_time_verifier_archINS1_11comp_targetILNS1_3genE10ELNS1_11target_archE1201ELNS1_3gpuE5ELNS1_3repE0EEES8_NS0_14default_configES9_NS1_37merge_sort_block_sort_config_selectorIN6thrust23THRUST_200600_302600_NS4pairIiiEENS0_10empty_typeEEENS1_38merge_sort_block_merge_config_selectorISE_SF_EEEEvv
    .private_segment_fixed_size: 0
    .sgpr_count:     0
    .sgpr_spill_count: 0
    .symbol:         _ZN7rocprim17ROCPRIM_400000_NS6detail44device_merge_sort_compile_time_verifier_archINS1_11comp_targetILNS1_3genE10ELNS1_11target_archE1201ELNS1_3gpuE5ELNS1_3repE0EEES8_NS0_14default_configES9_NS1_37merge_sort_block_sort_config_selectorIN6thrust23THRUST_200600_302600_NS4pairIiiEENS0_10empty_typeEEENS1_38merge_sort_block_merge_config_selectorISE_SF_EEEEvv.kd
    .uniform_work_group_size: 1
    .uses_dynamic_stack: false
    .vgpr_count:     0
    .vgpr_spill_count: 0
    .wavefront_size: 32
    .workgroup_processor_mode: 1
  - .args:           []
    .group_segment_fixed_size: 0
    .kernarg_segment_align: 4
    .kernarg_segment_size: 0
    .language:       OpenCL C
    .language_version:
      - 2
      - 0
    .max_flat_workgroup_size: 1024
    .name:           _ZN7rocprim17ROCPRIM_400000_NS6detail44device_merge_sort_compile_time_verifier_archINS1_11comp_targetILNS1_3genE10ELNS1_11target_archE1200ELNS1_3gpuE4ELNS1_3repE0EEENS3_ILS4_10ELS5_1201ELS6_5ELS7_0EEENS0_14default_configESA_NS1_37merge_sort_block_sort_config_selectorIN6thrust23THRUST_200600_302600_NS4pairIiiEENS0_10empty_typeEEENS1_38merge_sort_block_merge_config_selectorISF_SG_EEEEvv
    .private_segment_fixed_size: 0
    .sgpr_count:     0
    .sgpr_spill_count: 0
    .symbol:         _ZN7rocprim17ROCPRIM_400000_NS6detail44device_merge_sort_compile_time_verifier_archINS1_11comp_targetILNS1_3genE10ELNS1_11target_archE1200ELNS1_3gpuE4ELNS1_3repE0EEENS3_ILS4_10ELS5_1201ELS6_5ELS7_0EEENS0_14default_configESA_NS1_37merge_sort_block_sort_config_selectorIN6thrust23THRUST_200600_302600_NS4pairIiiEENS0_10empty_typeEEENS1_38merge_sort_block_merge_config_selectorISF_SG_EEEEvv.kd
    .uniform_work_group_size: 1
    .uses_dynamic_stack: false
    .vgpr_count:     0
    .vgpr_spill_count: 0
    .wavefront_size: 32
    .workgroup_processor_mode: 1
  - .args:           []
    .group_segment_fixed_size: 0
    .kernarg_segment_align: 4
    .kernarg_segment_size: 0
    .language:       OpenCL C
    .language_version:
      - 2
      - 0
    .max_flat_workgroup_size: 1024
    .name:           _ZN7rocprim17ROCPRIM_400000_NS6detail44device_merge_sort_compile_time_verifier_archINS1_11comp_targetILNS1_3genE9ELNS1_11target_archE1100ELNS1_3gpuE3ELNS1_3repE0EEES8_NS0_14default_configES9_NS1_37merge_sort_block_sort_config_selectorIN6thrust23THRUST_200600_302600_NS4pairIiiEENS0_10empty_typeEEENS1_38merge_sort_block_merge_config_selectorISE_SF_EEEEvv
    .private_segment_fixed_size: 0
    .sgpr_count:     0
    .sgpr_spill_count: 0
    .symbol:         _ZN7rocprim17ROCPRIM_400000_NS6detail44device_merge_sort_compile_time_verifier_archINS1_11comp_targetILNS1_3genE9ELNS1_11target_archE1100ELNS1_3gpuE3ELNS1_3repE0EEES8_NS0_14default_configES9_NS1_37merge_sort_block_sort_config_selectorIN6thrust23THRUST_200600_302600_NS4pairIiiEENS0_10empty_typeEEENS1_38merge_sort_block_merge_config_selectorISE_SF_EEEEvv.kd
    .uniform_work_group_size: 1
    .uses_dynamic_stack: false
    .vgpr_count:     0
    .vgpr_spill_count: 0
    .wavefront_size: 32
    .workgroup_processor_mode: 1
  - .args:           []
    .group_segment_fixed_size: 0
    .kernarg_segment_align: 4
    .kernarg_segment_size: 0
    .language:       OpenCL C
    .language_version:
      - 2
      - 0
    .max_flat_workgroup_size: 1024
    .name:           _ZN7rocprim17ROCPRIM_400000_NS6detail44device_merge_sort_compile_time_verifier_archINS1_11comp_targetILNS1_3genE8ELNS1_11target_archE1030ELNS1_3gpuE2ELNS1_3repE0EEES8_NS0_14default_configES9_NS1_37merge_sort_block_sort_config_selectorIN6thrust23THRUST_200600_302600_NS4pairIiiEENS0_10empty_typeEEENS1_38merge_sort_block_merge_config_selectorISE_SF_EEEEvv
    .private_segment_fixed_size: 0
    .sgpr_count:     0
    .sgpr_spill_count: 0
    .symbol:         _ZN7rocprim17ROCPRIM_400000_NS6detail44device_merge_sort_compile_time_verifier_archINS1_11comp_targetILNS1_3genE8ELNS1_11target_archE1030ELNS1_3gpuE2ELNS1_3repE0EEES8_NS0_14default_configES9_NS1_37merge_sort_block_sort_config_selectorIN6thrust23THRUST_200600_302600_NS4pairIiiEENS0_10empty_typeEEENS1_38merge_sort_block_merge_config_selectorISE_SF_EEEEvv.kd
    .uniform_work_group_size: 1
    .uses_dynamic_stack: false
    .vgpr_count:     0
    .vgpr_spill_count: 0
    .wavefront_size: 32
    .workgroup_processor_mode: 1
  - .args:
      - .offset:         0
        .size:           64
        .value_kind:     by_value
    .group_segment_fixed_size: 0
    .kernarg_segment_align: 8
    .kernarg_segment_size: 64
    .language:       OpenCL C
    .language_version:
      - 2
      - 0
    .max_flat_workgroup_size: 256
    .name:           _ZN7rocprim17ROCPRIM_400000_NS6detail17trampoline_kernelINS0_14default_configENS1_37merge_sort_block_sort_config_selectorIN6thrust23THRUST_200600_302600_NS4pairIiiEENS0_10empty_typeEEEZNS1_21merge_sort_block_sortIS3_NS6_6detail15normal_iteratorINS6_10device_ptrIS8_EEEESG_PS9_SH_NS6_4lessIS8_EEEE10hipError_tT0_T1_T2_T3_mRjT4_P12ihipStream_tbNS1_7vsmem_tEEUlT_E_NS1_11comp_targetILNS1_3genE0ELNS1_11target_archE4294967295ELNS1_3gpuE0ELNS1_3repE0EEENS1_30default_config_static_selectorELNS0_4arch9wavefront6targetE0EEEvSM_
    .private_segment_fixed_size: 0
    .sgpr_count:     0
    .sgpr_spill_count: 0
    .symbol:         _ZN7rocprim17ROCPRIM_400000_NS6detail17trampoline_kernelINS0_14default_configENS1_37merge_sort_block_sort_config_selectorIN6thrust23THRUST_200600_302600_NS4pairIiiEENS0_10empty_typeEEEZNS1_21merge_sort_block_sortIS3_NS6_6detail15normal_iteratorINS6_10device_ptrIS8_EEEESG_PS9_SH_NS6_4lessIS8_EEEE10hipError_tT0_T1_T2_T3_mRjT4_P12ihipStream_tbNS1_7vsmem_tEEUlT_E_NS1_11comp_targetILNS1_3genE0ELNS1_11target_archE4294967295ELNS1_3gpuE0ELNS1_3repE0EEENS1_30default_config_static_selectorELNS0_4arch9wavefront6targetE0EEEvSM_.kd
    .uniform_work_group_size: 1
    .uses_dynamic_stack: false
    .vgpr_count:     0
    .vgpr_spill_count: 0
    .wavefront_size: 32
    .workgroup_processor_mode: 1
  - .args:
      - .offset:         0
        .size:           64
        .value_kind:     by_value
    .group_segment_fixed_size: 0
    .kernarg_segment_align: 8
    .kernarg_segment_size: 64
    .language:       OpenCL C
    .language_version:
      - 2
      - 0
    .max_flat_workgroup_size: 256
    .name:           _ZN7rocprim17ROCPRIM_400000_NS6detail17trampoline_kernelINS0_14default_configENS1_37merge_sort_block_sort_config_selectorIN6thrust23THRUST_200600_302600_NS4pairIiiEENS0_10empty_typeEEEZNS1_21merge_sort_block_sortIS3_NS6_6detail15normal_iteratorINS6_10device_ptrIS8_EEEESG_PS9_SH_NS6_4lessIS8_EEEE10hipError_tT0_T1_T2_T3_mRjT4_P12ihipStream_tbNS1_7vsmem_tEEUlT_E_NS1_11comp_targetILNS1_3genE5ELNS1_11target_archE942ELNS1_3gpuE9ELNS1_3repE0EEENS1_30default_config_static_selectorELNS0_4arch9wavefront6targetE0EEEvSM_
    .private_segment_fixed_size: 0
    .sgpr_count:     0
    .sgpr_spill_count: 0
    .symbol:         _ZN7rocprim17ROCPRIM_400000_NS6detail17trampoline_kernelINS0_14default_configENS1_37merge_sort_block_sort_config_selectorIN6thrust23THRUST_200600_302600_NS4pairIiiEENS0_10empty_typeEEEZNS1_21merge_sort_block_sortIS3_NS6_6detail15normal_iteratorINS6_10device_ptrIS8_EEEESG_PS9_SH_NS6_4lessIS8_EEEE10hipError_tT0_T1_T2_T3_mRjT4_P12ihipStream_tbNS1_7vsmem_tEEUlT_E_NS1_11comp_targetILNS1_3genE5ELNS1_11target_archE942ELNS1_3gpuE9ELNS1_3repE0EEENS1_30default_config_static_selectorELNS0_4arch9wavefront6targetE0EEEvSM_.kd
    .uniform_work_group_size: 1
    .uses_dynamic_stack: false
    .vgpr_count:     0
    .vgpr_spill_count: 0
    .wavefront_size: 32
    .workgroup_processor_mode: 1
  - .args:
      - .offset:         0
        .size:           64
        .value_kind:     by_value
    .group_segment_fixed_size: 0
    .kernarg_segment_align: 8
    .kernarg_segment_size: 64
    .language:       OpenCL C
    .language_version:
      - 2
      - 0
    .max_flat_workgroup_size: 256
    .name:           _ZN7rocprim17ROCPRIM_400000_NS6detail17trampoline_kernelINS0_14default_configENS1_37merge_sort_block_sort_config_selectorIN6thrust23THRUST_200600_302600_NS4pairIiiEENS0_10empty_typeEEEZNS1_21merge_sort_block_sortIS3_NS6_6detail15normal_iteratorINS6_10device_ptrIS8_EEEESG_PS9_SH_NS6_4lessIS8_EEEE10hipError_tT0_T1_T2_T3_mRjT4_P12ihipStream_tbNS1_7vsmem_tEEUlT_E_NS1_11comp_targetILNS1_3genE4ELNS1_11target_archE910ELNS1_3gpuE8ELNS1_3repE0EEENS1_30default_config_static_selectorELNS0_4arch9wavefront6targetE0EEEvSM_
    .private_segment_fixed_size: 0
    .sgpr_count:     0
    .sgpr_spill_count: 0
    .symbol:         _ZN7rocprim17ROCPRIM_400000_NS6detail17trampoline_kernelINS0_14default_configENS1_37merge_sort_block_sort_config_selectorIN6thrust23THRUST_200600_302600_NS4pairIiiEENS0_10empty_typeEEEZNS1_21merge_sort_block_sortIS3_NS6_6detail15normal_iteratorINS6_10device_ptrIS8_EEEESG_PS9_SH_NS6_4lessIS8_EEEE10hipError_tT0_T1_T2_T3_mRjT4_P12ihipStream_tbNS1_7vsmem_tEEUlT_E_NS1_11comp_targetILNS1_3genE4ELNS1_11target_archE910ELNS1_3gpuE8ELNS1_3repE0EEENS1_30default_config_static_selectorELNS0_4arch9wavefront6targetE0EEEvSM_.kd
    .uniform_work_group_size: 1
    .uses_dynamic_stack: false
    .vgpr_count:     0
    .vgpr_spill_count: 0
    .wavefront_size: 32
    .workgroup_processor_mode: 1
  - .args:
      - .offset:         0
        .size:           64
        .value_kind:     by_value
    .group_segment_fixed_size: 0
    .kernarg_segment_align: 8
    .kernarg_segment_size: 64
    .language:       OpenCL C
    .language_version:
      - 2
      - 0
    .max_flat_workgroup_size: 256
    .name:           _ZN7rocprim17ROCPRIM_400000_NS6detail17trampoline_kernelINS0_14default_configENS1_37merge_sort_block_sort_config_selectorIN6thrust23THRUST_200600_302600_NS4pairIiiEENS0_10empty_typeEEEZNS1_21merge_sort_block_sortIS3_NS6_6detail15normal_iteratorINS6_10device_ptrIS8_EEEESG_PS9_SH_NS6_4lessIS8_EEEE10hipError_tT0_T1_T2_T3_mRjT4_P12ihipStream_tbNS1_7vsmem_tEEUlT_E_NS1_11comp_targetILNS1_3genE3ELNS1_11target_archE908ELNS1_3gpuE7ELNS1_3repE0EEENS1_30default_config_static_selectorELNS0_4arch9wavefront6targetE0EEEvSM_
    .private_segment_fixed_size: 0
    .sgpr_count:     0
    .sgpr_spill_count: 0
    .symbol:         _ZN7rocprim17ROCPRIM_400000_NS6detail17trampoline_kernelINS0_14default_configENS1_37merge_sort_block_sort_config_selectorIN6thrust23THRUST_200600_302600_NS4pairIiiEENS0_10empty_typeEEEZNS1_21merge_sort_block_sortIS3_NS6_6detail15normal_iteratorINS6_10device_ptrIS8_EEEESG_PS9_SH_NS6_4lessIS8_EEEE10hipError_tT0_T1_T2_T3_mRjT4_P12ihipStream_tbNS1_7vsmem_tEEUlT_E_NS1_11comp_targetILNS1_3genE3ELNS1_11target_archE908ELNS1_3gpuE7ELNS1_3repE0EEENS1_30default_config_static_selectorELNS0_4arch9wavefront6targetE0EEEvSM_.kd
    .uniform_work_group_size: 1
    .uses_dynamic_stack: false
    .vgpr_count:     0
    .vgpr_spill_count: 0
    .wavefront_size: 32
    .workgroup_processor_mode: 1
  - .args:
      - .offset:         0
        .size:           64
        .value_kind:     by_value
    .group_segment_fixed_size: 0
    .kernarg_segment_align: 8
    .kernarg_segment_size: 64
    .language:       OpenCL C
    .language_version:
      - 2
      - 0
    .max_flat_workgroup_size: 256
    .name:           _ZN7rocprim17ROCPRIM_400000_NS6detail17trampoline_kernelINS0_14default_configENS1_37merge_sort_block_sort_config_selectorIN6thrust23THRUST_200600_302600_NS4pairIiiEENS0_10empty_typeEEEZNS1_21merge_sort_block_sortIS3_NS6_6detail15normal_iteratorINS6_10device_ptrIS8_EEEESG_PS9_SH_NS6_4lessIS8_EEEE10hipError_tT0_T1_T2_T3_mRjT4_P12ihipStream_tbNS1_7vsmem_tEEUlT_E_NS1_11comp_targetILNS1_3genE2ELNS1_11target_archE906ELNS1_3gpuE6ELNS1_3repE0EEENS1_30default_config_static_selectorELNS0_4arch9wavefront6targetE0EEEvSM_
    .private_segment_fixed_size: 0
    .sgpr_count:     0
    .sgpr_spill_count: 0
    .symbol:         _ZN7rocprim17ROCPRIM_400000_NS6detail17trampoline_kernelINS0_14default_configENS1_37merge_sort_block_sort_config_selectorIN6thrust23THRUST_200600_302600_NS4pairIiiEENS0_10empty_typeEEEZNS1_21merge_sort_block_sortIS3_NS6_6detail15normal_iteratorINS6_10device_ptrIS8_EEEESG_PS9_SH_NS6_4lessIS8_EEEE10hipError_tT0_T1_T2_T3_mRjT4_P12ihipStream_tbNS1_7vsmem_tEEUlT_E_NS1_11comp_targetILNS1_3genE2ELNS1_11target_archE906ELNS1_3gpuE6ELNS1_3repE0EEENS1_30default_config_static_selectorELNS0_4arch9wavefront6targetE0EEEvSM_.kd
    .uniform_work_group_size: 1
    .uses_dynamic_stack: false
    .vgpr_count:     0
    .vgpr_spill_count: 0
    .wavefront_size: 32
    .workgroup_processor_mode: 1
  - .args:
      - .offset:         0
        .size:           64
        .value_kind:     by_value
    .group_segment_fixed_size: 0
    .kernarg_segment_align: 8
    .kernarg_segment_size: 64
    .language:       OpenCL C
    .language_version:
      - 2
      - 0
    .max_flat_workgroup_size: 256
    .name:           _ZN7rocprim17ROCPRIM_400000_NS6detail17trampoline_kernelINS0_14default_configENS1_37merge_sort_block_sort_config_selectorIN6thrust23THRUST_200600_302600_NS4pairIiiEENS0_10empty_typeEEEZNS1_21merge_sort_block_sortIS3_NS6_6detail15normal_iteratorINS6_10device_ptrIS8_EEEESG_PS9_SH_NS6_4lessIS8_EEEE10hipError_tT0_T1_T2_T3_mRjT4_P12ihipStream_tbNS1_7vsmem_tEEUlT_E_NS1_11comp_targetILNS1_3genE10ELNS1_11target_archE1201ELNS1_3gpuE5ELNS1_3repE0EEENS1_30default_config_static_selectorELNS0_4arch9wavefront6targetE0EEEvSM_
    .private_segment_fixed_size: 0
    .sgpr_count:     0
    .sgpr_spill_count: 0
    .symbol:         _ZN7rocprim17ROCPRIM_400000_NS6detail17trampoline_kernelINS0_14default_configENS1_37merge_sort_block_sort_config_selectorIN6thrust23THRUST_200600_302600_NS4pairIiiEENS0_10empty_typeEEEZNS1_21merge_sort_block_sortIS3_NS6_6detail15normal_iteratorINS6_10device_ptrIS8_EEEESG_PS9_SH_NS6_4lessIS8_EEEE10hipError_tT0_T1_T2_T3_mRjT4_P12ihipStream_tbNS1_7vsmem_tEEUlT_E_NS1_11comp_targetILNS1_3genE10ELNS1_11target_archE1201ELNS1_3gpuE5ELNS1_3repE0EEENS1_30default_config_static_selectorELNS0_4arch9wavefront6targetE0EEEvSM_.kd
    .uniform_work_group_size: 1
    .uses_dynamic_stack: false
    .vgpr_count:     0
    .vgpr_spill_count: 0
    .wavefront_size: 32
    .workgroup_processor_mode: 1
  - .args:
      - .offset:         0
        .size:           64
        .value_kind:     by_value
    .group_segment_fixed_size: 0
    .kernarg_segment_align: 8
    .kernarg_segment_size: 64
    .language:       OpenCL C
    .language_version:
      - 2
      - 0
    .max_flat_workgroup_size: 512
    .name:           _ZN7rocprim17ROCPRIM_400000_NS6detail17trampoline_kernelINS0_14default_configENS1_37merge_sort_block_sort_config_selectorIN6thrust23THRUST_200600_302600_NS4pairIiiEENS0_10empty_typeEEEZNS1_21merge_sort_block_sortIS3_NS6_6detail15normal_iteratorINS6_10device_ptrIS8_EEEESG_PS9_SH_NS6_4lessIS8_EEEE10hipError_tT0_T1_T2_T3_mRjT4_P12ihipStream_tbNS1_7vsmem_tEEUlT_E_NS1_11comp_targetILNS1_3genE10ELNS1_11target_archE1200ELNS1_3gpuE4ELNS1_3repE0EEENS1_30default_config_static_selectorELNS0_4arch9wavefront6targetE0EEEvSM_
    .private_segment_fixed_size: 0
    .sgpr_count:     0
    .sgpr_spill_count: 0
    .symbol:         _ZN7rocprim17ROCPRIM_400000_NS6detail17trampoline_kernelINS0_14default_configENS1_37merge_sort_block_sort_config_selectorIN6thrust23THRUST_200600_302600_NS4pairIiiEENS0_10empty_typeEEEZNS1_21merge_sort_block_sortIS3_NS6_6detail15normal_iteratorINS6_10device_ptrIS8_EEEESG_PS9_SH_NS6_4lessIS8_EEEE10hipError_tT0_T1_T2_T3_mRjT4_P12ihipStream_tbNS1_7vsmem_tEEUlT_E_NS1_11comp_targetILNS1_3genE10ELNS1_11target_archE1200ELNS1_3gpuE4ELNS1_3repE0EEENS1_30default_config_static_selectorELNS0_4arch9wavefront6targetE0EEEvSM_.kd
    .uniform_work_group_size: 1
    .uses_dynamic_stack: false
    .vgpr_count:     0
    .vgpr_spill_count: 0
    .wavefront_size: 32
    .workgroup_processor_mode: 1
  - .args:
      - .offset:         0
        .size:           64
        .value_kind:     by_value
    .group_segment_fixed_size: 0
    .kernarg_segment_align: 8
    .kernarg_segment_size: 64
    .language:       OpenCL C
    .language_version:
      - 2
      - 0
    .max_flat_workgroup_size: 256
    .name:           _ZN7rocprim17ROCPRIM_400000_NS6detail17trampoline_kernelINS0_14default_configENS1_37merge_sort_block_sort_config_selectorIN6thrust23THRUST_200600_302600_NS4pairIiiEENS0_10empty_typeEEEZNS1_21merge_sort_block_sortIS3_NS6_6detail15normal_iteratorINS6_10device_ptrIS8_EEEESG_PS9_SH_NS6_4lessIS8_EEEE10hipError_tT0_T1_T2_T3_mRjT4_P12ihipStream_tbNS1_7vsmem_tEEUlT_E_NS1_11comp_targetILNS1_3genE9ELNS1_11target_archE1100ELNS1_3gpuE3ELNS1_3repE0EEENS1_30default_config_static_selectorELNS0_4arch9wavefront6targetE0EEEvSM_
    .private_segment_fixed_size: 0
    .sgpr_count:     0
    .sgpr_spill_count: 0
    .symbol:         _ZN7rocprim17ROCPRIM_400000_NS6detail17trampoline_kernelINS0_14default_configENS1_37merge_sort_block_sort_config_selectorIN6thrust23THRUST_200600_302600_NS4pairIiiEENS0_10empty_typeEEEZNS1_21merge_sort_block_sortIS3_NS6_6detail15normal_iteratorINS6_10device_ptrIS8_EEEESG_PS9_SH_NS6_4lessIS8_EEEE10hipError_tT0_T1_T2_T3_mRjT4_P12ihipStream_tbNS1_7vsmem_tEEUlT_E_NS1_11comp_targetILNS1_3genE9ELNS1_11target_archE1100ELNS1_3gpuE3ELNS1_3repE0EEENS1_30default_config_static_selectorELNS0_4arch9wavefront6targetE0EEEvSM_.kd
    .uniform_work_group_size: 1
    .uses_dynamic_stack: false
    .vgpr_count:     0
    .vgpr_spill_count: 0
    .wavefront_size: 32
    .workgroup_processor_mode: 1
  - .args:
      - .offset:         0
        .size:           64
        .value_kind:     by_value
      - .offset:         64
        .size:           4
        .value_kind:     hidden_block_count_x
      - .offset:         68
        .size:           4
        .value_kind:     hidden_block_count_y
      - .offset:         72
        .size:           4
        .value_kind:     hidden_block_count_z
      - .offset:         76
        .size:           2
        .value_kind:     hidden_group_size_x
      - .offset:         78
        .size:           2
        .value_kind:     hidden_group_size_y
      - .offset:         80
        .size:           2
        .value_kind:     hidden_group_size_z
      - .offset:         82
        .size:           2
        .value_kind:     hidden_remainder_x
      - .offset:         84
        .size:           2
        .value_kind:     hidden_remainder_y
      - .offset:         86
        .size:           2
        .value_kind:     hidden_remainder_z
      - .offset:         104
        .size:           8
        .value_kind:     hidden_global_offset_x
      - .offset:         112
        .size:           8
        .value_kind:     hidden_global_offset_y
      - .offset:         120
        .size:           8
        .value_kind:     hidden_global_offset_z
      - .offset:         128
        .size:           2
        .value_kind:     hidden_grid_dims
    .group_segment_fixed_size: 8448
    .kernarg_segment_align: 8
    .kernarg_segment_size: 320
    .language:       OpenCL C
    .language_version:
      - 2
      - 0
    .max_flat_workgroup_size: 256
    .name:           _ZN7rocprim17ROCPRIM_400000_NS6detail17trampoline_kernelINS0_14default_configENS1_37merge_sort_block_sort_config_selectorIN6thrust23THRUST_200600_302600_NS4pairIiiEENS0_10empty_typeEEEZNS1_21merge_sort_block_sortIS3_NS6_6detail15normal_iteratorINS6_10device_ptrIS8_EEEESG_PS9_SH_NS6_4lessIS8_EEEE10hipError_tT0_T1_T2_T3_mRjT4_P12ihipStream_tbNS1_7vsmem_tEEUlT_E_NS1_11comp_targetILNS1_3genE8ELNS1_11target_archE1030ELNS1_3gpuE2ELNS1_3repE0EEENS1_30default_config_static_selectorELNS0_4arch9wavefront6targetE0EEEvSM_
    .private_segment_fixed_size: 0
    .sgpr_count:     22
    .sgpr_spill_count: 0
    .symbol:         _ZN7rocprim17ROCPRIM_400000_NS6detail17trampoline_kernelINS0_14default_configENS1_37merge_sort_block_sort_config_selectorIN6thrust23THRUST_200600_302600_NS4pairIiiEENS0_10empty_typeEEEZNS1_21merge_sort_block_sortIS3_NS6_6detail15normal_iteratorINS6_10device_ptrIS8_EEEESG_PS9_SH_NS6_4lessIS8_EEEE10hipError_tT0_T1_T2_T3_mRjT4_P12ihipStream_tbNS1_7vsmem_tEEUlT_E_NS1_11comp_targetILNS1_3genE8ELNS1_11target_archE1030ELNS1_3gpuE2ELNS1_3repE0EEENS1_30default_config_static_selectorELNS0_4arch9wavefront6targetE0EEEvSM_.kd
    .uniform_work_group_size: 1
    .uses_dynamic_stack: false
    .vgpr_count:     43
    .vgpr_spill_count: 0
    .wavefront_size: 32
    .workgroup_processor_mode: 1
  - .args:
      - .offset:         0
        .size:           48
        .value_kind:     by_value
    .group_segment_fixed_size: 0
    .kernarg_segment_align: 8
    .kernarg_segment_size: 48
    .language:       OpenCL C
    .language_version:
      - 2
      - 0
    .max_flat_workgroup_size: 128
    .name:           _ZN7rocprim17ROCPRIM_400000_NS6detail17trampoline_kernelINS0_14default_configENS1_38merge_sort_block_merge_config_selectorIN6thrust23THRUST_200600_302600_NS4pairIiiEENS0_10empty_typeEEEZZNS1_27merge_sort_block_merge_implIS3_NS6_6detail15normal_iteratorINS6_10device_ptrIS8_EEEEPS9_mNS6_4lessIS8_EEEE10hipError_tT0_T1_T2_jT3_P12ihipStream_tbPNSt15iterator_traitsISL_E10value_typeEPNSR_ISM_E10value_typeEPSN_NS1_7vsmem_tEENKUlT_SL_SM_SN_E_clIPS8_SG_SH_SH_EESK_S10_SL_SM_SN_EUlS10_E_NS1_11comp_targetILNS1_3genE0ELNS1_11target_archE4294967295ELNS1_3gpuE0ELNS1_3repE0EEENS1_48merge_mergepath_partition_config_static_selectorELNS0_4arch9wavefront6targetE0EEEvSM_
    .private_segment_fixed_size: 0
    .sgpr_count:     0
    .sgpr_spill_count: 0
    .symbol:         _ZN7rocprim17ROCPRIM_400000_NS6detail17trampoline_kernelINS0_14default_configENS1_38merge_sort_block_merge_config_selectorIN6thrust23THRUST_200600_302600_NS4pairIiiEENS0_10empty_typeEEEZZNS1_27merge_sort_block_merge_implIS3_NS6_6detail15normal_iteratorINS6_10device_ptrIS8_EEEEPS9_mNS6_4lessIS8_EEEE10hipError_tT0_T1_T2_jT3_P12ihipStream_tbPNSt15iterator_traitsISL_E10value_typeEPNSR_ISM_E10value_typeEPSN_NS1_7vsmem_tEENKUlT_SL_SM_SN_E_clIPS8_SG_SH_SH_EESK_S10_SL_SM_SN_EUlS10_E_NS1_11comp_targetILNS1_3genE0ELNS1_11target_archE4294967295ELNS1_3gpuE0ELNS1_3repE0EEENS1_48merge_mergepath_partition_config_static_selectorELNS0_4arch9wavefront6targetE0EEEvSM_.kd
    .uniform_work_group_size: 1
    .uses_dynamic_stack: false
    .vgpr_count:     0
    .vgpr_spill_count: 0
    .wavefront_size: 32
    .workgroup_processor_mode: 1
  - .args:
      - .offset:         0
        .size:           48
        .value_kind:     by_value
    .group_segment_fixed_size: 0
    .kernarg_segment_align: 8
    .kernarg_segment_size: 48
    .language:       OpenCL C
    .language_version:
      - 2
      - 0
    .max_flat_workgroup_size: 128
    .name:           _ZN7rocprim17ROCPRIM_400000_NS6detail17trampoline_kernelINS0_14default_configENS1_38merge_sort_block_merge_config_selectorIN6thrust23THRUST_200600_302600_NS4pairIiiEENS0_10empty_typeEEEZZNS1_27merge_sort_block_merge_implIS3_NS6_6detail15normal_iteratorINS6_10device_ptrIS8_EEEEPS9_mNS6_4lessIS8_EEEE10hipError_tT0_T1_T2_jT3_P12ihipStream_tbPNSt15iterator_traitsISL_E10value_typeEPNSR_ISM_E10value_typeEPSN_NS1_7vsmem_tEENKUlT_SL_SM_SN_E_clIPS8_SG_SH_SH_EESK_S10_SL_SM_SN_EUlS10_E_NS1_11comp_targetILNS1_3genE10ELNS1_11target_archE1201ELNS1_3gpuE5ELNS1_3repE0EEENS1_48merge_mergepath_partition_config_static_selectorELNS0_4arch9wavefront6targetE0EEEvSM_
    .private_segment_fixed_size: 0
    .sgpr_count:     0
    .sgpr_spill_count: 0
    .symbol:         _ZN7rocprim17ROCPRIM_400000_NS6detail17trampoline_kernelINS0_14default_configENS1_38merge_sort_block_merge_config_selectorIN6thrust23THRUST_200600_302600_NS4pairIiiEENS0_10empty_typeEEEZZNS1_27merge_sort_block_merge_implIS3_NS6_6detail15normal_iteratorINS6_10device_ptrIS8_EEEEPS9_mNS6_4lessIS8_EEEE10hipError_tT0_T1_T2_jT3_P12ihipStream_tbPNSt15iterator_traitsISL_E10value_typeEPNSR_ISM_E10value_typeEPSN_NS1_7vsmem_tEENKUlT_SL_SM_SN_E_clIPS8_SG_SH_SH_EESK_S10_SL_SM_SN_EUlS10_E_NS1_11comp_targetILNS1_3genE10ELNS1_11target_archE1201ELNS1_3gpuE5ELNS1_3repE0EEENS1_48merge_mergepath_partition_config_static_selectorELNS0_4arch9wavefront6targetE0EEEvSM_.kd
    .uniform_work_group_size: 1
    .uses_dynamic_stack: false
    .vgpr_count:     0
    .vgpr_spill_count: 0
    .wavefront_size: 32
    .workgroup_processor_mode: 1
  - .args:
      - .offset:         0
        .size:           48
        .value_kind:     by_value
    .group_segment_fixed_size: 0
    .kernarg_segment_align: 8
    .kernarg_segment_size: 48
    .language:       OpenCL C
    .language_version:
      - 2
      - 0
    .max_flat_workgroup_size: 128
    .name:           _ZN7rocprim17ROCPRIM_400000_NS6detail17trampoline_kernelINS0_14default_configENS1_38merge_sort_block_merge_config_selectorIN6thrust23THRUST_200600_302600_NS4pairIiiEENS0_10empty_typeEEEZZNS1_27merge_sort_block_merge_implIS3_NS6_6detail15normal_iteratorINS6_10device_ptrIS8_EEEEPS9_mNS6_4lessIS8_EEEE10hipError_tT0_T1_T2_jT3_P12ihipStream_tbPNSt15iterator_traitsISL_E10value_typeEPNSR_ISM_E10value_typeEPSN_NS1_7vsmem_tEENKUlT_SL_SM_SN_E_clIPS8_SG_SH_SH_EESK_S10_SL_SM_SN_EUlS10_E_NS1_11comp_targetILNS1_3genE5ELNS1_11target_archE942ELNS1_3gpuE9ELNS1_3repE0EEENS1_48merge_mergepath_partition_config_static_selectorELNS0_4arch9wavefront6targetE0EEEvSM_
    .private_segment_fixed_size: 0
    .sgpr_count:     0
    .sgpr_spill_count: 0
    .symbol:         _ZN7rocprim17ROCPRIM_400000_NS6detail17trampoline_kernelINS0_14default_configENS1_38merge_sort_block_merge_config_selectorIN6thrust23THRUST_200600_302600_NS4pairIiiEENS0_10empty_typeEEEZZNS1_27merge_sort_block_merge_implIS3_NS6_6detail15normal_iteratorINS6_10device_ptrIS8_EEEEPS9_mNS6_4lessIS8_EEEE10hipError_tT0_T1_T2_jT3_P12ihipStream_tbPNSt15iterator_traitsISL_E10value_typeEPNSR_ISM_E10value_typeEPSN_NS1_7vsmem_tEENKUlT_SL_SM_SN_E_clIPS8_SG_SH_SH_EESK_S10_SL_SM_SN_EUlS10_E_NS1_11comp_targetILNS1_3genE5ELNS1_11target_archE942ELNS1_3gpuE9ELNS1_3repE0EEENS1_48merge_mergepath_partition_config_static_selectorELNS0_4arch9wavefront6targetE0EEEvSM_.kd
    .uniform_work_group_size: 1
    .uses_dynamic_stack: false
    .vgpr_count:     0
    .vgpr_spill_count: 0
    .wavefront_size: 32
    .workgroup_processor_mode: 1
  - .args:
      - .offset:         0
        .size:           48
        .value_kind:     by_value
    .group_segment_fixed_size: 0
    .kernarg_segment_align: 8
    .kernarg_segment_size: 48
    .language:       OpenCL C
    .language_version:
      - 2
      - 0
    .max_flat_workgroup_size: 128
    .name:           _ZN7rocprim17ROCPRIM_400000_NS6detail17trampoline_kernelINS0_14default_configENS1_38merge_sort_block_merge_config_selectorIN6thrust23THRUST_200600_302600_NS4pairIiiEENS0_10empty_typeEEEZZNS1_27merge_sort_block_merge_implIS3_NS6_6detail15normal_iteratorINS6_10device_ptrIS8_EEEEPS9_mNS6_4lessIS8_EEEE10hipError_tT0_T1_T2_jT3_P12ihipStream_tbPNSt15iterator_traitsISL_E10value_typeEPNSR_ISM_E10value_typeEPSN_NS1_7vsmem_tEENKUlT_SL_SM_SN_E_clIPS8_SG_SH_SH_EESK_S10_SL_SM_SN_EUlS10_E_NS1_11comp_targetILNS1_3genE4ELNS1_11target_archE910ELNS1_3gpuE8ELNS1_3repE0EEENS1_48merge_mergepath_partition_config_static_selectorELNS0_4arch9wavefront6targetE0EEEvSM_
    .private_segment_fixed_size: 0
    .sgpr_count:     0
    .sgpr_spill_count: 0
    .symbol:         _ZN7rocprim17ROCPRIM_400000_NS6detail17trampoline_kernelINS0_14default_configENS1_38merge_sort_block_merge_config_selectorIN6thrust23THRUST_200600_302600_NS4pairIiiEENS0_10empty_typeEEEZZNS1_27merge_sort_block_merge_implIS3_NS6_6detail15normal_iteratorINS6_10device_ptrIS8_EEEEPS9_mNS6_4lessIS8_EEEE10hipError_tT0_T1_T2_jT3_P12ihipStream_tbPNSt15iterator_traitsISL_E10value_typeEPNSR_ISM_E10value_typeEPSN_NS1_7vsmem_tEENKUlT_SL_SM_SN_E_clIPS8_SG_SH_SH_EESK_S10_SL_SM_SN_EUlS10_E_NS1_11comp_targetILNS1_3genE4ELNS1_11target_archE910ELNS1_3gpuE8ELNS1_3repE0EEENS1_48merge_mergepath_partition_config_static_selectorELNS0_4arch9wavefront6targetE0EEEvSM_.kd
    .uniform_work_group_size: 1
    .uses_dynamic_stack: false
    .vgpr_count:     0
    .vgpr_spill_count: 0
    .wavefront_size: 32
    .workgroup_processor_mode: 1
  - .args:
      - .offset:         0
        .size:           48
        .value_kind:     by_value
    .group_segment_fixed_size: 0
    .kernarg_segment_align: 8
    .kernarg_segment_size: 48
    .language:       OpenCL C
    .language_version:
      - 2
      - 0
    .max_flat_workgroup_size: 128
    .name:           _ZN7rocprim17ROCPRIM_400000_NS6detail17trampoline_kernelINS0_14default_configENS1_38merge_sort_block_merge_config_selectorIN6thrust23THRUST_200600_302600_NS4pairIiiEENS0_10empty_typeEEEZZNS1_27merge_sort_block_merge_implIS3_NS6_6detail15normal_iteratorINS6_10device_ptrIS8_EEEEPS9_mNS6_4lessIS8_EEEE10hipError_tT0_T1_T2_jT3_P12ihipStream_tbPNSt15iterator_traitsISL_E10value_typeEPNSR_ISM_E10value_typeEPSN_NS1_7vsmem_tEENKUlT_SL_SM_SN_E_clIPS8_SG_SH_SH_EESK_S10_SL_SM_SN_EUlS10_E_NS1_11comp_targetILNS1_3genE3ELNS1_11target_archE908ELNS1_3gpuE7ELNS1_3repE0EEENS1_48merge_mergepath_partition_config_static_selectorELNS0_4arch9wavefront6targetE0EEEvSM_
    .private_segment_fixed_size: 0
    .sgpr_count:     0
    .sgpr_spill_count: 0
    .symbol:         _ZN7rocprim17ROCPRIM_400000_NS6detail17trampoline_kernelINS0_14default_configENS1_38merge_sort_block_merge_config_selectorIN6thrust23THRUST_200600_302600_NS4pairIiiEENS0_10empty_typeEEEZZNS1_27merge_sort_block_merge_implIS3_NS6_6detail15normal_iteratorINS6_10device_ptrIS8_EEEEPS9_mNS6_4lessIS8_EEEE10hipError_tT0_T1_T2_jT3_P12ihipStream_tbPNSt15iterator_traitsISL_E10value_typeEPNSR_ISM_E10value_typeEPSN_NS1_7vsmem_tEENKUlT_SL_SM_SN_E_clIPS8_SG_SH_SH_EESK_S10_SL_SM_SN_EUlS10_E_NS1_11comp_targetILNS1_3genE3ELNS1_11target_archE908ELNS1_3gpuE7ELNS1_3repE0EEENS1_48merge_mergepath_partition_config_static_selectorELNS0_4arch9wavefront6targetE0EEEvSM_.kd
    .uniform_work_group_size: 1
    .uses_dynamic_stack: false
    .vgpr_count:     0
    .vgpr_spill_count: 0
    .wavefront_size: 32
    .workgroup_processor_mode: 1
  - .args:
      - .offset:         0
        .size:           48
        .value_kind:     by_value
    .group_segment_fixed_size: 0
    .kernarg_segment_align: 8
    .kernarg_segment_size: 48
    .language:       OpenCL C
    .language_version:
      - 2
      - 0
    .max_flat_workgroup_size: 128
    .name:           _ZN7rocprim17ROCPRIM_400000_NS6detail17trampoline_kernelINS0_14default_configENS1_38merge_sort_block_merge_config_selectorIN6thrust23THRUST_200600_302600_NS4pairIiiEENS0_10empty_typeEEEZZNS1_27merge_sort_block_merge_implIS3_NS6_6detail15normal_iteratorINS6_10device_ptrIS8_EEEEPS9_mNS6_4lessIS8_EEEE10hipError_tT0_T1_T2_jT3_P12ihipStream_tbPNSt15iterator_traitsISL_E10value_typeEPNSR_ISM_E10value_typeEPSN_NS1_7vsmem_tEENKUlT_SL_SM_SN_E_clIPS8_SG_SH_SH_EESK_S10_SL_SM_SN_EUlS10_E_NS1_11comp_targetILNS1_3genE2ELNS1_11target_archE906ELNS1_3gpuE6ELNS1_3repE0EEENS1_48merge_mergepath_partition_config_static_selectorELNS0_4arch9wavefront6targetE0EEEvSM_
    .private_segment_fixed_size: 0
    .sgpr_count:     0
    .sgpr_spill_count: 0
    .symbol:         _ZN7rocprim17ROCPRIM_400000_NS6detail17trampoline_kernelINS0_14default_configENS1_38merge_sort_block_merge_config_selectorIN6thrust23THRUST_200600_302600_NS4pairIiiEENS0_10empty_typeEEEZZNS1_27merge_sort_block_merge_implIS3_NS6_6detail15normal_iteratorINS6_10device_ptrIS8_EEEEPS9_mNS6_4lessIS8_EEEE10hipError_tT0_T1_T2_jT3_P12ihipStream_tbPNSt15iterator_traitsISL_E10value_typeEPNSR_ISM_E10value_typeEPSN_NS1_7vsmem_tEENKUlT_SL_SM_SN_E_clIPS8_SG_SH_SH_EESK_S10_SL_SM_SN_EUlS10_E_NS1_11comp_targetILNS1_3genE2ELNS1_11target_archE906ELNS1_3gpuE6ELNS1_3repE0EEENS1_48merge_mergepath_partition_config_static_selectorELNS0_4arch9wavefront6targetE0EEEvSM_.kd
    .uniform_work_group_size: 1
    .uses_dynamic_stack: false
    .vgpr_count:     0
    .vgpr_spill_count: 0
    .wavefront_size: 32
    .workgroup_processor_mode: 1
  - .args:
      - .offset:         0
        .size:           48
        .value_kind:     by_value
    .group_segment_fixed_size: 0
    .kernarg_segment_align: 8
    .kernarg_segment_size: 48
    .language:       OpenCL C
    .language_version:
      - 2
      - 0
    .max_flat_workgroup_size: 128
    .name:           _ZN7rocprim17ROCPRIM_400000_NS6detail17trampoline_kernelINS0_14default_configENS1_38merge_sort_block_merge_config_selectorIN6thrust23THRUST_200600_302600_NS4pairIiiEENS0_10empty_typeEEEZZNS1_27merge_sort_block_merge_implIS3_NS6_6detail15normal_iteratorINS6_10device_ptrIS8_EEEEPS9_mNS6_4lessIS8_EEEE10hipError_tT0_T1_T2_jT3_P12ihipStream_tbPNSt15iterator_traitsISL_E10value_typeEPNSR_ISM_E10value_typeEPSN_NS1_7vsmem_tEENKUlT_SL_SM_SN_E_clIPS8_SG_SH_SH_EESK_S10_SL_SM_SN_EUlS10_E_NS1_11comp_targetILNS1_3genE9ELNS1_11target_archE1100ELNS1_3gpuE3ELNS1_3repE0EEENS1_48merge_mergepath_partition_config_static_selectorELNS0_4arch9wavefront6targetE0EEEvSM_
    .private_segment_fixed_size: 0
    .sgpr_count:     0
    .sgpr_spill_count: 0
    .symbol:         _ZN7rocprim17ROCPRIM_400000_NS6detail17trampoline_kernelINS0_14default_configENS1_38merge_sort_block_merge_config_selectorIN6thrust23THRUST_200600_302600_NS4pairIiiEENS0_10empty_typeEEEZZNS1_27merge_sort_block_merge_implIS3_NS6_6detail15normal_iteratorINS6_10device_ptrIS8_EEEEPS9_mNS6_4lessIS8_EEEE10hipError_tT0_T1_T2_jT3_P12ihipStream_tbPNSt15iterator_traitsISL_E10value_typeEPNSR_ISM_E10value_typeEPSN_NS1_7vsmem_tEENKUlT_SL_SM_SN_E_clIPS8_SG_SH_SH_EESK_S10_SL_SM_SN_EUlS10_E_NS1_11comp_targetILNS1_3genE9ELNS1_11target_archE1100ELNS1_3gpuE3ELNS1_3repE0EEENS1_48merge_mergepath_partition_config_static_selectorELNS0_4arch9wavefront6targetE0EEEvSM_.kd
    .uniform_work_group_size: 1
    .uses_dynamic_stack: false
    .vgpr_count:     0
    .vgpr_spill_count: 0
    .wavefront_size: 32
    .workgroup_processor_mode: 1
  - .args:
      - .offset:         0
        .size:           48
        .value_kind:     by_value
    .group_segment_fixed_size: 0
    .kernarg_segment_align: 8
    .kernarg_segment_size: 48
    .language:       OpenCL C
    .language_version:
      - 2
      - 0
    .max_flat_workgroup_size: 128
    .name:           _ZN7rocprim17ROCPRIM_400000_NS6detail17trampoline_kernelINS0_14default_configENS1_38merge_sort_block_merge_config_selectorIN6thrust23THRUST_200600_302600_NS4pairIiiEENS0_10empty_typeEEEZZNS1_27merge_sort_block_merge_implIS3_NS6_6detail15normal_iteratorINS6_10device_ptrIS8_EEEEPS9_mNS6_4lessIS8_EEEE10hipError_tT0_T1_T2_jT3_P12ihipStream_tbPNSt15iterator_traitsISL_E10value_typeEPNSR_ISM_E10value_typeEPSN_NS1_7vsmem_tEENKUlT_SL_SM_SN_E_clIPS8_SG_SH_SH_EESK_S10_SL_SM_SN_EUlS10_E_NS1_11comp_targetILNS1_3genE8ELNS1_11target_archE1030ELNS1_3gpuE2ELNS1_3repE0EEENS1_48merge_mergepath_partition_config_static_selectorELNS0_4arch9wavefront6targetE0EEEvSM_
    .private_segment_fixed_size: 0
    .sgpr_count:     10
    .sgpr_spill_count: 0
    .symbol:         _ZN7rocprim17ROCPRIM_400000_NS6detail17trampoline_kernelINS0_14default_configENS1_38merge_sort_block_merge_config_selectorIN6thrust23THRUST_200600_302600_NS4pairIiiEENS0_10empty_typeEEEZZNS1_27merge_sort_block_merge_implIS3_NS6_6detail15normal_iteratorINS6_10device_ptrIS8_EEEEPS9_mNS6_4lessIS8_EEEE10hipError_tT0_T1_T2_jT3_P12ihipStream_tbPNSt15iterator_traitsISL_E10value_typeEPNSR_ISM_E10value_typeEPSN_NS1_7vsmem_tEENKUlT_SL_SM_SN_E_clIPS8_SG_SH_SH_EESK_S10_SL_SM_SN_EUlS10_E_NS1_11comp_targetILNS1_3genE8ELNS1_11target_archE1030ELNS1_3gpuE2ELNS1_3repE0EEENS1_48merge_mergepath_partition_config_static_selectorELNS0_4arch9wavefront6targetE0EEEvSM_.kd
    .uniform_work_group_size: 1
    .uses_dynamic_stack: false
    .vgpr_count:     19
    .vgpr_spill_count: 0
    .wavefront_size: 32
    .workgroup_processor_mode: 1
  - .args:
      - .offset:         0
        .size:           72
        .value_kind:     by_value
    .group_segment_fixed_size: 0
    .kernarg_segment_align: 8
    .kernarg_segment_size: 72
    .language:       OpenCL C
    .language_version:
      - 2
      - 0
    .max_flat_workgroup_size: 128
    .name:           _ZN7rocprim17ROCPRIM_400000_NS6detail17trampoline_kernelINS0_14default_configENS1_38merge_sort_block_merge_config_selectorIN6thrust23THRUST_200600_302600_NS4pairIiiEENS0_10empty_typeEEEZZNS1_27merge_sort_block_merge_implIS3_NS6_6detail15normal_iteratorINS6_10device_ptrIS8_EEEEPS9_mNS6_4lessIS8_EEEE10hipError_tT0_T1_T2_jT3_P12ihipStream_tbPNSt15iterator_traitsISL_E10value_typeEPNSR_ISM_E10value_typeEPSN_NS1_7vsmem_tEENKUlT_SL_SM_SN_E_clIPS8_SG_SH_SH_EESK_S10_SL_SM_SN_EUlS10_E0_NS1_11comp_targetILNS1_3genE0ELNS1_11target_archE4294967295ELNS1_3gpuE0ELNS1_3repE0EEENS1_38merge_mergepath_config_static_selectorELNS0_4arch9wavefront6targetE0EEEvSM_
    .private_segment_fixed_size: 0
    .sgpr_count:     0
    .sgpr_spill_count: 0
    .symbol:         _ZN7rocprim17ROCPRIM_400000_NS6detail17trampoline_kernelINS0_14default_configENS1_38merge_sort_block_merge_config_selectorIN6thrust23THRUST_200600_302600_NS4pairIiiEENS0_10empty_typeEEEZZNS1_27merge_sort_block_merge_implIS3_NS6_6detail15normal_iteratorINS6_10device_ptrIS8_EEEEPS9_mNS6_4lessIS8_EEEE10hipError_tT0_T1_T2_jT3_P12ihipStream_tbPNSt15iterator_traitsISL_E10value_typeEPNSR_ISM_E10value_typeEPSN_NS1_7vsmem_tEENKUlT_SL_SM_SN_E_clIPS8_SG_SH_SH_EESK_S10_SL_SM_SN_EUlS10_E0_NS1_11comp_targetILNS1_3genE0ELNS1_11target_archE4294967295ELNS1_3gpuE0ELNS1_3repE0EEENS1_38merge_mergepath_config_static_selectorELNS0_4arch9wavefront6targetE0EEEvSM_.kd
    .uniform_work_group_size: 1
    .uses_dynamic_stack: false
    .vgpr_count:     0
    .vgpr_spill_count: 0
    .wavefront_size: 32
    .workgroup_processor_mode: 1
  - .args:
      - .offset:         0
        .size:           72
        .value_kind:     by_value
    .group_segment_fixed_size: 0
    .kernarg_segment_align: 8
    .kernarg_segment_size: 72
    .language:       OpenCL C
    .language_version:
      - 2
      - 0
    .max_flat_workgroup_size: 512
    .name:           _ZN7rocprim17ROCPRIM_400000_NS6detail17trampoline_kernelINS0_14default_configENS1_38merge_sort_block_merge_config_selectorIN6thrust23THRUST_200600_302600_NS4pairIiiEENS0_10empty_typeEEEZZNS1_27merge_sort_block_merge_implIS3_NS6_6detail15normal_iteratorINS6_10device_ptrIS8_EEEEPS9_mNS6_4lessIS8_EEEE10hipError_tT0_T1_T2_jT3_P12ihipStream_tbPNSt15iterator_traitsISL_E10value_typeEPNSR_ISM_E10value_typeEPSN_NS1_7vsmem_tEENKUlT_SL_SM_SN_E_clIPS8_SG_SH_SH_EESK_S10_SL_SM_SN_EUlS10_E0_NS1_11comp_targetILNS1_3genE10ELNS1_11target_archE1201ELNS1_3gpuE5ELNS1_3repE0EEENS1_38merge_mergepath_config_static_selectorELNS0_4arch9wavefront6targetE0EEEvSM_
    .private_segment_fixed_size: 0
    .sgpr_count:     0
    .sgpr_spill_count: 0
    .symbol:         _ZN7rocprim17ROCPRIM_400000_NS6detail17trampoline_kernelINS0_14default_configENS1_38merge_sort_block_merge_config_selectorIN6thrust23THRUST_200600_302600_NS4pairIiiEENS0_10empty_typeEEEZZNS1_27merge_sort_block_merge_implIS3_NS6_6detail15normal_iteratorINS6_10device_ptrIS8_EEEEPS9_mNS6_4lessIS8_EEEE10hipError_tT0_T1_T2_jT3_P12ihipStream_tbPNSt15iterator_traitsISL_E10value_typeEPNSR_ISM_E10value_typeEPSN_NS1_7vsmem_tEENKUlT_SL_SM_SN_E_clIPS8_SG_SH_SH_EESK_S10_SL_SM_SN_EUlS10_E0_NS1_11comp_targetILNS1_3genE10ELNS1_11target_archE1201ELNS1_3gpuE5ELNS1_3repE0EEENS1_38merge_mergepath_config_static_selectorELNS0_4arch9wavefront6targetE0EEEvSM_.kd
    .uniform_work_group_size: 1
    .uses_dynamic_stack: false
    .vgpr_count:     0
    .vgpr_spill_count: 0
    .wavefront_size: 32
    .workgroup_processor_mode: 1
  - .args:
      - .offset:         0
        .size:           72
        .value_kind:     by_value
    .group_segment_fixed_size: 0
    .kernarg_segment_align: 8
    .kernarg_segment_size: 72
    .language:       OpenCL C
    .language_version:
      - 2
      - 0
    .max_flat_workgroup_size: 128
    .name:           _ZN7rocprim17ROCPRIM_400000_NS6detail17trampoline_kernelINS0_14default_configENS1_38merge_sort_block_merge_config_selectorIN6thrust23THRUST_200600_302600_NS4pairIiiEENS0_10empty_typeEEEZZNS1_27merge_sort_block_merge_implIS3_NS6_6detail15normal_iteratorINS6_10device_ptrIS8_EEEEPS9_mNS6_4lessIS8_EEEE10hipError_tT0_T1_T2_jT3_P12ihipStream_tbPNSt15iterator_traitsISL_E10value_typeEPNSR_ISM_E10value_typeEPSN_NS1_7vsmem_tEENKUlT_SL_SM_SN_E_clIPS8_SG_SH_SH_EESK_S10_SL_SM_SN_EUlS10_E0_NS1_11comp_targetILNS1_3genE5ELNS1_11target_archE942ELNS1_3gpuE9ELNS1_3repE0EEENS1_38merge_mergepath_config_static_selectorELNS0_4arch9wavefront6targetE0EEEvSM_
    .private_segment_fixed_size: 0
    .sgpr_count:     0
    .sgpr_spill_count: 0
    .symbol:         _ZN7rocprim17ROCPRIM_400000_NS6detail17trampoline_kernelINS0_14default_configENS1_38merge_sort_block_merge_config_selectorIN6thrust23THRUST_200600_302600_NS4pairIiiEENS0_10empty_typeEEEZZNS1_27merge_sort_block_merge_implIS3_NS6_6detail15normal_iteratorINS6_10device_ptrIS8_EEEEPS9_mNS6_4lessIS8_EEEE10hipError_tT0_T1_T2_jT3_P12ihipStream_tbPNSt15iterator_traitsISL_E10value_typeEPNSR_ISM_E10value_typeEPSN_NS1_7vsmem_tEENKUlT_SL_SM_SN_E_clIPS8_SG_SH_SH_EESK_S10_SL_SM_SN_EUlS10_E0_NS1_11comp_targetILNS1_3genE5ELNS1_11target_archE942ELNS1_3gpuE9ELNS1_3repE0EEENS1_38merge_mergepath_config_static_selectorELNS0_4arch9wavefront6targetE0EEEvSM_.kd
    .uniform_work_group_size: 1
    .uses_dynamic_stack: false
    .vgpr_count:     0
    .vgpr_spill_count: 0
    .wavefront_size: 32
    .workgroup_processor_mode: 1
  - .args:
      - .offset:         0
        .size:           72
        .value_kind:     by_value
    .group_segment_fixed_size: 0
    .kernarg_segment_align: 8
    .kernarg_segment_size: 72
    .language:       OpenCL C
    .language_version:
      - 2
      - 0
    .max_flat_workgroup_size: 256
    .name:           _ZN7rocprim17ROCPRIM_400000_NS6detail17trampoline_kernelINS0_14default_configENS1_38merge_sort_block_merge_config_selectorIN6thrust23THRUST_200600_302600_NS4pairIiiEENS0_10empty_typeEEEZZNS1_27merge_sort_block_merge_implIS3_NS6_6detail15normal_iteratorINS6_10device_ptrIS8_EEEEPS9_mNS6_4lessIS8_EEEE10hipError_tT0_T1_T2_jT3_P12ihipStream_tbPNSt15iterator_traitsISL_E10value_typeEPNSR_ISM_E10value_typeEPSN_NS1_7vsmem_tEENKUlT_SL_SM_SN_E_clIPS8_SG_SH_SH_EESK_S10_SL_SM_SN_EUlS10_E0_NS1_11comp_targetILNS1_3genE4ELNS1_11target_archE910ELNS1_3gpuE8ELNS1_3repE0EEENS1_38merge_mergepath_config_static_selectorELNS0_4arch9wavefront6targetE0EEEvSM_
    .private_segment_fixed_size: 0
    .sgpr_count:     0
    .sgpr_spill_count: 0
    .symbol:         _ZN7rocprim17ROCPRIM_400000_NS6detail17trampoline_kernelINS0_14default_configENS1_38merge_sort_block_merge_config_selectorIN6thrust23THRUST_200600_302600_NS4pairIiiEENS0_10empty_typeEEEZZNS1_27merge_sort_block_merge_implIS3_NS6_6detail15normal_iteratorINS6_10device_ptrIS8_EEEEPS9_mNS6_4lessIS8_EEEE10hipError_tT0_T1_T2_jT3_P12ihipStream_tbPNSt15iterator_traitsISL_E10value_typeEPNSR_ISM_E10value_typeEPSN_NS1_7vsmem_tEENKUlT_SL_SM_SN_E_clIPS8_SG_SH_SH_EESK_S10_SL_SM_SN_EUlS10_E0_NS1_11comp_targetILNS1_3genE4ELNS1_11target_archE910ELNS1_3gpuE8ELNS1_3repE0EEENS1_38merge_mergepath_config_static_selectorELNS0_4arch9wavefront6targetE0EEEvSM_.kd
    .uniform_work_group_size: 1
    .uses_dynamic_stack: false
    .vgpr_count:     0
    .vgpr_spill_count: 0
    .wavefront_size: 32
    .workgroup_processor_mode: 1
  - .args:
      - .offset:         0
        .size:           72
        .value_kind:     by_value
    .group_segment_fixed_size: 0
    .kernarg_segment_align: 8
    .kernarg_segment_size: 72
    .language:       OpenCL C
    .language_version:
      - 2
      - 0
    .max_flat_workgroup_size: 128
    .name:           _ZN7rocprim17ROCPRIM_400000_NS6detail17trampoline_kernelINS0_14default_configENS1_38merge_sort_block_merge_config_selectorIN6thrust23THRUST_200600_302600_NS4pairIiiEENS0_10empty_typeEEEZZNS1_27merge_sort_block_merge_implIS3_NS6_6detail15normal_iteratorINS6_10device_ptrIS8_EEEEPS9_mNS6_4lessIS8_EEEE10hipError_tT0_T1_T2_jT3_P12ihipStream_tbPNSt15iterator_traitsISL_E10value_typeEPNSR_ISM_E10value_typeEPSN_NS1_7vsmem_tEENKUlT_SL_SM_SN_E_clIPS8_SG_SH_SH_EESK_S10_SL_SM_SN_EUlS10_E0_NS1_11comp_targetILNS1_3genE3ELNS1_11target_archE908ELNS1_3gpuE7ELNS1_3repE0EEENS1_38merge_mergepath_config_static_selectorELNS0_4arch9wavefront6targetE0EEEvSM_
    .private_segment_fixed_size: 0
    .sgpr_count:     0
    .sgpr_spill_count: 0
    .symbol:         _ZN7rocprim17ROCPRIM_400000_NS6detail17trampoline_kernelINS0_14default_configENS1_38merge_sort_block_merge_config_selectorIN6thrust23THRUST_200600_302600_NS4pairIiiEENS0_10empty_typeEEEZZNS1_27merge_sort_block_merge_implIS3_NS6_6detail15normal_iteratorINS6_10device_ptrIS8_EEEEPS9_mNS6_4lessIS8_EEEE10hipError_tT0_T1_T2_jT3_P12ihipStream_tbPNSt15iterator_traitsISL_E10value_typeEPNSR_ISM_E10value_typeEPSN_NS1_7vsmem_tEENKUlT_SL_SM_SN_E_clIPS8_SG_SH_SH_EESK_S10_SL_SM_SN_EUlS10_E0_NS1_11comp_targetILNS1_3genE3ELNS1_11target_archE908ELNS1_3gpuE7ELNS1_3repE0EEENS1_38merge_mergepath_config_static_selectorELNS0_4arch9wavefront6targetE0EEEvSM_.kd
    .uniform_work_group_size: 1
    .uses_dynamic_stack: false
    .vgpr_count:     0
    .vgpr_spill_count: 0
    .wavefront_size: 32
    .workgroup_processor_mode: 1
  - .args:
      - .offset:         0
        .size:           72
        .value_kind:     by_value
    .group_segment_fixed_size: 0
    .kernarg_segment_align: 8
    .kernarg_segment_size: 72
    .language:       OpenCL C
    .language_version:
      - 2
      - 0
    .max_flat_workgroup_size: 256
    .name:           _ZN7rocprim17ROCPRIM_400000_NS6detail17trampoline_kernelINS0_14default_configENS1_38merge_sort_block_merge_config_selectorIN6thrust23THRUST_200600_302600_NS4pairIiiEENS0_10empty_typeEEEZZNS1_27merge_sort_block_merge_implIS3_NS6_6detail15normal_iteratorINS6_10device_ptrIS8_EEEEPS9_mNS6_4lessIS8_EEEE10hipError_tT0_T1_T2_jT3_P12ihipStream_tbPNSt15iterator_traitsISL_E10value_typeEPNSR_ISM_E10value_typeEPSN_NS1_7vsmem_tEENKUlT_SL_SM_SN_E_clIPS8_SG_SH_SH_EESK_S10_SL_SM_SN_EUlS10_E0_NS1_11comp_targetILNS1_3genE2ELNS1_11target_archE906ELNS1_3gpuE6ELNS1_3repE0EEENS1_38merge_mergepath_config_static_selectorELNS0_4arch9wavefront6targetE0EEEvSM_
    .private_segment_fixed_size: 0
    .sgpr_count:     0
    .sgpr_spill_count: 0
    .symbol:         _ZN7rocprim17ROCPRIM_400000_NS6detail17trampoline_kernelINS0_14default_configENS1_38merge_sort_block_merge_config_selectorIN6thrust23THRUST_200600_302600_NS4pairIiiEENS0_10empty_typeEEEZZNS1_27merge_sort_block_merge_implIS3_NS6_6detail15normal_iteratorINS6_10device_ptrIS8_EEEEPS9_mNS6_4lessIS8_EEEE10hipError_tT0_T1_T2_jT3_P12ihipStream_tbPNSt15iterator_traitsISL_E10value_typeEPNSR_ISM_E10value_typeEPSN_NS1_7vsmem_tEENKUlT_SL_SM_SN_E_clIPS8_SG_SH_SH_EESK_S10_SL_SM_SN_EUlS10_E0_NS1_11comp_targetILNS1_3genE2ELNS1_11target_archE906ELNS1_3gpuE6ELNS1_3repE0EEENS1_38merge_mergepath_config_static_selectorELNS0_4arch9wavefront6targetE0EEEvSM_.kd
    .uniform_work_group_size: 1
    .uses_dynamic_stack: false
    .vgpr_count:     0
    .vgpr_spill_count: 0
    .wavefront_size: 32
    .workgroup_processor_mode: 1
  - .args:
      - .offset:         0
        .size:           72
        .value_kind:     by_value
    .group_segment_fixed_size: 0
    .kernarg_segment_align: 8
    .kernarg_segment_size: 72
    .language:       OpenCL C
    .language_version:
      - 2
      - 0
    .max_flat_workgroup_size: 512
    .name:           _ZN7rocprim17ROCPRIM_400000_NS6detail17trampoline_kernelINS0_14default_configENS1_38merge_sort_block_merge_config_selectorIN6thrust23THRUST_200600_302600_NS4pairIiiEENS0_10empty_typeEEEZZNS1_27merge_sort_block_merge_implIS3_NS6_6detail15normal_iteratorINS6_10device_ptrIS8_EEEEPS9_mNS6_4lessIS8_EEEE10hipError_tT0_T1_T2_jT3_P12ihipStream_tbPNSt15iterator_traitsISL_E10value_typeEPNSR_ISM_E10value_typeEPSN_NS1_7vsmem_tEENKUlT_SL_SM_SN_E_clIPS8_SG_SH_SH_EESK_S10_SL_SM_SN_EUlS10_E0_NS1_11comp_targetILNS1_3genE9ELNS1_11target_archE1100ELNS1_3gpuE3ELNS1_3repE0EEENS1_38merge_mergepath_config_static_selectorELNS0_4arch9wavefront6targetE0EEEvSM_
    .private_segment_fixed_size: 0
    .sgpr_count:     0
    .sgpr_spill_count: 0
    .symbol:         _ZN7rocprim17ROCPRIM_400000_NS6detail17trampoline_kernelINS0_14default_configENS1_38merge_sort_block_merge_config_selectorIN6thrust23THRUST_200600_302600_NS4pairIiiEENS0_10empty_typeEEEZZNS1_27merge_sort_block_merge_implIS3_NS6_6detail15normal_iteratorINS6_10device_ptrIS8_EEEEPS9_mNS6_4lessIS8_EEEE10hipError_tT0_T1_T2_jT3_P12ihipStream_tbPNSt15iterator_traitsISL_E10value_typeEPNSR_ISM_E10value_typeEPSN_NS1_7vsmem_tEENKUlT_SL_SM_SN_E_clIPS8_SG_SH_SH_EESK_S10_SL_SM_SN_EUlS10_E0_NS1_11comp_targetILNS1_3genE9ELNS1_11target_archE1100ELNS1_3gpuE3ELNS1_3repE0EEENS1_38merge_mergepath_config_static_selectorELNS0_4arch9wavefront6targetE0EEEvSM_.kd
    .uniform_work_group_size: 1
    .uses_dynamic_stack: false
    .vgpr_count:     0
    .vgpr_spill_count: 0
    .wavefront_size: 32
    .workgroup_processor_mode: 1
  - .args:
      - .offset:         0
        .size:           72
        .value_kind:     by_value
      - .offset:         72
        .size:           4
        .value_kind:     hidden_block_count_x
      - .offset:         76
        .size:           4
        .value_kind:     hidden_block_count_y
      - .offset:         80
        .size:           4
        .value_kind:     hidden_block_count_z
      - .offset:         84
        .size:           2
        .value_kind:     hidden_group_size_x
      - .offset:         86
        .size:           2
        .value_kind:     hidden_group_size_y
      - .offset:         88
        .size:           2
        .value_kind:     hidden_group_size_z
      - .offset:         90
        .size:           2
        .value_kind:     hidden_remainder_x
      - .offset:         92
        .size:           2
        .value_kind:     hidden_remainder_y
      - .offset:         94
        .size:           2
        .value_kind:     hidden_remainder_z
      - .offset:         112
        .size:           8
        .value_kind:     hidden_global_offset_x
      - .offset:         120
        .size:           8
        .value_kind:     hidden_global_offset_y
      - .offset:         128
        .size:           8
        .value_kind:     hidden_global_offset_z
      - .offset:         136
        .size:           2
        .value_kind:     hidden_grid_dims
    .group_segment_fixed_size: 8208
    .kernarg_segment_align: 8
    .kernarg_segment_size: 328
    .language:       OpenCL C
    .language_version:
      - 2
      - 0
    .max_flat_workgroup_size: 1024
    .name:           _ZN7rocprim17ROCPRIM_400000_NS6detail17trampoline_kernelINS0_14default_configENS1_38merge_sort_block_merge_config_selectorIN6thrust23THRUST_200600_302600_NS4pairIiiEENS0_10empty_typeEEEZZNS1_27merge_sort_block_merge_implIS3_NS6_6detail15normal_iteratorINS6_10device_ptrIS8_EEEEPS9_mNS6_4lessIS8_EEEE10hipError_tT0_T1_T2_jT3_P12ihipStream_tbPNSt15iterator_traitsISL_E10value_typeEPNSR_ISM_E10value_typeEPSN_NS1_7vsmem_tEENKUlT_SL_SM_SN_E_clIPS8_SG_SH_SH_EESK_S10_SL_SM_SN_EUlS10_E0_NS1_11comp_targetILNS1_3genE8ELNS1_11target_archE1030ELNS1_3gpuE2ELNS1_3repE0EEENS1_38merge_mergepath_config_static_selectorELNS0_4arch9wavefront6targetE0EEEvSM_
    .private_segment_fixed_size: 0
    .sgpr_count:     26
    .sgpr_spill_count: 0
    .symbol:         _ZN7rocprim17ROCPRIM_400000_NS6detail17trampoline_kernelINS0_14default_configENS1_38merge_sort_block_merge_config_selectorIN6thrust23THRUST_200600_302600_NS4pairIiiEENS0_10empty_typeEEEZZNS1_27merge_sort_block_merge_implIS3_NS6_6detail15normal_iteratorINS6_10device_ptrIS8_EEEEPS9_mNS6_4lessIS8_EEEE10hipError_tT0_T1_T2_jT3_P12ihipStream_tbPNSt15iterator_traitsISL_E10value_typeEPNSR_ISM_E10value_typeEPSN_NS1_7vsmem_tEENKUlT_SL_SM_SN_E_clIPS8_SG_SH_SH_EESK_S10_SL_SM_SN_EUlS10_E0_NS1_11comp_targetILNS1_3genE8ELNS1_11target_archE1030ELNS1_3gpuE2ELNS1_3repE0EEENS1_38merge_mergepath_config_static_selectorELNS0_4arch9wavefront6targetE0EEEvSM_.kd
    .uniform_work_group_size: 1
    .uses_dynamic_stack: false
    .vgpr_count:     13
    .vgpr_spill_count: 0
    .wavefront_size: 32
    .workgroup_processor_mode: 1
  - .args:
      - .offset:         0
        .size:           56
        .value_kind:     by_value
    .group_segment_fixed_size: 0
    .kernarg_segment_align: 8
    .kernarg_segment_size: 56
    .language:       OpenCL C
    .language_version:
      - 2
      - 0
    .max_flat_workgroup_size: 256
    .name:           _ZN7rocprim17ROCPRIM_400000_NS6detail17trampoline_kernelINS0_14default_configENS1_38merge_sort_block_merge_config_selectorIN6thrust23THRUST_200600_302600_NS4pairIiiEENS0_10empty_typeEEEZZNS1_27merge_sort_block_merge_implIS3_NS6_6detail15normal_iteratorINS6_10device_ptrIS8_EEEEPS9_mNS6_4lessIS8_EEEE10hipError_tT0_T1_T2_jT3_P12ihipStream_tbPNSt15iterator_traitsISL_E10value_typeEPNSR_ISM_E10value_typeEPSN_NS1_7vsmem_tEENKUlT_SL_SM_SN_E_clIPS8_SG_SH_SH_EESK_S10_SL_SM_SN_EUlS10_E1_NS1_11comp_targetILNS1_3genE0ELNS1_11target_archE4294967295ELNS1_3gpuE0ELNS1_3repE0EEENS1_36merge_oddeven_config_static_selectorELNS0_4arch9wavefront6targetE0EEEvSM_
    .private_segment_fixed_size: 0
    .sgpr_count:     0
    .sgpr_spill_count: 0
    .symbol:         _ZN7rocprim17ROCPRIM_400000_NS6detail17trampoline_kernelINS0_14default_configENS1_38merge_sort_block_merge_config_selectorIN6thrust23THRUST_200600_302600_NS4pairIiiEENS0_10empty_typeEEEZZNS1_27merge_sort_block_merge_implIS3_NS6_6detail15normal_iteratorINS6_10device_ptrIS8_EEEEPS9_mNS6_4lessIS8_EEEE10hipError_tT0_T1_T2_jT3_P12ihipStream_tbPNSt15iterator_traitsISL_E10value_typeEPNSR_ISM_E10value_typeEPSN_NS1_7vsmem_tEENKUlT_SL_SM_SN_E_clIPS8_SG_SH_SH_EESK_S10_SL_SM_SN_EUlS10_E1_NS1_11comp_targetILNS1_3genE0ELNS1_11target_archE4294967295ELNS1_3gpuE0ELNS1_3repE0EEENS1_36merge_oddeven_config_static_selectorELNS0_4arch9wavefront6targetE0EEEvSM_.kd
    .uniform_work_group_size: 1
    .uses_dynamic_stack: false
    .vgpr_count:     0
    .vgpr_spill_count: 0
    .wavefront_size: 32
    .workgroup_processor_mode: 1
  - .args:
      - .offset:         0
        .size:           56
        .value_kind:     by_value
    .group_segment_fixed_size: 0
    .kernarg_segment_align: 8
    .kernarg_segment_size: 56
    .language:       OpenCL C
    .language_version:
      - 2
      - 0
    .max_flat_workgroup_size: 256
    .name:           _ZN7rocprim17ROCPRIM_400000_NS6detail17trampoline_kernelINS0_14default_configENS1_38merge_sort_block_merge_config_selectorIN6thrust23THRUST_200600_302600_NS4pairIiiEENS0_10empty_typeEEEZZNS1_27merge_sort_block_merge_implIS3_NS6_6detail15normal_iteratorINS6_10device_ptrIS8_EEEEPS9_mNS6_4lessIS8_EEEE10hipError_tT0_T1_T2_jT3_P12ihipStream_tbPNSt15iterator_traitsISL_E10value_typeEPNSR_ISM_E10value_typeEPSN_NS1_7vsmem_tEENKUlT_SL_SM_SN_E_clIPS8_SG_SH_SH_EESK_S10_SL_SM_SN_EUlS10_E1_NS1_11comp_targetILNS1_3genE10ELNS1_11target_archE1201ELNS1_3gpuE5ELNS1_3repE0EEENS1_36merge_oddeven_config_static_selectorELNS0_4arch9wavefront6targetE0EEEvSM_
    .private_segment_fixed_size: 0
    .sgpr_count:     0
    .sgpr_spill_count: 0
    .symbol:         _ZN7rocprim17ROCPRIM_400000_NS6detail17trampoline_kernelINS0_14default_configENS1_38merge_sort_block_merge_config_selectorIN6thrust23THRUST_200600_302600_NS4pairIiiEENS0_10empty_typeEEEZZNS1_27merge_sort_block_merge_implIS3_NS6_6detail15normal_iteratorINS6_10device_ptrIS8_EEEEPS9_mNS6_4lessIS8_EEEE10hipError_tT0_T1_T2_jT3_P12ihipStream_tbPNSt15iterator_traitsISL_E10value_typeEPNSR_ISM_E10value_typeEPSN_NS1_7vsmem_tEENKUlT_SL_SM_SN_E_clIPS8_SG_SH_SH_EESK_S10_SL_SM_SN_EUlS10_E1_NS1_11comp_targetILNS1_3genE10ELNS1_11target_archE1201ELNS1_3gpuE5ELNS1_3repE0EEENS1_36merge_oddeven_config_static_selectorELNS0_4arch9wavefront6targetE0EEEvSM_.kd
    .uniform_work_group_size: 1
    .uses_dynamic_stack: false
    .vgpr_count:     0
    .vgpr_spill_count: 0
    .wavefront_size: 32
    .workgroup_processor_mode: 1
  - .args:
      - .offset:         0
        .size:           56
        .value_kind:     by_value
    .group_segment_fixed_size: 0
    .kernarg_segment_align: 8
    .kernarg_segment_size: 56
    .language:       OpenCL C
    .language_version:
      - 2
      - 0
    .max_flat_workgroup_size: 256
    .name:           _ZN7rocprim17ROCPRIM_400000_NS6detail17trampoline_kernelINS0_14default_configENS1_38merge_sort_block_merge_config_selectorIN6thrust23THRUST_200600_302600_NS4pairIiiEENS0_10empty_typeEEEZZNS1_27merge_sort_block_merge_implIS3_NS6_6detail15normal_iteratorINS6_10device_ptrIS8_EEEEPS9_mNS6_4lessIS8_EEEE10hipError_tT0_T1_T2_jT3_P12ihipStream_tbPNSt15iterator_traitsISL_E10value_typeEPNSR_ISM_E10value_typeEPSN_NS1_7vsmem_tEENKUlT_SL_SM_SN_E_clIPS8_SG_SH_SH_EESK_S10_SL_SM_SN_EUlS10_E1_NS1_11comp_targetILNS1_3genE5ELNS1_11target_archE942ELNS1_3gpuE9ELNS1_3repE0EEENS1_36merge_oddeven_config_static_selectorELNS0_4arch9wavefront6targetE0EEEvSM_
    .private_segment_fixed_size: 0
    .sgpr_count:     0
    .sgpr_spill_count: 0
    .symbol:         _ZN7rocprim17ROCPRIM_400000_NS6detail17trampoline_kernelINS0_14default_configENS1_38merge_sort_block_merge_config_selectorIN6thrust23THRUST_200600_302600_NS4pairIiiEENS0_10empty_typeEEEZZNS1_27merge_sort_block_merge_implIS3_NS6_6detail15normal_iteratorINS6_10device_ptrIS8_EEEEPS9_mNS6_4lessIS8_EEEE10hipError_tT0_T1_T2_jT3_P12ihipStream_tbPNSt15iterator_traitsISL_E10value_typeEPNSR_ISM_E10value_typeEPSN_NS1_7vsmem_tEENKUlT_SL_SM_SN_E_clIPS8_SG_SH_SH_EESK_S10_SL_SM_SN_EUlS10_E1_NS1_11comp_targetILNS1_3genE5ELNS1_11target_archE942ELNS1_3gpuE9ELNS1_3repE0EEENS1_36merge_oddeven_config_static_selectorELNS0_4arch9wavefront6targetE0EEEvSM_.kd
    .uniform_work_group_size: 1
    .uses_dynamic_stack: false
    .vgpr_count:     0
    .vgpr_spill_count: 0
    .wavefront_size: 32
    .workgroup_processor_mode: 1
  - .args:
      - .offset:         0
        .size:           56
        .value_kind:     by_value
    .group_segment_fixed_size: 0
    .kernarg_segment_align: 8
    .kernarg_segment_size: 56
    .language:       OpenCL C
    .language_version:
      - 2
      - 0
    .max_flat_workgroup_size: 256
    .name:           _ZN7rocprim17ROCPRIM_400000_NS6detail17trampoline_kernelINS0_14default_configENS1_38merge_sort_block_merge_config_selectorIN6thrust23THRUST_200600_302600_NS4pairIiiEENS0_10empty_typeEEEZZNS1_27merge_sort_block_merge_implIS3_NS6_6detail15normal_iteratorINS6_10device_ptrIS8_EEEEPS9_mNS6_4lessIS8_EEEE10hipError_tT0_T1_T2_jT3_P12ihipStream_tbPNSt15iterator_traitsISL_E10value_typeEPNSR_ISM_E10value_typeEPSN_NS1_7vsmem_tEENKUlT_SL_SM_SN_E_clIPS8_SG_SH_SH_EESK_S10_SL_SM_SN_EUlS10_E1_NS1_11comp_targetILNS1_3genE4ELNS1_11target_archE910ELNS1_3gpuE8ELNS1_3repE0EEENS1_36merge_oddeven_config_static_selectorELNS0_4arch9wavefront6targetE0EEEvSM_
    .private_segment_fixed_size: 0
    .sgpr_count:     0
    .sgpr_spill_count: 0
    .symbol:         _ZN7rocprim17ROCPRIM_400000_NS6detail17trampoline_kernelINS0_14default_configENS1_38merge_sort_block_merge_config_selectorIN6thrust23THRUST_200600_302600_NS4pairIiiEENS0_10empty_typeEEEZZNS1_27merge_sort_block_merge_implIS3_NS6_6detail15normal_iteratorINS6_10device_ptrIS8_EEEEPS9_mNS6_4lessIS8_EEEE10hipError_tT0_T1_T2_jT3_P12ihipStream_tbPNSt15iterator_traitsISL_E10value_typeEPNSR_ISM_E10value_typeEPSN_NS1_7vsmem_tEENKUlT_SL_SM_SN_E_clIPS8_SG_SH_SH_EESK_S10_SL_SM_SN_EUlS10_E1_NS1_11comp_targetILNS1_3genE4ELNS1_11target_archE910ELNS1_3gpuE8ELNS1_3repE0EEENS1_36merge_oddeven_config_static_selectorELNS0_4arch9wavefront6targetE0EEEvSM_.kd
    .uniform_work_group_size: 1
    .uses_dynamic_stack: false
    .vgpr_count:     0
    .vgpr_spill_count: 0
    .wavefront_size: 32
    .workgroup_processor_mode: 1
  - .args:
      - .offset:         0
        .size:           56
        .value_kind:     by_value
    .group_segment_fixed_size: 0
    .kernarg_segment_align: 8
    .kernarg_segment_size: 56
    .language:       OpenCL C
    .language_version:
      - 2
      - 0
    .max_flat_workgroup_size: 256
    .name:           _ZN7rocprim17ROCPRIM_400000_NS6detail17trampoline_kernelINS0_14default_configENS1_38merge_sort_block_merge_config_selectorIN6thrust23THRUST_200600_302600_NS4pairIiiEENS0_10empty_typeEEEZZNS1_27merge_sort_block_merge_implIS3_NS6_6detail15normal_iteratorINS6_10device_ptrIS8_EEEEPS9_mNS6_4lessIS8_EEEE10hipError_tT0_T1_T2_jT3_P12ihipStream_tbPNSt15iterator_traitsISL_E10value_typeEPNSR_ISM_E10value_typeEPSN_NS1_7vsmem_tEENKUlT_SL_SM_SN_E_clIPS8_SG_SH_SH_EESK_S10_SL_SM_SN_EUlS10_E1_NS1_11comp_targetILNS1_3genE3ELNS1_11target_archE908ELNS1_3gpuE7ELNS1_3repE0EEENS1_36merge_oddeven_config_static_selectorELNS0_4arch9wavefront6targetE0EEEvSM_
    .private_segment_fixed_size: 0
    .sgpr_count:     0
    .sgpr_spill_count: 0
    .symbol:         _ZN7rocprim17ROCPRIM_400000_NS6detail17trampoline_kernelINS0_14default_configENS1_38merge_sort_block_merge_config_selectorIN6thrust23THRUST_200600_302600_NS4pairIiiEENS0_10empty_typeEEEZZNS1_27merge_sort_block_merge_implIS3_NS6_6detail15normal_iteratorINS6_10device_ptrIS8_EEEEPS9_mNS6_4lessIS8_EEEE10hipError_tT0_T1_T2_jT3_P12ihipStream_tbPNSt15iterator_traitsISL_E10value_typeEPNSR_ISM_E10value_typeEPSN_NS1_7vsmem_tEENKUlT_SL_SM_SN_E_clIPS8_SG_SH_SH_EESK_S10_SL_SM_SN_EUlS10_E1_NS1_11comp_targetILNS1_3genE3ELNS1_11target_archE908ELNS1_3gpuE7ELNS1_3repE0EEENS1_36merge_oddeven_config_static_selectorELNS0_4arch9wavefront6targetE0EEEvSM_.kd
    .uniform_work_group_size: 1
    .uses_dynamic_stack: false
    .vgpr_count:     0
    .vgpr_spill_count: 0
    .wavefront_size: 32
    .workgroup_processor_mode: 1
  - .args:
      - .offset:         0
        .size:           56
        .value_kind:     by_value
    .group_segment_fixed_size: 0
    .kernarg_segment_align: 8
    .kernarg_segment_size: 56
    .language:       OpenCL C
    .language_version:
      - 2
      - 0
    .max_flat_workgroup_size: 256
    .name:           _ZN7rocprim17ROCPRIM_400000_NS6detail17trampoline_kernelINS0_14default_configENS1_38merge_sort_block_merge_config_selectorIN6thrust23THRUST_200600_302600_NS4pairIiiEENS0_10empty_typeEEEZZNS1_27merge_sort_block_merge_implIS3_NS6_6detail15normal_iteratorINS6_10device_ptrIS8_EEEEPS9_mNS6_4lessIS8_EEEE10hipError_tT0_T1_T2_jT3_P12ihipStream_tbPNSt15iterator_traitsISL_E10value_typeEPNSR_ISM_E10value_typeEPSN_NS1_7vsmem_tEENKUlT_SL_SM_SN_E_clIPS8_SG_SH_SH_EESK_S10_SL_SM_SN_EUlS10_E1_NS1_11comp_targetILNS1_3genE2ELNS1_11target_archE906ELNS1_3gpuE6ELNS1_3repE0EEENS1_36merge_oddeven_config_static_selectorELNS0_4arch9wavefront6targetE0EEEvSM_
    .private_segment_fixed_size: 0
    .sgpr_count:     0
    .sgpr_spill_count: 0
    .symbol:         _ZN7rocprim17ROCPRIM_400000_NS6detail17trampoline_kernelINS0_14default_configENS1_38merge_sort_block_merge_config_selectorIN6thrust23THRUST_200600_302600_NS4pairIiiEENS0_10empty_typeEEEZZNS1_27merge_sort_block_merge_implIS3_NS6_6detail15normal_iteratorINS6_10device_ptrIS8_EEEEPS9_mNS6_4lessIS8_EEEE10hipError_tT0_T1_T2_jT3_P12ihipStream_tbPNSt15iterator_traitsISL_E10value_typeEPNSR_ISM_E10value_typeEPSN_NS1_7vsmem_tEENKUlT_SL_SM_SN_E_clIPS8_SG_SH_SH_EESK_S10_SL_SM_SN_EUlS10_E1_NS1_11comp_targetILNS1_3genE2ELNS1_11target_archE906ELNS1_3gpuE6ELNS1_3repE0EEENS1_36merge_oddeven_config_static_selectorELNS0_4arch9wavefront6targetE0EEEvSM_.kd
    .uniform_work_group_size: 1
    .uses_dynamic_stack: false
    .vgpr_count:     0
    .vgpr_spill_count: 0
    .wavefront_size: 32
    .workgroup_processor_mode: 1
  - .args:
      - .offset:         0
        .size:           56
        .value_kind:     by_value
    .group_segment_fixed_size: 0
    .kernarg_segment_align: 8
    .kernarg_segment_size: 56
    .language:       OpenCL C
    .language_version:
      - 2
      - 0
    .max_flat_workgroup_size: 256
    .name:           _ZN7rocprim17ROCPRIM_400000_NS6detail17trampoline_kernelINS0_14default_configENS1_38merge_sort_block_merge_config_selectorIN6thrust23THRUST_200600_302600_NS4pairIiiEENS0_10empty_typeEEEZZNS1_27merge_sort_block_merge_implIS3_NS6_6detail15normal_iteratorINS6_10device_ptrIS8_EEEEPS9_mNS6_4lessIS8_EEEE10hipError_tT0_T1_T2_jT3_P12ihipStream_tbPNSt15iterator_traitsISL_E10value_typeEPNSR_ISM_E10value_typeEPSN_NS1_7vsmem_tEENKUlT_SL_SM_SN_E_clIPS8_SG_SH_SH_EESK_S10_SL_SM_SN_EUlS10_E1_NS1_11comp_targetILNS1_3genE9ELNS1_11target_archE1100ELNS1_3gpuE3ELNS1_3repE0EEENS1_36merge_oddeven_config_static_selectorELNS0_4arch9wavefront6targetE0EEEvSM_
    .private_segment_fixed_size: 0
    .sgpr_count:     0
    .sgpr_spill_count: 0
    .symbol:         _ZN7rocprim17ROCPRIM_400000_NS6detail17trampoline_kernelINS0_14default_configENS1_38merge_sort_block_merge_config_selectorIN6thrust23THRUST_200600_302600_NS4pairIiiEENS0_10empty_typeEEEZZNS1_27merge_sort_block_merge_implIS3_NS6_6detail15normal_iteratorINS6_10device_ptrIS8_EEEEPS9_mNS6_4lessIS8_EEEE10hipError_tT0_T1_T2_jT3_P12ihipStream_tbPNSt15iterator_traitsISL_E10value_typeEPNSR_ISM_E10value_typeEPSN_NS1_7vsmem_tEENKUlT_SL_SM_SN_E_clIPS8_SG_SH_SH_EESK_S10_SL_SM_SN_EUlS10_E1_NS1_11comp_targetILNS1_3genE9ELNS1_11target_archE1100ELNS1_3gpuE3ELNS1_3repE0EEENS1_36merge_oddeven_config_static_selectorELNS0_4arch9wavefront6targetE0EEEvSM_.kd
    .uniform_work_group_size: 1
    .uses_dynamic_stack: false
    .vgpr_count:     0
    .vgpr_spill_count: 0
    .wavefront_size: 32
    .workgroup_processor_mode: 1
  - .args:
      - .offset:         0
        .size:           56
        .value_kind:     by_value
    .group_segment_fixed_size: 0
    .kernarg_segment_align: 8
    .kernarg_segment_size: 56
    .language:       OpenCL C
    .language_version:
      - 2
      - 0
    .max_flat_workgroup_size: 256
    .name:           _ZN7rocprim17ROCPRIM_400000_NS6detail17trampoline_kernelINS0_14default_configENS1_38merge_sort_block_merge_config_selectorIN6thrust23THRUST_200600_302600_NS4pairIiiEENS0_10empty_typeEEEZZNS1_27merge_sort_block_merge_implIS3_NS6_6detail15normal_iteratorINS6_10device_ptrIS8_EEEEPS9_mNS6_4lessIS8_EEEE10hipError_tT0_T1_T2_jT3_P12ihipStream_tbPNSt15iterator_traitsISL_E10value_typeEPNSR_ISM_E10value_typeEPSN_NS1_7vsmem_tEENKUlT_SL_SM_SN_E_clIPS8_SG_SH_SH_EESK_S10_SL_SM_SN_EUlS10_E1_NS1_11comp_targetILNS1_3genE8ELNS1_11target_archE1030ELNS1_3gpuE2ELNS1_3repE0EEENS1_36merge_oddeven_config_static_selectorELNS0_4arch9wavefront6targetE0EEEvSM_
    .private_segment_fixed_size: 0
    .sgpr_count:     18
    .sgpr_spill_count: 0
    .symbol:         _ZN7rocprim17ROCPRIM_400000_NS6detail17trampoline_kernelINS0_14default_configENS1_38merge_sort_block_merge_config_selectorIN6thrust23THRUST_200600_302600_NS4pairIiiEENS0_10empty_typeEEEZZNS1_27merge_sort_block_merge_implIS3_NS6_6detail15normal_iteratorINS6_10device_ptrIS8_EEEEPS9_mNS6_4lessIS8_EEEE10hipError_tT0_T1_T2_jT3_P12ihipStream_tbPNSt15iterator_traitsISL_E10value_typeEPNSR_ISM_E10value_typeEPSN_NS1_7vsmem_tEENKUlT_SL_SM_SN_E_clIPS8_SG_SH_SH_EESK_S10_SL_SM_SN_EUlS10_E1_NS1_11comp_targetILNS1_3genE8ELNS1_11target_archE1030ELNS1_3gpuE2ELNS1_3repE0EEENS1_36merge_oddeven_config_static_selectorELNS0_4arch9wavefront6targetE0EEEvSM_.kd
    .uniform_work_group_size: 1
    .uses_dynamic_stack: false
    .vgpr_count:     9
    .vgpr_spill_count: 0
    .wavefront_size: 32
    .workgroup_processor_mode: 1
  - .args:
      - .offset:         0
        .size:           48
        .value_kind:     by_value
    .group_segment_fixed_size: 0
    .kernarg_segment_align: 8
    .kernarg_segment_size: 48
    .language:       OpenCL C
    .language_version:
      - 2
      - 0
    .max_flat_workgroup_size: 128
    .name:           _ZN7rocprim17ROCPRIM_400000_NS6detail17trampoline_kernelINS0_14default_configENS1_38merge_sort_block_merge_config_selectorIN6thrust23THRUST_200600_302600_NS4pairIiiEENS0_10empty_typeEEEZZNS1_27merge_sort_block_merge_implIS3_NS6_6detail15normal_iteratorINS6_10device_ptrIS8_EEEEPS9_mNS6_4lessIS8_EEEE10hipError_tT0_T1_T2_jT3_P12ihipStream_tbPNSt15iterator_traitsISL_E10value_typeEPNSR_ISM_E10value_typeEPSN_NS1_7vsmem_tEENKUlT_SL_SM_SN_E_clISG_PS8_SH_SH_EESK_S10_SL_SM_SN_EUlS10_E_NS1_11comp_targetILNS1_3genE0ELNS1_11target_archE4294967295ELNS1_3gpuE0ELNS1_3repE0EEENS1_48merge_mergepath_partition_config_static_selectorELNS0_4arch9wavefront6targetE0EEEvSM_
    .private_segment_fixed_size: 0
    .sgpr_count:     0
    .sgpr_spill_count: 0
    .symbol:         _ZN7rocprim17ROCPRIM_400000_NS6detail17trampoline_kernelINS0_14default_configENS1_38merge_sort_block_merge_config_selectorIN6thrust23THRUST_200600_302600_NS4pairIiiEENS0_10empty_typeEEEZZNS1_27merge_sort_block_merge_implIS3_NS6_6detail15normal_iteratorINS6_10device_ptrIS8_EEEEPS9_mNS6_4lessIS8_EEEE10hipError_tT0_T1_T2_jT3_P12ihipStream_tbPNSt15iterator_traitsISL_E10value_typeEPNSR_ISM_E10value_typeEPSN_NS1_7vsmem_tEENKUlT_SL_SM_SN_E_clISG_PS8_SH_SH_EESK_S10_SL_SM_SN_EUlS10_E_NS1_11comp_targetILNS1_3genE0ELNS1_11target_archE4294967295ELNS1_3gpuE0ELNS1_3repE0EEENS1_48merge_mergepath_partition_config_static_selectorELNS0_4arch9wavefront6targetE0EEEvSM_.kd
    .uniform_work_group_size: 1
    .uses_dynamic_stack: false
    .vgpr_count:     0
    .vgpr_spill_count: 0
    .wavefront_size: 32
    .workgroup_processor_mode: 1
  - .args:
      - .offset:         0
        .size:           48
        .value_kind:     by_value
    .group_segment_fixed_size: 0
    .kernarg_segment_align: 8
    .kernarg_segment_size: 48
    .language:       OpenCL C
    .language_version:
      - 2
      - 0
    .max_flat_workgroup_size: 128
    .name:           _ZN7rocprim17ROCPRIM_400000_NS6detail17trampoline_kernelINS0_14default_configENS1_38merge_sort_block_merge_config_selectorIN6thrust23THRUST_200600_302600_NS4pairIiiEENS0_10empty_typeEEEZZNS1_27merge_sort_block_merge_implIS3_NS6_6detail15normal_iteratorINS6_10device_ptrIS8_EEEEPS9_mNS6_4lessIS8_EEEE10hipError_tT0_T1_T2_jT3_P12ihipStream_tbPNSt15iterator_traitsISL_E10value_typeEPNSR_ISM_E10value_typeEPSN_NS1_7vsmem_tEENKUlT_SL_SM_SN_E_clISG_PS8_SH_SH_EESK_S10_SL_SM_SN_EUlS10_E_NS1_11comp_targetILNS1_3genE10ELNS1_11target_archE1201ELNS1_3gpuE5ELNS1_3repE0EEENS1_48merge_mergepath_partition_config_static_selectorELNS0_4arch9wavefront6targetE0EEEvSM_
    .private_segment_fixed_size: 0
    .sgpr_count:     0
    .sgpr_spill_count: 0
    .symbol:         _ZN7rocprim17ROCPRIM_400000_NS6detail17trampoline_kernelINS0_14default_configENS1_38merge_sort_block_merge_config_selectorIN6thrust23THRUST_200600_302600_NS4pairIiiEENS0_10empty_typeEEEZZNS1_27merge_sort_block_merge_implIS3_NS6_6detail15normal_iteratorINS6_10device_ptrIS8_EEEEPS9_mNS6_4lessIS8_EEEE10hipError_tT0_T1_T2_jT3_P12ihipStream_tbPNSt15iterator_traitsISL_E10value_typeEPNSR_ISM_E10value_typeEPSN_NS1_7vsmem_tEENKUlT_SL_SM_SN_E_clISG_PS8_SH_SH_EESK_S10_SL_SM_SN_EUlS10_E_NS1_11comp_targetILNS1_3genE10ELNS1_11target_archE1201ELNS1_3gpuE5ELNS1_3repE0EEENS1_48merge_mergepath_partition_config_static_selectorELNS0_4arch9wavefront6targetE0EEEvSM_.kd
    .uniform_work_group_size: 1
    .uses_dynamic_stack: false
    .vgpr_count:     0
    .vgpr_spill_count: 0
    .wavefront_size: 32
    .workgroup_processor_mode: 1
  - .args:
      - .offset:         0
        .size:           48
        .value_kind:     by_value
    .group_segment_fixed_size: 0
    .kernarg_segment_align: 8
    .kernarg_segment_size: 48
    .language:       OpenCL C
    .language_version:
      - 2
      - 0
    .max_flat_workgroup_size: 128
    .name:           _ZN7rocprim17ROCPRIM_400000_NS6detail17trampoline_kernelINS0_14default_configENS1_38merge_sort_block_merge_config_selectorIN6thrust23THRUST_200600_302600_NS4pairIiiEENS0_10empty_typeEEEZZNS1_27merge_sort_block_merge_implIS3_NS6_6detail15normal_iteratorINS6_10device_ptrIS8_EEEEPS9_mNS6_4lessIS8_EEEE10hipError_tT0_T1_T2_jT3_P12ihipStream_tbPNSt15iterator_traitsISL_E10value_typeEPNSR_ISM_E10value_typeEPSN_NS1_7vsmem_tEENKUlT_SL_SM_SN_E_clISG_PS8_SH_SH_EESK_S10_SL_SM_SN_EUlS10_E_NS1_11comp_targetILNS1_3genE5ELNS1_11target_archE942ELNS1_3gpuE9ELNS1_3repE0EEENS1_48merge_mergepath_partition_config_static_selectorELNS0_4arch9wavefront6targetE0EEEvSM_
    .private_segment_fixed_size: 0
    .sgpr_count:     0
    .sgpr_spill_count: 0
    .symbol:         _ZN7rocprim17ROCPRIM_400000_NS6detail17trampoline_kernelINS0_14default_configENS1_38merge_sort_block_merge_config_selectorIN6thrust23THRUST_200600_302600_NS4pairIiiEENS0_10empty_typeEEEZZNS1_27merge_sort_block_merge_implIS3_NS6_6detail15normal_iteratorINS6_10device_ptrIS8_EEEEPS9_mNS6_4lessIS8_EEEE10hipError_tT0_T1_T2_jT3_P12ihipStream_tbPNSt15iterator_traitsISL_E10value_typeEPNSR_ISM_E10value_typeEPSN_NS1_7vsmem_tEENKUlT_SL_SM_SN_E_clISG_PS8_SH_SH_EESK_S10_SL_SM_SN_EUlS10_E_NS1_11comp_targetILNS1_3genE5ELNS1_11target_archE942ELNS1_3gpuE9ELNS1_3repE0EEENS1_48merge_mergepath_partition_config_static_selectorELNS0_4arch9wavefront6targetE0EEEvSM_.kd
    .uniform_work_group_size: 1
    .uses_dynamic_stack: false
    .vgpr_count:     0
    .vgpr_spill_count: 0
    .wavefront_size: 32
    .workgroup_processor_mode: 1
  - .args:
      - .offset:         0
        .size:           48
        .value_kind:     by_value
    .group_segment_fixed_size: 0
    .kernarg_segment_align: 8
    .kernarg_segment_size: 48
    .language:       OpenCL C
    .language_version:
      - 2
      - 0
    .max_flat_workgroup_size: 128
    .name:           _ZN7rocprim17ROCPRIM_400000_NS6detail17trampoline_kernelINS0_14default_configENS1_38merge_sort_block_merge_config_selectorIN6thrust23THRUST_200600_302600_NS4pairIiiEENS0_10empty_typeEEEZZNS1_27merge_sort_block_merge_implIS3_NS6_6detail15normal_iteratorINS6_10device_ptrIS8_EEEEPS9_mNS6_4lessIS8_EEEE10hipError_tT0_T1_T2_jT3_P12ihipStream_tbPNSt15iterator_traitsISL_E10value_typeEPNSR_ISM_E10value_typeEPSN_NS1_7vsmem_tEENKUlT_SL_SM_SN_E_clISG_PS8_SH_SH_EESK_S10_SL_SM_SN_EUlS10_E_NS1_11comp_targetILNS1_3genE4ELNS1_11target_archE910ELNS1_3gpuE8ELNS1_3repE0EEENS1_48merge_mergepath_partition_config_static_selectorELNS0_4arch9wavefront6targetE0EEEvSM_
    .private_segment_fixed_size: 0
    .sgpr_count:     0
    .sgpr_spill_count: 0
    .symbol:         _ZN7rocprim17ROCPRIM_400000_NS6detail17trampoline_kernelINS0_14default_configENS1_38merge_sort_block_merge_config_selectorIN6thrust23THRUST_200600_302600_NS4pairIiiEENS0_10empty_typeEEEZZNS1_27merge_sort_block_merge_implIS3_NS6_6detail15normal_iteratorINS6_10device_ptrIS8_EEEEPS9_mNS6_4lessIS8_EEEE10hipError_tT0_T1_T2_jT3_P12ihipStream_tbPNSt15iterator_traitsISL_E10value_typeEPNSR_ISM_E10value_typeEPSN_NS1_7vsmem_tEENKUlT_SL_SM_SN_E_clISG_PS8_SH_SH_EESK_S10_SL_SM_SN_EUlS10_E_NS1_11comp_targetILNS1_3genE4ELNS1_11target_archE910ELNS1_3gpuE8ELNS1_3repE0EEENS1_48merge_mergepath_partition_config_static_selectorELNS0_4arch9wavefront6targetE0EEEvSM_.kd
    .uniform_work_group_size: 1
    .uses_dynamic_stack: false
    .vgpr_count:     0
    .vgpr_spill_count: 0
    .wavefront_size: 32
    .workgroup_processor_mode: 1
  - .args:
      - .offset:         0
        .size:           48
        .value_kind:     by_value
    .group_segment_fixed_size: 0
    .kernarg_segment_align: 8
    .kernarg_segment_size: 48
    .language:       OpenCL C
    .language_version:
      - 2
      - 0
    .max_flat_workgroup_size: 128
    .name:           _ZN7rocprim17ROCPRIM_400000_NS6detail17trampoline_kernelINS0_14default_configENS1_38merge_sort_block_merge_config_selectorIN6thrust23THRUST_200600_302600_NS4pairIiiEENS0_10empty_typeEEEZZNS1_27merge_sort_block_merge_implIS3_NS6_6detail15normal_iteratorINS6_10device_ptrIS8_EEEEPS9_mNS6_4lessIS8_EEEE10hipError_tT0_T1_T2_jT3_P12ihipStream_tbPNSt15iterator_traitsISL_E10value_typeEPNSR_ISM_E10value_typeEPSN_NS1_7vsmem_tEENKUlT_SL_SM_SN_E_clISG_PS8_SH_SH_EESK_S10_SL_SM_SN_EUlS10_E_NS1_11comp_targetILNS1_3genE3ELNS1_11target_archE908ELNS1_3gpuE7ELNS1_3repE0EEENS1_48merge_mergepath_partition_config_static_selectorELNS0_4arch9wavefront6targetE0EEEvSM_
    .private_segment_fixed_size: 0
    .sgpr_count:     0
    .sgpr_spill_count: 0
    .symbol:         _ZN7rocprim17ROCPRIM_400000_NS6detail17trampoline_kernelINS0_14default_configENS1_38merge_sort_block_merge_config_selectorIN6thrust23THRUST_200600_302600_NS4pairIiiEENS0_10empty_typeEEEZZNS1_27merge_sort_block_merge_implIS3_NS6_6detail15normal_iteratorINS6_10device_ptrIS8_EEEEPS9_mNS6_4lessIS8_EEEE10hipError_tT0_T1_T2_jT3_P12ihipStream_tbPNSt15iterator_traitsISL_E10value_typeEPNSR_ISM_E10value_typeEPSN_NS1_7vsmem_tEENKUlT_SL_SM_SN_E_clISG_PS8_SH_SH_EESK_S10_SL_SM_SN_EUlS10_E_NS1_11comp_targetILNS1_3genE3ELNS1_11target_archE908ELNS1_3gpuE7ELNS1_3repE0EEENS1_48merge_mergepath_partition_config_static_selectorELNS0_4arch9wavefront6targetE0EEEvSM_.kd
    .uniform_work_group_size: 1
    .uses_dynamic_stack: false
    .vgpr_count:     0
    .vgpr_spill_count: 0
    .wavefront_size: 32
    .workgroup_processor_mode: 1
  - .args:
      - .offset:         0
        .size:           48
        .value_kind:     by_value
    .group_segment_fixed_size: 0
    .kernarg_segment_align: 8
    .kernarg_segment_size: 48
    .language:       OpenCL C
    .language_version:
      - 2
      - 0
    .max_flat_workgroup_size: 128
    .name:           _ZN7rocprim17ROCPRIM_400000_NS6detail17trampoline_kernelINS0_14default_configENS1_38merge_sort_block_merge_config_selectorIN6thrust23THRUST_200600_302600_NS4pairIiiEENS0_10empty_typeEEEZZNS1_27merge_sort_block_merge_implIS3_NS6_6detail15normal_iteratorINS6_10device_ptrIS8_EEEEPS9_mNS6_4lessIS8_EEEE10hipError_tT0_T1_T2_jT3_P12ihipStream_tbPNSt15iterator_traitsISL_E10value_typeEPNSR_ISM_E10value_typeEPSN_NS1_7vsmem_tEENKUlT_SL_SM_SN_E_clISG_PS8_SH_SH_EESK_S10_SL_SM_SN_EUlS10_E_NS1_11comp_targetILNS1_3genE2ELNS1_11target_archE906ELNS1_3gpuE6ELNS1_3repE0EEENS1_48merge_mergepath_partition_config_static_selectorELNS0_4arch9wavefront6targetE0EEEvSM_
    .private_segment_fixed_size: 0
    .sgpr_count:     0
    .sgpr_spill_count: 0
    .symbol:         _ZN7rocprim17ROCPRIM_400000_NS6detail17trampoline_kernelINS0_14default_configENS1_38merge_sort_block_merge_config_selectorIN6thrust23THRUST_200600_302600_NS4pairIiiEENS0_10empty_typeEEEZZNS1_27merge_sort_block_merge_implIS3_NS6_6detail15normal_iteratorINS6_10device_ptrIS8_EEEEPS9_mNS6_4lessIS8_EEEE10hipError_tT0_T1_T2_jT3_P12ihipStream_tbPNSt15iterator_traitsISL_E10value_typeEPNSR_ISM_E10value_typeEPSN_NS1_7vsmem_tEENKUlT_SL_SM_SN_E_clISG_PS8_SH_SH_EESK_S10_SL_SM_SN_EUlS10_E_NS1_11comp_targetILNS1_3genE2ELNS1_11target_archE906ELNS1_3gpuE6ELNS1_3repE0EEENS1_48merge_mergepath_partition_config_static_selectorELNS0_4arch9wavefront6targetE0EEEvSM_.kd
    .uniform_work_group_size: 1
    .uses_dynamic_stack: false
    .vgpr_count:     0
    .vgpr_spill_count: 0
    .wavefront_size: 32
    .workgroup_processor_mode: 1
  - .args:
      - .offset:         0
        .size:           48
        .value_kind:     by_value
    .group_segment_fixed_size: 0
    .kernarg_segment_align: 8
    .kernarg_segment_size: 48
    .language:       OpenCL C
    .language_version:
      - 2
      - 0
    .max_flat_workgroup_size: 128
    .name:           _ZN7rocprim17ROCPRIM_400000_NS6detail17trampoline_kernelINS0_14default_configENS1_38merge_sort_block_merge_config_selectorIN6thrust23THRUST_200600_302600_NS4pairIiiEENS0_10empty_typeEEEZZNS1_27merge_sort_block_merge_implIS3_NS6_6detail15normal_iteratorINS6_10device_ptrIS8_EEEEPS9_mNS6_4lessIS8_EEEE10hipError_tT0_T1_T2_jT3_P12ihipStream_tbPNSt15iterator_traitsISL_E10value_typeEPNSR_ISM_E10value_typeEPSN_NS1_7vsmem_tEENKUlT_SL_SM_SN_E_clISG_PS8_SH_SH_EESK_S10_SL_SM_SN_EUlS10_E_NS1_11comp_targetILNS1_3genE9ELNS1_11target_archE1100ELNS1_3gpuE3ELNS1_3repE0EEENS1_48merge_mergepath_partition_config_static_selectorELNS0_4arch9wavefront6targetE0EEEvSM_
    .private_segment_fixed_size: 0
    .sgpr_count:     0
    .sgpr_spill_count: 0
    .symbol:         _ZN7rocprim17ROCPRIM_400000_NS6detail17trampoline_kernelINS0_14default_configENS1_38merge_sort_block_merge_config_selectorIN6thrust23THRUST_200600_302600_NS4pairIiiEENS0_10empty_typeEEEZZNS1_27merge_sort_block_merge_implIS3_NS6_6detail15normal_iteratorINS6_10device_ptrIS8_EEEEPS9_mNS6_4lessIS8_EEEE10hipError_tT0_T1_T2_jT3_P12ihipStream_tbPNSt15iterator_traitsISL_E10value_typeEPNSR_ISM_E10value_typeEPSN_NS1_7vsmem_tEENKUlT_SL_SM_SN_E_clISG_PS8_SH_SH_EESK_S10_SL_SM_SN_EUlS10_E_NS1_11comp_targetILNS1_3genE9ELNS1_11target_archE1100ELNS1_3gpuE3ELNS1_3repE0EEENS1_48merge_mergepath_partition_config_static_selectorELNS0_4arch9wavefront6targetE0EEEvSM_.kd
    .uniform_work_group_size: 1
    .uses_dynamic_stack: false
    .vgpr_count:     0
    .vgpr_spill_count: 0
    .wavefront_size: 32
    .workgroup_processor_mode: 1
  - .args:
      - .offset:         0
        .size:           48
        .value_kind:     by_value
    .group_segment_fixed_size: 0
    .kernarg_segment_align: 8
    .kernarg_segment_size: 48
    .language:       OpenCL C
    .language_version:
      - 2
      - 0
    .max_flat_workgroup_size: 128
    .name:           _ZN7rocprim17ROCPRIM_400000_NS6detail17trampoline_kernelINS0_14default_configENS1_38merge_sort_block_merge_config_selectorIN6thrust23THRUST_200600_302600_NS4pairIiiEENS0_10empty_typeEEEZZNS1_27merge_sort_block_merge_implIS3_NS6_6detail15normal_iteratorINS6_10device_ptrIS8_EEEEPS9_mNS6_4lessIS8_EEEE10hipError_tT0_T1_T2_jT3_P12ihipStream_tbPNSt15iterator_traitsISL_E10value_typeEPNSR_ISM_E10value_typeEPSN_NS1_7vsmem_tEENKUlT_SL_SM_SN_E_clISG_PS8_SH_SH_EESK_S10_SL_SM_SN_EUlS10_E_NS1_11comp_targetILNS1_3genE8ELNS1_11target_archE1030ELNS1_3gpuE2ELNS1_3repE0EEENS1_48merge_mergepath_partition_config_static_selectorELNS0_4arch9wavefront6targetE0EEEvSM_
    .private_segment_fixed_size: 0
    .sgpr_count:     10
    .sgpr_spill_count: 0
    .symbol:         _ZN7rocprim17ROCPRIM_400000_NS6detail17trampoline_kernelINS0_14default_configENS1_38merge_sort_block_merge_config_selectorIN6thrust23THRUST_200600_302600_NS4pairIiiEENS0_10empty_typeEEEZZNS1_27merge_sort_block_merge_implIS3_NS6_6detail15normal_iteratorINS6_10device_ptrIS8_EEEEPS9_mNS6_4lessIS8_EEEE10hipError_tT0_T1_T2_jT3_P12ihipStream_tbPNSt15iterator_traitsISL_E10value_typeEPNSR_ISM_E10value_typeEPSN_NS1_7vsmem_tEENKUlT_SL_SM_SN_E_clISG_PS8_SH_SH_EESK_S10_SL_SM_SN_EUlS10_E_NS1_11comp_targetILNS1_3genE8ELNS1_11target_archE1030ELNS1_3gpuE2ELNS1_3repE0EEENS1_48merge_mergepath_partition_config_static_selectorELNS0_4arch9wavefront6targetE0EEEvSM_.kd
    .uniform_work_group_size: 1
    .uses_dynamic_stack: false
    .vgpr_count:     19
    .vgpr_spill_count: 0
    .wavefront_size: 32
    .workgroup_processor_mode: 1
  - .args:
      - .offset:         0
        .size:           72
        .value_kind:     by_value
    .group_segment_fixed_size: 0
    .kernarg_segment_align: 8
    .kernarg_segment_size: 72
    .language:       OpenCL C
    .language_version:
      - 2
      - 0
    .max_flat_workgroup_size: 128
    .name:           _ZN7rocprim17ROCPRIM_400000_NS6detail17trampoline_kernelINS0_14default_configENS1_38merge_sort_block_merge_config_selectorIN6thrust23THRUST_200600_302600_NS4pairIiiEENS0_10empty_typeEEEZZNS1_27merge_sort_block_merge_implIS3_NS6_6detail15normal_iteratorINS6_10device_ptrIS8_EEEEPS9_mNS6_4lessIS8_EEEE10hipError_tT0_T1_T2_jT3_P12ihipStream_tbPNSt15iterator_traitsISL_E10value_typeEPNSR_ISM_E10value_typeEPSN_NS1_7vsmem_tEENKUlT_SL_SM_SN_E_clISG_PS8_SH_SH_EESK_S10_SL_SM_SN_EUlS10_E0_NS1_11comp_targetILNS1_3genE0ELNS1_11target_archE4294967295ELNS1_3gpuE0ELNS1_3repE0EEENS1_38merge_mergepath_config_static_selectorELNS0_4arch9wavefront6targetE0EEEvSM_
    .private_segment_fixed_size: 0
    .sgpr_count:     0
    .sgpr_spill_count: 0
    .symbol:         _ZN7rocprim17ROCPRIM_400000_NS6detail17trampoline_kernelINS0_14default_configENS1_38merge_sort_block_merge_config_selectorIN6thrust23THRUST_200600_302600_NS4pairIiiEENS0_10empty_typeEEEZZNS1_27merge_sort_block_merge_implIS3_NS6_6detail15normal_iteratorINS6_10device_ptrIS8_EEEEPS9_mNS6_4lessIS8_EEEE10hipError_tT0_T1_T2_jT3_P12ihipStream_tbPNSt15iterator_traitsISL_E10value_typeEPNSR_ISM_E10value_typeEPSN_NS1_7vsmem_tEENKUlT_SL_SM_SN_E_clISG_PS8_SH_SH_EESK_S10_SL_SM_SN_EUlS10_E0_NS1_11comp_targetILNS1_3genE0ELNS1_11target_archE4294967295ELNS1_3gpuE0ELNS1_3repE0EEENS1_38merge_mergepath_config_static_selectorELNS0_4arch9wavefront6targetE0EEEvSM_.kd
    .uniform_work_group_size: 1
    .uses_dynamic_stack: false
    .vgpr_count:     0
    .vgpr_spill_count: 0
    .wavefront_size: 32
    .workgroup_processor_mode: 1
  - .args:
      - .offset:         0
        .size:           72
        .value_kind:     by_value
    .group_segment_fixed_size: 0
    .kernarg_segment_align: 8
    .kernarg_segment_size: 72
    .language:       OpenCL C
    .language_version:
      - 2
      - 0
    .max_flat_workgroup_size: 512
    .name:           _ZN7rocprim17ROCPRIM_400000_NS6detail17trampoline_kernelINS0_14default_configENS1_38merge_sort_block_merge_config_selectorIN6thrust23THRUST_200600_302600_NS4pairIiiEENS0_10empty_typeEEEZZNS1_27merge_sort_block_merge_implIS3_NS6_6detail15normal_iteratorINS6_10device_ptrIS8_EEEEPS9_mNS6_4lessIS8_EEEE10hipError_tT0_T1_T2_jT3_P12ihipStream_tbPNSt15iterator_traitsISL_E10value_typeEPNSR_ISM_E10value_typeEPSN_NS1_7vsmem_tEENKUlT_SL_SM_SN_E_clISG_PS8_SH_SH_EESK_S10_SL_SM_SN_EUlS10_E0_NS1_11comp_targetILNS1_3genE10ELNS1_11target_archE1201ELNS1_3gpuE5ELNS1_3repE0EEENS1_38merge_mergepath_config_static_selectorELNS0_4arch9wavefront6targetE0EEEvSM_
    .private_segment_fixed_size: 0
    .sgpr_count:     0
    .sgpr_spill_count: 0
    .symbol:         _ZN7rocprim17ROCPRIM_400000_NS6detail17trampoline_kernelINS0_14default_configENS1_38merge_sort_block_merge_config_selectorIN6thrust23THRUST_200600_302600_NS4pairIiiEENS0_10empty_typeEEEZZNS1_27merge_sort_block_merge_implIS3_NS6_6detail15normal_iteratorINS6_10device_ptrIS8_EEEEPS9_mNS6_4lessIS8_EEEE10hipError_tT0_T1_T2_jT3_P12ihipStream_tbPNSt15iterator_traitsISL_E10value_typeEPNSR_ISM_E10value_typeEPSN_NS1_7vsmem_tEENKUlT_SL_SM_SN_E_clISG_PS8_SH_SH_EESK_S10_SL_SM_SN_EUlS10_E0_NS1_11comp_targetILNS1_3genE10ELNS1_11target_archE1201ELNS1_3gpuE5ELNS1_3repE0EEENS1_38merge_mergepath_config_static_selectorELNS0_4arch9wavefront6targetE0EEEvSM_.kd
    .uniform_work_group_size: 1
    .uses_dynamic_stack: false
    .vgpr_count:     0
    .vgpr_spill_count: 0
    .wavefront_size: 32
    .workgroup_processor_mode: 1
  - .args:
      - .offset:         0
        .size:           72
        .value_kind:     by_value
    .group_segment_fixed_size: 0
    .kernarg_segment_align: 8
    .kernarg_segment_size: 72
    .language:       OpenCL C
    .language_version:
      - 2
      - 0
    .max_flat_workgroup_size: 128
    .name:           _ZN7rocprim17ROCPRIM_400000_NS6detail17trampoline_kernelINS0_14default_configENS1_38merge_sort_block_merge_config_selectorIN6thrust23THRUST_200600_302600_NS4pairIiiEENS0_10empty_typeEEEZZNS1_27merge_sort_block_merge_implIS3_NS6_6detail15normal_iteratorINS6_10device_ptrIS8_EEEEPS9_mNS6_4lessIS8_EEEE10hipError_tT0_T1_T2_jT3_P12ihipStream_tbPNSt15iterator_traitsISL_E10value_typeEPNSR_ISM_E10value_typeEPSN_NS1_7vsmem_tEENKUlT_SL_SM_SN_E_clISG_PS8_SH_SH_EESK_S10_SL_SM_SN_EUlS10_E0_NS1_11comp_targetILNS1_3genE5ELNS1_11target_archE942ELNS1_3gpuE9ELNS1_3repE0EEENS1_38merge_mergepath_config_static_selectorELNS0_4arch9wavefront6targetE0EEEvSM_
    .private_segment_fixed_size: 0
    .sgpr_count:     0
    .sgpr_spill_count: 0
    .symbol:         _ZN7rocprim17ROCPRIM_400000_NS6detail17trampoline_kernelINS0_14default_configENS1_38merge_sort_block_merge_config_selectorIN6thrust23THRUST_200600_302600_NS4pairIiiEENS0_10empty_typeEEEZZNS1_27merge_sort_block_merge_implIS3_NS6_6detail15normal_iteratorINS6_10device_ptrIS8_EEEEPS9_mNS6_4lessIS8_EEEE10hipError_tT0_T1_T2_jT3_P12ihipStream_tbPNSt15iterator_traitsISL_E10value_typeEPNSR_ISM_E10value_typeEPSN_NS1_7vsmem_tEENKUlT_SL_SM_SN_E_clISG_PS8_SH_SH_EESK_S10_SL_SM_SN_EUlS10_E0_NS1_11comp_targetILNS1_3genE5ELNS1_11target_archE942ELNS1_3gpuE9ELNS1_3repE0EEENS1_38merge_mergepath_config_static_selectorELNS0_4arch9wavefront6targetE0EEEvSM_.kd
    .uniform_work_group_size: 1
    .uses_dynamic_stack: false
    .vgpr_count:     0
    .vgpr_spill_count: 0
    .wavefront_size: 32
    .workgroup_processor_mode: 1
  - .args:
      - .offset:         0
        .size:           72
        .value_kind:     by_value
    .group_segment_fixed_size: 0
    .kernarg_segment_align: 8
    .kernarg_segment_size: 72
    .language:       OpenCL C
    .language_version:
      - 2
      - 0
    .max_flat_workgroup_size: 256
    .name:           _ZN7rocprim17ROCPRIM_400000_NS6detail17trampoline_kernelINS0_14default_configENS1_38merge_sort_block_merge_config_selectorIN6thrust23THRUST_200600_302600_NS4pairIiiEENS0_10empty_typeEEEZZNS1_27merge_sort_block_merge_implIS3_NS6_6detail15normal_iteratorINS6_10device_ptrIS8_EEEEPS9_mNS6_4lessIS8_EEEE10hipError_tT0_T1_T2_jT3_P12ihipStream_tbPNSt15iterator_traitsISL_E10value_typeEPNSR_ISM_E10value_typeEPSN_NS1_7vsmem_tEENKUlT_SL_SM_SN_E_clISG_PS8_SH_SH_EESK_S10_SL_SM_SN_EUlS10_E0_NS1_11comp_targetILNS1_3genE4ELNS1_11target_archE910ELNS1_3gpuE8ELNS1_3repE0EEENS1_38merge_mergepath_config_static_selectorELNS0_4arch9wavefront6targetE0EEEvSM_
    .private_segment_fixed_size: 0
    .sgpr_count:     0
    .sgpr_spill_count: 0
    .symbol:         _ZN7rocprim17ROCPRIM_400000_NS6detail17trampoline_kernelINS0_14default_configENS1_38merge_sort_block_merge_config_selectorIN6thrust23THRUST_200600_302600_NS4pairIiiEENS0_10empty_typeEEEZZNS1_27merge_sort_block_merge_implIS3_NS6_6detail15normal_iteratorINS6_10device_ptrIS8_EEEEPS9_mNS6_4lessIS8_EEEE10hipError_tT0_T1_T2_jT3_P12ihipStream_tbPNSt15iterator_traitsISL_E10value_typeEPNSR_ISM_E10value_typeEPSN_NS1_7vsmem_tEENKUlT_SL_SM_SN_E_clISG_PS8_SH_SH_EESK_S10_SL_SM_SN_EUlS10_E0_NS1_11comp_targetILNS1_3genE4ELNS1_11target_archE910ELNS1_3gpuE8ELNS1_3repE0EEENS1_38merge_mergepath_config_static_selectorELNS0_4arch9wavefront6targetE0EEEvSM_.kd
    .uniform_work_group_size: 1
    .uses_dynamic_stack: false
    .vgpr_count:     0
    .vgpr_spill_count: 0
    .wavefront_size: 32
    .workgroup_processor_mode: 1
  - .args:
      - .offset:         0
        .size:           72
        .value_kind:     by_value
    .group_segment_fixed_size: 0
    .kernarg_segment_align: 8
    .kernarg_segment_size: 72
    .language:       OpenCL C
    .language_version:
      - 2
      - 0
    .max_flat_workgroup_size: 128
    .name:           _ZN7rocprim17ROCPRIM_400000_NS6detail17trampoline_kernelINS0_14default_configENS1_38merge_sort_block_merge_config_selectorIN6thrust23THRUST_200600_302600_NS4pairIiiEENS0_10empty_typeEEEZZNS1_27merge_sort_block_merge_implIS3_NS6_6detail15normal_iteratorINS6_10device_ptrIS8_EEEEPS9_mNS6_4lessIS8_EEEE10hipError_tT0_T1_T2_jT3_P12ihipStream_tbPNSt15iterator_traitsISL_E10value_typeEPNSR_ISM_E10value_typeEPSN_NS1_7vsmem_tEENKUlT_SL_SM_SN_E_clISG_PS8_SH_SH_EESK_S10_SL_SM_SN_EUlS10_E0_NS1_11comp_targetILNS1_3genE3ELNS1_11target_archE908ELNS1_3gpuE7ELNS1_3repE0EEENS1_38merge_mergepath_config_static_selectorELNS0_4arch9wavefront6targetE0EEEvSM_
    .private_segment_fixed_size: 0
    .sgpr_count:     0
    .sgpr_spill_count: 0
    .symbol:         _ZN7rocprim17ROCPRIM_400000_NS6detail17trampoline_kernelINS0_14default_configENS1_38merge_sort_block_merge_config_selectorIN6thrust23THRUST_200600_302600_NS4pairIiiEENS0_10empty_typeEEEZZNS1_27merge_sort_block_merge_implIS3_NS6_6detail15normal_iteratorINS6_10device_ptrIS8_EEEEPS9_mNS6_4lessIS8_EEEE10hipError_tT0_T1_T2_jT3_P12ihipStream_tbPNSt15iterator_traitsISL_E10value_typeEPNSR_ISM_E10value_typeEPSN_NS1_7vsmem_tEENKUlT_SL_SM_SN_E_clISG_PS8_SH_SH_EESK_S10_SL_SM_SN_EUlS10_E0_NS1_11comp_targetILNS1_3genE3ELNS1_11target_archE908ELNS1_3gpuE7ELNS1_3repE0EEENS1_38merge_mergepath_config_static_selectorELNS0_4arch9wavefront6targetE0EEEvSM_.kd
    .uniform_work_group_size: 1
    .uses_dynamic_stack: false
    .vgpr_count:     0
    .vgpr_spill_count: 0
    .wavefront_size: 32
    .workgroup_processor_mode: 1
  - .args:
      - .offset:         0
        .size:           72
        .value_kind:     by_value
    .group_segment_fixed_size: 0
    .kernarg_segment_align: 8
    .kernarg_segment_size: 72
    .language:       OpenCL C
    .language_version:
      - 2
      - 0
    .max_flat_workgroup_size: 256
    .name:           _ZN7rocprim17ROCPRIM_400000_NS6detail17trampoline_kernelINS0_14default_configENS1_38merge_sort_block_merge_config_selectorIN6thrust23THRUST_200600_302600_NS4pairIiiEENS0_10empty_typeEEEZZNS1_27merge_sort_block_merge_implIS3_NS6_6detail15normal_iteratorINS6_10device_ptrIS8_EEEEPS9_mNS6_4lessIS8_EEEE10hipError_tT0_T1_T2_jT3_P12ihipStream_tbPNSt15iterator_traitsISL_E10value_typeEPNSR_ISM_E10value_typeEPSN_NS1_7vsmem_tEENKUlT_SL_SM_SN_E_clISG_PS8_SH_SH_EESK_S10_SL_SM_SN_EUlS10_E0_NS1_11comp_targetILNS1_3genE2ELNS1_11target_archE906ELNS1_3gpuE6ELNS1_3repE0EEENS1_38merge_mergepath_config_static_selectorELNS0_4arch9wavefront6targetE0EEEvSM_
    .private_segment_fixed_size: 0
    .sgpr_count:     0
    .sgpr_spill_count: 0
    .symbol:         _ZN7rocprim17ROCPRIM_400000_NS6detail17trampoline_kernelINS0_14default_configENS1_38merge_sort_block_merge_config_selectorIN6thrust23THRUST_200600_302600_NS4pairIiiEENS0_10empty_typeEEEZZNS1_27merge_sort_block_merge_implIS3_NS6_6detail15normal_iteratorINS6_10device_ptrIS8_EEEEPS9_mNS6_4lessIS8_EEEE10hipError_tT0_T1_T2_jT3_P12ihipStream_tbPNSt15iterator_traitsISL_E10value_typeEPNSR_ISM_E10value_typeEPSN_NS1_7vsmem_tEENKUlT_SL_SM_SN_E_clISG_PS8_SH_SH_EESK_S10_SL_SM_SN_EUlS10_E0_NS1_11comp_targetILNS1_3genE2ELNS1_11target_archE906ELNS1_3gpuE6ELNS1_3repE0EEENS1_38merge_mergepath_config_static_selectorELNS0_4arch9wavefront6targetE0EEEvSM_.kd
    .uniform_work_group_size: 1
    .uses_dynamic_stack: false
    .vgpr_count:     0
    .vgpr_spill_count: 0
    .wavefront_size: 32
    .workgroup_processor_mode: 1
  - .args:
      - .offset:         0
        .size:           72
        .value_kind:     by_value
    .group_segment_fixed_size: 0
    .kernarg_segment_align: 8
    .kernarg_segment_size: 72
    .language:       OpenCL C
    .language_version:
      - 2
      - 0
    .max_flat_workgroup_size: 512
    .name:           _ZN7rocprim17ROCPRIM_400000_NS6detail17trampoline_kernelINS0_14default_configENS1_38merge_sort_block_merge_config_selectorIN6thrust23THRUST_200600_302600_NS4pairIiiEENS0_10empty_typeEEEZZNS1_27merge_sort_block_merge_implIS3_NS6_6detail15normal_iteratorINS6_10device_ptrIS8_EEEEPS9_mNS6_4lessIS8_EEEE10hipError_tT0_T1_T2_jT3_P12ihipStream_tbPNSt15iterator_traitsISL_E10value_typeEPNSR_ISM_E10value_typeEPSN_NS1_7vsmem_tEENKUlT_SL_SM_SN_E_clISG_PS8_SH_SH_EESK_S10_SL_SM_SN_EUlS10_E0_NS1_11comp_targetILNS1_3genE9ELNS1_11target_archE1100ELNS1_3gpuE3ELNS1_3repE0EEENS1_38merge_mergepath_config_static_selectorELNS0_4arch9wavefront6targetE0EEEvSM_
    .private_segment_fixed_size: 0
    .sgpr_count:     0
    .sgpr_spill_count: 0
    .symbol:         _ZN7rocprim17ROCPRIM_400000_NS6detail17trampoline_kernelINS0_14default_configENS1_38merge_sort_block_merge_config_selectorIN6thrust23THRUST_200600_302600_NS4pairIiiEENS0_10empty_typeEEEZZNS1_27merge_sort_block_merge_implIS3_NS6_6detail15normal_iteratorINS6_10device_ptrIS8_EEEEPS9_mNS6_4lessIS8_EEEE10hipError_tT0_T1_T2_jT3_P12ihipStream_tbPNSt15iterator_traitsISL_E10value_typeEPNSR_ISM_E10value_typeEPSN_NS1_7vsmem_tEENKUlT_SL_SM_SN_E_clISG_PS8_SH_SH_EESK_S10_SL_SM_SN_EUlS10_E0_NS1_11comp_targetILNS1_3genE9ELNS1_11target_archE1100ELNS1_3gpuE3ELNS1_3repE0EEENS1_38merge_mergepath_config_static_selectorELNS0_4arch9wavefront6targetE0EEEvSM_.kd
    .uniform_work_group_size: 1
    .uses_dynamic_stack: false
    .vgpr_count:     0
    .vgpr_spill_count: 0
    .wavefront_size: 32
    .workgroup_processor_mode: 1
  - .args:
      - .offset:         0
        .size:           72
        .value_kind:     by_value
      - .offset:         72
        .size:           4
        .value_kind:     hidden_block_count_x
      - .offset:         76
        .size:           4
        .value_kind:     hidden_block_count_y
      - .offset:         80
        .size:           4
        .value_kind:     hidden_block_count_z
      - .offset:         84
        .size:           2
        .value_kind:     hidden_group_size_x
      - .offset:         86
        .size:           2
        .value_kind:     hidden_group_size_y
      - .offset:         88
        .size:           2
        .value_kind:     hidden_group_size_z
      - .offset:         90
        .size:           2
        .value_kind:     hidden_remainder_x
      - .offset:         92
        .size:           2
        .value_kind:     hidden_remainder_y
      - .offset:         94
        .size:           2
        .value_kind:     hidden_remainder_z
      - .offset:         112
        .size:           8
        .value_kind:     hidden_global_offset_x
      - .offset:         120
        .size:           8
        .value_kind:     hidden_global_offset_y
      - .offset:         128
        .size:           8
        .value_kind:     hidden_global_offset_z
      - .offset:         136
        .size:           2
        .value_kind:     hidden_grid_dims
    .group_segment_fixed_size: 8208
    .kernarg_segment_align: 8
    .kernarg_segment_size: 328
    .language:       OpenCL C
    .language_version:
      - 2
      - 0
    .max_flat_workgroup_size: 1024
    .name:           _ZN7rocprim17ROCPRIM_400000_NS6detail17trampoline_kernelINS0_14default_configENS1_38merge_sort_block_merge_config_selectorIN6thrust23THRUST_200600_302600_NS4pairIiiEENS0_10empty_typeEEEZZNS1_27merge_sort_block_merge_implIS3_NS6_6detail15normal_iteratorINS6_10device_ptrIS8_EEEEPS9_mNS6_4lessIS8_EEEE10hipError_tT0_T1_T2_jT3_P12ihipStream_tbPNSt15iterator_traitsISL_E10value_typeEPNSR_ISM_E10value_typeEPSN_NS1_7vsmem_tEENKUlT_SL_SM_SN_E_clISG_PS8_SH_SH_EESK_S10_SL_SM_SN_EUlS10_E0_NS1_11comp_targetILNS1_3genE8ELNS1_11target_archE1030ELNS1_3gpuE2ELNS1_3repE0EEENS1_38merge_mergepath_config_static_selectorELNS0_4arch9wavefront6targetE0EEEvSM_
    .private_segment_fixed_size: 0
    .sgpr_count:     28
    .sgpr_spill_count: 0
    .symbol:         _ZN7rocprim17ROCPRIM_400000_NS6detail17trampoline_kernelINS0_14default_configENS1_38merge_sort_block_merge_config_selectorIN6thrust23THRUST_200600_302600_NS4pairIiiEENS0_10empty_typeEEEZZNS1_27merge_sort_block_merge_implIS3_NS6_6detail15normal_iteratorINS6_10device_ptrIS8_EEEEPS9_mNS6_4lessIS8_EEEE10hipError_tT0_T1_T2_jT3_P12ihipStream_tbPNSt15iterator_traitsISL_E10value_typeEPNSR_ISM_E10value_typeEPSN_NS1_7vsmem_tEENKUlT_SL_SM_SN_E_clISG_PS8_SH_SH_EESK_S10_SL_SM_SN_EUlS10_E0_NS1_11comp_targetILNS1_3genE8ELNS1_11target_archE1030ELNS1_3gpuE2ELNS1_3repE0EEENS1_38merge_mergepath_config_static_selectorELNS0_4arch9wavefront6targetE0EEEvSM_.kd
    .uniform_work_group_size: 1
    .uses_dynamic_stack: false
    .vgpr_count:     16
    .vgpr_spill_count: 0
    .wavefront_size: 32
    .workgroup_processor_mode: 1
  - .args:
      - .offset:         0
        .size:           56
        .value_kind:     by_value
    .group_segment_fixed_size: 0
    .kernarg_segment_align: 8
    .kernarg_segment_size: 56
    .language:       OpenCL C
    .language_version:
      - 2
      - 0
    .max_flat_workgroup_size: 256
    .name:           _ZN7rocprim17ROCPRIM_400000_NS6detail17trampoline_kernelINS0_14default_configENS1_38merge_sort_block_merge_config_selectorIN6thrust23THRUST_200600_302600_NS4pairIiiEENS0_10empty_typeEEEZZNS1_27merge_sort_block_merge_implIS3_NS6_6detail15normal_iteratorINS6_10device_ptrIS8_EEEEPS9_mNS6_4lessIS8_EEEE10hipError_tT0_T1_T2_jT3_P12ihipStream_tbPNSt15iterator_traitsISL_E10value_typeEPNSR_ISM_E10value_typeEPSN_NS1_7vsmem_tEENKUlT_SL_SM_SN_E_clISG_PS8_SH_SH_EESK_S10_SL_SM_SN_EUlS10_E1_NS1_11comp_targetILNS1_3genE0ELNS1_11target_archE4294967295ELNS1_3gpuE0ELNS1_3repE0EEENS1_36merge_oddeven_config_static_selectorELNS0_4arch9wavefront6targetE0EEEvSM_
    .private_segment_fixed_size: 0
    .sgpr_count:     0
    .sgpr_spill_count: 0
    .symbol:         _ZN7rocprim17ROCPRIM_400000_NS6detail17trampoline_kernelINS0_14default_configENS1_38merge_sort_block_merge_config_selectorIN6thrust23THRUST_200600_302600_NS4pairIiiEENS0_10empty_typeEEEZZNS1_27merge_sort_block_merge_implIS3_NS6_6detail15normal_iteratorINS6_10device_ptrIS8_EEEEPS9_mNS6_4lessIS8_EEEE10hipError_tT0_T1_T2_jT3_P12ihipStream_tbPNSt15iterator_traitsISL_E10value_typeEPNSR_ISM_E10value_typeEPSN_NS1_7vsmem_tEENKUlT_SL_SM_SN_E_clISG_PS8_SH_SH_EESK_S10_SL_SM_SN_EUlS10_E1_NS1_11comp_targetILNS1_3genE0ELNS1_11target_archE4294967295ELNS1_3gpuE0ELNS1_3repE0EEENS1_36merge_oddeven_config_static_selectorELNS0_4arch9wavefront6targetE0EEEvSM_.kd
    .uniform_work_group_size: 1
    .uses_dynamic_stack: false
    .vgpr_count:     0
    .vgpr_spill_count: 0
    .wavefront_size: 32
    .workgroup_processor_mode: 1
  - .args:
      - .offset:         0
        .size:           56
        .value_kind:     by_value
    .group_segment_fixed_size: 0
    .kernarg_segment_align: 8
    .kernarg_segment_size: 56
    .language:       OpenCL C
    .language_version:
      - 2
      - 0
    .max_flat_workgroup_size: 256
    .name:           _ZN7rocprim17ROCPRIM_400000_NS6detail17trampoline_kernelINS0_14default_configENS1_38merge_sort_block_merge_config_selectorIN6thrust23THRUST_200600_302600_NS4pairIiiEENS0_10empty_typeEEEZZNS1_27merge_sort_block_merge_implIS3_NS6_6detail15normal_iteratorINS6_10device_ptrIS8_EEEEPS9_mNS6_4lessIS8_EEEE10hipError_tT0_T1_T2_jT3_P12ihipStream_tbPNSt15iterator_traitsISL_E10value_typeEPNSR_ISM_E10value_typeEPSN_NS1_7vsmem_tEENKUlT_SL_SM_SN_E_clISG_PS8_SH_SH_EESK_S10_SL_SM_SN_EUlS10_E1_NS1_11comp_targetILNS1_3genE10ELNS1_11target_archE1201ELNS1_3gpuE5ELNS1_3repE0EEENS1_36merge_oddeven_config_static_selectorELNS0_4arch9wavefront6targetE0EEEvSM_
    .private_segment_fixed_size: 0
    .sgpr_count:     0
    .sgpr_spill_count: 0
    .symbol:         _ZN7rocprim17ROCPRIM_400000_NS6detail17trampoline_kernelINS0_14default_configENS1_38merge_sort_block_merge_config_selectorIN6thrust23THRUST_200600_302600_NS4pairIiiEENS0_10empty_typeEEEZZNS1_27merge_sort_block_merge_implIS3_NS6_6detail15normal_iteratorINS6_10device_ptrIS8_EEEEPS9_mNS6_4lessIS8_EEEE10hipError_tT0_T1_T2_jT3_P12ihipStream_tbPNSt15iterator_traitsISL_E10value_typeEPNSR_ISM_E10value_typeEPSN_NS1_7vsmem_tEENKUlT_SL_SM_SN_E_clISG_PS8_SH_SH_EESK_S10_SL_SM_SN_EUlS10_E1_NS1_11comp_targetILNS1_3genE10ELNS1_11target_archE1201ELNS1_3gpuE5ELNS1_3repE0EEENS1_36merge_oddeven_config_static_selectorELNS0_4arch9wavefront6targetE0EEEvSM_.kd
    .uniform_work_group_size: 1
    .uses_dynamic_stack: false
    .vgpr_count:     0
    .vgpr_spill_count: 0
    .wavefront_size: 32
    .workgroup_processor_mode: 1
  - .args:
      - .offset:         0
        .size:           56
        .value_kind:     by_value
    .group_segment_fixed_size: 0
    .kernarg_segment_align: 8
    .kernarg_segment_size: 56
    .language:       OpenCL C
    .language_version:
      - 2
      - 0
    .max_flat_workgroup_size: 256
    .name:           _ZN7rocprim17ROCPRIM_400000_NS6detail17trampoline_kernelINS0_14default_configENS1_38merge_sort_block_merge_config_selectorIN6thrust23THRUST_200600_302600_NS4pairIiiEENS0_10empty_typeEEEZZNS1_27merge_sort_block_merge_implIS3_NS6_6detail15normal_iteratorINS6_10device_ptrIS8_EEEEPS9_mNS6_4lessIS8_EEEE10hipError_tT0_T1_T2_jT3_P12ihipStream_tbPNSt15iterator_traitsISL_E10value_typeEPNSR_ISM_E10value_typeEPSN_NS1_7vsmem_tEENKUlT_SL_SM_SN_E_clISG_PS8_SH_SH_EESK_S10_SL_SM_SN_EUlS10_E1_NS1_11comp_targetILNS1_3genE5ELNS1_11target_archE942ELNS1_3gpuE9ELNS1_3repE0EEENS1_36merge_oddeven_config_static_selectorELNS0_4arch9wavefront6targetE0EEEvSM_
    .private_segment_fixed_size: 0
    .sgpr_count:     0
    .sgpr_spill_count: 0
    .symbol:         _ZN7rocprim17ROCPRIM_400000_NS6detail17trampoline_kernelINS0_14default_configENS1_38merge_sort_block_merge_config_selectorIN6thrust23THRUST_200600_302600_NS4pairIiiEENS0_10empty_typeEEEZZNS1_27merge_sort_block_merge_implIS3_NS6_6detail15normal_iteratorINS6_10device_ptrIS8_EEEEPS9_mNS6_4lessIS8_EEEE10hipError_tT0_T1_T2_jT3_P12ihipStream_tbPNSt15iterator_traitsISL_E10value_typeEPNSR_ISM_E10value_typeEPSN_NS1_7vsmem_tEENKUlT_SL_SM_SN_E_clISG_PS8_SH_SH_EESK_S10_SL_SM_SN_EUlS10_E1_NS1_11comp_targetILNS1_3genE5ELNS1_11target_archE942ELNS1_3gpuE9ELNS1_3repE0EEENS1_36merge_oddeven_config_static_selectorELNS0_4arch9wavefront6targetE0EEEvSM_.kd
    .uniform_work_group_size: 1
    .uses_dynamic_stack: false
    .vgpr_count:     0
    .vgpr_spill_count: 0
    .wavefront_size: 32
    .workgroup_processor_mode: 1
  - .args:
      - .offset:         0
        .size:           56
        .value_kind:     by_value
    .group_segment_fixed_size: 0
    .kernarg_segment_align: 8
    .kernarg_segment_size: 56
    .language:       OpenCL C
    .language_version:
      - 2
      - 0
    .max_flat_workgroup_size: 256
    .name:           _ZN7rocprim17ROCPRIM_400000_NS6detail17trampoline_kernelINS0_14default_configENS1_38merge_sort_block_merge_config_selectorIN6thrust23THRUST_200600_302600_NS4pairIiiEENS0_10empty_typeEEEZZNS1_27merge_sort_block_merge_implIS3_NS6_6detail15normal_iteratorINS6_10device_ptrIS8_EEEEPS9_mNS6_4lessIS8_EEEE10hipError_tT0_T1_T2_jT3_P12ihipStream_tbPNSt15iterator_traitsISL_E10value_typeEPNSR_ISM_E10value_typeEPSN_NS1_7vsmem_tEENKUlT_SL_SM_SN_E_clISG_PS8_SH_SH_EESK_S10_SL_SM_SN_EUlS10_E1_NS1_11comp_targetILNS1_3genE4ELNS1_11target_archE910ELNS1_3gpuE8ELNS1_3repE0EEENS1_36merge_oddeven_config_static_selectorELNS0_4arch9wavefront6targetE0EEEvSM_
    .private_segment_fixed_size: 0
    .sgpr_count:     0
    .sgpr_spill_count: 0
    .symbol:         _ZN7rocprim17ROCPRIM_400000_NS6detail17trampoline_kernelINS0_14default_configENS1_38merge_sort_block_merge_config_selectorIN6thrust23THRUST_200600_302600_NS4pairIiiEENS0_10empty_typeEEEZZNS1_27merge_sort_block_merge_implIS3_NS6_6detail15normal_iteratorINS6_10device_ptrIS8_EEEEPS9_mNS6_4lessIS8_EEEE10hipError_tT0_T1_T2_jT3_P12ihipStream_tbPNSt15iterator_traitsISL_E10value_typeEPNSR_ISM_E10value_typeEPSN_NS1_7vsmem_tEENKUlT_SL_SM_SN_E_clISG_PS8_SH_SH_EESK_S10_SL_SM_SN_EUlS10_E1_NS1_11comp_targetILNS1_3genE4ELNS1_11target_archE910ELNS1_3gpuE8ELNS1_3repE0EEENS1_36merge_oddeven_config_static_selectorELNS0_4arch9wavefront6targetE0EEEvSM_.kd
    .uniform_work_group_size: 1
    .uses_dynamic_stack: false
    .vgpr_count:     0
    .vgpr_spill_count: 0
    .wavefront_size: 32
    .workgroup_processor_mode: 1
  - .args:
      - .offset:         0
        .size:           56
        .value_kind:     by_value
    .group_segment_fixed_size: 0
    .kernarg_segment_align: 8
    .kernarg_segment_size: 56
    .language:       OpenCL C
    .language_version:
      - 2
      - 0
    .max_flat_workgroup_size: 256
    .name:           _ZN7rocprim17ROCPRIM_400000_NS6detail17trampoline_kernelINS0_14default_configENS1_38merge_sort_block_merge_config_selectorIN6thrust23THRUST_200600_302600_NS4pairIiiEENS0_10empty_typeEEEZZNS1_27merge_sort_block_merge_implIS3_NS6_6detail15normal_iteratorINS6_10device_ptrIS8_EEEEPS9_mNS6_4lessIS8_EEEE10hipError_tT0_T1_T2_jT3_P12ihipStream_tbPNSt15iterator_traitsISL_E10value_typeEPNSR_ISM_E10value_typeEPSN_NS1_7vsmem_tEENKUlT_SL_SM_SN_E_clISG_PS8_SH_SH_EESK_S10_SL_SM_SN_EUlS10_E1_NS1_11comp_targetILNS1_3genE3ELNS1_11target_archE908ELNS1_3gpuE7ELNS1_3repE0EEENS1_36merge_oddeven_config_static_selectorELNS0_4arch9wavefront6targetE0EEEvSM_
    .private_segment_fixed_size: 0
    .sgpr_count:     0
    .sgpr_spill_count: 0
    .symbol:         _ZN7rocprim17ROCPRIM_400000_NS6detail17trampoline_kernelINS0_14default_configENS1_38merge_sort_block_merge_config_selectorIN6thrust23THRUST_200600_302600_NS4pairIiiEENS0_10empty_typeEEEZZNS1_27merge_sort_block_merge_implIS3_NS6_6detail15normal_iteratorINS6_10device_ptrIS8_EEEEPS9_mNS6_4lessIS8_EEEE10hipError_tT0_T1_T2_jT3_P12ihipStream_tbPNSt15iterator_traitsISL_E10value_typeEPNSR_ISM_E10value_typeEPSN_NS1_7vsmem_tEENKUlT_SL_SM_SN_E_clISG_PS8_SH_SH_EESK_S10_SL_SM_SN_EUlS10_E1_NS1_11comp_targetILNS1_3genE3ELNS1_11target_archE908ELNS1_3gpuE7ELNS1_3repE0EEENS1_36merge_oddeven_config_static_selectorELNS0_4arch9wavefront6targetE0EEEvSM_.kd
    .uniform_work_group_size: 1
    .uses_dynamic_stack: false
    .vgpr_count:     0
    .vgpr_spill_count: 0
    .wavefront_size: 32
    .workgroup_processor_mode: 1
  - .args:
      - .offset:         0
        .size:           56
        .value_kind:     by_value
    .group_segment_fixed_size: 0
    .kernarg_segment_align: 8
    .kernarg_segment_size: 56
    .language:       OpenCL C
    .language_version:
      - 2
      - 0
    .max_flat_workgroup_size: 256
    .name:           _ZN7rocprim17ROCPRIM_400000_NS6detail17trampoline_kernelINS0_14default_configENS1_38merge_sort_block_merge_config_selectorIN6thrust23THRUST_200600_302600_NS4pairIiiEENS0_10empty_typeEEEZZNS1_27merge_sort_block_merge_implIS3_NS6_6detail15normal_iteratorINS6_10device_ptrIS8_EEEEPS9_mNS6_4lessIS8_EEEE10hipError_tT0_T1_T2_jT3_P12ihipStream_tbPNSt15iterator_traitsISL_E10value_typeEPNSR_ISM_E10value_typeEPSN_NS1_7vsmem_tEENKUlT_SL_SM_SN_E_clISG_PS8_SH_SH_EESK_S10_SL_SM_SN_EUlS10_E1_NS1_11comp_targetILNS1_3genE2ELNS1_11target_archE906ELNS1_3gpuE6ELNS1_3repE0EEENS1_36merge_oddeven_config_static_selectorELNS0_4arch9wavefront6targetE0EEEvSM_
    .private_segment_fixed_size: 0
    .sgpr_count:     0
    .sgpr_spill_count: 0
    .symbol:         _ZN7rocprim17ROCPRIM_400000_NS6detail17trampoline_kernelINS0_14default_configENS1_38merge_sort_block_merge_config_selectorIN6thrust23THRUST_200600_302600_NS4pairIiiEENS0_10empty_typeEEEZZNS1_27merge_sort_block_merge_implIS3_NS6_6detail15normal_iteratorINS6_10device_ptrIS8_EEEEPS9_mNS6_4lessIS8_EEEE10hipError_tT0_T1_T2_jT3_P12ihipStream_tbPNSt15iterator_traitsISL_E10value_typeEPNSR_ISM_E10value_typeEPSN_NS1_7vsmem_tEENKUlT_SL_SM_SN_E_clISG_PS8_SH_SH_EESK_S10_SL_SM_SN_EUlS10_E1_NS1_11comp_targetILNS1_3genE2ELNS1_11target_archE906ELNS1_3gpuE6ELNS1_3repE0EEENS1_36merge_oddeven_config_static_selectorELNS0_4arch9wavefront6targetE0EEEvSM_.kd
    .uniform_work_group_size: 1
    .uses_dynamic_stack: false
    .vgpr_count:     0
    .vgpr_spill_count: 0
    .wavefront_size: 32
    .workgroup_processor_mode: 1
  - .args:
      - .offset:         0
        .size:           56
        .value_kind:     by_value
    .group_segment_fixed_size: 0
    .kernarg_segment_align: 8
    .kernarg_segment_size: 56
    .language:       OpenCL C
    .language_version:
      - 2
      - 0
    .max_flat_workgroup_size: 256
    .name:           _ZN7rocprim17ROCPRIM_400000_NS6detail17trampoline_kernelINS0_14default_configENS1_38merge_sort_block_merge_config_selectorIN6thrust23THRUST_200600_302600_NS4pairIiiEENS0_10empty_typeEEEZZNS1_27merge_sort_block_merge_implIS3_NS6_6detail15normal_iteratorINS6_10device_ptrIS8_EEEEPS9_mNS6_4lessIS8_EEEE10hipError_tT0_T1_T2_jT3_P12ihipStream_tbPNSt15iterator_traitsISL_E10value_typeEPNSR_ISM_E10value_typeEPSN_NS1_7vsmem_tEENKUlT_SL_SM_SN_E_clISG_PS8_SH_SH_EESK_S10_SL_SM_SN_EUlS10_E1_NS1_11comp_targetILNS1_3genE9ELNS1_11target_archE1100ELNS1_3gpuE3ELNS1_3repE0EEENS1_36merge_oddeven_config_static_selectorELNS0_4arch9wavefront6targetE0EEEvSM_
    .private_segment_fixed_size: 0
    .sgpr_count:     0
    .sgpr_spill_count: 0
    .symbol:         _ZN7rocprim17ROCPRIM_400000_NS6detail17trampoline_kernelINS0_14default_configENS1_38merge_sort_block_merge_config_selectorIN6thrust23THRUST_200600_302600_NS4pairIiiEENS0_10empty_typeEEEZZNS1_27merge_sort_block_merge_implIS3_NS6_6detail15normal_iteratorINS6_10device_ptrIS8_EEEEPS9_mNS6_4lessIS8_EEEE10hipError_tT0_T1_T2_jT3_P12ihipStream_tbPNSt15iterator_traitsISL_E10value_typeEPNSR_ISM_E10value_typeEPSN_NS1_7vsmem_tEENKUlT_SL_SM_SN_E_clISG_PS8_SH_SH_EESK_S10_SL_SM_SN_EUlS10_E1_NS1_11comp_targetILNS1_3genE9ELNS1_11target_archE1100ELNS1_3gpuE3ELNS1_3repE0EEENS1_36merge_oddeven_config_static_selectorELNS0_4arch9wavefront6targetE0EEEvSM_.kd
    .uniform_work_group_size: 1
    .uses_dynamic_stack: false
    .vgpr_count:     0
    .vgpr_spill_count: 0
    .wavefront_size: 32
    .workgroup_processor_mode: 1
  - .args:
      - .offset:         0
        .size:           56
        .value_kind:     by_value
    .group_segment_fixed_size: 0
    .kernarg_segment_align: 8
    .kernarg_segment_size: 56
    .language:       OpenCL C
    .language_version:
      - 2
      - 0
    .max_flat_workgroup_size: 256
    .name:           _ZN7rocprim17ROCPRIM_400000_NS6detail17trampoline_kernelINS0_14default_configENS1_38merge_sort_block_merge_config_selectorIN6thrust23THRUST_200600_302600_NS4pairIiiEENS0_10empty_typeEEEZZNS1_27merge_sort_block_merge_implIS3_NS6_6detail15normal_iteratorINS6_10device_ptrIS8_EEEEPS9_mNS6_4lessIS8_EEEE10hipError_tT0_T1_T2_jT3_P12ihipStream_tbPNSt15iterator_traitsISL_E10value_typeEPNSR_ISM_E10value_typeEPSN_NS1_7vsmem_tEENKUlT_SL_SM_SN_E_clISG_PS8_SH_SH_EESK_S10_SL_SM_SN_EUlS10_E1_NS1_11comp_targetILNS1_3genE8ELNS1_11target_archE1030ELNS1_3gpuE2ELNS1_3repE0EEENS1_36merge_oddeven_config_static_selectorELNS0_4arch9wavefront6targetE0EEEvSM_
    .private_segment_fixed_size: 0
    .sgpr_count:     18
    .sgpr_spill_count: 0
    .symbol:         _ZN7rocprim17ROCPRIM_400000_NS6detail17trampoline_kernelINS0_14default_configENS1_38merge_sort_block_merge_config_selectorIN6thrust23THRUST_200600_302600_NS4pairIiiEENS0_10empty_typeEEEZZNS1_27merge_sort_block_merge_implIS3_NS6_6detail15normal_iteratorINS6_10device_ptrIS8_EEEEPS9_mNS6_4lessIS8_EEEE10hipError_tT0_T1_T2_jT3_P12ihipStream_tbPNSt15iterator_traitsISL_E10value_typeEPNSR_ISM_E10value_typeEPSN_NS1_7vsmem_tEENKUlT_SL_SM_SN_E_clISG_PS8_SH_SH_EESK_S10_SL_SM_SN_EUlS10_E1_NS1_11comp_targetILNS1_3genE8ELNS1_11target_archE1030ELNS1_3gpuE2ELNS1_3repE0EEENS1_36merge_oddeven_config_static_selectorELNS0_4arch9wavefront6targetE0EEEvSM_.kd
    .uniform_work_group_size: 1
    .uses_dynamic_stack: false
    .vgpr_count:     9
    .vgpr_spill_count: 0
    .wavefront_size: 32
    .workgroup_processor_mode: 1
  - .args:
      - .offset:         0
        .size:           40
        .value_kind:     by_value
    .group_segment_fixed_size: 0
    .kernarg_segment_align: 8
    .kernarg_segment_size: 40
    .language:       OpenCL C
    .language_version:
      - 2
      - 0
    .max_flat_workgroup_size: 128
    .name:           _ZN7rocprim17ROCPRIM_400000_NS6detail17trampoline_kernelINS0_14default_configENS1_25transform_config_selectorIN6thrust23THRUST_200600_302600_NS4pairIiiEELb0EEEZNS1_14transform_implILb0ES3_S9_PS8_NS6_6detail15normal_iteratorINS6_10device_ptrIS8_EEEENS0_8identityIS8_EEEE10hipError_tT2_T3_mT4_P12ihipStream_tbEUlT_E_NS1_11comp_targetILNS1_3genE0ELNS1_11target_archE4294967295ELNS1_3gpuE0ELNS1_3repE0EEENS1_30default_config_static_selectorELNS0_4arch9wavefront6targetE0EEEvT1_
    .private_segment_fixed_size: 0
    .sgpr_count:     0
    .sgpr_spill_count: 0
    .symbol:         _ZN7rocprim17ROCPRIM_400000_NS6detail17trampoline_kernelINS0_14default_configENS1_25transform_config_selectorIN6thrust23THRUST_200600_302600_NS4pairIiiEELb0EEEZNS1_14transform_implILb0ES3_S9_PS8_NS6_6detail15normal_iteratorINS6_10device_ptrIS8_EEEENS0_8identityIS8_EEEE10hipError_tT2_T3_mT4_P12ihipStream_tbEUlT_E_NS1_11comp_targetILNS1_3genE0ELNS1_11target_archE4294967295ELNS1_3gpuE0ELNS1_3repE0EEENS1_30default_config_static_selectorELNS0_4arch9wavefront6targetE0EEEvT1_.kd
    .uniform_work_group_size: 1
    .uses_dynamic_stack: false
    .vgpr_count:     0
    .vgpr_spill_count: 0
    .wavefront_size: 32
    .workgroup_processor_mode: 1
  - .args:
      - .offset:         0
        .size:           40
        .value_kind:     by_value
    .group_segment_fixed_size: 0
    .kernarg_segment_align: 8
    .kernarg_segment_size: 40
    .language:       OpenCL C
    .language_version:
      - 2
      - 0
    .max_flat_workgroup_size: 512
    .name:           _ZN7rocprim17ROCPRIM_400000_NS6detail17trampoline_kernelINS0_14default_configENS1_25transform_config_selectorIN6thrust23THRUST_200600_302600_NS4pairIiiEELb0EEEZNS1_14transform_implILb0ES3_S9_PS8_NS6_6detail15normal_iteratorINS6_10device_ptrIS8_EEEENS0_8identityIS8_EEEE10hipError_tT2_T3_mT4_P12ihipStream_tbEUlT_E_NS1_11comp_targetILNS1_3genE5ELNS1_11target_archE942ELNS1_3gpuE9ELNS1_3repE0EEENS1_30default_config_static_selectorELNS0_4arch9wavefront6targetE0EEEvT1_
    .private_segment_fixed_size: 0
    .sgpr_count:     0
    .sgpr_spill_count: 0
    .symbol:         _ZN7rocprim17ROCPRIM_400000_NS6detail17trampoline_kernelINS0_14default_configENS1_25transform_config_selectorIN6thrust23THRUST_200600_302600_NS4pairIiiEELb0EEEZNS1_14transform_implILb0ES3_S9_PS8_NS6_6detail15normal_iteratorINS6_10device_ptrIS8_EEEENS0_8identityIS8_EEEE10hipError_tT2_T3_mT4_P12ihipStream_tbEUlT_E_NS1_11comp_targetILNS1_3genE5ELNS1_11target_archE942ELNS1_3gpuE9ELNS1_3repE0EEENS1_30default_config_static_selectorELNS0_4arch9wavefront6targetE0EEEvT1_.kd
    .uniform_work_group_size: 1
    .uses_dynamic_stack: false
    .vgpr_count:     0
    .vgpr_spill_count: 0
    .wavefront_size: 32
    .workgroup_processor_mode: 1
  - .args:
      - .offset:         0
        .size:           40
        .value_kind:     by_value
    .group_segment_fixed_size: 0
    .kernarg_segment_align: 8
    .kernarg_segment_size: 40
    .language:       OpenCL C
    .language_version:
      - 2
      - 0
    .max_flat_workgroup_size: 256
    .name:           _ZN7rocprim17ROCPRIM_400000_NS6detail17trampoline_kernelINS0_14default_configENS1_25transform_config_selectorIN6thrust23THRUST_200600_302600_NS4pairIiiEELb0EEEZNS1_14transform_implILb0ES3_S9_PS8_NS6_6detail15normal_iteratorINS6_10device_ptrIS8_EEEENS0_8identityIS8_EEEE10hipError_tT2_T3_mT4_P12ihipStream_tbEUlT_E_NS1_11comp_targetILNS1_3genE4ELNS1_11target_archE910ELNS1_3gpuE8ELNS1_3repE0EEENS1_30default_config_static_selectorELNS0_4arch9wavefront6targetE0EEEvT1_
    .private_segment_fixed_size: 0
    .sgpr_count:     0
    .sgpr_spill_count: 0
    .symbol:         _ZN7rocprim17ROCPRIM_400000_NS6detail17trampoline_kernelINS0_14default_configENS1_25transform_config_selectorIN6thrust23THRUST_200600_302600_NS4pairIiiEELb0EEEZNS1_14transform_implILb0ES3_S9_PS8_NS6_6detail15normal_iteratorINS6_10device_ptrIS8_EEEENS0_8identityIS8_EEEE10hipError_tT2_T3_mT4_P12ihipStream_tbEUlT_E_NS1_11comp_targetILNS1_3genE4ELNS1_11target_archE910ELNS1_3gpuE8ELNS1_3repE0EEENS1_30default_config_static_selectorELNS0_4arch9wavefront6targetE0EEEvT1_.kd
    .uniform_work_group_size: 1
    .uses_dynamic_stack: false
    .vgpr_count:     0
    .vgpr_spill_count: 0
    .wavefront_size: 32
    .workgroup_processor_mode: 1
  - .args:
      - .offset:         0
        .size:           40
        .value_kind:     by_value
    .group_segment_fixed_size: 0
    .kernarg_segment_align: 8
    .kernarg_segment_size: 40
    .language:       OpenCL C
    .language_version:
      - 2
      - 0
    .max_flat_workgroup_size: 128
    .name:           _ZN7rocprim17ROCPRIM_400000_NS6detail17trampoline_kernelINS0_14default_configENS1_25transform_config_selectorIN6thrust23THRUST_200600_302600_NS4pairIiiEELb0EEEZNS1_14transform_implILb0ES3_S9_PS8_NS6_6detail15normal_iteratorINS6_10device_ptrIS8_EEEENS0_8identityIS8_EEEE10hipError_tT2_T3_mT4_P12ihipStream_tbEUlT_E_NS1_11comp_targetILNS1_3genE3ELNS1_11target_archE908ELNS1_3gpuE7ELNS1_3repE0EEENS1_30default_config_static_selectorELNS0_4arch9wavefront6targetE0EEEvT1_
    .private_segment_fixed_size: 0
    .sgpr_count:     0
    .sgpr_spill_count: 0
    .symbol:         _ZN7rocprim17ROCPRIM_400000_NS6detail17trampoline_kernelINS0_14default_configENS1_25transform_config_selectorIN6thrust23THRUST_200600_302600_NS4pairIiiEELb0EEEZNS1_14transform_implILb0ES3_S9_PS8_NS6_6detail15normal_iteratorINS6_10device_ptrIS8_EEEENS0_8identityIS8_EEEE10hipError_tT2_T3_mT4_P12ihipStream_tbEUlT_E_NS1_11comp_targetILNS1_3genE3ELNS1_11target_archE908ELNS1_3gpuE7ELNS1_3repE0EEENS1_30default_config_static_selectorELNS0_4arch9wavefront6targetE0EEEvT1_.kd
    .uniform_work_group_size: 1
    .uses_dynamic_stack: false
    .vgpr_count:     0
    .vgpr_spill_count: 0
    .wavefront_size: 32
    .workgroup_processor_mode: 1
  - .args:
      - .offset:         0
        .size:           40
        .value_kind:     by_value
    .group_segment_fixed_size: 0
    .kernarg_segment_align: 8
    .kernarg_segment_size: 40
    .language:       OpenCL C
    .language_version:
      - 2
      - 0
    .max_flat_workgroup_size: 512
    .name:           _ZN7rocprim17ROCPRIM_400000_NS6detail17trampoline_kernelINS0_14default_configENS1_25transform_config_selectorIN6thrust23THRUST_200600_302600_NS4pairIiiEELb0EEEZNS1_14transform_implILb0ES3_S9_PS8_NS6_6detail15normal_iteratorINS6_10device_ptrIS8_EEEENS0_8identityIS8_EEEE10hipError_tT2_T3_mT4_P12ihipStream_tbEUlT_E_NS1_11comp_targetILNS1_3genE2ELNS1_11target_archE906ELNS1_3gpuE6ELNS1_3repE0EEENS1_30default_config_static_selectorELNS0_4arch9wavefront6targetE0EEEvT1_
    .private_segment_fixed_size: 0
    .sgpr_count:     0
    .sgpr_spill_count: 0
    .symbol:         _ZN7rocprim17ROCPRIM_400000_NS6detail17trampoline_kernelINS0_14default_configENS1_25transform_config_selectorIN6thrust23THRUST_200600_302600_NS4pairIiiEELb0EEEZNS1_14transform_implILb0ES3_S9_PS8_NS6_6detail15normal_iteratorINS6_10device_ptrIS8_EEEENS0_8identityIS8_EEEE10hipError_tT2_T3_mT4_P12ihipStream_tbEUlT_E_NS1_11comp_targetILNS1_3genE2ELNS1_11target_archE906ELNS1_3gpuE6ELNS1_3repE0EEENS1_30default_config_static_selectorELNS0_4arch9wavefront6targetE0EEEvT1_.kd
    .uniform_work_group_size: 1
    .uses_dynamic_stack: false
    .vgpr_count:     0
    .vgpr_spill_count: 0
    .wavefront_size: 32
    .workgroup_processor_mode: 1
  - .args:
      - .offset:         0
        .size:           40
        .value_kind:     by_value
    .group_segment_fixed_size: 0
    .kernarg_segment_align: 8
    .kernarg_segment_size: 40
    .language:       OpenCL C
    .language_version:
      - 2
      - 0
    .max_flat_workgroup_size: 1024
    .name:           _ZN7rocprim17ROCPRIM_400000_NS6detail17trampoline_kernelINS0_14default_configENS1_25transform_config_selectorIN6thrust23THRUST_200600_302600_NS4pairIiiEELb0EEEZNS1_14transform_implILb0ES3_S9_PS8_NS6_6detail15normal_iteratorINS6_10device_ptrIS8_EEEENS0_8identityIS8_EEEE10hipError_tT2_T3_mT4_P12ihipStream_tbEUlT_E_NS1_11comp_targetILNS1_3genE10ELNS1_11target_archE1201ELNS1_3gpuE5ELNS1_3repE0EEENS1_30default_config_static_selectorELNS0_4arch9wavefront6targetE0EEEvT1_
    .private_segment_fixed_size: 0
    .sgpr_count:     0
    .sgpr_spill_count: 0
    .symbol:         _ZN7rocprim17ROCPRIM_400000_NS6detail17trampoline_kernelINS0_14default_configENS1_25transform_config_selectorIN6thrust23THRUST_200600_302600_NS4pairIiiEELb0EEEZNS1_14transform_implILb0ES3_S9_PS8_NS6_6detail15normal_iteratorINS6_10device_ptrIS8_EEEENS0_8identityIS8_EEEE10hipError_tT2_T3_mT4_P12ihipStream_tbEUlT_E_NS1_11comp_targetILNS1_3genE10ELNS1_11target_archE1201ELNS1_3gpuE5ELNS1_3repE0EEENS1_30default_config_static_selectorELNS0_4arch9wavefront6targetE0EEEvT1_.kd
    .uniform_work_group_size: 1
    .uses_dynamic_stack: false
    .vgpr_count:     0
    .vgpr_spill_count: 0
    .wavefront_size: 32
    .workgroup_processor_mode: 1
  - .args:
      - .offset:         0
        .size:           40
        .value_kind:     by_value
    .group_segment_fixed_size: 0
    .kernarg_segment_align: 8
    .kernarg_segment_size: 40
    .language:       OpenCL C
    .language_version:
      - 2
      - 0
    .max_flat_workgroup_size: 512
    .name:           _ZN7rocprim17ROCPRIM_400000_NS6detail17trampoline_kernelINS0_14default_configENS1_25transform_config_selectorIN6thrust23THRUST_200600_302600_NS4pairIiiEELb0EEEZNS1_14transform_implILb0ES3_S9_PS8_NS6_6detail15normal_iteratorINS6_10device_ptrIS8_EEEENS0_8identityIS8_EEEE10hipError_tT2_T3_mT4_P12ihipStream_tbEUlT_E_NS1_11comp_targetILNS1_3genE10ELNS1_11target_archE1200ELNS1_3gpuE4ELNS1_3repE0EEENS1_30default_config_static_selectorELNS0_4arch9wavefront6targetE0EEEvT1_
    .private_segment_fixed_size: 0
    .sgpr_count:     0
    .sgpr_spill_count: 0
    .symbol:         _ZN7rocprim17ROCPRIM_400000_NS6detail17trampoline_kernelINS0_14default_configENS1_25transform_config_selectorIN6thrust23THRUST_200600_302600_NS4pairIiiEELb0EEEZNS1_14transform_implILb0ES3_S9_PS8_NS6_6detail15normal_iteratorINS6_10device_ptrIS8_EEEENS0_8identityIS8_EEEE10hipError_tT2_T3_mT4_P12ihipStream_tbEUlT_E_NS1_11comp_targetILNS1_3genE10ELNS1_11target_archE1200ELNS1_3gpuE4ELNS1_3repE0EEENS1_30default_config_static_selectorELNS0_4arch9wavefront6targetE0EEEvT1_.kd
    .uniform_work_group_size: 1
    .uses_dynamic_stack: false
    .vgpr_count:     0
    .vgpr_spill_count: 0
    .wavefront_size: 32
    .workgroup_processor_mode: 1
  - .args:
      - .offset:         0
        .size:           40
        .value_kind:     by_value
    .group_segment_fixed_size: 0
    .kernarg_segment_align: 8
    .kernarg_segment_size: 40
    .language:       OpenCL C
    .language_version:
      - 2
      - 0
    .max_flat_workgroup_size: 512
    .name:           _ZN7rocprim17ROCPRIM_400000_NS6detail17trampoline_kernelINS0_14default_configENS1_25transform_config_selectorIN6thrust23THRUST_200600_302600_NS4pairIiiEELb0EEEZNS1_14transform_implILb0ES3_S9_PS8_NS6_6detail15normal_iteratorINS6_10device_ptrIS8_EEEENS0_8identityIS8_EEEE10hipError_tT2_T3_mT4_P12ihipStream_tbEUlT_E_NS1_11comp_targetILNS1_3genE9ELNS1_11target_archE1100ELNS1_3gpuE3ELNS1_3repE0EEENS1_30default_config_static_selectorELNS0_4arch9wavefront6targetE0EEEvT1_
    .private_segment_fixed_size: 0
    .sgpr_count:     0
    .sgpr_spill_count: 0
    .symbol:         _ZN7rocprim17ROCPRIM_400000_NS6detail17trampoline_kernelINS0_14default_configENS1_25transform_config_selectorIN6thrust23THRUST_200600_302600_NS4pairIiiEELb0EEEZNS1_14transform_implILb0ES3_S9_PS8_NS6_6detail15normal_iteratorINS6_10device_ptrIS8_EEEENS0_8identityIS8_EEEE10hipError_tT2_T3_mT4_P12ihipStream_tbEUlT_E_NS1_11comp_targetILNS1_3genE9ELNS1_11target_archE1100ELNS1_3gpuE3ELNS1_3repE0EEENS1_30default_config_static_selectorELNS0_4arch9wavefront6targetE0EEEvT1_.kd
    .uniform_work_group_size: 1
    .uses_dynamic_stack: false
    .vgpr_count:     0
    .vgpr_spill_count: 0
    .wavefront_size: 32
    .workgroup_processor_mode: 1
  - .args:
      - .offset:         0
        .size:           40
        .value_kind:     by_value
      - .offset:         40
        .size:           4
        .value_kind:     hidden_block_count_x
      - .offset:         44
        .size:           4
        .value_kind:     hidden_block_count_y
      - .offset:         48
        .size:           4
        .value_kind:     hidden_block_count_z
      - .offset:         52
        .size:           2
        .value_kind:     hidden_group_size_x
      - .offset:         54
        .size:           2
        .value_kind:     hidden_group_size_y
      - .offset:         56
        .size:           2
        .value_kind:     hidden_group_size_z
      - .offset:         58
        .size:           2
        .value_kind:     hidden_remainder_x
      - .offset:         60
        .size:           2
        .value_kind:     hidden_remainder_y
      - .offset:         62
        .size:           2
        .value_kind:     hidden_remainder_z
      - .offset:         80
        .size:           8
        .value_kind:     hidden_global_offset_x
      - .offset:         88
        .size:           8
        .value_kind:     hidden_global_offset_y
      - .offset:         96
        .size:           8
        .value_kind:     hidden_global_offset_z
      - .offset:         104
        .size:           2
        .value_kind:     hidden_grid_dims
    .group_segment_fixed_size: 0
    .kernarg_segment_align: 8
    .kernarg_segment_size: 296
    .language:       OpenCL C
    .language_version:
      - 2
      - 0
    .max_flat_workgroup_size: 512
    .name:           _ZN7rocprim17ROCPRIM_400000_NS6detail17trampoline_kernelINS0_14default_configENS1_25transform_config_selectorIN6thrust23THRUST_200600_302600_NS4pairIiiEELb0EEEZNS1_14transform_implILb0ES3_S9_PS8_NS6_6detail15normal_iteratorINS6_10device_ptrIS8_EEEENS0_8identityIS8_EEEE10hipError_tT2_T3_mT4_P12ihipStream_tbEUlT_E_NS1_11comp_targetILNS1_3genE8ELNS1_11target_archE1030ELNS1_3gpuE2ELNS1_3repE0EEENS1_30default_config_static_selectorELNS0_4arch9wavefront6targetE0EEEvT1_
    .private_segment_fixed_size: 0
    .sgpr_count:     18
    .sgpr_spill_count: 0
    .symbol:         _ZN7rocprim17ROCPRIM_400000_NS6detail17trampoline_kernelINS0_14default_configENS1_25transform_config_selectorIN6thrust23THRUST_200600_302600_NS4pairIiiEELb0EEEZNS1_14transform_implILb0ES3_S9_PS8_NS6_6detail15normal_iteratorINS6_10device_ptrIS8_EEEENS0_8identityIS8_EEEE10hipError_tT2_T3_mT4_P12ihipStream_tbEUlT_E_NS1_11comp_targetILNS1_3genE8ELNS1_11target_archE1030ELNS1_3gpuE2ELNS1_3repE0EEENS1_30default_config_static_selectorELNS0_4arch9wavefront6targetE0EEEvT1_.kd
    .uniform_work_group_size: 1
    .uses_dynamic_stack: false
    .vgpr_count:     8
    .vgpr_spill_count: 0
    .wavefront_size: 32
    .workgroup_processor_mode: 1
  - .args:
      - .offset:         0
        .size:           48
        .value_kind:     by_value
    .group_segment_fixed_size: 0
    .kernarg_segment_align: 8
    .kernarg_segment_size: 48
    .language:       OpenCL C
    .language_version:
      - 2
      - 0
    .max_flat_workgroup_size: 256
    .name:           _ZN7rocprim17ROCPRIM_400000_NS6detail17trampoline_kernelINS0_13kernel_configILj256ELj4ELj4294967295EEENS1_37radix_sort_block_sort_config_selectorIiiEEZNS1_21radix_sort_block_sortIS4_Lb0EN6thrust23THRUST_200600_302600_NS6detail15normal_iteratorINS9_10device_ptrIiEEEESE_SE_SE_NS0_19identity_decomposerEEE10hipError_tT1_T2_T3_T4_jRjT5_jjP12ihipStream_tbEUlT_E_NS1_11comp_targetILNS1_3genE0ELNS1_11target_archE4294967295ELNS1_3gpuE0ELNS1_3repE0EEENS1_44radix_sort_block_sort_config_static_selectorELNS0_4arch9wavefront6targetE0EEEvSH_
    .private_segment_fixed_size: 0
    .sgpr_count:     0
    .sgpr_spill_count: 0
    .symbol:         _ZN7rocprim17ROCPRIM_400000_NS6detail17trampoline_kernelINS0_13kernel_configILj256ELj4ELj4294967295EEENS1_37radix_sort_block_sort_config_selectorIiiEEZNS1_21radix_sort_block_sortIS4_Lb0EN6thrust23THRUST_200600_302600_NS6detail15normal_iteratorINS9_10device_ptrIiEEEESE_SE_SE_NS0_19identity_decomposerEEE10hipError_tT1_T2_T3_T4_jRjT5_jjP12ihipStream_tbEUlT_E_NS1_11comp_targetILNS1_3genE0ELNS1_11target_archE4294967295ELNS1_3gpuE0ELNS1_3repE0EEENS1_44radix_sort_block_sort_config_static_selectorELNS0_4arch9wavefront6targetE0EEEvSH_.kd
    .uniform_work_group_size: 1
    .uses_dynamic_stack: false
    .vgpr_count:     0
    .vgpr_spill_count: 0
    .wavefront_size: 32
    .workgroup_processor_mode: 1
  - .args:
      - .offset:         0
        .size:           48
        .value_kind:     by_value
    .group_segment_fixed_size: 0
    .kernarg_segment_align: 8
    .kernarg_segment_size: 48
    .language:       OpenCL C
    .language_version:
      - 2
      - 0
    .max_flat_workgroup_size: 256
    .name:           _ZN7rocprim17ROCPRIM_400000_NS6detail17trampoline_kernelINS0_13kernel_configILj256ELj4ELj4294967295EEENS1_37radix_sort_block_sort_config_selectorIiiEEZNS1_21radix_sort_block_sortIS4_Lb0EN6thrust23THRUST_200600_302600_NS6detail15normal_iteratorINS9_10device_ptrIiEEEESE_SE_SE_NS0_19identity_decomposerEEE10hipError_tT1_T2_T3_T4_jRjT5_jjP12ihipStream_tbEUlT_E_NS1_11comp_targetILNS1_3genE5ELNS1_11target_archE942ELNS1_3gpuE9ELNS1_3repE0EEENS1_44radix_sort_block_sort_config_static_selectorELNS0_4arch9wavefront6targetE0EEEvSH_
    .private_segment_fixed_size: 0
    .sgpr_count:     0
    .sgpr_spill_count: 0
    .symbol:         _ZN7rocprim17ROCPRIM_400000_NS6detail17trampoline_kernelINS0_13kernel_configILj256ELj4ELj4294967295EEENS1_37radix_sort_block_sort_config_selectorIiiEEZNS1_21radix_sort_block_sortIS4_Lb0EN6thrust23THRUST_200600_302600_NS6detail15normal_iteratorINS9_10device_ptrIiEEEESE_SE_SE_NS0_19identity_decomposerEEE10hipError_tT1_T2_T3_T4_jRjT5_jjP12ihipStream_tbEUlT_E_NS1_11comp_targetILNS1_3genE5ELNS1_11target_archE942ELNS1_3gpuE9ELNS1_3repE0EEENS1_44radix_sort_block_sort_config_static_selectorELNS0_4arch9wavefront6targetE0EEEvSH_.kd
    .uniform_work_group_size: 1
    .uses_dynamic_stack: false
    .vgpr_count:     0
    .vgpr_spill_count: 0
    .wavefront_size: 32
    .workgroup_processor_mode: 1
  - .args:
      - .offset:         0
        .size:           48
        .value_kind:     by_value
    .group_segment_fixed_size: 0
    .kernarg_segment_align: 8
    .kernarg_segment_size: 48
    .language:       OpenCL C
    .language_version:
      - 2
      - 0
    .max_flat_workgroup_size: 256
    .name:           _ZN7rocprim17ROCPRIM_400000_NS6detail17trampoline_kernelINS0_13kernel_configILj256ELj4ELj4294967295EEENS1_37radix_sort_block_sort_config_selectorIiiEEZNS1_21radix_sort_block_sortIS4_Lb0EN6thrust23THRUST_200600_302600_NS6detail15normal_iteratorINS9_10device_ptrIiEEEESE_SE_SE_NS0_19identity_decomposerEEE10hipError_tT1_T2_T3_T4_jRjT5_jjP12ihipStream_tbEUlT_E_NS1_11comp_targetILNS1_3genE4ELNS1_11target_archE910ELNS1_3gpuE8ELNS1_3repE0EEENS1_44radix_sort_block_sort_config_static_selectorELNS0_4arch9wavefront6targetE0EEEvSH_
    .private_segment_fixed_size: 0
    .sgpr_count:     0
    .sgpr_spill_count: 0
    .symbol:         _ZN7rocprim17ROCPRIM_400000_NS6detail17trampoline_kernelINS0_13kernel_configILj256ELj4ELj4294967295EEENS1_37radix_sort_block_sort_config_selectorIiiEEZNS1_21radix_sort_block_sortIS4_Lb0EN6thrust23THRUST_200600_302600_NS6detail15normal_iteratorINS9_10device_ptrIiEEEESE_SE_SE_NS0_19identity_decomposerEEE10hipError_tT1_T2_T3_T4_jRjT5_jjP12ihipStream_tbEUlT_E_NS1_11comp_targetILNS1_3genE4ELNS1_11target_archE910ELNS1_3gpuE8ELNS1_3repE0EEENS1_44radix_sort_block_sort_config_static_selectorELNS0_4arch9wavefront6targetE0EEEvSH_.kd
    .uniform_work_group_size: 1
    .uses_dynamic_stack: false
    .vgpr_count:     0
    .vgpr_spill_count: 0
    .wavefront_size: 32
    .workgroup_processor_mode: 1
  - .args:
      - .offset:         0
        .size:           48
        .value_kind:     by_value
    .group_segment_fixed_size: 0
    .kernarg_segment_align: 8
    .kernarg_segment_size: 48
    .language:       OpenCL C
    .language_version:
      - 2
      - 0
    .max_flat_workgroup_size: 256
    .name:           _ZN7rocprim17ROCPRIM_400000_NS6detail17trampoline_kernelINS0_13kernel_configILj256ELj4ELj4294967295EEENS1_37radix_sort_block_sort_config_selectorIiiEEZNS1_21radix_sort_block_sortIS4_Lb0EN6thrust23THRUST_200600_302600_NS6detail15normal_iteratorINS9_10device_ptrIiEEEESE_SE_SE_NS0_19identity_decomposerEEE10hipError_tT1_T2_T3_T4_jRjT5_jjP12ihipStream_tbEUlT_E_NS1_11comp_targetILNS1_3genE3ELNS1_11target_archE908ELNS1_3gpuE7ELNS1_3repE0EEENS1_44radix_sort_block_sort_config_static_selectorELNS0_4arch9wavefront6targetE0EEEvSH_
    .private_segment_fixed_size: 0
    .sgpr_count:     0
    .sgpr_spill_count: 0
    .symbol:         _ZN7rocprim17ROCPRIM_400000_NS6detail17trampoline_kernelINS0_13kernel_configILj256ELj4ELj4294967295EEENS1_37radix_sort_block_sort_config_selectorIiiEEZNS1_21radix_sort_block_sortIS4_Lb0EN6thrust23THRUST_200600_302600_NS6detail15normal_iteratorINS9_10device_ptrIiEEEESE_SE_SE_NS0_19identity_decomposerEEE10hipError_tT1_T2_T3_T4_jRjT5_jjP12ihipStream_tbEUlT_E_NS1_11comp_targetILNS1_3genE3ELNS1_11target_archE908ELNS1_3gpuE7ELNS1_3repE0EEENS1_44radix_sort_block_sort_config_static_selectorELNS0_4arch9wavefront6targetE0EEEvSH_.kd
    .uniform_work_group_size: 1
    .uses_dynamic_stack: false
    .vgpr_count:     0
    .vgpr_spill_count: 0
    .wavefront_size: 32
    .workgroup_processor_mode: 1
  - .args:
      - .offset:         0
        .size:           48
        .value_kind:     by_value
    .group_segment_fixed_size: 0
    .kernarg_segment_align: 8
    .kernarg_segment_size: 48
    .language:       OpenCL C
    .language_version:
      - 2
      - 0
    .max_flat_workgroup_size: 256
    .name:           _ZN7rocprim17ROCPRIM_400000_NS6detail17trampoline_kernelINS0_13kernel_configILj256ELj4ELj4294967295EEENS1_37radix_sort_block_sort_config_selectorIiiEEZNS1_21radix_sort_block_sortIS4_Lb0EN6thrust23THRUST_200600_302600_NS6detail15normal_iteratorINS9_10device_ptrIiEEEESE_SE_SE_NS0_19identity_decomposerEEE10hipError_tT1_T2_T3_T4_jRjT5_jjP12ihipStream_tbEUlT_E_NS1_11comp_targetILNS1_3genE2ELNS1_11target_archE906ELNS1_3gpuE6ELNS1_3repE0EEENS1_44radix_sort_block_sort_config_static_selectorELNS0_4arch9wavefront6targetE0EEEvSH_
    .private_segment_fixed_size: 0
    .sgpr_count:     0
    .sgpr_spill_count: 0
    .symbol:         _ZN7rocprim17ROCPRIM_400000_NS6detail17trampoline_kernelINS0_13kernel_configILj256ELj4ELj4294967295EEENS1_37radix_sort_block_sort_config_selectorIiiEEZNS1_21radix_sort_block_sortIS4_Lb0EN6thrust23THRUST_200600_302600_NS6detail15normal_iteratorINS9_10device_ptrIiEEEESE_SE_SE_NS0_19identity_decomposerEEE10hipError_tT1_T2_T3_T4_jRjT5_jjP12ihipStream_tbEUlT_E_NS1_11comp_targetILNS1_3genE2ELNS1_11target_archE906ELNS1_3gpuE6ELNS1_3repE0EEENS1_44radix_sort_block_sort_config_static_selectorELNS0_4arch9wavefront6targetE0EEEvSH_.kd
    .uniform_work_group_size: 1
    .uses_dynamic_stack: false
    .vgpr_count:     0
    .vgpr_spill_count: 0
    .wavefront_size: 32
    .workgroup_processor_mode: 1
  - .args:
      - .offset:         0
        .size:           48
        .value_kind:     by_value
    .group_segment_fixed_size: 0
    .kernarg_segment_align: 8
    .kernarg_segment_size: 48
    .language:       OpenCL C
    .language_version:
      - 2
      - 0
    .max_flat_workgroup_size: 256
    .name:           _ZN7rocprim17ROCPRIM_400000_NS6detail17trampoline_kernelINS0_13kernel_configILj256ELj4ELj4294967295EEENS1_37radix_sort_block_sort_config_selectorIiiEEZNS1_21radix_sort_block_sortIS4_Lb0EN6thrust23THRUST_200600_302600_NS6detail15normal_iteratorINS9_10device_ptrIiEEEESE_SE_SE_NS0_19identity_decomposerEEE10hipError_tT1_T2_T3_T4_jRjT5_jjP12ihipStream_tbEUlT_E_NS1_11comp_targetILNS1_3genE10ELNS1_11target_archE1201ELNS1_3gpuE5ELNS1_3repE0EEENS1_44radix_sort_block_sort_config_static_selectorELNS0_4arch9wavefront6targetE0EEEvSH_
    .private_segment_fixed_size: 0
    .sgpr_count:     0
    .sgpr_spill_count: 0
    .symbol:         _ZN7rocprim17ROCPRIM_400000_NS6detail17trampoline_kernelINS0_13kernel_configILj256ELj4ELj4294967295EEENS1_37radix_sort_block_sort_config_selectorIiiEEZNS1_21radix_sort_block_sortIS4_Lb0EN6thrust23THRUST_200600_302600_NS6detail15normal_iteratorINS9_10device_ptrIiEEEESE_SE_SE_NS0_19identity_decomposerEEE10hipError_tT1_T2_T3_T4_jRjT5_jjP12ihipStream_tbEUlT_E_NS1_11comp_targetILNS1_3genE10ELNS1_11target_archE1201ELNS1_3gpuE5ELNS1_3repE0EEENS1_44radix_sort_block_sort_config_static_selectorELNS0_4arch9wavefront6targetE0EEEvSH_.kd
    .uniform_work_group_size: 1
    .uses_dynamic_stack: false
    .vgpr_count:     0
    .vgpr_spill_count: 0
    .wavefront_size: 32
    .workgroup_processor_mode: 1
  - .args:
      - .offset:         0
        .size:           48
        .value_kind:     by_value
    .group_segment_fixed_size: 0
    .kernarg_segment_align: 8
    .kernarg_segment_size: 48
    .language:       OpenCL C
    .language_version:
      - 2
      - 0
    .max_flat_workgroup_size: 256
    .name:           _ZN7rocprim17ROCPRIM_400000_NS6detail17trampoline_kernelINS0_13kernel_configILj256ELj4ELj4294967295EEENS1_37radix_sort_block_sort_config_selectorIiiEEZNS1_21radix_sort_block_sortIS4_Lb0EN6thrust23THRUST_200600_302600_NS6detail15normal_iteratorINS9_10device_ptrIiEEEESE_SE_SE_NS0_19identity_decomposerEEE10hipError_tT1_T2_T3_T4_jRjT5_jjP12ihipStream_tbEUlT_E_NS1_11comp_targetILNS1_3genE10ELNS1_11target_archE1200ELNS1_3gpuE4ELNS1_3repE0EEENS1_44radix_sort_block_sort_config_static_selectorELNS0_4arch9wavefront6targetE0EEEvSH_
    .private_segment_fixed_size: 0
    .sgpr_count:     0
    .sgpr_spill_count: 0
    .symbol:         _ZN7rocprim17ROCPRIM_400000_NS6detail17trampoline_kernelINS0_13kernel_configILj256ELj4ELj4294967295EEENS1_37radix_sort_block_sort_config_selectorIiiEEZNS1_21radix_sort_block_sortIS4_Lb0EN6thrust23THRUST_200600_302600_NS6detail15normal_iteratorINS9_10device_ptrIiEEEESE_SE_SE_NS0_19identity_decomposerEEE10hipError_tT1_T2_T3_T4_jRjT5_jjP12ihipStream_tbEUlT_E_NS1_11comp_targetILNS1_3genE10ELNS1_11target_archE1200ELNS1_3gpuE4ELNS1_3repE0EEENS1_44radix_sort_block_sort_config_static_selectorELNS0_4arch9wavefront6targetE0EEEvSH_.kd
    .uniform_work_group_size: 1
    .uses_dynamic_stack: false
    .vgpr_count:     0
    .vgpr_spill_count: 0
    .wavefront_size: 32
    .workgroup_processor_mode: 1
  - .args:
      - .offset:         0
        .size:           48
        .value_kind:     by_value
    .group_segment_fixed_size: 0
    .kernarg_segment_align: 8
    .kernarg_segment_size: 48
    .language:       OpenCL C
    .language_version:
      - 2
      - 0
    .max_flat_workgroup_size: 256
    .name:           _ZN7rocprim17ROCPRIM_400000_NS6detail17trampoline_kernelINS0_13kernel_configILj256ELj4ELj4294967295EEENS1_37radix_sort_block_sort_config_selectorIiiEEZNS1_21radix_sort_block_sortIS4_Lb0EN6thrust23THRUST_200600_302600_NS6detail15normal_iteratorINS9_10device_ptrIiEEEESE_SE_SE_NS0_19identity_decomposerEEE10hipError_tT1_T2_T3_T4_jRjT5_jjP12ihipStream_tbEUlT_E_NS1_11comp_targetILNS1_3genE9ELNS1_11target_archE1100ELNS1_3gpuE3ELNS1_3repE0EEENS1_44radix_sort_block_sort_config_static_selectorELNS0_4arch9wavefront6targetE0EEEvSH_
    .private_segment_fixed_size: 0
    .sgpr_count:     0
    .sgpr_spill_count: 0
    .symbol:         _ZN7rocprim17ROCPRIM_400000_NS6detail17trampoline_kernelINS0_13kernel_configILj256ELj4ELj4294967295EEENS1_37radix_sort_block_sort_config_selectorIiiEEZNS1_21radix_sort_block_sortIS4_Lb0EN6thrust23THRUST_200600_302600_NS6detail15normal_iteratorINS9_10device_ptrIiEEEESE_SE_SE_NS0_19identity_decomposerEEE10hipError_tT1_T2_T3_T4_jRjT5_jjP12ihipStream_tbEUlT_E_NS1_11comp_targetILNS1_3genE9ELNS1_11target_archE1100ELNS1_3gpuE3ELNS1_3repE0EEENS1_44radix_sort_block_sort_config_static_selectorELNS0_4arch9wavefront6targetE0EEEvSH_.kd
    .uniform_work_group_size: 1
    .uses_dynamic_stack: false
    .vgpr_count:     0
    .vgpr_spill_count: 0
    .wavefront_size: 32
    .workgroup_processor_mode: 1
  - .args:
      - .offset:         0
        .size:           48
        .value_kind:     by_value
      - .offset:         48
        .size:           4
        .value_kind:     hidden_block_count_x
      - .offset:         52
        .size:           4
        .value_kind:     hidden_block_count_y
      - .offset:         56
        .size:           4
        .value_kind:     hidden_block_count_z
      - .offset:         60
        .size:           2
        .value_kind:     hidden_group_size_x
      - .offset:         62
        .size:           2
        .value_kind:     hidden_group_size_y
      - .offset:         64
        .size:           2
        .value_kind:     hidden_group_size_z
      - .offset:         66
        .size:           2
        .value_kind:     hidden_remainder_x
      - .offset:         68
        .size:           2
        .value_kind:     hidden_remainder_y
      - .offset:         70
        .size:           2
        .value_kind:     hidden_remainder_z
      - .offset:         88
        .size:           8
        .value_kind:     hidden_global_offset_x
      - .offset:         96
        .size:           8
        .value_kind:     hidden_global_offset_y
      - .offset:         104
        .size:           8
        .value_kind:     hidden_global_offset_z
      - .offset:         112
        .size:           2
        .value_kind:     hidden_grid_dims
    .group_segment_fixed_size: 8224
    .kernarg_segment_align: 8
    .kernarg_segment_size: 304
    .language:       OpenCL C
    .language_version:
      - 2
      - 0
    .max_flat_workgroup_size: 256
    .name:           _ZN7rocprim17ROCPRIM_400000_NS6detail17trampoline_kernelINS0_13kernel_configILj256ELj4ELj4294967295EEENS1_37radix_sort_block_sort_config_selectorIiiEEZNS1_21radix_sort_block_sortIS4_Lb0EN6thrust23THRUST_200600_302600_NS6detail15normal_iteratorINS9_10device_ptrIiEEEESE_SE_SE_NS0_19identity_decomposerEEE10hipError_tT1_T2_T3_T4_jRjT5_jjP12ihipStream_tbEUlT_E_NS1_11comp_targetILNS1_3genE8ELNS1_11target_archE1030ELNS1_3gpuE2ELNS1_3repE0EEENS1_44radix_sort_block_sort_config_static_selectorELNS0_4arch9wavefront6targetE0EEEvSH_
    .private_segment_fixed_size: 0
    .sgpr_count:     32
    .sgpr_spill_count: 0
    .symbol:         _ZN7rocprim17ROCPRIM_400000_NS6detail17trampoline_kernelINS0_13kernel_configILj256ELj4ELj4294967295EEENS1_37radix_sort_block_sort_config_selectorIiiEEZNS1_21radix_sort_block_sortIS4_Lb0EN6thrust23THRUST_200600_302600_NS6detail15normal_iteratorINS9_10device_ptrIiEEEESE_SE_SE_NS0_19identity_decomposerEEE10hipError_tT1_T2_T3_T4_jRjT5_jjP12ihipStream_tbEUlT_E_NS1_11comp_targetILNS1_3genE8ELNS1_11target_archE1030ELNS1_3gpuE2ELNS1_3repE0EEENS1_44radix_sort_block_sort_config_static_selectorELNS0_4arch9wavefront6targetE0EEEvSH_.kd
    .uniform_work_group_size: 1
    .uses_dynamic_stack: false
    .vgpr_count:     42
    .vgpr_spill_count: 0
    .wavefront_size: 32
    .workgroup_processor_mode: 1
  - .args:           []
    .group_segment_fixed_size: 0
    .kernarg_segment_align: 4
    .kernarg_segment_size: 0
    .language:       OpenCL C
    .language_version:
      - 2
      - 0
    .max_flat_workgroup_size: 1024
    .name:           _ZN7rocprim17ROCPRIM_400000_NS6detail44device_merge_sort_compile_time_verifier_archINS1_11comp_targetILNS1_3genE0ELNS1_11target_archE4294967295ELNS1_3gpuE0ELNS1_3repE0EEES8_NS1_28merge_sort_block_sort_configILj256ELj4ELNS0_20block_sort_algorithmE0EEENS0_14default_configENS1_37merge_sort_block_sort_config_selectorIiiEENS1_38merge_sort_block_merge_config_selectorIiiEEEEvv
    .private_segment_fixed_size: 0
    .sgpr_count:     0
    .sgpr_spill_count: 0
    .symbol:         _ZN7rocprim17ROCPRIM_400000_NS6detail44device_merge_sort_compile_time_verifier_archINS1_11comp_targetILNS1_3genE0ELNS1_11target_archE4294967295ELNS1_3gpuE0ELNS1_3repE0EEES8_NS1_28merge_sort_block_sort_configILj256ELj4ELNS0_20block_sort_algorithmE0EEENS0_14default_configENS1_37merge_sort_block_sort_config_selectorIiiEENS1_38merge_sort_block_merge_config_selectorIiiEEEEvv.kd
    .uniform_work_group_size: 1
    .uses_dynamic_stack: false
    .vgpr_count:     0
    .vgpr_spill_count: 0
    .wavefront_size: 32
    .workgroup_processor_mode: 1
  - .args:           []
    .group_segment_fixed_size: 0
    .kernarg_segment_align: 4
    .kernarg_segment_size: 0
    .language:       OpenCL C
    .language_version:
      - 2
      - 0
    .max_flat_workgroup_size: 1024
    .name:           _ZN7rocprim17ROCPRIM_400000_NS6detail44device_merge_sort_compile_time_verifier_archINS1_11comp_targetILNS1_3genE5ELNS1_11target_archE942ELNS1_3gpuE9ELNS1_3repE0EEES8_NS1_28merge_sort_block_sort_configILj256ELj4ELNS0_20block_sort_algorithmE0EEENS0_14default_configENS1_37merge_sort_block_sort_config_selectorIiiEENS1_38merge_sort_block_merge_config_selectorIiiEEEEvv
    .private_segment_fixed_size: 0
    .sgpr_count:     0
    .sgpr_spill_count: 0
    .symbol:         _ZN7rocprim17ROCPRIM_400000_NS6detail44device_merge_sort_compile_time_verifier_archINS1_11comp_targetILNS1_3genE5ELNS1_11target_archE942ELNS1_3gpuE9ELNS1_3repE0EEES8_NS1_28merge_sort_block_sort_configILj256ELj4ELNS0_20block_sort_algorithmE0EEENS0_14default_configENS1_37merge_sort_block_sort_config_selectorIiiEENS1_38merge_sort_block_merge_config_selectorIiiEEEEvv.kd
    .uniform_work_group_size: 1
    .uses_dynamic_stack: false
    .vgpr_count:     0
    .vgpr_spill_count: 0
    .wavefront_size: 32
    .workgroup_processor_mode: 1
  - .args:           []
    .group_segment_fixed_size: 0
    .kernarg_segment_align: 4
    .kernarg_segment_size: 0
    .language:       OpenCL C
    .language_version:
      - 2
      - 0
    .max_flat_workgroup_size: 1024
    .name:           _ZN7rocprim17ROCPRIM_400000_NS6detail44device_merge_sort_compile_time_verifier_archINS1_11comp_targetILNS1_3genE4ELNS1_11target_archE910ELNS1_3gpuE8ELNS1_3repE0EEES8_NS1_28merge_sort_block_sort_configILj256ELj4ELNS0_20block_sort_algorithmE0EEENS0_14default_configENS1_37merge_sort_block_sort_config_selectorIiiEENS1_38merge_sort_block_merge_config_selectorIiiEEEEvv
    .private_segment_fixed_size: 0
    .sgpr_count:     0
    .sgpr_spill_count: 0
    .symbol:         _ZN7rocprim17ROCPRIM_400000_NS6detail44device_merge_sort_compile_time_verifier_archINS1_11comp_targetILNS1_3genE4ELNS1_11target_archE910ELNS1_3gpuE8ELNS1_3repE0EEES8_NS1_28merge_sort_block_sort_configILj256ELj4ELNS0_20block_sort_algorithmE0EEENS0_14default_configENS1_37merge_sort_block_sort_config_selectorIiiEENS1_38merge_sort_block_merge_config_selectorIiiEEEEvv.kd
    .uniform_work_group_size: 1
    .uses_dynamic_stack: false
    .vgpr_count:     0
    .vgpr_spill_count: 0
    .wavefront_size: 32
    .workgroup_processor_mode: 1
  - .args:           []
    .group_segment_fixed_size: 0
    .kernarg_segment_align: 4
    .kernarg_segment_size: 0
    .language:       OpenCL C
    .language_version:
      - 2
      - 0
    .max_flat_workgroup_size: 1024
    .name:           _ZN7rocprim17ROCPRIM_400000_NS6detail44device_merge_sort_compile_time_verifier_archINS1_11comp_targetILNS1_3genE3ELNS1_11target_archE908ELNS1_3gpuE7ELNS1_3repE0EEES8_NS1_28merge_sort_block_sort_configILj256ELj4ELNS0_20block_sort_algorithmE0EEENS0_14default_configENS1_37merge_sort_block_sort_config_selectorIiiEENS1_38merge_sort_block_merge_config_selectorIiiEEEEvv
    .private_segment_fixed_size: 0
    .sgpr_count:     0
    .sgpr_spill_count: 0
    .symbol:         _ZN7rocprim17ROCPRIM_400000_NS6detail44device_merge_sort_compile_time_verifier_archINS1_11comp_targetILNS1_3genE3ELNS1_11target_archE908ELNS1_3gpuE7ELNS1_3repE0EEES8_NS1_28merge_sort_block_sort_configILj256ELj4ELNS0_20block_sort_algorithmE0EEENS0_14default_configENS1_37merge_sort_block_sort_config_selectorIiiEENS1_38merge_sort_block_merge_config_selectorIiiEEEEvv.kd
    .uniform_work_group_size: 1
    .uses_dynamic_stack: false
    .vgpr_count:     0
    .vgpr_spill_count: 0
    .wavefront_size: 32
    .workgroup_processor_mode: 1
  - .args:           []
    .group_segment_fixed_size: 0
    .kernarg_segment_align: 4
    .kernarg_segment_size: 0
    .language:       OpenCL C
    .language_version:
      - 2
      - 0
    .max_flat_workgroup_size: 1024
    .name:           _ZN7rocprim17ROCPRIM_400000_NS6detail44device_merge_sort_compile_time_verifier_archINS1_11comp_targetILNS1_3genE2ELNS1_11target_archE906ELNS1_3gpuE6ELNS1_3repE0EEES8_NS1_28merge_sort_block_sort_configILj256ELj4ELNS0_20block_sort_algorithmE0EEENS0_14default_configENS1_37merge_sort_block_sort_config_selectorIiiEENS1_38merge_sort_block_merge_config_selectorIiiEEEEvv
    .private_segment_fixed_size: 0
    .sgpr_count:     0
    .sgpr_spill_count: 0
    .symbol:         _ZN7rocprim17ROCPRIM_400000_NS6detail44device_merge_sort_compile_time_verifier_archINS1_11comp_targetILNS1_3genE2ELNS1_11target_archE906ELNS1_3gpuE6ELNS1_3repE0EEES8_NS1_28merge_sort_block_sort_configILj256ELj4ELNS0_20block_sort_algorithmE0EEENS0_14default_configENS1_37merge_sort_block_sort_config_selectorIiiEENS1_38merge_sort_block_merge_config_selectorIiiEEEEvv.kd
    .uniform_work_group_size: 1
    .uses_dynamic_stack: false
    .vgpr_count:     0
    .vgpr_spill_count: 0
    .wavefront_size: 32
    .workgroup_processor_mode: 1
  - .args:           []
    .group_segment_fixed_size: 0
    .kernarg_segment_align: 4
    .kernarg_segment_size: 0
    .language:       OpenCL C
    .language_version:
      - 2
      - 0
    .max_flat_workgroup_size: 1024
    .name:           _ZN7rocprim17ROCPRIM_400000_NS6detail44device_merge_sort_compile_time_verifier_archINS1_11comp_targetILNS1_3genE10ELNS1_11target_archE1201ELNS1_3gpuE5ELNS1_3repE0EEES8_NS1_28merge_sort_block_sort_configILj256ELj4ELNS0_20block_sort_algorithmE0EEENS0_14default_configENS1_37merge_sort_block_sort_config_selectorIiiEENS1_38merge_sort_block_merge_config_selectorIiiEEEEvv
    .private_segment_fixed_size: 0
    .sgpr_count:     0
    .sgpr_spill_count: 0
    .symbol:         _ZN7rocprim17ROCPRIM_400000_NS6detail44device_merge_sort_compile_time_verifier_archINS1_11comp_targetILNS1_3genE10ELNS1_11target_archE1201ELNS1_3gpuE5ELNS1_3repE0EEES8_NS1_28merge_sort_block_sort_configILj256ELj4ELNS0_20block_sort_algorithmE0EEENS0_14default_configENS1_37merge_sort_block_sort_config_selectorIiiEENS1_38merge_sort_block_merge_config_selectorIiiEEEEvv.kd
    .uniform_work_group_size: 1
    .uses_dynamic_stack: false
    .vgpr_count:     0
    .vgpr_spill_count: 0
    .wavefront_size: 32
    .workgroup_processor_mode: 1
  - .args:           []
    .group_segment_fixed_size: 0
    .kernarg_segment_align: 4
    .kernarg_segment_size: 0
    .language:       OpenCL C
    .language_version:
      - 2
      - 0
    .max_flat_workgroup_size: 1024
    .name:           _ZN7rocprim17ROCPRIM_400000_NS6detail44device_merge_sort_compile_time_verifier_archINS1_11comp_targetILNS1_3genE10ELNS1_11target_archE1200ELNS1_3gpuE4ELNS1_3repE0EEENS3_ILS4_10ELS5_1201ELS6_5ELS7_0EEENS1_28merge_sort_block_sort_configILj256ELj4ELNS0_20block_sort_algorithmE0EEENS0_14default_configENS1_37merge_sort_block_sort_config_selectorIiiEENS1_38merge_sort_block_merge_config_selectorIiiEEEEvv
    .private_segment_fixed_size: 0
    .sgpr_count:     0
    .sgpr_spill_count: 0
    .symbol:         _ZN7rocprim17ROCPRIM_400000_NS6detail44device_merge_sort_compile_time_verifier_archINS1_11comp_targetILNS1_3genE10ELNS1_11target_archE1200ELNS1_3gpuE4ELNS1_3repE0EEENS3_ILS4_10ELS5_1201ELS6_5ELS7_0EEENS1_28merge_sort_block_sort_configILj256ELj4ELNS0_20block_sort_algorithmE0EEENS0_14default_configENS1_37merge_sort_block_sort_config_selectorIiiEENS1_38merge_sort_block_merge_config_selectorIiiEEEEvv.kd
    .uniform_work_group_size: 1
    .uses_dynamic_stack: false
    .vgpr_count:     0
    .vgpr_spill_count: 0
    .wavefront_size: 32
    .workgroup_processor_mode: 1
  - .args:           []
    .group_segment_fixed_size: 0
    .kernarg_segment_align: 4
    .kernarg_segment_size: 0
    .language:       OpenCL C
    .language_version:
      - 2
      - 0
    .max_flat_workgroup_size: 1024
    .name:           _ZN7rocprim17ROCPRIM_400000_NS6detail44device_merge_sort_compile_time_verifier_archINS1_11comp_targetILNS1_3genE9ELNS1_11target_archE1100ELNS1_3gpuE3ELNS1_3repE0EEES8_NS1_28merge_sort_block_sort_configILj256ELj4ELNS0_20block_sort_algorithmE0EEENS0_14default_configENS1_37merge_sort_block_sort_config_selectorIiiEENS1_38merge_sort_block_merge_config_selectorIiiEEEEvv
    .private_segment_fixed_size: 0
    .sgpr_count:     0
    .sgpr_spill_count: 0
    .symbol:         _ZN7rocprim17ROCPRIM_400000_NS6detail44device_merge_sort_compile_time_verifier_archINS1_11comp_targetILNS1_3genE9ELNS1_11target_archE1100ELNS1_3gpuE3ELNS1_3repE0EEES8_NS1_28merge_sort_block_sort_configILj256ELj4ELNS0_20block_sort_algorithmE0EEENS0_14default_configENS1_37merge_sort_block_sort_config_selectorIiiEENS1_38merge_sort_block_merge_config_selectorIiiEEEEvv.kd
    .uniform_work_group_size: 1
    .uses_dynamic_stack: false
    .vgpr_count:     0
    .vgpr_spill_count: 0
    .wavefront_size: 32
    .workgroup_processor_mode: 1
  - .args:           []
    .group_segment_fixed_size: 0
    .kernarg_segment_align: 4
    .kernarg_segment_size: 0
    .language:       OpenCL C
    .language_version:
      - 2
      - 0
    .max_flat_workgroup_size: 1024
    .name:           _ZN7rocprim17ROCPRIM_400000_NS6detail44device_merge_sort_compile_time_verifier_archINS1_11comp_targetILNS1_3genE8ELNS1_11target_archE1030ELNS1_3gpuE2ELNS1_3repE0EEES8_NS1_28merge_sort_block_sort_configILj256ELj4ELNS0_20block_sort_algorithmE0EEENS0_14default_configENS1_37merge_sort_block_sort_config_selectorIiiEENS1_38merge_sort_block_merge_config_selectorIiiEEEEvv
    .private_segment_fixed_size: 0
    .sgpr_count:     0
    .sgpr_spill_count: 0
    .symbol:         _ZN7rocprim17ROCPRIM_400000_NS6detail44device_merge_sort_compile_time_verifier_archINS1_11comp_targetILNS1_3genE8ELNS1_11target_archE1030ELNS1_3gpuE2ELNS1_3repE0EEES8_NS1_28merge_sort_block_sort_configILj256ELj4ELNS0_20block_sort_algorithmE0EEENS0_14default_configENS1_37merge_sort_block_sort_config_selectorIiiEENS1_38merge_sort_block_merge_config_selectorIiiEEEEvv.kd
    .uniform_work_group_size: 1
    .uses_dynamic_stack: false
    .vgpr_count:     0
    .vgpr_spill_count: 0
    .wavefront_size: 32
    .workgroup_processor_mode: 1
  - .args:
      - .offset:         0
        .size:           40
        .value_kind:     by_value
    .group_segment_fixed_size: 0
    .kernarg_segment_align: 8
    .kernarg_segment_size: 40
    .language:       OpenCL C
    .language_version:
      - 2
      - 0
    .max_flat_workgroup_size: 128
    .name:           _ZN7rocprim17ROCPRIM_400000_NS6detail17trampoline_kernelINS0_14default_configENS1_38merge_sort_block_merge_config_selectorIiiEEZZNS1_27merge_sort_block_merge_implIS3_N6thrust23THRUST_200600_302600_NS6detail15normal_iteratorINS8_10device_ptrIiEEEESD_jNS1_19radix_merge_compareILb0ELb0EiNS0_19identity_decomposerEEEEE10hipError_tT0_T1_T2_jT3_P12ihipStream_tbPNSt15iterator_traitsISI_E10value_typeEPNSO_ISJ_E10value_typeEPSK_NS1_7vsmem_tEENKUlT_SI_SJ_SK_E_clIPiSD_S10_SD_EESH_SX_SI_SJ_SK_EUlSX_E_NS1_11comp_targetILNS1_3genE0ELNS1_11target_archE4294967295ELNS1_3gpuE0ELNS1_3repE0EEENS1_48merge_mergepath_partition_config_static_selectorELNS0_4arch9wavefront6targetE0EEEvSJ_
    .private_segment_fixed_size: 0
    .sgpr_count:     0
    .sgpr_spill_count: 0
    .symbol:         _ZN7rocprim17ROCPRIM_400000_NS6detail17trampoline_kernelINS0_14default_configENS1_38merge_sort_block_merge_config_selectorIiiEEZZNS1_27merge_sort_block_merge_implIS3_N6thrust23THRUST_200600_302600_NS6detail15normal_iteratorINS8_10device_ptrIiEEEESD_jNS1_19radix_merge_compareILb0ELb0EiNS0_19identity_decomposerEEEEE10hipError_tT0_T1_T2_jT3_P12ihipStream_tbPNSt15iterator_traitsISI_E10value_typeEPNSO_ISJ_E10value_typeEPSK_NS1_7vsmem_tEENKUlT_SI_SJ_SK_E_clIPiSD_S10_SD_EESH_SX_SI_SJ_SK_EUlSX_E_NS1_11comp_targetILNS1_3genE0ELNS1_11target_archE4294967295ELNS1_3gpuE0ELNS1_3repE0EEENS1_48merge_mergepath_partition_config_static_selectorELNS0_4arch9wavefront6targetE0EEEvSJ_.kd
    .uniform_work_group_size: 1
    .uses_dynamic_stack: false
    .vgpr_count:     0
    .vgpr_spill_count: 0
    .wavefront_size: 32
    .workgroup_processor_mode: 1
  - .args:
      - .offset:         0
        .size:           40
        .value_kind:     by_value
    .group_segment_fixed_size: 0
    .kernarg_segment_align: 8
    .kernarg_segment_size: 40
    .language:       OpenCL C
    .language_version:
      - 2
      - 0
    .max_flat_workgroup_size: 128
    .name:           _ZN7rocprim17ROCPRIM_400000_NS6detail17trampoline_kernelINS0_14default_configENS1_38merge_sort_block_merge_config_selectorIiiEEZZNS1_27merge_sort_block_merge_implIS3_N6thrust23THRUST_200600_302600_NS6detail15normal_iteratorINS8_10device_ptrIiEEEESD_jNS1_19radix_merge_compareILb0ELb0EiNS0_19identity_decomposerEEEEE10hipError_tT0_T1_T2_jT3_P12ihipStream_tbPNSt15iterator_traitsISI_E10value_typeEPNSO_ISJ_E10value_typeEPSK_NS1_7vsmem_tEENKUlT_SI_SJ_SK_E_clIPiSD_S10_SD_EESH_SX_SI_SJ_SK_EUlSX_E_NS1_11comp_targetILNS1_3genE10ELNS1_11target_archE1201ELNS1_3gpuE5ELNS1_3repE0EEENS1_48merge_mergepath_partition_config_static_selectorELNS0_4arch9wavefront6targetE0EEEvSJ_
    .private_segment_fixed_size: 0
    .sgpr_count:     0
    .sgpr_spill_count: 0
    .symbol:         _ZN7rocprim17ROCPRIM_400000_NS6detail17trampoline_kernelINS0_14default_configENS1_38merge_sort_block_merge_config_selectorIiiEEZZNS1_27merge_sort_block_merge_implIS3_N6thrust23THRUST_200600_302600_NS6detail15normal_iteratorINS8_10device_ptrIiEEEESD_jNS1_19radix_merge_compareILb0ELb0EiNS0_19identity_decomposerEEEEE10hipError_tT0_T1_T2_jT3_P12ihipStream_tbPNSt15iterator_traitsISI_E10value_typeEPNSO_ISJ_E10value_typeEPSK_NS1_7vsmem_tEENKUlT_SI_SJ_SK_E_clIPiSD_S10_SD_EESH_SX_SI_SJ_SK_EUlSX_E_NS1_11comp_targetILNS1_3genE10ELNS1_11target_archE1201ELNS1_3gpuE5ELNS1_3repE0EEENS1_48merge_mergepath_partition_config_static_selectorELNS0_4arch9wavefront6targetE0EEEvSJ_.kd
    .uniform_work_group_size: 1
    .uses_dynamic_stack: false
    .vgpr_count:     0
    .vgpr_spill_count: 0
    .wavefront_size: 32
    .workgroup_processor_mode: 1
  - .args:
      - .offset:         0
        .size:           40
        .value_kind:     by_value
    .group_segment_fixed_size: 0
    .kernarg_segment_align: 8
    .kernarg_segment_size: 40
    .language:       OpenCL C
    .language_version:
      - 2
      - 0
    .max_flat_workgroup_size: 128
    .name:           _ZN7rocprim17ROCPRIM_400000_NS6detail17trampoline_kernelINS0_14default_configENS1_38merge_sort_block_merge_config_selectorIiiEEZZNS1_27merge_sort_block_merge_implIS3_N6thrust23THRUST_200600_302600_NS6detail15normal_iteratorINS8_10device_ptrIiEEEESD_jNS1_19radix_merge_compareILb0ELb0EiNS0_19identity_decomposerEEEEE10hipError_tT0_T1_T2_jT3_P12ihipStream_tbPNSt15iterator_traitsISI_E10value_typeEPNSO_ISJ_E10value_typeEPSK_NS1_7vsmem_tEENKUlT_SI_SJ_SK_E_clIPiSD_S10_SD_EESH_SX_SI_SJ_SK_EUlSX_E_NS1_11comp_targetILNS1_3genE5ELNS1_11target_archE942ELNS1_3gpuE9ELNS1_3repE0EEENS1_48merge_mergepath_partition_config_static_selectorELNS0_4arch9wavefront6targetE0EEEvSJ_
    .private_segment_fixed_size: 0
    .sgpr_count:     0
    .sgpr_spill_count: 0
    .symbol:         _ZN7rocprim17ROCPRIM_400000_NS6detail17trampoline_kernelINS0_14default_configENS1_38merge_sort_block_merge_config_selectorIiiEEZZNS1_27merge_sort_block_merge_implIS3_N6thrust23THRUST_200600_302600_NS6detail15normal_iteratorINS8_10device_ptrIiEEEESD_jNS1_19radix_merge_compareILb0ELb0EiNS0_19identity_decomposerEEEEE10hipError_tT0_T1_T2_jT3_P12ihipStream_tbPNSt15iterator_traitsISI_E10value_typeEPNSO_ISJ_E10value_typeEPSK_NS1_7vsmem_tEENKUlT_SI_SJ_SK_E_clIPiSD_S10_SD_EESH_SX_SI_SJ_SK_EUlSX_E_NS1_11comp_targetILNS1_3genE5ELNS1_11target_archE942ELNS1_3gpuE9ELNS1_3repE0EEENS1_48merge_mergepath_partition_config_static_selectorELNS0_4arch9wavefront6targetE0EEEvSJ_.kd
    .uniform_work_group_size: 1
    .uses_dynamic_stack: false
    .vgpr_count:     0
    .vgpr_spill_count: 0
    .wavefront_size: 32
    .workgroup_processor_mode: 1
  - .args:
      - .offset:         0
        .size:           40
        .value_kind:     by_value
    .group_segment_fixed_size: 0
    .kernarg_segment_align: 8
    .kernarg_segment_size: 40
    .language:       OpenCL C
    .language_version:
      - 2
      - 0
    .max_flat_workgroup_size: 128
    .name:           _ZN7rocprim17ROCPRIM_400000_NS6detail17trampoline_kernelINS0_14default_configENS1_38merge_sort_block_merge_config_selectorIiiEEZZNS1_27merge_sort_block_merge_implIS3_N6thrust23THRUST_200600_302600_NS6detail15normal_iteratorINS8_10device_ptrIiEEEESD_jNS1_19radix_merge_compareILb0ELb0EiNS0_19identity_decomposerEEEEE10hipError_tT0_T1_T2_jT3_P12ihipStream_tbPNSt15iterator_traitsISI_E10value_typeEPNSO_ISJ_E10value_typeEPSK_NS1_7vsmem_tEENKUlT_SI_SJ_SK_E_clIPiSD_S10_SD_EESH_SX_SI_SJ_SK_EUlSX_E_NS1_11comp_targetILNS1_3genE4ELNS1_11target_archE910ELNS1_3gpuE8ELNS1_3repE0EEENS1_48merge_mergepath_partition_config_static_selectorELNS0_4arch9wavefront6targetE0EEEvSJ_
    .private_segment_fixed_size: 0
    .sgpr_count:     0
    .sgpr_spill_count: 0
    .symbol:         _ZN7rocprim17ROCPRIM_400000_NS6detail17trampoline_kernelINS0_14default_configENS1_38merge_sort_block_merge_config_selectorIiiEEZZNS1_27merge_sort_block_merge_implIS3_N6thrust23THRUST_200600_302600_NS6detail15normal_iteratorINS8_10device_ptrIiEEEESD_jNS1_19radix_merge_compareILb0ELb0EiNS0_19identity_decomposerEEEEE10hipError_tT0_T1_T2_jT3_P12ihipStream_tbPNSt15iterator_traitsISI_E10value_typeEPNSO_ISJ_E10value_typeEPSK_NS1_7vsmem_tEENKUlT_SI_SJ_SK_E_clIPiSD_S10_SD_EESH_SX_SI_SJ_SK_EUlSX_E_NS1_11comp_targetILNS1_3genE4ELNS1_11target_archE910ELNS1_3gpuE8ELNS1_3repE0EEENS1_48merge_mergepath_partition_config_static_selectorELNS0_4arch9wavefront6targetE0EEEvSJ_.kd
    .uniform_work_group_size: 1
    .uses_dynamic_stack: false
    .vgpr_count:     0
    .vgpr_spill_count: 0
    .wavefront_size: 32
    .workgroup_processor_mode: 1
  - .args:
      - .offset:         0
        .size:           40
        .value_kind:     by_value
    .group_segment_fixed_size: 0
    .kernarg_segment_align: 8
    .kernarg_segment_size: 40
    .language:       OpenCL C
    .language_version:
      - 2
      - 0
    .max_flat_workgroup_size: 128
    .name:           _ZN7rocprim17ROCPRIM_400000_NS6detail17trampoline_kernelINS0_14default_configENS1_38merge_sort_block_merge_config_selectorIiiEEZZNS1_27merge_sort_block_merge_implIS3_N6thrust23THRUST_200600_302600_NS6detail15normal_iteratorINS8_10device_ptrIiEEEESD_jNS1_19radix_merge_compareILb0ELb0EiNS0_19identity_decomposerEEEEE10hipError_tT0_T1_T2_jT3_P12ihipStream_tbPNSt15iterator_traitsISI_E10value_typeEPNSO_ISJ_E10value_typeEPSK_NS1_7vsmem_tEENKUlT_SI_SJ_SK_E_clIPiSD_S10_SD_EESH_SX_SI_SJ_SK_EUlSX_E_NS1_11comp_targetILNS1_3genE3ELNS1_11target_archE908ELNS1_3gpuE7ELNS1_3repE0EEENS1_48merge_mergepath_partition_config_static_selectorELNS0_4arch9wavefront6targetE0EEEvSJ_
    .private_segment_fixed_size: 0
    .sgpr_count:     0
    .sgpr_spill_count: 0
    .symbol:         _ZN7rocprim17ROCPRIM_400000_NS6detail17trampoline_kernelINS0_14default_configENS1_38merge_sort_block_merge_config_selectorIiiEEZZNS1_27merge_sort_block_merge_implIS3_N6thrust23THRUST_200600_302600_NS6detail15normal_iteratorINS8_10device_ptrIiEEEESD_jNS1_19radix_merge_compareILb0ELb0EiNS0_19identity_decomposerEEEEE10hipError_tT0_T1_T2_jT3_P12ihipStream_tbPNSt15iterator_traitsISI_E10value_typeEPNSO_ISJ_E10value_typeEPSK_NS1_7vsmem_tEENKUlT_SI_SJ_SK_E_clIPiSD_S10_SD_EESH_SX_SI_SJ_SK_EUlSX_E_NS1_11comp_targetILNS1_3genE3ELNS1_11target_archE908ELNS1_3gpuE7ELNS1_3repE0EEENS1_48merge_mergepath_partition_config_static_selectorELNS0_4arch9wavefront6targetE0EEEvSJ_.kd
    .uniform_work_group_size: 1
    .uses_dynamic_stack: false
    .vgpr_count:     0
    .vgpr_spill_count: 0
    .wavefront_size: 32
    .workgroup_processor_mode: 1
  - .args:
      - .offset:         0
        .size:           40
        .value_kind:     by_value
    .group_segment_fixed_size: 0
    .kernarg_segment_align: 8
    .kernarg_segment_size: 40
    .language:       OpenCL C
    .language_version:
      - 2
      - 0
    .max_flat_workgroup_size: 128
    .name:           _ZN7rocprim17ROCPRIM_400000_NS6detail17trampoline_kernelINS0_14default_configENS1_38merge_sort_block_merge_config_selectorIiiEEZZNS1_27merge_sort_block_merge_implIS3_N6thrust23THRUST_200600_302600_NS6detail15normal_iteratorINS8_10device_ptrIiEEEESD_jNS1_19radix_merge_compareILb0ELb0EiNS0_19identity_decomposerEEEEE10hipError_tT0_T1_T2_jT3_P12ihipStream_tbPNSt15iterator_traitsISI_E10value_typeEPNSO_ISJ_E10value_typeEPSK_NS1_7vsmem_tEENKUlT_SI_SJ_SK_E_clIPiSD_S10_SD_EESH_SX_SI_SJ_SK_EUlSX_E_NS1_11comp_targetILNS1_3genE2ELNS1_11target_archE906ELNS1_3gpuE6ELNS1_3repE0EEENS1_48merge_mergepath_partition_config_static_selectorELNS0_4arch9wavefront6targetE0EEEvSJ_
    .private_segment_fixed_size: 0
    .sgpr_count:     0
    .sgpr_spill_count: 0
    .symbol:         _ZN7rocprim17ROCPRIM_400000_NS6detail17trampoline_kernelINS0_14default_configENS1_38merge_sort_block_merge_config_selectorIiiEEZZNS1_27merge_sort_block_merge_implIS3_N6thrust23THRUST_200600_302600_NS6detail15normal_iteratorINS8_10device_ptrIiEEEESD_jNS1_19radix_merge_compareILb0ELb0EiNS0_19identity_decomposerEEEEE10hipError_tT0_T1_T2_jT3_P12ihipStream_tbPNSt15iterator_traitsISI_E10value_typeEPNSO_ISJ_E10value_typeEPSK_NS1_7vsmem_tEENKUlT_SI_SJ_SK_E_clIPiSD_S10_SD_EESH_SX_SI_SJ_SK_EUlSX_E_NS1_11comp_targetILNS1_3genE2ELNS1_11target_archE906ELNS1_3gpuE6ELNS1_3repE0EEENS1_48merge_mergepath_partition_config_static_selectorELNS0_4arch9wavefront6targetE0EEEvSJ_.kd
    .uniform_work_group_size: 1
    .uses_dynamic_stack: false
    .vgpr_count:     0
    .vgpr_spill_count: 0
    .wavefront_size: 32
    .workgroup_processor_mode: 1
  - .args:
      - .offset:         0
        .size:           40
        .value_kind:     by_value
    .group_segment_fixed_size: 0
    .kernarg_segment_align: 8
    .kernarg_segment_size: 40
    .language:       OpenCL C
    .language_version:
      - 2
      - 0
    .max_flat_workgroup_size: 128
    .name:           _ZN7rocprim17ROCPRIM_400000_NS6detail17trampoline_kernelINS0_14default_configENS1_38merge_sort_block_merge_config_selectorIiiEEZZNS1_27merge_sort_block_merge_implIS3_N6thrust23THRUST_200600_302600_NS6detail15normal_iteratorINS8_10device_ptrIiEEEESD_jNS1_19radix_merge_compareILb0ELb0EiNS0_19identity_decomposerEEEEE10hipError_tT0_T1_T2_jT3_P12ihipStream_tbPNSt15iterator_traitsISI_E10value_typeEPNSO_ISJ_E10value_typeEPSK_NS1_7vsmem_tEENKUlT_SI_SJ_SK_E_clIPiSD_S10_SD_EESH_SX_SI_SJ_SK_EUlSX_E_NS1_11comp_targetILNS1_3genE9ELNS1_11target_archE1100ELNS1_3gpuE3ELNS1_3repE0EEENS1_48merge_mergepath_partition_config_static_selectorELNS0_4arch9wavefront6targetE0EEEvSJ_
    .private_segment_fixed_size: 0
    .sgpr_count:     0
    .sgpr_spill_count: 0
    .symbol:         _ZN7rocprim17ROCPRIM_400000_NS6detail17trampoline_kernelINS0_14default_configENS1_38merge_sort_block_merge_config_selectorIiiEEZZNS1_27merge_sort_block_merge_implIS3_N6thrust23THRUST_200600_302600_NS6detail15normal_iteratorINS8_10device_ptrIiEEEESD_jNS1_19radix_merge_compareILb0ELb0EiNS0_19identity_decomposerEEEEE10hipError_tT0_T1_T2_jT3_P12ihipStream_tbPNSt15iterator_traitsISI_E10value_typeEPNSO_ISJ_E10value_typeEPSK_NS1_7vsmem_tEENKUlT_SI_SJ_SK_E_clIPiSD_S10_SD_EESH_SX_SI_SJ_SK_EUlSX_E_NS1_11comp_targetILNS1_3genE9ELNS1_11target_archE1100ELNS1_3gpuE3ELNS1_3repE0EEENS1_48merge_mergepath_partition_config_static_selectorELNS0_4arch9wavefront6targetE0EEEvSJ_.kd
    .uniform_work_group_size: 1
    .uses_dynamic_stack: false
    .vgpr_count:     0
    .vgpr_spill_count: 0
    .wavefront_size: 32
    .workgroup_processor_mode: 1
  - .args:
      - .offset:         0
        .size:           40
        .value_kind:     by_value
    .group_segment_fixed_size: 0
    .kernarg_segment_align: 8
    .kernarg_segment_size: 40
    .language:       OpenCL C
    .language_version:
      - 2
      - 0
    .max_flat_workgroup_size: 128
    .name:           _ZN7rocprim17ROCPRIM_400000_NS6detail17trampoline_kernelINS0_14default_configENS1_38merge_sort_block_merge_config_selectorIiiEEZZNS1_27merge_sort_block_merge_implIS3_N6thrust23THRUST_200600_302600_NS6detail15normal_iteratorINS8_10device_ptrIiEEEESD_jNS1_19radix_merge_compareILb0ELb0EiNS0_19identity_decomposerEEEEE10hipError_tT0_T1_T2_jT3_P12ihipStream_tbPNSt15iterator_traitsISI_E10value_typeEPNSO_ISJ_E10value_typeEPSK_NS1_7vsmem_tEENKUlT_SI_SJ_SK_E_clIPiSD_S10_SD_EESH_SX_SI_SJ_SK_EUlSX_E_NS1_11comp_targetILNS1_3genE8ELNS1_11target_archE1030ELNS1_3gpuE2ELNS1_3repE0EEENS1_48merge_mergepath_partition_config_static_selectorELNS0_4arch9wavefront6targetE0EEEvSJ_
    .private_segment_fixed_size: 0
    .sgpr_count:     9
    .sgpr_spill_count: 0
    .symbol:         _ZN7rocprim17ROCPRIM_400000_NS6detail17trampoline_kernelINS0_14default_configENS1_38merge_sort_block_merge_config_selectorIiiEEZZNS1_27merge_sort_block_merge_implIS3_N6thrust23THRUST_200600_302600_NS6detail15normal_iteratorINS8_10device_ptrIiEEEESD_jNS1_19radix_merge_compareILb0ELb0EiNS0_19identity_decomposerEEEEE10hipError_tT0_T1_T2_jT3_P12ihipStream_tbPNSt15iterator_traitsISI_E10value_typeEPNSO_ISJ_E10value_typeEPSK_NS1_7vsmem_tEENKUlT_SI_SJ_SK_E_clIPiSD_S10_SD_EESH_SX_SI_SJ_SK_EUlSX_E_NS1_11comp_targetILNS1_3genE8ELNS1_11target_archE1030ELNS1_3gpuE2ELNS1_3repE0EEENS1_48merge_mergepath_partition_config_static_selectorELNS0_4arch9wavefront6targetE0EEEvSJ_.kd
    .uniform_work_group_size: 1
    .uses_dynamic_stack: false
    .vgpr_count:     15
    .vgpr_spill_count: 0
    .wavefront_size: 32
    .workgroup_processor_mode: 1
  - .args:
      - .offset:         0
        .size:           64
        .value_kind:     by_value
    .group_segment_fixed_size: 0
    .kernarg_segment_align: 8
    .kernarg_segment_size: 64
    .language:       OpenCL C
    .language_version:
      - 2
      - 0
    .max_flat_workgroup_size: 256
    .name:           _ZN7rocprim17ROCPRIM_400000_NS6detail17trampoline_kernelINS0_14default_configENS1_38merge_sort_block_merge_config_selectorIiiEEZZNS1_27merge_sort_block_merge_implIS3_N6thrust23THRUST_200600_302600_NS6detail15normal_iteratorINS8_10device_ptrIiEEEESD_jNS1_19radix_merge_compareILb0ELb0EiNS0_19identity_decomposerEEEEE10hipError_tT0_T1_T2_jT3_P12ihipStream_tbPNSt15iterator_traitsISI_E10value_typeEPNSO_ISJ_E10value_typeEPSK_NS1_7vsmem_tEENKUlT_SI_SJ_SK_E_clIPiSD_S10_SD_EESH_SX_SI_SJ_SK_EUlSX_E0_NS1_11comp_targetILNS1_3genE0ELNS1_11target_archE4294967295ELNS1_3gpuE0ELNS1_3repE0EEENS1_38merge_mergepath_config_static_selectorELNS0_4arch9wavefront6targetE0EEEvSJ_
    .private_segment_fixed_size: 0
    .sgpr_count:     0
    .sgpr_spill_count: 0
    .symbol:         _ZN7rocprim17ROCPRIM_400000_NS6detail17trampoline_kernelINS0_14default_configENS1_38merge_sort_block_merge_config_selectorIiiEEZZNS1_27merge_sort_block_merge_implIS3_N6thrust23THRUST_200600_302600_NS6detail15normal_iteratorINS8_10device_ptrIiEEEESD_jNS1_19radix_merge_compareILb0ELb0EiNS0_19identity_decomposerEEEEE10hipError_tT0_T1_T2_jT3_P12ihipStream_tbPNSt15iterator_traitsISI_E10value_typeEPNSO_ISJ_E10value_typeEPSK_NS1_7vsmem_tEENKUlT_SI_SJ_SK_E_clIPiSD_S10_SD_EESH_SX_SI_SJ_SK_EUlSX_E0_NS1_11comp_targetILNS1_3genE0ELNS1_11target_archE4294967295ELNS1_3gpuE0ELNS1_3repE0EEENS1_38merge_mergepath_config_static_selectorELNS0_4arch9wavefront6targetE0EEEvSJ_.kd
    .uniform_work_group_size: 1
    .uses_dynamic_stack: false
    .vgpr_count:     0
    .vgpr_spill_count: 0
    .wavefront_size: 32
    .workgroup_processor_mode: 1
  - .args:
      - .offset:         0
        .size:           64
        .value_kind:     by_value
    .group_segment_fixed_size: 0
    .kernarg_segment_align: 8
    .kernarg_segment_size: 64
    .language:       OpenCL C
    .language_version:
      - 2
      - 0
    .max_flat_workgroup_size: 256
    .name:           _ZN7rocprim17ROCPRIM_400000_NS6detail17trampoline_kernelINS0_14default_configENS1_38merge_sort_block_merge_config_selectorIiiEEZZNS1_27merge_sort_block_merge_implIS3_N6thrust23THRUST_200600_302600_NS6detail15normal_iteratorINS8_10device_ptrIiEEEESD_jNS1_19radix_merge_compareILb0ELb0EiNS0_19identity_decomposerEEEEE10hipError_tT0_T1_T2_jT3_P12ihipStream_tbPNSt15iterator_traitsISI_E10value_typeEPNSO_ISJ_E10value_typeEPSK_NS1_7vsmem_tEENKUlT_SI_SJ_SK_E_clIPiSD_S10_SD_EESH_SX_SI_SJ_SK_EUlSX_E0_NS1_11comp_targetILNS1_3genE10ELNS1_11target_archE1201ELNS1_3gpuE5ELNS1_3repE0EEENS1_38merge_mergepath_config_static_selectorELNS0_4arch9wavefront6targetE0EEEvSJ_
    .private_segment_fixed_size: 0
    .sgpr_count:     0
    .sgpr_spill_count: 0
    .symbol:         _ZN7rocprim17ROCPRIM_400000_NS6detail17trampoline_kernelINS0_14default_configENS1_38merge_sort_block_merge_config_selectorIiiEEZZNS1_27merge_sort_block_merge_implIS3_N6thrust23THRUST_200600_302600_NS6detail15normal_iteratorINS8_10device_ptrIiEEEESD_jNS1_19radix_merge_compareILb0ELb0EiNS0_19identity_decomposerEEEEE10hipError_tT0_T1_T2_jT3_P12ihipStream_tbPNSt15iterator_traitsISI_E10value_typeEPNSO_ISJ_E10value_typeEPSK_NS1_7vsmem_tEENKUlT_SI_SJ_SK_E_clIPiSD_S10_SD_EESH_SX_SI_SJ_SK_EUlSX_E0_NS1_11comp_targetILNS1_3genE10ELNS1_11target_archE1201ELNS1_3gpuE5ELNS1_3repE0EEENS1_38merge_mergepath_config_static_selectorELNS0_4arch9wavefront6targetE0EEEvSJ_.kd
    .uniform_work_group_size: 1
    .uses_dynamic_stack: false
    .vgpr_count:     0
    .vgpr_spill_count: 0
    .wavefront_size: 32
    .workgroup_processor_mode: 1
  - .args:
      - .offset:         0
        .size:           64
        .value_kind:     by_value
    .group_segment_fixed_size: 0
    .kernarg_segment_align: 8
    .kernarg_segment_size: 64
    .language:       OpenCL C
    .language_version:
      - 2
      - 0
    .max_flat_workgroup_size: 128
    .name:           _ZN7rocprim17ROCPRIM_400000_NS6detail17trampoline_kernelINS0_14default_configENS1_38merge_sort_block_merge_config_selectorIiiEEZZNS1_27merge_sort_block_merge_implIS3_N6thrust23THRUST_200600_302600_NS6detail15normal_iteratorINS8_10device_ptrIiEEEESD_jNS1_19radix_merge_compareILb0ELb0EiNS0_19identity_decomposerEEEEE10hipError_tT0_T1_T2_jT3_P12ihipStream_tbPNSt15iterator_traitsISI_E10value_typeEPNSO_ISJ_E10value_typeEPSK_NS1_7vsmem_tEENKUlT_SI_SJ_SK_E_clIPiSD_S10_SD_EESH_SX_SI_SJ_SK_EUlSX_E0_NS1_11comp_targetILNS1_3genE5ELNS1_11target_archE942ELNS1_3gpuE9ELNS1_3repE0EEENS1_38merge_mergepath_config_static_selectorELNS0_4arch9wavefront6targetE0EEEvSJ_
    .private_segment_fixed_size: 0
    .sgpr_count:     0
    .sgpr_spill_count: 0
    .symbol:         _ZN7rocprim17ROCPRIM_400000_NS6detail17trampoline_kernelINS0_14default_configENS1_38merge_sort_block_merge_config_selectorIiiEEZZNS1_27merge_sort_block_merge_implIS3_N6thrust23THRUST_200600_302600_NS6detail15normal_iteratorINS8_10device_ptrIiEEEESD_jNS1_19radix_merge_compareILb0ELb0EiNS0_19identity_decomposerEEEEE10hipError_tT0_T1_T2_jT3_P12ihipStream_tbPNSt15iterator_traitsISI_E10value_typeEPNSO_ISJ_E10value_typeEPSK_NS1_7vsmem_tEENKUlT_SI_SJ_SK_E_clIPiSD_S10_SD_EESH_SX_SI_SJ_SK_EUlSX_E0_NS1_11comp_targetILNS1_3genE5ELNS1_11target_archE942ELNS1_3gpuE9ELNS1_3repE0EEENS1_38merge_mergepath_config_static_selectorELNS0_4arch9wavefront6targetE0EEEvSJ_.kd
    .uniform_work_group_size: 1
    .uses_dynamic_stack: false
    .vgpr_count:     0
    .vgpr_spill_count: 0
    .wavefront_size: 32
    .workgroup_processor_mode: 1
  - .args:
      - .offset:         0
        .size:           64
        .value_kind:     by_value
    .group_segment_fixed_size: 0
    .kernarg_segment_align: 8
    .kernarg_segment_size: 64
    .language:       OpenCL C
    .language_version:
      - 2
      - 0
    .max_flat_workgroup_size: 256
    .name:           _ZN7rocprim17ROCPRIM_400000_NS6detail17trampoline_kernelINS0_14default_configENS1_38merge_sort_block_merge_config_selectorIiiEEZZNS1_27merge_sort_block_merge_implIS3_N6thrust23THRUST_200600_302600_NS6detail15normal_iteratorINS8_10device_ptrIiEEEESD_jNS1_19radix_merge_compareILb0ELb0EiNS0_19identity_decomposerEEEEE10hipError_tT0_T1_T2_jT3_P12ihipStream_tbPNSt15iterator_traitsISI_E10value_typeEPNSO_ISJ_E10value_typeEPSK_NS1_7vsmem_tEENKUlT_SI_SJ_SK_E_clIPiSD_S10_SD_EESH_SX_SI_SJ_SK_EUlSX_E0_NS1_11comp_targetILNS1_3genE4ELNS1_11target_archE910ELNS1_3gpuE8ELNS1_3repE0EEENS1_38merge_mergepath_config_static_selectorELNS0_4arch9wavefront6targetE0EEEvSJ_
    .private_segment_fixed_size: 0
    .sgpr_count:     0
    .sgpr_spill_count: 0
    .symbol:         _ZN7rocprim17ROCPRIM_400000_NS6detail17trampoline_kernelINS0_14default_configENS1_38merge_sort_block_merge_config_selectorIiiEEZZNS1_27merge_sort_block_merge_implIS3_N6thrust23THRUST_200600_302600_NS6detail15normal_iteratorINS8_10device_ptrIiEEEESD_jNS1_19radix_merge_compareILb0ELb0EiNS0_19identity_decomposerEEEEE10hipError_tT0_T1_T2_jT3_P12ihipStream_tbPNSt15iterator_traitsISI_E10value_typeEPNSO_ISJ_E10value_typeEPSK_NS1_7vsmem_tEENKUlT_SI_SJ_SK_E_clIPiSD_S10_SD_EESH_SX_SI_SJ_SK_EUlSX_E0_NS1_11comp_targetILNS1_3genE4ELNS1_11target_archE910ELNS1_3gpuE8ELNS1_3repE0EEENS1_38merge_mergepath_config_static_selectorELNS0_4arch9wavefront6targetE0EEEvSJ_.kd
    .uniform_work_group_size: 1
    .uses_dynamic_stack: false
    .vgpr_count:     0
    .vgpr_spill_count: 0
    .wavefront_size: 32
    .workgroup_processor_mode: 1
  - .args:
      - .offset:         0
        .size:           64
        .value_kind:     by_value
    .group_segment_fixed_size: 0
    .kernarg_segment_align: 8
    .kernarg_segment_size: 64
    .language:       OpenCL C
    .language_version:
      - 2
      - 0
    .max_flat_workgroup_size: 256
    .name:           _ZN7rocprim17ROCPRIM_400000_NS6detail17trampoline_kernelINS0_14default_configENS1_38merge_sort_block_merge_config_selectorIiiEEZZNS1_27merge_sort_block_merge_implIS3_N6thrust23THRUST_200600_302600_NS6detail15normal_iteratorINS8_10device_ptrIiEEEESD_jNS1_19radix_merge_compareILb0ELb0EiNS0_19identity_decomposerEEEEE10hipError_tT0_T1_T2_jT3_P12ihipStream_tbPNSt15iterator_traitsISI_E10value_typeEPNSO_ISJ_E10value_typeEPSK_NS1_7vsmem_tEENKUlT_SI_SJ_SK_E_clIPiSD_S10_SD_EESH_SX_SI_SJ_SK_EUlSX_E0_NS1_11comp_targetILNS1_3genE3ELNS1_11target_archE908ELNS1_3gpuE7ELNS1_3repE0EEENS1_38merge_mergepath_config_static_selectorELNS0_4arch9wavefront6targetE0EEEvSJ_
    .private_segment_fixed_size: 0
    .sgpr_count:     0
    .sgpr_spill_count: 0
    .symbol:         _ZN7rocprim17ROCPRIM_400000_NS6detail17trampoline_kernelINS0_14default_configENS1_38merge_sort_block_merge_config_selectorIiiEEZZNS1_27merge_sort_block_merge_implIS3_N6thrust23THRUST_200600_302600_NS6detail15normal_iteratorINS8_10device_ptrIiEEEESD_jNS1_19radix_merge_compareILb0ELb0EiNS0_19identity_decomposerEEEEE10hipError_tT0_T1_T2_jT3_P12ihipStream_tbPNSt15iterator_traitsISI_E10value_typeEPNSO_ISJ_E10value_typeEPSK_NS1_7vsmem_tEENKUlT_SI_SJ_SK_E_clIPiSD_S10_SD_EESH_SX_SI_SJ_SK_EUlSX_E0_NS1_11comp_targetILNS1_3genE3ELNS1_11target_archE908ELNS1_3gpuE7ELNS1_3repE0EEENS1_38merge_mergepath_config_static_selectorELNS0_4arch9wavefront6targetE0EEEvSJ_.kd
    .uniform_work_group_size: 1
    .uses_dynamic_stack: false
    .vgpr_count:     0
    .vgpr_spill_count: 0
    .wavefront_size: 32
    .workgroup_processor_mode: 1
  - .args:
      - .offset:         0
        .size:           64
        .value_kind:     by_value
    .group_segment_fixed_size: 0
    .kernarg_segment_align: 8
    .kernarg_segment_size: 64
    .language:       OpenCL C
    .language_version:
      - 2
      - 0
    .max_flat_workgroup_size: 256
    .name:           _ZN7rocprim17ROCPRIM_400000_NS6detail17trampoline_kernelINS0_14default_configENS1_38merge_sort_block_merge_config_selectorIiiEEZZNS1_27merge_sort_block_merge_implIS3_N6thrust23THRUST_200600_302600_NS6detail15normal_iteratorINS8_10device_ptrIiEEEESD_jNS1_19radix_merge_compareILb0ELb0EiNS0_19identity_decomposerEEEEE10hipError_tT0_T1_T2_jT3_P12ihipStream_tbPNSt15iterator_traitsISI_E10value_typeEPNSO_ISJ_E10value_typeEPSK_NS1_7vsmem_tEENKUlT_SI_SJ_SK_E_clIPiSD_S10_SD_EESH_SX_SI_SJ_SK_EUlSX_E0_NS1_11comp_targetILNS1_3genE2ELNS1_11target_archE906ELNS1_3gpuE6ELNS1_3repE0EEENS1_38merge_mergepath_config_static_selectorELNS0_4arch9wavefront6targetE0EEEvSJ_
    .private_segment_fixed_size: 0
    .sgpr_count:     0
    .sgpr_spill_count: 0
    .symbol:         _ZN7rocprim17ROCPRIM_400000_NS6detail17trampoline_kernelINS0_14default_configENS1_38merge_sort_block_merge_config_selectorIiiEEZZNS1_27merge_sort_block_merge_implIS3_N6thrust23THRUST_200600_302600_NS6detail15normal_iteratorINS8_10device_ptrIiEEEESD_jNS1_19radix_merge_compareILb0ELb0EiNS0_19identity_decomposerEEEEE10hipError_tT0_T1_T2_jT3_P12ihipStream_tbPNSt15iterator_traitsISI_E10value_typeEPNSO_ISJ_E10value_typeEPSK_NS1_7vsmem_tEENKUlT_SI_SJ_SK_E_clIPiSD_S10_SD_EESH_SX_SI_SJ_SK_EUlSX_E0_NS1_11comp_targetILNS1_3genE2ELNS1_11target_archE906ELNS1_3gpuE6ELNS1_3repE0EEENS1_38merge_mergepath_config_static_selectorELNS0_4arch9wavefront6targetE0EEEvSJ_.kd
    .uniform_work_group_size: 1
    .uses_dynamic_stack: false
    .vgpr_count:     0
    .vgpr_spill_count: 0
    .wavefront_size: 32
    .workgroup_processor_mode: 1
  - .args:
      - .offset:         0
        .size:           64
        .value_kind:     by_value
    .group_segment_fixed_size: 0
    .kernarg_segment_align: 8
    .kernarg_segment_size: 64
    .language:       OpenCL C
    .language_version:
      - 2
      - 0
    .max_flat_workgroup_size: 512
    .name:           _ZN7rocprim17ROCPRIM_400000_NS6detail17trampoline_kernelINS0_14default_configENS1_38merge_sort_block_merge_config_selectorIiiEEZZNS1_27merge_sort_block_merge_implIS3_N6thrust23THRUST_200600_302600_NS6detail15normal_iteratorINS8_10device_ptrIiEEEESD_jNS1_19radix_merge_compareILb0ELb0EiNS0_19identity_decomposerEEEEE10hipError_tT0_T1_T2_jT3_P12ihipStream_tbPNSt15iterator_traitsISI_E10value_typeEPNSO_ISJ_E10value_typeEPSK_NS1_7vsmem_tEENKUlT_SI_SJ_SK_E_clIPiSD_S10_SD_EESH_SX_SI_SJ_SK_EUlSX_E0_NS1_11comp_targetILNS1_3genE9ELNS1_11target_archE1100ELNS1_3gpuE3ELNS1_3repE0EEENS1_38merge_mergepath_config_static_selectorELNS0_4arch9wavefront6targetE0EEEvSJ_
    .private_segment_fixed_size: 0
    .sgpr_count:     0
    .sgpr_spill_count: 0
    .symbol:         _ZN7rocprim17ROCPRIM_400000_NS6detail17trampoline_kernelINS0_14default_configENS1_38merge_sort_block_merge_config_selectorIiiEEZZNS1_27merge_sort_block_merge_implIS3_N6thrust23THRUST_200600_302600_NS6detail15normal_iteratorINS8_10device_ptrIiEEEESD_jNS1_19radix_merge_compareILb0ELb0EiNS0_19identity_decomposerEEEEE10hipError_tT0_T1_T2_jT3_P12ihipStream_tbPNSt15iterator_traitsISI_E10value_typeEPNSO_ISJ_E10value_typeEPSK_NS1_7vsmem_tEENKUlT_SI_SJ_SK_E_clIPiSD_S10_SD_EESH_SX_SI_SJ_SK_EUlSX_E0_NS1_11comp_targetILNS1_3genE9ELNS1_11target_archE1100ELNS1_3gpuE3ELNS1_3repE0EEENS1_38merge_mergepath_config_static_selectorELNS0_4arch9wavefront6targetE0EEEvSJ_.kd
    .uniform_work_group_size: 1
    .uses_dynamic_stack: false
    .vgpr_count:     0
    .vgpr_spill_count: 0
    .wavefront_size: 32
    .workgroup_processor_mode: 1
  - .args:
      - .offset:         0
        .size:           64
        .value_kind:     by_value
      - .offset:         64
        .size:           4
        .value_kind:     hidden_block_count_x
      - .offset:         68
        .size:           4
        .value_kind:     hidden_block_count_y
      - .offset:         72
        .size:           4
        .value_kind:     hidden_block_count_z
      - .offset:         76
        .size:           2
        .value_kind:     hidden_group_size_x
      - .offset:         78
        .size:           2
        .value_kind:     hidden_group_size_y
      - .offset:         80
        .size:           2
        .value_kind:     hidden_group_size_z
      - .offset:         82
        .size:           2
        .value_kind:     hidden_remainder_x
      - .offset:         84
        .size:           2
        .value_kind:     hidden_remainder_y
      - .offset:         86
        .size:           2
        .value_kind:     hidden_remainder_z
      - .offset:         104
        .size:           8
        .value_kind:     hidden_global_offset_x
      - .offset:         112
        .size:           8
        .value_kind:     hidden_global_offset_y
      - .offset:         120
        .size:           8
        .value_kind:     hidden_global_offset_z
      - .offset:         128
        .size:           2
        .value_kind:     hidden_grid_dims
    .group_segment_fixed_size: 4112
    .kernarg_segment_align: 8
    .kernarg_segment_size: 320
    .language:       OpenCL C
    .language_version:
      - 2
      - 0
    .max_flat_workgroup_size: 1024
    .name:           _ZN7rocprim17ROCPRIM_400000_NS6detail17trampoline_kernelINS0_14default_configENS1_38merge_sort_block_merge_config_selectorIiiEEZZNS1_27merge_sort_block_merge_implIS3_N6thrust23THRUST_200600_302600_NS6detail15normal_iteratorINS8_10device_ptrIiEEEESD_jNS1_19radix_merge_compareILb0ELb0EiNS0_19identity_decomposerEEEEE10hipError_tT0_T1_T2_jT3_P12ihipStream_tbPNSt15iterator_traitsISI_E10value_typeEPNSO_ISJ_E10value_typeEPSK_NS1_7vsmem_tEENKUlT_SI_SJ_SK_E_clIPiSD_S10_SD_EESH_SX_SI_SJ_SK_EUlSX_E0_NS1_11comp_targetILNS1_3genE8ELNS1_11target_archE1030ELNS1_3gpuE2ELNS1_3repE0EEENS1_38merge_mergepath_config_static_selectorELNS0_4arch9wavefront6targetE0EEEvSJ_
    .private_segment_fixed_size: 0
    .sgpr_count:     24
    .sgpr_spill_count: 0
    .symbol:         _ZN7rocprim17ROCPRIM_400000_NS6detail17trampoline_kernelINS0_14default_configENS1_38merge_sort_block_merge_config_selectorIiiEEZZNS1_27merge_sort_block_merge_implIS3_N6thrust23THRUST_200600_302600_NS6detail15normal_iteratorINS8_10device_ptrIiEEEESD_jNS1_19radix_merge_compareILb0ELb0EiNS0_19identity_decomposerEEEEE10hipError_tT0_T1_T2_jT3_P12ihipStream_tbPNSt15iterator_traitsISI_E10value_typeEPNSO_ISJ_E10value_typeEPSK_NS1_7vsmem_tEENKUlT_SI_SJ_SK_E_clIPiSD_S10_SD_EESH_SX_SI_SJ_SK_EUlSX_E0_NS1_11comp_targetILNS1_3genE8ELNS1_11target_archE1030ELNS1_3gpuE2ELNS1_3repE0EEENS1_38merge_mergepath_config_static_selectorELNS0_4arch9wavefront6targetE0EEEvSJ_.kd
    .uniform_work_group_size: 1
    .uses_dynamic_stack: false
    .vgpr_count:     12
    .vgpr_spill_count: 0
    .wavefront_size: 32
    .workgroup_processor_mode: 1
  - .args:
      - .offset:         0
        .size:           48
        .value_kind:     by_value
    .group_segment_fixed_size: 0
    .kernarg_segment_align: 8
    .kernarg_segment_size: 48
    .language:       OpenCL C
    .language_version:
      - 2
      - 0
    .max_flat_workgroup_size: 256
    .name:           _ZN7rocprim17ROCPRIM_400000_NS6detail17trampoline_kernelINS0_14default_configENS1_38merge_sort_block_merge_config_selectorIiiEEZZNS1_27merge_sort_block_merge_implIS3_N6thrust23THRUST_200600_302600_NS6detail15normal_iteratorINS8_10device_ptrIiEEEESD_jNS1_19radix_merge_compareILb0ELb0EiNS0_19identity_decomposerEEEEE10hipError_tT0_T1_T2_jT3_P12ihipStream_tbPNSt15iterator_traitsISI_E10value_typeEPNSO_ISJ_E10value_typeEPSK_NS1_7vsmem_tEENKUlT_SI_SJ_SK_E_clIPiSD_S10_SD_EESH_SX_SI_SJ_SK_EUlSX_E1_NS1_11comp_targetILNS1_3genE0ELNS1_11target_archE4294967295ELNS1_3gpuE0ELNS1_3repE0EEENS1_36merge_oddeven_config_static_selectorELNS0_4arch9wavefront6targetE0EEEvSJ_
    .private_segment_fixed_size: 0
    .sgpr_count:     0
    .sgpr_spill_count: 0
    .symbol:         _ZN7rocprim17ROCPRIM_400000_NS6detail17trampoline_kernelINS0_14default_configENS1_38merge_sort_block_merge_config_selectorIiiEEZZNS1_27merge_sort_block_merge_implIS3_N6thrust23THRUST_200600_302600_NS6detail15normal_iteratorINS8_10device_ptrIiEEEESD_jNS1_19radix_merge_compareILb0ELb0EiNS0_19identity_decomposerEEEEE10hipError_tT0_T1_T2_jT3_P12ihipStream_tbPNSt15iterator_traitsISI_E10value_typeEPNSO_ISJ_E10value_typeEPSK_NS1_7vsmem_tEENKUlT_SI_SJ_SK_E_clIPiSD_S10_SD_EESH_SX_SI_SJ_SK_EUlSX_E1_NS1_11comp_targetILNS1_3genE0ELNS1_11target_archE4294967295ELNS1_3gpuE0ELNS1_3repE0EEENS1_36merge_oddeven_config_static_selectorELNS0_4arch9wavefront6targetE0EEEvSJ_.kd
    .uniform_work_group_size: 1
    .uses_dynamic_stack: false
    .vgpr_count:     0
    .vgpr_spill_count: 0
    .wavefront_size: 32
    .workgroup_processor_mode: 1
  - .args:
      - .offset:         0
        .size:           48
        .value_kind:     by_value
    .group_segment_fixed_size: 0
    .kernarg_segment_align: 8
    .kernarg_segment_size: 48
    .language:       OpenCL C
    .language_version:
      - 2
      - 0
    .max_flat_workgroup_size: 256
    .name:           _ZN7rocprim17ROCPRIM_400000_NS6detail17trampoline_kernelINS0_14default_configENS1_38merge_sort_block_merge_config_selectorIiiEEZZNS1_27merge_sort_block_merge_implIS3_N6thrust23THRUST_200600_302600_NS6detail15normal_iteratorINS8_10device_ptrIiEEEESD_jNS1_19radix_merge_compareILb0ELb0EiNS0_19identity_decomposerEEEEE10hipError_tT0_T1_T2_jT3_P12ihipStream_tbPNSt15iterator_traitsISI_E10value_typeEPNSO_ISJ_E10value_typeEPSK_NS1_7vsmem_tEENKUlT_SI_SJ_SK_E_clIPiSD_S10_SD_EESH_SX_SI_SJ_SK_EUlSX_E1_NS1_11comp_targetILNS1_3genE10ELNS1_11target_archE1201ELNS1_3gpuE5ELNS1_3repE0EEENS1_36merge_oddeven_config_static_selectorELNS0_4arch9wavefront6targetE0EEEvSJ_
    .private_segment_fixed_size: 0
    .sgpr_count:     0
    .sgpr_spill_count: 0
    .symbol:         _ZN7rocprim17ROCPRIM_400000_NS6detail17trampoline_kernelINS0_14default_configENS1_38merge_sort_block_merge_config_selectorIiiEEZZNS1_27merge_sort_block_merge_implIS3_N6thrust23THRUST_200600_302600_NS6detail15normal_iteratorINS8_10device_ptrIiEEEESD_jNS1_19radix_merge_compareILb0ELb0EiNS0_19identity_decomposerEEEEE10hipError_tT0_T1_T2_jT3_P12ihipStream_tbPNSt15iterator_traitsISI_E10value_typeEPNSO_ISJ_E10value_typeEPSK_NS1_7vsmem_tEENKUlT_SI_SJ_SK_E_clIPiSD_S10_SD_EESH_SX_SI_SJ_SK_EUlSX_E1_NS1_11comp_targetILNS1_3genE10ELNS1_11target_archE1201ELNS1_3gpuE5ELNS1_3repE0EEENS1_36merge_oddeven_config_static_selectorELNS0_4arch9wavefront6targetE0EEEvSJ_.kd
    .uniform_work_group_size: 1
    .uses_dynamic_stack: false
    .vgpr_count:     0
    .vgpr_spill_count: 0
    .wavefront_size: 32
    .workgroup_processor_mode: 1
  - .args:
      - .offset:         0
        .size:           48
        .value_kind:     by_value
    .group_segment_fixed_size: 0
    .kernarg_segment_align: 8
    .kernarg_segment_size: 48
    .language:       OpenCL C
    .language_version:
      - 2
      - 0
    .max_flat_workgroup_size: 256
    .name:           _ZN7rocprim17ROCPRIM_400000_NS6detail17trampoline_kernelINS0_14default_configENS1_38merge_sort_block_merge_config_selectorIiiEEZZNS1_27merge_sort_block_merge_implIS3_N6thrust23THRUST_200600_302600_NS6detail15normal_iteratorINS8_10device_ptrIiEEEESD_jNS1_19radix_merge_compareILb0ELb0EiNS0_19identity_decomposerEEEEE10hipError_tT0_T1_T2_jT3_P12ihipStream_tbPNSt15iterator_traitsISI_E10value_typeEPNSO_ISJ_E10value_typeEPSK_NS1_7vsmem_tEENKUlT_SI_SJ_SK_E_clIPiSD_S10_SD_EESH_SX_SI_SJ_SK_EUlSX_E1_NS1_11comp_targetILNS1_3genE5ELNS1_11target_archE942ELNS1_3gpuE9ELNS1_3repE0EEENS1_36merge_oddeven_config_static_selectorELNS0_4arch9wavefront6targetE0EEEvSJ_
    .private_segment_fixed_size: 0
    .sgpr_count:     0
    .sgpr_spill_count: 0
    .symbol:         _ZN7rocprim17ROCPRIM_400000_NS6detail17trampoline_kernelINS0_14default_configENS1_38merge_sort_block_merge_config_selectorIiiEEZZNS1_27merge_sort_block_merge_implIS3_N6thrust23THRUST_200600_302600_NS6detail15normal_iteratorINS8_10device_ptrIiEEEESD_jNS1_19radix_merge_compareILb0ELb0EiNS0_19identity_decomposerEEEEE10hipError_tT0_T1_T2_jT3_P12ihipStream_tbPNSt15iterator_traitsISI_E10value_typeEPNSO_ISJ_E10value_typeEPSK_NS1_7vsmem_tEENKUlT_SI_SJ_SK_E_clIPiSD_S10_SD_EESH_SX_SI_SJ_SK_EUlSX_E1_NS1_11comp_targetILNS1_3genE5ELNS1_11target_archE942ELNS1_3gpuE9ELNS1_3repE0EEENS1_36merge_oddeven_config_static_selectorELNS0_4arch9wavefront6targetE0EEEvSJ_.kd
    .uniform_work_group_size: 1
    .uses_dynamic_stack: false
    .vgpr_count:     0
    .vgpr_spill_count: 0
    .wavefront_size: 32
    .workgroup_processor_mode: 1
  - .args:
      - .offset:         0
        .size:           48
        .value_kind:     by_value
    .group_segment_fixed_size: 0
    .kernarg_segment_align: 8
    .kernarg_segment_size: 48
    .language:       OpenCL C
    .language_version:
      - 2
      - 0
    .max_flat_workgroup_size: 256
    .name:           _ZN7rocprim17ROCPRIM_400000_NS6detail17trampoline_kernelINS0_14default_configENS1_38merge_sort_block_merge_config_selectorIiiEEZZNS1_27merge_sort_block_merge_implIS3_N6thrust23THRUST_200600_302600_NS6detail15normal_iteratorINS8_10device_ptrIiEEEESD_jNS1_19radix_merge_compareILb0ELb0EiNS0_19identity_decomposerEEEEE10hipError_tT0_T1_T2_jT3_P12ihipStream_tbPNSt15iterator_traitsISI_E10value_typeEPNSO_ISJ_E10value_typeEPSK_NS1_7vsmem_tEENKUlT_SI_SJ_SK_E_clIPiSD_S10_SD_EESH_SX_SI_SJ_SK_EUlSX_E1_NS1_11comp_targetILNS1_3genE4ELNS1_11target_archE910ELNS1_3gpuE8ELNS1_3repE0EEENS1_36merge_oddeven_config_static_selectorELNS0_4arch9wavefront6targetE0EEEvSJ_
    .private_segment_fixed_size: 0
    .sgpr_count:     0
    .sgpr_spill_count: 0
    .symbol:         _ZN7rocprim17ROCPRIM_400000_NS6detail17trampoline_kernelINS0_14default_configENS1_38merge_sort_block_merge_config_selectorIiiEEZZNS1_27merge_sort_block_merge_implIS3_N6thrust23THRUST_200600_302600_NS6detail15normal_iteratorINS8_10device_ptrIiEEEESD_jNS1_19radix_merge_compareILb0ELb0EiNS0_19identity_decomposerEEEEE10hipError_tT0_T1_T2_jT3_P12ihipStream_tbPNSt15iterator_traitsISI_E10value_typeEPNSO_ISJ_E10value_typeEPSK_NS1_7vsmem_tEENKUlT_SI_SJ_SK_E_clIPiSD_S10_SD_EESH_SX_SI_SJ_SK_EUlSX_E1_NS1_11comp_targetILNS1_3genE4ELNS1_11target_archE910ELNS1_3gpuE8ELNS1_3repE0EEENS1_36merge_oddeven_config_static_selectorELNS0_4arch9wavefront6targetE0EEEvSJ_.kd
    .uniform_work_group_size: 1
    .uses_dynamic_stack: false
    .vgpr_count:     0
    .vgpr_spill_count: 0
    .wavefront_size: 32
    .workgroup_processor_mode: 1
  - .args:
      - .offset:         0
        .size:           48
        .value_kind:     by_value
    .group_segment_fixed_size: 0
    .kernarg_segment_align: 8
    .kernarg_segment_size: 48
    .language:       OpenCL C
    .language_version:
      - 2
      - 0
    .max_flat_workgroup_size: 256
    .name:           _ZN7rocprim17ROCPRIM_400000_NS6detail17trampoline_kernelINS0_14default_configENS1_38merge_sort_block_merge_config_selectorIiiEEZZNS1_27merge_sort_block_merge_implIS3_N6thrust23THRUST_200600_302600_NS6detail15normal_iteratorINS8_10device_ptrIiEEEESD_jNS1_19radix_merge_compareILb0ELb0EiNS0_19identity_decomposerEEEEE10hipError_tT0_T1_T2_jT3_P12ihipStream_tbPNSt15iterator_traitsISI_E10value_typeEPNSO_ISJ_E10value_typeEPSK_NS1_7vsmem_tEENKUlT_SI_SJ_SK_E_clIPiSD_S10_SD_EESH_SX_SI_SJ_SK_EUlSX_E1_NS1_11comp_targetILNS1_3genE3ELNS1_11target_archE908ELNS1_3gpuE7ELNS1_3repE0EEENS1_36merge_oddeven_config_static_selectorELNS0_4arch9wavefront6targetE0EEEvSJ_
    .private_segment_fixed_size: 0
    .sgpr_count:     0
    .sgpr_spill_count: 0
    .symbol:         _ZN7rocprim17ROCPRIM_400000_NS6detail17trampoline_kernelINS0_14default_configENS1_38merge_sort_block_merge_config_selectorIiiEEZZNS1_27merge_sort_block_merge_implIS3_N6thrust23THRUST_200600_302600_NS6detail15normal_iteratorINS8_10device_ptrIiEEEESD_jNS1_19radix_merge_compareILb0ELb0EiNS0_19identity_decomposerEEEEE10hipError_tT0_T1_T2_jT3_P12ihipStream_tbPNSt15iterator_traitsISI_E10value_typeEPNSO_ISJ_E10value_typeEPSK_NS1_7vsmem_tEENKUlT_SI_SJ_SK_E_clIPiSD_S10_SD_EESH_SX_SI_SJ_SK_EUlSX_E1_NS1_11comp_targetILNS1_3genE3ELNS1_11target_archE908ELNS1_3gpuE7ELNS1_3repE0EEENS1_36merge_oddeven_config_static_selectorELNS0_4arch9wavefront6targetE0EEEvSJ_.kd
    .uniform_work_group_size: 1
    .uses_dynamic_stack: false
    .vgpr_count:     0
    .vgpr_spill_count: 0
    .wavefront_size: 32
    .workgroup_processor_mode: 1
  - .args:
      - .offset:         0
        .size:           48
        .value_kind:     by_value
    .group_segment_fixed_size: 0
    .kernarg_segment_align: 8
    .kernarg_segment_size: 48
    .language:       OpenCL C
    .language_version:
      - 2
      - 0
    .max_flat_workgroup_size: 256
    .name:           _ZN7rocprim17ROCPRIM_400000_NS6detail17trampoline_kernelINS0_14default_configENS1_38merge_sort_block_merge_config_selectorIiiEEZZNS1_27merge_sort_block_merge_implIS3_N6thrust23THRUST_200600_302600_NS6detail15normal_iteratorINS8_10device_ptrIiEEEESD_jNS1_19radix_merge_compareILb0ELb0EiNS0_19identity_decomposerEEEEE10hipError_tT0_T1_T2_jT3_P12ihipStream_tbPNSt15iterator_traitsISI_E10value_typeEPNSO_ISJ_E10value_typeEPSK_NS1_7vsmem_tEENKUlT_SI_SJ_SK_E_clIPiSD_S10_SD_EESH_SX_SI_SJ_SK_EUlSX_E1_NS1_11comp_targetILNS1_3genE2ELNS1_11target_archE906ELNS1_3gpuE6ELNS1_3repE0EEENS1_36merge_oddeven_config_static_selectorELNS0_4arch9wavefront6targetE0EEEvSJ_
    .private_segment_fixed_size: 0
    .sgpr_count:     0
    .sgpr_spill_count: 0
    .symbol:         _ZN7rocprim17ROCPRIM_400000_NS6detail17trampoline_kernelINS0_14default_configENS1_38merge_sort_block_merge_config_selectorIiiEEZZNS1_27merge_sort_block_merge_implIS3_N6thrust23THRUST_200600_302600_NS6detail15normal_iteratorINS8_10device_ptrIiEEEESD_jNS1_19radix_merge_compareILb0ELb0EiNS0_19identity_decomposerEEEEE10hipError_tT0_T1_T2_jT3_P12ihipStream_tbPNSt15iterator_traitsISI_E10value_typeEPNSO_ISJ_E10value_typeEPSK_NS1_7vsmem_tEENKUlT_SI_SJ_SK_E_clIPiSD_S10_SD_EESH_SX_SI_SJ_SK_EUlSX_E1_NS1_11comp_targetILNS1_3genE2ELNS1_11target_archE906ELNS1_3gpuE6ELNS1_3repE0EEENS1_36merge_oddeven_config_static_selectorELNS0_4arch9wavefront6targetE0EEEvSJ_.kd
    .uniform_work_group_size: 1
    .uses_dynamic_stack: false
    .vgpr_count:     0
    .vgpr_spill_count: 0
    .wavefront_size: 32
    .workgroup_processor_mode: 1
  - .args:
      - .offset:         0
        .size:           48
        .value_kind:     by_value
    .group_segment_fixed_size: 0
    .kernarg_segment_align: 8
    .kernarg_segment_size: 48
    .language:       OpenCL C
    .language_version:
      - 2
      - 0
    .max_flat_workgroup_size: 256
    .name:           _ZN7rocprim17ROCPRIM_400000_NS6detail17trampoline_kernelINS0_14default_configENS1_38merge_sort_block_merge_config_selectorIiiEEZZNS1_27merge_sort_block_merge_implIS3_N6thrust23THRUST_200600_302600_NS6detail15normal_iteratorINS8_10device_ptrIiEEEESD_jNS1_19radix_merge_compareILb0ELb0EiNS0_19identity_decomposerEEEEE10hipError_tT0_T1_T2_jT3_P12ihipStream_tbPNSt15iterator_traitsISI_E10value_typeEPNSO_ISJ_E10value_typeEPSK_NS1_7vsmem_tEENKUlT_SI_SJ_SK_E_clIPiSD_S10_SD_EESH_SX_SI_SJ_SK_EUlSX_E1_NS1_11comp_targetILNS1_3genE9ELNS1_11target_archE1100ELNS1_3gpuE3ELNS1_3repE0EEENS1_36merge_oddeven_config_static_selectorELNS0_4arch9wavefront6targetE0EEEvSJ_
    .private_segment_fixed_size: 0
    .sgpr_count:     0
    .sgpr_spill_count: 0
    .symbol:         _ZN7rocprim17ROCPRIM_400000_NS6detail17trampoline_kernelINS0_14default_configENS1_38merge_sort_block_merge_config_selectorIiiEEZZNS1_27merge_sort_block_merge_implIS3_N6thrust23THRUST_200600_302600_NS6detail15normal_iteratorINS8_10device_ptrIiEEEESD_jNS1_19radix_merge_compareILb0ELb0EiNS0_19identity_decomposerEEEEE10hipError_tT0_T1_T2_jT3_P12ihipStream_tbPNSt15iterator_traitsISI_E10value_typeEPNSO_ISJ_E10value_typeEPSK_NS1_7vsmem_tEENKUlT_SI_SJ_SK_E_clIPiSD_S10_SD_EESH_SX_SI_SJ_SK_EUlSX_E1_NS1_11comp_targetILNS1_3genE9ELNS1_11target_archE1100ELNS1_3gpuE3ELNS1_3repE0EEENS1_36merge_oddeven_config_static_selectorELNS0_4arch9wavefront6targetE0EEEvSJ_.kd
    .uniform_work_group_size: 1
    .uses_dynamic_stack: false
    .vgpr_count:     0
    .vgpr_spill_count: 0
    .wavefront_size: 32
    .workgroup_processor_mode: 1
  - .args:
      - .offset:         0
        .size:           48
        .value_kind:     by_value
    .group_segment_fixed_size: 0
    .kernarg_segment_align: 8
    .kernarg_segment_size: 48
    .language:       OpenCL C
    .language_version:
      - 2
      - 0
    .max_flat_workgroup_size: 256
    .name:           _ZN7rocprim17ROCPRIM_400000_NS6detail17trampoline_kernelINS0_14default_configENS1_38merge_sort_block_merge_config_selectorIiiEEZZNS1_27merge_sort_block_merge_implIS3_N6thrust23THRUST_200600_302600_NS6detail15normal_iteratorINS8_10device_ptrIiEEEESD_jNS1_19radix_merge_compareILb0ELb0EiNS0_19identity_decomposerEEEEE10hipError_tT0_T1_T2_jT3_P12ihipStream_tbPNSt15iterator_traitsISI_E10value_typeEPNSO_ISJ_E10value_typeEPSK_NS1_7vsmem_tEENKUlT_SI_SJ_SK_E_clIPiSD_S10_SD_EESH_SX_SI_SJ_SK_EUlSX_E1_NS1_11comp_targetILNS1_3genE8ELNS1_11target_archE1030ELNS1_3gpuE2ELNS1_3repE0EEENS1_36merge_oddeven_config_static_selectorELNS0_4arch9wavefront6targetE0EEEvSJ_
    .private_segment_fixed_size: 0
    .sgpr_count:     24
    .sgpr_spill_count: 0
    .symbol:         _ZN7rocprim17ROCPRIM_400000_NS6detail17trampoline_kernelINS0_14default_configENS1_38merge_sort_block_merge_config_selectorIiiEEZZNS1_27merge_sort_block_merge_implIS3_N6thrust23THRUST_200600_302600_NS6detail15normal_iteratorINS8_10device_ptrIiEEEESD_jNS1_19radix_merge_compareILb0ELb0EiNS0_19identity_decomposerEEEEE10hipError_tT0_T1_T2_jT3_P12ihipStream_tbPNSt15iterator_traitsISI_E10value_typeEPNSO_ISJ_E10value_typeEPSK_NS1_7vsmem_tEENKUlT_SI_SJ_SK_E_clIPiSD_S10_SD_EESH_SX_SI_SJ_SK_EUlSX_E1_NS1_11comp_targetILNS1_3genE8ELNS1_11target_archE1030ELNS1_3gpuE2ELNS1_3repE0EEENS1_36merge_oddeven_config_static_selectorELNS0_4arch9wavefront6targetE0EEEvSJ_.kd
    .uniform_work_group_size: 1
    .uses_dynamic_stack: false
    .vgpr_count:     9
    .vgpr_spill_count: 0
    .wavefront_size: 32
    .workgroup_processor_mode: 1
  - .args:
      - .offset:         0
        .size:           40
        .value_kind:     by_value
    .group_segment_fixed_size: 0
    .kernarg_segment_align: 8
    .kernarg_segment_size: 40
    .language:       OpenCL C
    .language_version:
      - 2
      - 0
    .max_flat_workgroup_size: 128
    .name:           _ZN7rocprim17ROCPRIM_400000_NS6detail17trampoline_kernelINS0_14default_configENS1_38merge_sort_block_merge_config_selectorIiiEEZZNS1_27merge_sort_block_merge_implIS3_N6thrust23THRUST_200600_302600_NS6detail15normal_iteratorINS8_10device_ptrIiEEEESD_jNS1_19radix_merge_compareILb0ELb0EiNS0_19identity_decomposerEEEEE10hipError_tT0_T1_T2_jT3_P12ihipStream_tbPNSt15iterator_traitsISI_E10value_typeEPNSO_ISJ_E10value_typeEPSK_NS1_7vsmem_tEENKUlT_SI_SJ_SK_E_clISD_PiSD_S10_EESH_SX_SI_SJ_SK_EUlSX_E_NS1_11comp_targetILNS1_3genE0ELNS1_11target_archE4294967295ELNS1_3gpuE0ELNS1_3repE0EEENS1_48merge_mergepath_partition_config_static_selectorELNS0_4arch9wavefront6targetE0EEEvSJ_
    .private_segment_fixed_size: 0
    .sgpr_count:     0
    .sgpr_spill_count: 0
    .symbol:         _ZN7rocprim17ROCPRIM_400000_NS6detail17trampoline_kernelINS0_14default_configENS1_38merge_sort_block_merge_config_selectorIiiEEZZNS1_27merge_sort_block_merge_implIS3_N6thrust23THRUST_200600_302600_NS6detail15normal_iteratorINS8_10device_ptrIiEEEESD_jNS1_19radix_merge_compareILb0ELb0EiNS0_19identity_decomposerEEEEE10hipError_tT0_T1_T2_jT3_P12ihipStream_tbPNSt15iterator_traitsISI_E10value_typeEPNSO_ISJ_E10value_typeEPSK_NS1_7vsmem_tEENKUlT_SI_SJ_SK_E_clISD_PiSD_S10_EESH_SX_SI_SJ_SK_EUlSX_E_NS1_11comp_targetILNS1_3genE0ELNS1_11target_archE4294967295ELNS1_3gpuE0ELNS1_3repE0EEENS1_48merge_mergepath_partition_config_static_selectorELNS0_4arch9wavefront6targetE0EEEvSJ_.kd
    .uniform_work_group_size: 1
    .uses_dynamic_stack: false
    .vgpr_count:     0
    .vgpr_spill_count: 0
    .wavefront_size: 32
    .workgroup_processor_mode: 1
  - .args:
      - .offset:         0
        .size:           40
        .value_kind:     by_value
    .group_segment_fixed_size: 0
    .kernarg_segment_align: 8
    .kernarg_segment_size: 40
    .language:       OpenCL C
    .language_version:
      - 2
      - 0
    .max_flat_workgroup_size: 128
    .name:           _ZN7rocprim17ROCPRIM_400000_NS6detail17trampoline_kernelINS0_14default_configENS1_38merge_sort_block_merge_config_selectorIiiEEZZNS1_27merge_sort_block_merge_implIS3_N6thrust23THRUST_200600_302600_NS6detail15normal_iteratorINS8_10device_ptrIiEEEESD_jNS1_19radix_merge_compareILb0ELb0EiNS0_19identity_decomposerEEEEE10hipError_tT0_T1_T2_jT3_P12ihipStream_tbPNSt15iterator_traitsISI_E10value_typeEPNSO_ISJ_E10value_typeEPSK_NS1_7vsmem_tEENKUlT_SI_SJ_SK_E_clISD_PiSD_S10_EESH_SX_SI_SJ_SK_EUlSX_E_NS1_11comp_targetILNS1_3genE10ELNS1_11target_archE1201ELNS1_3gpuE5ELNS1_3repE0EEENS1_48merge_mergepath_partition_config_static_selectorELNS0_4arch9wavefront6targetE0EEEvSJ_
    .private_segment_fixed_size: 0
    .sgpr_count:     0
    .sgpr_spill_count: 0
    .symbol:         _ZN7rocprim17ROCPRIM_400000_NS6detail17trampoline_kernelINS0_14default_configENS1_38merge_sort_block_merge_config_selectorIiiEEZZNS1_27merge_sort_block_merge_implIS3_N6thrust23THRUST_200600_302600_NS6detail15normal_iteratorINS8_10device_ptrIiEEEESD_jNS1_19radix_merge_compareILb0ELb0EiNS0_19identity_decomposerEEEEE10hipError_tT0_T1_T2_jT3_P12ihipStream_tbPNSt15iterator_traitsISI_E10value_typeEPNSO_ISJ_E10value_typeEPSK_NS1_7vsmem_tEENKUlT_SI_SJ_SK_E_clISD_PiSD_S10_EESH_SX_SI_SJ_SK_EUlSX_E_NS1_11comp_targetILNS1_3genE10ELNS1_11target_archE1201ELNS1_3gpuE5ELNS1_3repE0EEENS1_48merge_mergepath_partition_config_static_selectorELNS0_4arch9wavefront6targetE0EEEvSJ_.kd
    .uniform_work_group_size: 1
    .uses_dynamic_stack: false
    .vgpr_count:     0
    .vgpr_spill_count: 0
    .wavefront_size: 32
    .workgroup_processor_mode: 1
  - .args:
      - .offset:         0
        .size:           40
        .value_kind:     by_value
    .group_segment_fixed_size: 0
    .kernarg_segment_align: 8
    .kernarg_segment_size: 40
    .language:       OpenCL C
    .language_version:
      - 2
      - 0
    .max_flat_workgroup_size: 128
    .name:           _ZN7rocprim17ROCPRIM_400000_NS6detail17trampoline_kernelINS0_14default_configENS1_38merge_sort_block_merge_config_selectorIiiEEZZNS1_27merge_sort_block_merge_implIS3_N6thrust23THRUST_200600_302600_NS6detail15normal_iteratorINS8_10device_ptrIiEEEESD_jNS1_19radix_merge_compareILb0ELb0EiNS0_19identity_decomposerEEEEE10hipError_tT0_T1_T2_jT3_P12ihipStream_tbPNSt15iterator_traitsISI_E10value_typeEPNSO_ISJ_E10value_typeEPSK_NS1_7vsmem_tEENKUlT_SI_SJ_SK_E_clISD_PiSD_S10_EESH_SX_SI_SJ_SK_EUlSX_E_NS1_11comp_targetILNS1_3genE5ELNS1_11target_archE942ELNS1_3gpuE9ELNS1_3repE0EEENS1_48merge_mergepath_partition_config_static_selectorELNS0_4arch9wavefront6targetE0EEEvSJ_
    .private_segment_fixed_size: 0
    .sgpr_count:     0
    .sgpr_spill_count: 0
    .symbol:         _ZN7rocprim17ROCPRIM_400000_NS6detail17trampoline_kernelINS0_14default_configENS1_38merge_sort_block_merge_config_selectorIiiEEZZNS1_27merge_sort_block_merge_implIS3_N6thrust23THRUST_200600_302600_NS6detail15normal_iteratorINS8_10device_ptrIiEEEESD_jNS1_19radix_merge_compareILb0ELb0EiNS0_19identity_decomposerEEEEE10hipError_tT0_T1_T2_jT3_P12ihipStream_tbPNSt15iterator_traitsISI_E10value_typeEPNSO_ISJ_E10value_typeEPSK_NS1_7vsmem_tEENKUlT_SI_SJ_SK_E_clISD_PiSD_S10_EESH_SX_SI_SJ_SK_EUlSX_E_NS1_11comp_targetILNS1_3genE5ELNS1_11target_archE942ELNS1_3gpuE9ELNS1_3repE0EEENS1_48merge_mergepath_partition_config_static_selectorELNS0_4arch9wavefront6targetE0EEEvSJ_.kd
    .uniform_work_group_size: 1
    .uses_dynamic_stack: false
    .vgpr_count:     0
    .vgpr_spill_count: 0
    .wavefront_size: 32
    .workgroup_processor_mode: 1
  - .args:
      - .offset:         0
        .size:           40
        .value_kind:     by_value
    .group_segment_fixed_size: 0
    .kernarg_segment_align: 8
    .kernarg_segment_size: 40
    .language:       OpenCL C
    .language_version:
      - 2
      - 0
    .max_flat_workgroup_size: 128
    .name:           _ZN7rocprim17ROCPRIM_400000_NS6detail17trampoline_kernelINS0_14default_configENS1_38merge_sort_block_merge_config_selectorIiiEEZZNS1_27merge_sort_block_merge_implIS3_N6thrust23THRUST_200600_302600_NS6detail15normal_iteratorINS8_10device_ptrIiEEEESD_jNS1_19radix_merge_compareILb0ELb0EiNS0_19identity_decomposerEEEEE10hipError_tT0_T1_T2_jT3_P12ihipStream_tbPNSt15iterator_traitsISI_E10value_typeEPNSO_ISJ_E10value_typeEPSK_NS1_7vsmem_tEENKUlT_SI_SJ_SK_E_clISD_PiSD_S10_EESH_SX_SI_SJ_SK_EUlSX_E_NS1_11comp_targetILNS1_3genE4ELNS1_11target_archE910ELNS1_3gpuE8ELNS1_3repE0EEENS1_48merge_mergepath_partition_config_static_selectorELNS0_4arch9wavefront6targetE0EEEvSJ_
    .private_segment_fixed_size: 0
    .sgpr_count:     0
    .sgpr_spill_count: 0
    .symbol:         _ZN7rocprim17ROCPRIM_400000_NS6detail17trampoline_kernelINS0_14default_configENS1_38merge_sort_block_merge_config_selectorIiiEEZZNS1_27merge_sort_block_merge_implIS3_N6thrust23THRUST_200600_302600_NS6detail15normal_iteratorINS8_10device_ptrIiEEEESD_jNS1_19radix_merge_compareILb0ELb0EiNS0_19identity_decomposerEEEEE10hipError_tT0_T1_T2_jT3_P12ihipStream_tbPNSt15iterator_traitsISI_E10value_typeEPNSO_ISJ_E10value_typeEPSK_NS1_7vsmem_tEENKUlT_SI_SJ_SK_E_clISD_PiSD_S10_EESH_SX_SI_SJ_SK_EUlSX_E_NS1_11comp_targetILNS1_3genE4ELNS1_11target_archE910ELNS1_3gpuE8ELNS1_3repE0EEENS1_48merge_mergepath_partition_config_static_selectorELNS0_4arch9wavefront6targetE0EEEvSJ_.kd
    .uniform_work_group_size: 1
    .uses_dynamic_stack: false
    .vgpr_count:     0
    .vgpr_spill_count: 0
    .wavefront_size: 32
    .workgroup_processor_mode: 1
  - .args:
      - .offset:         0
        .size:           40
        .value_kind:     by_value
    .group_segment_fixed_size: 0
    .kernarg_segment_align: 8
    .kernarg_segment_size: 40
    .language:       OpenCL C
    .language_version:
      - 2
      - 0
    .max_flat_workgroup_size: 128
    .name:           _ZN7rocprim17ROCPRIM_400000_NS6detail17trampoline_kernelINS0_14default_configENS1_38merge_sort_block_merge_config_selectorIiiEEZZNS1_27merge_sort_block_merge_implIS3_N6thrust23THRUST_200600_302600_NS6detail15normal_iteratorINS8_10device_ptrIiEEEESD_jNS1_19radix_merge_compareILb0ELb0EiNS0_19identity_decomposerEEEEE10hipError_tT0_T1_T2_jT3_P12ihipStream_tbPNSt15iterator_traitsISI_E10value_typeEPNSO_ISJ_E10value_typeEPSK_NS1_7vsmem_tEENKUlT_SI_SJ_SK_E_clISD_PiSD_S10_EESH_SX_SI_SJ_SK_EUlSX_E_NS1_11comp_targetILNS1_3genE3ELNS1_11target_archE908ELNS1_3gpuE7ELNS1_3repE0EEENS1_48merge_mergepath_partition_config_static_selectorELNS0_4arch9wavefront6targetE0EEEvSJ_
    .private_segment_fixed_size: 0
    .sgpr_count:     0
    .sgpr_spill_count: 0
    .symbol:         _ZN7rocprim17ROCPRIM_400000_NS6detail17trampoline_kernelINS0_14default_configENS1_38merge_sort_block_merge_config_selectorIiiEEZZNS1_27merge_sort_block_merge_implIS3_N6thrust23THRUST_200600_302600_NS6detail15normal_iteratorINS8_10device_ptrIiEEEESD_jNS1_19radix_merge_compareILb0ELb0EiNS0_19identity_decomposerEEEEE10hipError_tT0_T1_T2_jT3_P12ihipStream_tbPNSt15iterator_traitsISI_E10value_typeEPNSO_ISJ_E10value_typeEPSK_NS1_7vsmem_tEENKUlT_SI_SJ_SK_E_clISD_PiSD_S10_EESH_SX_SI_SJ_SK_EUlSX_E_NS1_11comp_targetILNS1_3genE3ELNS1_11target_archE908ELNS1_3gpuE7ELNS1_3repE0EEENS1_48merge_mergepath_partition_config_static_selectorELNS0_4arch9wavefront6targetE0EEEvSJ_.kd
    .uniform_work_group_size: 1
    .uses_dynamic_stack: false
    .vgpr_count:     0
    .vgpr_spill_count: 0
    .wavefront_size: 32
    .workgroup_processor_mode: 1
  - .args:
      - .offset:         0
        .size:           40
        .value_kind:     by_value
    .group_segment_fixed_size: 0
    .kernarg_segment_align: 8
    .kernarg_segment_size: 40
    .language:       OpenCL C
    .language_version:
      - 2
      - 0
    .max_flat_workgroup_size: 128
    .name:           _ZN7rocprim17ROCPRIM_400000_NS6detail17trampoline_kernelINS0_14default_configENS1_38merge_sort_block_merge_config_selectorIiiEEZZNS1_27merge_sort_block_merge_implIS3_N6thrust23THRUST_200600_302600_NS6detail15normal_iteratorINS8_10device_ptrIiEEEESD_jNS1_19radix_merge_compareILb0ELb0EiNS0_19identity_decomposerEEEEE10hipError_tT0_T1_T2_jT3_P12ihipStream_tbPNSt15iterator_traitsISI_E10value_typeEPNSO_ISJ_E10value_typeEPSK_NS1_7vsmem_tEENKUlT_SI_SJ_SK_E_clISD_PiSD_S10_EESH_SX_SI_SJ_SK_EUlSX_E_NS1_11comp_targetILNS1_3genE2ELNS1_11target_archE906ELNS1_3gpuE6ELNS1_3repE0EEENS1_48merge_mergepath_partition_config_static_selectorELNS0_4arch9wavefront6targetE0EEEvSJ_
    .private_segment_fixed_size: 0
    .sgpr_count:     0
    .sgpr_spill_count: 0
    .symbol:         _ZN7rocprim17ROCPRIM_400000_NS6detail17trampoline_kernelINS0_14default_configENS1_38merge_sort_block_merge_config_selectorIiiEEZZNS1_27merge_sort_block_merge_implIS3_N6thrust23THRUST_200600_302600_NS6detail15normal_iteratorINS8_10device_ptrIiEEEESD_jNS1_19radix_merge_compareILb0ELb0EiNS0_19identity_decomposerEEEEE10hipError_tT0_T1_T2_jT3_P12ihipStream_tbPNSt15iterator_traitsISI_E10value_typeEPNSO_ISJ_E10value_typeEPSK_NS1_7vsmem_tEENKUlT_SI_SJ_SK_E_clISD_PiSD_S10_EESH_SX_SI_SJ_SK_EUlSX_E_NS1_11comp_targetILNS1_3genE2ELNS1_11target_archE906ELNS1_3gpuE6ELNS1_3repE0EEENS1_48merge_mergepath_partition_config_static_selectorELNS0_4arch9wavefront6targetE0EEEvSJ_.kd
    .uniform_work_group_size: 1
    .uses_dynamic_stack: false
    .vgpr_count:     0
    .vgpr_spill_count: 0
    .wavefront_size: 32
    .workgroup_processor_mode: 1
  - .args:
      - .offset:         0
        .size:           40
        .value_kind:     by_value
    .group_segment_fixed_size: 0
    .kernarg_segment_align: 8
    .kernarg_segment_size: 40
    .language:       OpenCL C
    .language_version:
      - 2
      - 0
    .max_flat_workgroup_size: 128
    .name:           _ZN7rocprim17ROCPRIM_400000_NS6detail17trampoline_kernelINS0_14default_configENS1_38merge_sort_block_merge_config_selectorIiiEEZZNS1_27merge_sort_block_merge_implIS3_N6thrust23THRUST_200600_302600_NS6detail15normal_iteratorINS8_10device_ptrIiEEEESD_jNS1_19radix_merge_compareILb0ELb0EiNS0_19identity_decomposerEEEEE10hipError_tT0_T1_T2_jT3_P12ihipStream_tbPNSt15iterator_traitsISI_E10value_typeEPNSO_ISJ_E10value_typeEPSK_NS1_7vsmem_tEENKUlT_SI_SJ_SK_E_clISD_PiSD_S10_EESH_SX_SI_SJ_SK_EUlSX_E_NS1_11comp_targetILNS1_3genE9ELNS1_11target_archE1100ELNS1_3gpuE3ELNS1_3repE0EEENS1_48merge_mergepath_partition_config_static_selectorELNS0_4arch9wavefront6targetE0EEEvSJ_
    .private_segment_fixed_size: 0
    .sgpr_count:     0
    .sgpr_spill_count: 0
    .symbol:         _ZN7rocprim17ROCPRIM_400000_NS6detail17trampoline_kernelINS0_14default_configENS1_38merge_sort_block_merge_config_selectorIiiEEZZNS1_27merge_sort_block_merge_implIS3_N6thrust23THRUST_200600_302600_NS6detail15normal_iteratorINS8_10device_ptrIiEEEESD_jNS1_19radix_merge_compareILb0ELb0EiNS0_19identity_decomposerEEEEE10hipError_tT0_T1_T2_jT3_P12ihipStream_tbPNSt15iterator_traitsISI_E10value_typeEPNSO_ISJ_E10value_typeEPSK_NS1_7vsmem_tEENKUlT_SI_SJ_SK_E_clISD_PiSD_S10_EESH_SX_SI_SJ_SK_EUlSX_E_NS1_11comp_targetILNS1_3genE9ELNS1_11target_archE1100ELNS1_3gpuE3ELNS1_3repE0EEENS1_48merge_mergepath_partition_config_static_selectorELNS0_4arch9wavefront6targetE0EEEvSJ_.kd
    .uniform_work_group_size: 1
    .uses_dynamic_stack: false
    .vgpr_count:     0
    .vgpr_spill_count: 0
    .wavefront_size: 32
    .workgroup_processor_mode: 1
  - .args:
      - .offset:         0
        .size:           40
        .value_kind:     by_value
    .group_segment_fixed_size: 0
    .kernarg_segment_align: 8
    .kernarg_segment_size: 40
    .language:       OpenCL C
    .language_version:
      - 2
      - 0
    .max_flat_workgroup_size: 128
    .name:           _ZN7rocprim17ROCPRIM_400000_NS6detail17trampoline_kernelINS0_14default_configENS1_38merge_sort_block_merge_config_selectorIiiEEZZNS1_27merge_sort_block_merge_implIS3_N6thrust23THRUST_200600_302600_NS6detail15normal_iteratorINS8_10device_ptrIiEEEESD_jNS1_19radix_merge_compareILb0ELb0EiNS0_19identity_decomposerEEEEE10hipError_tT0_T1_T2_jT3_P12ihipStream_tbPNSt15iterator_traitsISI_E10value_typeEPNSO_ISJ_E10value_typeEPSK_NS1_7vsmem_tEENKUlT_SI_SJ_SK_E_clISD_PiSD_S10_EESH_SX_SI_SJ_SK_EUlSX_E_NS1_11comp_targetILNS1_3genE8ELNS1_11target_archE1030ELNS1_3gpuE2ELNS1_3repE0EEENS1_48merge_mergepath_partition_config_static_selectorELNS0_4arch9wavefront6targetE0EEEvSJ_
    .private_segment_fixed_size: 0
    .sgpr_count:     9
    .sgpr_spill_count: 0
    .symbol:         _ZN7rocprim17ROCPRIM_400000_NS6detail17trampoline_kernelINS0_14default_configENS1_38merge_sort_block_merge_config_selectorIiiEEZZNS1_27merge_sort_block_merge_implIS3_N6thrust23THRUST_200600_302600_NS6detail15normal_iteratorINS8_10device_ptrIiEEEESD_jNS1_19radix_merge_compareILb0ELb0EiNS0_19identity_decomposerEEEEE10hipError_tT0_T1_T2_jT3_P12ihipStream_tbPNSt15iterator_traitsISI_E10value_typeEPNSO_ISJ_E10value_typeEPSK_NS1_7vsmem_tEENKUlT_SI_SJ_SK_E_clISD_PiSD_S10_EESH_SX_SI_SJ_SK_EUlSX_E_NS1_11comp_targetILNS1_3genE8ELNS1_11target_archE1030ELNS1_3gpuE2ELNS1_3repE0EEENS1_48merge_mergepath_partition_config_static_selectorELNS0_4arch9wavefront6targetE0EEEvSJ_.kd
    .uniform_work_group_size: 1
    .uses_dynamic_stack: false
    .vgpr_count:     15
    .vgpr_spill_count: 0
    .wavefront_size: 32
    .workgroup_processor_mode: 1
  - .args:
      - .offset:         0
        .size:           64
        .value_kind:     by_value
    .group_segment_fixed_size: 0
    .kernarg_segment_align: 8
    .kernarg_segment_size: 64
    .language:       OpenCL C
    .language_version:
      - 2
      - 0
    .max_flat_workgroup_size: 256
    .name:           _ZN7rocprim17ROCPRIM_400000_NS6detail17trampoline_kernelINS0_14default_configENS1_38merge_sort_block_merge_config_selectorIiiEEZZNS1_27merge_sort_block_merge_implIS3_N6thrust23THRUST_200600_302600_NS6detail15normal_iteratorINS8_10device_ptrIiEEEESD_jNS1_19radix_merge_compareILb0ELb0EiNS0_19identity_decomposerEEEEE10hipError_tT0_T1_T2_jT3_P12ihipStream_tbPNSt15iterator_traitsISI_E10value_typeEPNSO_ISJ_E10value_typeEPSK_NS1_7vsmem_tEENKUlT_SI_SJ_SK_E_clISD_PiSD_S10_EESH_SX_SI_SJ_SK_EUlSX_E0_NS1_11comp_targetILNS1_3genE0ELNS1_11target_archE4294967295ELNS1_3gpuE0ELNS1_3repE0EEENS1_38merge_mergepath_config_static_selectorELNS0_4arch9wavefront6targetE0EEEvSJ_
    .private_segment_fixed_size: 0
    .sgpr_count:     0
    .sgpr_spill_count: 0
    .symbol:         _ZN7rocprim17ROCPRIM_400000_NS6detail17trampoline_kernelINS0_14default_configENS1_38merge_sort_block_merge_config_selectorIiiEEZZNS1_27merge_sort_block_merge_implIS3_N6thrust23THRUST_200600_302600_NS6detail15normal_iteratorINS8_10device_ptrIiEEEESD_jNS1_19radix_merge_compareILb0ELb0EiNS0_19identity_decomposerEEEEE10hipError_tT0_T1_T2_jT3_P12ihipStream_tbPNSt15iterator_traitsISI_E10value_typeEPNSO_ISJ_E10value_typeEPSK_NS1_7vsmem_tEENKUlT_SI_SJ_SK_E_clISD_PiSD_S10_EESH_SX_SI_SJ_SK_EUlSX_E0_NS1_11comp_targetILNS1_3genE0ELNS1_11target_archE4294967295ELNS1_3gpuE0ELNS1_3repE0EEENS1_38merge_mergepath_config_static_selectorELNS0_4arch9wavefront6targetE0EEEvSJ_.kd
    .uniform_work_group_size: 1
    .uses_dynamic_stack: false
    .vgpr_count:     0
    .vgpr_spill_count: 0
    .wavefront_size: 32
    .workgroup_processor_mode: 1
  - .args:
      - .offset:         0
        .size:           64
        .value_kind:     by_value
    .group_segment_fixed_size: 0
    .kernarg_segment_align: 8
    .kernarg_segment_size: 64
    .language:       OpenCL C
    .language_version:
      - 2
      - 0
    .max_flat_workgroup_size: 256
    .name:           _ZN7rocprim17ROCPRIM_400000_NS6detail17trampoline_kernelINS0_14default_configENS1_38merge_sort_block_merge_config_selectorIiiEEZZNS1_27merge_sort_block_merge_implIS3_N6thrust23THRUST_200600_302600_NS6detail15normal_iteratorINS8_10device_ptrIiEEEESD_jNS1_19radix_merge_compareILb0ELb0EiNS0_19identity_decomposerEEEEE10hipError_tT0_T1_T2_jT3_P12ihipStream_tbPNSt15iterator_traitsISI_E10value_typeEPNSO_ISJ_E10value_typeEPSK_NS1_7vsmem_tEENKUlT_SI_SJ_SK_E_clISD_PiSD_S10_EESH_SX_SI_SJ_SK_EUlSX_E0_NS1_11comp_targetILNS1_3genE10ELNS1_11target_archE1201ELNS1_3gpuE5ELNS1_3repE0EEENS1_38merge_mergepath_config_static_selectorELNS0_4arch9wavefront6targetE0EEEvSJ_
    .private_segment_fixed_size: 0
    .sgpr_count:     0
    .sgpr_spill_count: 0
    .symbol:         _ZN7rocprim17ROCPRIM_400000_NS6detail17trampoline_kernelINS0_14default_configENS1_38merge_sort_block_merge_config_selectorIiiEEZZNS1_27merge_sort_block_merge_implIS3_N6thrust23THRUST_200600_302600_NS6detail15normal_iteratorINS8_10device_ptrIiEEEESD_jNS1_19radix_merge_compareILb0ELb0EiNS0_19identity_decomposerEEEEE10hipError_tT0_T1_T2_jT3_P12ihipStream_tbPNSt15iterator_traitsISI_E10value_typeEPNSO_ISJ_E10value_typeEPSK_NS1_7vsmem_tEENKUlT_SI_SJ_SK_E_clISD_PiSD_S10_EESH_SX_SI_SJ_SK_EUlSX_E0_NS1_11comp_targetILNS1_3genE10ELNS1_11target_archE1201ELNS1_3gpuE5ELNS1_3repE0EEENS1_38merge_mergepath_config_static_selectorELNS0_4arch9wavefront6targetE0EEEvSJ_.kd
    .uniform_work_group_size: 1
    .uses_dynamic_stack: false
    .vgpr_count:     0
    .vgpr_spill_count: 0
    .wavefront_size: 32
    .workgroup_processor_mode: 1
  - .args:
      - .offset:         0
        .size:           64
        .value_kind:     by_value
    .group_segment_fixed_size: 0
    .kernarg_segment_align: 8
    .kernarg_segment_size: 64
    .language:       OpenCL C
    .language_version:
      - 2
      - 0
    .max_flat_workgroup_size: 128
    .name:           _ZN7rocprim17ROCPRIM_400000_NS6detail17trampoline_kernelINS0_14default_configENS1_38merge_sort_block_merge_config_selectorIiiEEZZNS1_27merge_sort_block_merge_implIS3_N6thrust23THRUST_200600_302600_NS6detail15normal_iteratorINS8_10device_ptrIiEEEESD_jNS1_19radix_merge_compareILb0ELb0EiNS0_19identity_decomposerEEEEE10hipError_tT0_T1_T2_jT3_P12ihipStream_tbPNSt15iterator_traitsISI_E10value_typeEPNSO_ISJ_E10value_typeEPSK_NS1_7vsmem_tEENKUlT_SI_SJ_SK_E_clISD_PiSD_S10_EESH_SX_SI_SJ_SK_EUlSX_E0_NS1_11comp_targetILNS1_3genE5ELNS1_11target_archE942ELNS1_3gpuE9ELNS1_3repE0EEENS1_38merge_mergepath_config_static_selectorELNS0_4arch9wavefront6targetE0EEEvSJ_
    .private_segment_fixed_size: 0
    .sgpr_count:     0
    .sgpr_spill_count: 0
    .symbol:         _ZN7rocprim17ROCPRIM_400000_NS6detail17trampoline_kernelINS0_14default_configENS1_38merge_sort_block_merge_config_selectorIiiEEZZNS1_27merge_sort_block_merge_implIS3_N6thrust23THRUST_200600_302600_NS6detail15normal_iteratorINS8_10device_ptrIiEEEESD_jNS1_19radix_merge_compareILb0ELb0EiNS0_19identity_decomposerEEEEE10hipError_tT0_T1_T2_jT3_P12ihipStream_tbPNSt15iterator_traitsISI_E10value_typeEPNSO_ISJ_E10value_typeEPSK_NS1_7vsmem_tEENKUlT_SI_SJ_SK_E_clISD_PiSD_S10_EESH_SX_SI_SJ_SK_EUlSX_E0_NS1_11comp_targetILNS1_3genE5ELNS1_11target_archE942ELNS1_3gpuE9ELNS1_3repE0EEENS1_38merge_mergepath_config_static_selectorELNS0_4arch9wavefront6targetE0EEEvSJ_.kd
    .uniform_work_group_size: 1
    .uses_dynamic_stack: false
    .vgpr_count:     0
    .vgpr_spill_count: 0
    .wavefront_size: 32
    .workgroup_processor_mode: 1
  - .args:
      - .offset:         0
        .size:           64
        .value_kind:     by_value
    .group_segment_fixed_size: 0
    .kernarg_segment_align: 8
    .kernarg_segment_size: 64
    .language:       OpenCL C
    .language_version:
      - 2
      - 0
    .max_flat_workgroup_size: 256
    .name:           _ZN7rocprim17ROCPRIM_400000_NS6detail17trampoline_kernelINS0_14default_configENS1_38merge_sort_block_merge_config_selectorIiiEEZZNS1_27merge_sort_block_merge_implIS3_N6thrust23THRUST_200600_302600_NS6detail15normal_iteratorINS8_10device_ptrIiEEEESD_jNS1_19radix_merge_compareILb0ELb0EiNS0_19identity_decomposerEEEEE10hipError_tT0_T1_T2_jT3_P12ihipStream_tbPNSt15iterator_traitsISI_E10value_typeEPNSO_ISJ_E10value_typeEPSK_NS1_7vsmem_tEENKUlT_SI_SJ_SK_E_clISD_PiSD_S10_EESH_SX_SI_SJ_SK_EUlSX_E0_NS1_11comp_targetILNS1_3genE4ELNS1_11target_archE910ELNS1_3gpuE8ELNS1_3repE0EEENS1_38merge_mergepath_config_static_selectorELNS0_4arch9wavefront6targetE0EEEvSJ_
    .private_segment_fixed_size: 0
    .sgpr_count:     0
    .sgpr_spill_count: 0
    .symbol:         _ZN7rocprim17ROCPRIM_400000_NS6detail17trampoline_kernelINS0_14default_configENS1_38merge_sort_block_merge_config_selectorIiiEEZZNS1_27merge_sort_block_merge_implIS3_N6thrust23THRUST_200600_302600_NS6detail15normal_iteratorINS8_10device_ptrIiEEEESD_jNS1_19radix_merge_compareILb0ELb0EiNS0_19identity_decomposerEEEEE10hipError_tT0_T1_T2_jT3_P12ihipStream_tbPNSt15iterator_traitsISI_E10value_typeEPNSO_ISJ_E10value_typeEPSK_NS1_7vsmem_tEENKUlT_SI_SJ_SK_E_clISD_PiSD_S10_EESH_SX_SI_SJ_SK_EUlSX_E0_NS1_11comp_targetILNS1_3genE4ELNS1_11target_archE910ELNS1_3gpuE8ELNS1_3repE0EEENS1_38merge_mergepath_config_static_selectorELNS0_4arch9wavefront6targetE0EEEvSJ_.kd
    .uniform_work_group_size: 1
    .uses_dynamic_stack: false
    .vgpr_count:     0
    .vgpr_spill_count: 0
    .wavefront_size: 32
    .workgroup_processor_mode: 1
  - .args:
      - .offset:         0
        .size:           64
        .value_kind:     by_value
    .group_segment_fixed_size: 0
    .kernarg_segment_align: 8
    .kernarg_segment_size: 64
    .language:       OpenCL C
    .language_version:
      - 2
      - 0
    .max_flat_workgroup_size: 256
    .name:           _ZN7rocprim17ROCPRIM_400000_NS6detail17trampoline_kernelINS0_14default_configENS1_38merge_sort_block_merge_config_selectorIiiEEZZNS1_27merge_sort_block_merge_implIS3_N6thrust23THRUST_200600_302600_NS6detail15normal_iteratorINS8_10device_ptrIiEEEESD_jNS1_19radix_merge_compareILb0ELb0EiNS0_19identity_decomposerEEEEE10hipError_tT0_T1_T2_jT3_P12ihipStream_tbPNSt15iterator_traitsISI_E10value_typeEPNSO_ISJ_E10value_typeEPSK_NS1_7vsmem_tEENKUlT_SI_SJ_SK_E_clISD_PiSD_S10_EESH_SX_SI_SJ_SK_EUlSX_E0_NS1_11comp_targetILNS1_3genE3ELNS1_11target_archE908ELNS1_3gpuE7ELNS1_3repE0EEENS1_38merge_mergepath_config_static_selectorELNS0_4arch9wavefront6targetE0EEEvSJ_
    .private_segment_fixed_size: 0
    .sgpr_count:     0
    .sgpr_spill_count: 0
    .symbol:         _ZN7rocprim17ROCPRIM_400000_NS6detail17trampoline_kernelINS0_14default_configENS1_38merge_sort_block_merge_config_selectorIiiEEZZNS1_27merge_sort_block_merge_implIS3_N6thrust23THRUST_200600_302600_NS6detail15normal_iteratorINS8_10device_ptrIiEEEESD_jNS1_19radix_merge_compareILb0ELb0EiNS0_19identity_decomposerEEEEE10hipError_tT0_T1_T2_jT3_P12ihipStream_tbPNSt15iterator_traitsISI_E10value_typeEPNSO_ISJ_E10value_typeEPSK_NS1_7vsmem_tEENKUlT_SI_SJ_SK_E_clISD_PiSD_S10_EESH_SX_SI_SJ_SK_EUlSX_E0_NS1_11comp_targetILNS1_3genE3ELNS1_11target_archE908ELNS1_3gpuE7ELNS1_3repE0EEENS1_38merge_mergepath_config_static_selectorELNS0_4arch9wavefront6targetE0EEEvSJ_.kd
    .uniform_work_group_size: 1
    .uses_dynamic_stack: false
    .vgpr_count:     0
    .vgpr_spill_count: 0
    .wavefront_size: 32
    .workgroup_processor_mode: 1
  - .args:
      - .offset:         0
        .size:           64
        .value_kind:     by_value
    .group_segment_fixed_size: 0
    .kernarg_segment_align: 8
    .kernarg_segment_size: 64
    .language:       OpenCL C
    .language_version:
      - 2
      - 0
    .max_flat_workgroup_size: 256
    .name:           _ZN7rocprim17ROCPRIM_400000_NS6detail17trampoline_kernelINS0_14default_configENS1_38merge_sort_block_merge_config_selectorIiiEEZZNS1_27merge_sort_block_merge_implIS3_N6thrust23THRUST_200600_302600_NS6detail15normal_iteratorINS8_10device_ptrIiEEEESD_jNS1_19radix_merge_compareILb0ELb0EiNS0_19identity_decomposerEEEEE10hipError_tT0_T1_T2_jT3_P12ihipStream_tbPNSt15iterator_traitsISI_E10value_typeEPNSO_ISJ_E10value_typeEPSK_NS1_7vsmem_tEENKUlT_SI_SJ_SK_E_clISD_PiSD_S10_EESH_SX_SI_SJ_SK_EUlSX_E0_NS1_11comp_targetILNS1_3genE2ELNS1_11target_archE906ELNS1_3gpuE6ELNS1_3repE0EEENS1_38merge_mergepath_config_static_selectorELNS0_4arch9wavefront6targetE0EEEvSJ_
    .private_segment_fixed_size: 0
    .sgpr_count:     0
    .sgpr_spill_count: 0
    .symbol:         _ZN7rocprim17ROCPRIM_400000_NS6detail17trampoline_kernelINS0_14default_configENS1_38merge_sort_block_merge_config_selectorIiiEEZZNS1_27merge_sort_block_merge_implIS3_N6thrust23THRUST_200600_302600_NS6detail15normal_iteratorINS8_10device_ptrIiEEEESD_jNS1_19radix_merge_compareILb0ELb0EiNS0_19identity_decomposerEEEEE10hipError_tT0_T1_T2_jT3_P12ihipStream_tbPNSt15iterator_traitsISI_E10value_typeEPNSO_ISJ_E10value_typeEPSK_NS1_7vsmem_tEENKUlT_SI_SJ_SK_E_clISD_PiSD_S10_EESH_SX_SI_SJ_SK_EUlSX_E0_NS1_11comp_targetILNS1_3genE2ELNS1_11target_archE906ELNS1_3gpuE6ELNS1_3repE0EEENS1_38merge_mergepath_config_static_selectorELNS0_4arch9wavefront6targetE0EEEvSJ_.kd
    .uniform_work_group_size: 1
    .uses_dynamic_stack: false
    .vgpr_count:     0
    .vgpr_spill_count: 0
    .wavefront_size: 32
    .workgroup_processor_mode: 1
  - .args:
      - .offset:         0
        .size:           64
        .value_kind:     by_value
    .group_segment_fixed_size: 0
    .kernarg_segment_align: 8
    .kernarg_segment_size: 64
    .language:       OpenCL C
    .language_version:
      - 2
      - 0
    .max_flat_workgroup_size: 512
    .name:           _ZN7rocprim17ROCPRIM_400000_NS6detail17trampoline_kernelINS0_14default_configENS1_38merge_sort_block_merge_config_selectorIiiEEZZNS1_27merge_sort_block_merge_implIS3_N6thrust23THRUST_200600_302600_NS6detail15normal_iteratorINS8_10device_ptrIiEEEESD_jNS1_19radix_merge_compareILb0ELb0EiNS0_19identity_decomposerEEEEE10hipError_tT0_T1_T2_jT3_P12ihipStream_tbPNSt15iterator_traitsISI_E10value_typeEPNSO_ISJ_E10value_typeEPSK_NS1_7vsmem_tEENKUlT_SI_SJ_SK_E_clISD_PiSD_S10_EESH_SX_SI_SJ_SK_EUlSX_E0_NS1_11comp_targetILNS1_3genE9ELNS1_11target_archE1100ELNS1_3gpuE3ELNS1_3repE0EEENS1_38merge_mergepath_config_static_selectorELNS0_4arch9wavefront6targetE0EEEvSJ_
    .private_segment_fixed_size: 0
    .sgpr_count:     0
    .sgpr_spill_count: 0
    .symbol:         _ZN7rocprim17ROCPRIM_400000_NS6detail17trampoline_kernelINS0_14default_configENS1_38merge_sort_block_merge_config_selectorIiiEEZZNS1_27merge_sort_block_merge_implIS3_N6thrust23THRUST_200600_302600_NS6detail15normal_iteratorINS8_10device_ptrIiEEEESD_jNS1_19radix_merge_compareILb0ELb0EiNS0_19identity_decomposerEEEEE10hipError_tT0_T1_T2_jT3_P12ihipStream_tbPNSt15iterator_traitsISI_E10value_typeEPNSO_ISJ_E10value_typeEPSK_NS1_7vsmem_tEENKUlT_SI_SJ_SK_E_clISD_PiSD_S10_EESH_SX_SI_SJ_SK_EUlSX_E0_NS1_11comp_targetILNS1_3genE9ELNS1_11target_archE1100ELNS1_3gpuE3ELNS1_3repE0EEENS1_38merge_mergepath_config_static_selectorELNS0_4arch9wavefront6targetE0EEEvSJ_.kd
    .uniform_work_group_size: 1
    .uses_dynamic_stack: false
    .vgpr_count:     0
    .vgpr_spill_count: 0
    .wavefront_size: 32
    .workgroup_processor_mode: 1
  - .args:
      - .offset:         0
        .size:           64
        .value_kind:     by_value
      - .offset:         64
        .size:           4
        .value_kind:     hidden_block_count_x
      - .offset:         68
        .size:           4
        .value_kind:     hidden_block_count_y
      - .offset:         72
        .size:           4
        .value_kind:     hidden_block_count_z
      - .offset:         76
        .size:           2
        .value_kind:     hidden_group_size_x
      - .offset:         78
        .size:           2
        .value_kind:     hidden_group_size_y
      - .offset:         80
        .size:           2
        .value_kind:     hidden_group_size_z
      - .offset:         82
        .size:           2
        .value_kind:     hidden_remainder_x
      - .offset:         84
        .size:           2
        .value_kind:     hidden_remainder_y
      - .offset:         86
        .size:           2
        .value_kind:     hidden_remainder_z
      - .offset:         104
        .size:           8
        .value_kind:     hidden_global_offset_x
      - .offset:         112
        .size:           8
        .value_kind:     hidden_global_offset_y
      - .offset:         120
        .size:           8
        .value_kind:     hidden_global_offset_z
      - .offset:         128
        .size:           2
        .value_kind:     hidden_grid_dims
    .group_segment_fixed_size: 4112
    .kernarg_segment_align: 8
    .kernarg_segment_size: 320
    .language:       OpenCL C
    .language_version:
      - 2
      - 0
    .max_flat_workgroup_size: 1024
    .name:           _ZN7rocprim17ROCPRIM_400000_NS6detail17trampoline_kernelINS0_14default_configENS1_38merge_sort_block_merge_config_selectorIiiEEZZNS1_27merge_sort_block_merge_implIS3_N6thrust23THRUST_200600_302600_NS6detail15normal_iteratorINS8_10device_ptrIiEEEESD_jNS1_19radix_merge_compareILb0ELb0EiNS0_19identity_decomposerEEEEE10hipError_tT0_T1_T2_jT3_P12ihipStream_tbPNSt15iterator_traitsISI_E10value_typeEPNSO_ISJ_E10value_typeEPSK_NS1_7vsmem_tEENKUlT_SI_SJ_SK_E_clISD_PiSD_S10_EESH_SX_SI_SJ_SK_EUlSX_E0_NS1_11comp_targetILNS1_3genE8ELNS1_11target_archE1030ELNS1_3gpuE2ELNS1_3repE0EEENS1_38merge_mergepath_config_static_selectorELNS0_4arch9wavefront6targetE0EEEvSJ_
    .private_segment_fixed_size: 0
    .sgpr_count:     27
    .sgpr_spill_count: 0
    .symbol:         _ZN7rocprim17ROCPRIM_400000_NS6detail17trampoline_kernelINS0_14default_configENS1_38merge_sort_block_merge_config_selectorIiiEEZZNS1_27merge_sort_block_merge_implIS3_N6thrust23THRUST_200600_302600_NS6detail15normal_iteratorINS8_10device_ptrIiEEEESD_jNS1_19radix_merge_compareILb0ELb0EiNS0_19identity_decomposerEEEEE10hipError_tT0_T1_T2_jT3_P12ihipStream_tbPNSt15iterator_traitsISI_E10value_typeEPNSO_ISJ_E10value_typeEPSK_NS1_7vsmem_tEENKUlT_SI_SJ_SK_E_clISD_PiSD_S10_EESH_SX_SI_SJ_SK_EUlSX_E0_NS1_11comp_targetILNS1_3genE8ELNS1_11target_archE1030ELNS1_3gpuE2ELNS1_3repE0EEENS1_38merge_mergepath_config_static_selectorELNS0_4arch9wavefront6targetE0EEEvSJ_.kd
    .uniform_work_group_size: 1
    .uses_dynamic_stack: false
    .vgpr_count:     13
    .vgpr_spill_count: 0
    .wavefront_size: 32
    .workgroup_processor_mode: 1
  - .args:
      - .offset:         0
        .size:           48
        .value_kind:     by_value
    .group_segment_fixed_size: 0
    .kernarg_segment_align: 8
    .kernarg_segment_size: 48
    .language:       OpenCL C
    .language_version:
      - 2
      - 0
    .max_flat_workgroup_size: 256
    .name:           _ZN7rocprim17ROCPRIM_400000_NS6detail17trampoline_kernelINS0_14default_configENS1_38merge_sort_block_merge_config_selectorIiiEEZZNS1_27merge_sort_block_merge_implIS3_N6thrust23THRUST_200600_302600_NS6detail15normal_iteratorINS8_10device_ptrIiEEEESD_jNS1_19radix_merge_compareILb0ELb0EiNS0_19identity_decomposerEEEEE10hipError_tT0_T1_T2_jT3_P12ihipStream_tbPNSt15iterator_traitsISI_E10value_typeEPNSO_ISJ_E10value_typeEPSK_NS1_7vsmem_tEENKUlT_SI_SJ_SK_E_clISD_PiSD_S10_EESH_SX_SI_SJ_SK_EUlSX_E1_NS1_11comp_targetILNS1_3genE0ELNS1_11target_archE4294967295ELNS1_3gpuE0ELNS1_3repE0EEENS1_36merge_oddeven_config_static_selectorELNS0_4arch9wavefront6targetE0EEEvSJ_
    .private_segment_fixed_size: 0
    .sgpr_count:     0
    .sgpr_spill_count: 0
    .symbol:         _ZN7rocprim17ROCPRIM_400000_NS6detail17trampoline_kernelINS0_14default_configENS1_38merge_sort_block_merge_config_selectorIiiEEZZNS1_27merge_sort_block_merge_implIS3_N6thrust23THRUST_200600_302600_NS6detail15normal_iteratorINS8_10device_ptrIiEEEESD_jNS1_19radix_merge_compareILb0ELb0EiNS0_19identity_decomposerEEEEE10hipError_tT0_T1_T2_jT3_P12ihipStream_tbPNSt15iterator_traitsISI_E10value_typeEPNSO_ISJ_E10value_typeEPSK_NS1_7vsmem_tEENKUlT_SI_SJ_SK_E_clISD_PiSD_S10_EESH_SX_SI_SJ_SK_EUlSX_E1_NS1_11comp_targetILNS1_3genE0ELNS1_11target_archE4294967295ELNS1_3gpuE0ELNS1_3repE0EEENS1_36merge_oddeven_config_static_selectorELNS0_4arch9wavefront6targetE0EEEvSJ_.kd
    .uniform_work_group_size: 1
    .uses_dynamic_stack: false
    .vgpr_count:     0
    .vgpr_spill_count: 0
    .wavefront_size: 32
    .workgroup_processor_mode: 1
  - .args:
      - .offset:         0
        .size:           48
        .value_kind:     by_value
    .group_segment_fixed_size: 0
    .kernarg_segment_align: 8
    .kernarg_segment_size: 48
    .language:       OpenCL C
    .language_version:
      - 2
      - 0
    .max_flat_workgroup_size: 256
    .name:           _ZN7rocprim17ROCPRIM_400000_NS6detail17trampoline_kernelINS0_14default_configENS1_38merge_sort_block_merge_config_selectorIiiEEZZNS1_27merge_sort_block_merge_implIS3_N6thrust23THRUST_200600_302600_NS6detail15normal_iteratorINS8_10device_ptrIiEEEESD_jNS1_19radix_merge_compareILb0ELb0EiNS0_19identity_decomposerEEEEE10hipError_tT0_T1_T2_jT3_P12ihipStream_tbPNSt15iterator_traitsISI_E10value_typeEPNSO_ISJ_E10value_typeEPSK_NS1_7vsmem_tEENKUlT_SI_SJ_SK_E_clISD_PiSD_S10_EESH_SX_SI_SJ_SK_EUlSX_E1_NS1_11comp_targetILNS1_3genE10ELNS1_11target_archE1201ELNS1_3gpuE5ELNS1_3repE0EEENS1_36merge_oddeven_config_static_selectorELNS0_4arch9wavefront6targetE0EEEvSJ_
    .private_segment_fixed_size: 0
    .sgpr_count:     0
    .sgpr_spill_count: 0
    .symbol:         _ZN7rocprim17ROCPRIM_400000_NS6detail17trampoline_kernelINS0_14default_configENS1_38merge_sort_block_merge_config_selectorIiiEEZZNS1_27merge_sort_block_merge_implIS3_N6thrust23THRUST_200600_302600_NS6detail15normal_iteratorINS8_10device_ptrIiEEEESD_jNS1_19radix_merge_compareILb0ELb0EiNS0_19identity_decomposerEEEEE10hipError_tT0_T1_T2_jT3_P12ihipStream_tbPNSt15iterator_traitsISI_E10value_typeEPNSO_ISJ_E10value_typeEPSK_NS1_7vsmem_tEENKUlT_SI_SJ_SK_E_clISD_PiSD_S10_EESH_SX_SI_SJ_SK_EUlSX_E1_NS1_11comp_targetILNS1_3genE10ELNS1_11target_archE1201ELNS1_3gpuE5ELNS1_3repE0EEENS1_36merge_oddeven_config_static_selectorELNS0_4arch9wavefront6targetE0EEEvSJ_.kd
    .uniform_work_group_size: 1
    .uses_dynamic_stack: false
    .vgpr_count:     0
    .vgpr_spill_count: 0
    .wavefront_size: 32
    .workgroup_processor_mode: 1
  - .args:
      - .offset:         0
        .size:           48
        .value_kind:     by_value
    .group_segment_fixed_size: 0
    .kernarg_segment_align: 8
    .kernarg_segment_size: 48
    .language:       OpenCL C
    .language_version:
      - 2
      - 0
    .max_flat_workgroup_size: 256
    .name:           _ZN7rocprim17ROCPRIM_400000_NS6detail17trampoline_kernelINS0_14default_configENS1_38merge_sort_block_merge_config_selectorIiiEEZZNS1_27merge_sort_block_merge_implIS3_N6thrust23THRUST_200600_302600_NS6detail15normal_iteratorINS8_10device_ptrIiEEEESD_jNS1_19radix_merge_compareILb0ELb0EiNS0_19identity_decomposerEEEEE10hipError_tT0_T1_T2_jT3_P12ihipStream_tbPNSt15iterator_traitsISI_E10value_typeEPNSO_ISJ_E10value_typeEPSK_NS1_7vsmem_tEENKUlT_SI_SJ_SK_E_clISD_PiSD_S10_EESH_SX_SI_SJ_SK_EUlSX_E1_NS1_11comp_targetILNS1_3genE5ELNS1_11target_archE942ELNS1_3gpuE9ELNS1_3repE0EEENS1_36merge_oddeven_config_static_selectorELNS0_4arch9wavefront6targetE0EEEvSJ_
    .private_segment_fixed_size: 0
    .sgpr_count:     0
    .sgpr_spill_count: 0
    .symbol:         _ZN7rocprim17ROCPRIM_400000_NS6detail17trampoline_kernelINS0_14default_configENS1_38merge_sort_block_merge_config_selectorIiiEEZZNS1_27merge_sort_block_merge_implIS3_N6thrust23THRUST_200600_302600_NS6detail15normal_iteratorINS8_10device_ptrIiEEEESD_jNS1_19radix_merge_compareILb0ELb0EiNS0_19identity_decomposerEEEEE10hipError_tT0_T1_T2_jT3_P12ihipStream_tbPNSt15iterator_traitsISI_E10value_typeEPNSO_ISJ_E10value_typeEPSK_NS1_7vsmem_tEENKUlT_SI_SJ_SK_E_clISD_PiSD_S10_EESH_SX_SI_SJ_SK_EUlSX_E1_NS1_11comp_targetILNS1_3genE5ELNS1_11target_archE942ELNS1_3gpuE9ELNS1_3repE0EEENS1_36merge_oddeven_config_static_selectorELNS0_4arch9wavefront6targetE0EEEvSJ_.kd
    .uniform_work_group_size: 1
    .uses_dynamic_stack: false
    .vgpr_count:     0
    .vgpr_spill_count: 0
    .wavefront_size: 32
    .workgroup_processor_mode: 1
  - .args:
      - .offset:         0
        .size:           48
        .value_kind:     by_value
    .group_segment_fixed_size: 0
    .kernarg_segment_align: 8
    .kernarg_segment_size: 48
    .language:       OpenCL C
    .language_version:
      - 2
      - 0
    .max_flat_workgroup_size: 256
    .name:           _ZN7rocprim17ROCPRIM_400000_NS6detail17trampoline_kernelINS0_14default_configENS1_38merge_sort_block_merge_config_selectorIiiEEZZNS1_27merge_sort_block_merge_implIS3_N6thrust23THRUST_200600_302600_NS6detail15normal_iteratorINS8_10device_ptrIiEEEESD_jNS1_19radix_merge_compareILb0ELb0EiNS0_19identity_decomposerEEEEE10hipError_tT0_T1_T2_jT3_P12ihipStream_tbPNSt15iterator_traitsISI_E10value_typeEPNSO_ISJ_E10value_typeEPSK_NS1_7vsmem_tEENKUlT_SI_SJ_SK_E_clISD_PiSD_S10_EESH_SX_SI_SJ_SK_EUlSX_E1_NS1_11comp_targetILNS1_3genE4ELNS1_11target_archE910ELNS1_3gpuE8ELNS1_3repE0EEENS1_36merge_oddeven_config_static_selectorELNS0_4arch9wavefront6targetE0EEEvSJ_
    .private_segment_fixed_size: 0
    .sgpr_count:     0
    .sgpr_spill_count: 0
    .symbol:         _ZN7rocprim17ROCPRIM_400000_NS6detail17trampoline_kernelINS0_14default_configENS1_38merge_sort_block_merge_config_selectorIiiEEZZNS1_27merge_sort_block_merge_implIS3_N6thrust23THRUST_200600_302600_NS6detail15normal_iteratorINS8_10device_ptrIiEEEESD_jNS1_19radix_merge_compareILb0ELb0EiNS0_19identity_decomposerEEEEE10hipError_tT0_T1_T2_jT3_P12ihipStream_tbPNSt15iterator_traitsISI_E10value_typeEPNSO_ISJ_E10value_typeEPSK_NS1_7vsmem_tEENKUlT_SI_SJ_SK_E_clISD_PiSD_S10_EESH_SX_SI_SJ_SK_EUlSX_E1_NS1_11comp_targetILNS1_3genE4ELNS1_11target_archE910ELNS1_3gpuE8ELNS1_3repE0EEENS1_36merge_oddeven_config_static_selectorELNS0_4arch9wavefront6targetE0EEEvSJ_.kd
    .uniform_work_group_size: 1
    .uses_dynamic_stack: false
    .vgpr_count:     0
    .vgpr_spill_count: 0
    .wavefront_size: 32
    .workgroup_processor_mode: 1
  - .args:
      - .offset:         0
        .size:           48
        .value_kind:     by_value
    .group_segment_fixed_size: 0
    .kernarg_segment_align: 8
    .kernarg_segment_size: 48
    .language:       OpenCL C
    .language_version:
      - 2
      - 0
    .max_flat_workgroup_size: 256
    .name:           _ZN7rocprim17ROCPRIM_400000_NS6detail17trampoline_kernelINS0_14default_configENS1_38merge_sort_block_merge_config_selectorIiiEEZZNS1_27merge_sort_block_merge_implIS3_N6thrust23THRUST_200600_302600_NS6detail15normal_iteratorINS8_10device_ptrIiEEEESD_jNS1_19radix_merge_compareILb0ELb0EiNS0_19identity_decomposerEEEEE10hipError_tT0_T1_T2_jT3_P12ihipStream_tbPNSt15iterator_traitsISI_E10value_typeEPNSO_ISJ_E10value_typeEPSK_NS1_7vsmem_tEENKUlT_SI_SJ_SK_E_clISD_PiSD_S10_EESH_SX_SI_SJ_SK_EUlSX_E1_NS1_11comp_targetILNS1_3genE3ELNS1_11target_archE908ELNS1_3gpuE7ELNS1_3repE0EEENS1_36merge_oddeven_config_static_selectorELNS0_4arch9wavefront6targetE0EEEvSJ_
    .private_segment_fixed_size: 0
    .sgpr_count:     0
    .sgpr_spill_count: 0
    .symbol:         _ZN7rocprim17ROCPRIM_400000_NS6detail17trampoline_kernelINS0_14default_configENS1_38merge_sort_block_merge_config_selectorIiiEEZZNS1_27merge_sort_block_merge_implIS3_N6thrust23THRUST_200600_302600_NS6detail15normal_iteratorINS8_10device_ptrIiEEEESD_jNS1_19radix_merge_compareILb0ELb0EiNS0_19identity_decomposerEEEEE10hipError_tT0_T1_T2_jT3_P12ihipStream_tbPNSt15iterator_traitsISI_E10value_typeEPNSO_ISJ_E10value_typeEPSK_NS1_7vsmem_tEENKUlT_SI_SJ_SK_E_clISD_PiSD_S10_EESH_SX_SI_SJ_SK_EUlSX_E1_NS1_11comp_targetILNS1_3genE3ELNS1_11target_archE908ELNS1_3gpuE7ELNS1_3repE0EEENS1_36merge_oddeven_config_static_selectorELNS0_4arch9wavefront6targetE0EEEvSJ_.kd
    .uniform_work_group_size: 1
    .uses_dynamic_stack: false
    .vgpr_count:     0
    .vgpr_spill_count: 0
    .wavefront_size: 32
    .workgroup_processor_mode: 1
  - .args:
      - .offset:         0
        .size:           48
        .value_kind:     by_value
    .group_segment_fixed_size: 0
    .kernarg_segment_align: 8
    .kernarg_segment_size: 48
    .language:       OpenCL C
    .language_version:
      - 2
      - 0
    .max_flat_workgroup_size: 256
    .name:           _ZN7rocprim17ROCPRIM_400000_NS6detail17trampoline_kernelINS0_14default_configENS1_38merge_sort_block_merge_config_selectorIiiEEZZNS1_27merge_sort_block_merge_implIS3_N6thrust23THRUST_200600_302600_NS6detail15normal_iteratorINS8_10device_ptrIiEEEESD_jNS1_19radix_merge_compareILb0ELb0EiNS0_19identity_decomposerEEEEE10hipError_tT0_T1_T2_jT3_P12ihipStream_tbPNSt15iterator_traitsISI_E10value_typeEPNSO_ISJ_E10value_typeEPSK_NS1_7vsmem_tEENKUlT_SI_SJ_SK_E_clISD_PiSD_S10_EESH_SX_SI_SJ_SK_EUlSX_E1_NS1_11comp_targetILNS1_3genE2ELNS1_11target_archE906ELNS1_3gpuE6ELNS1_3repE0EEENS1_36merge_oddeven_config_static_selectorELNS0_4arch9wavefront6targetE0EEEvSJ_
    .private_segment_fixed_size: 0
    .sgpr_count:     0
    .sgpr_spill_count: 0
    .symbol:         _ZN7rocprim17ROCPRIM_400000_NS6detail17trampoline_kernelINS0_14default_configENS1_38merge_sort_block_merge_config_selectorIiiEEZZNS1_27merge_sort_block_merge_implIS3_N6thrust23THRUST_200600_302600_NS6detail15normal_iteratorINS8_10device_ptrIiEEEESD_jNS1_19radix_merge_compareILb0ELb0EiNS0_19identity_decomposerEEEEE10hipError_tT0_T1_T2_jT3_P12ihipStream_tbPNSt15iterator_traitsISI_E10value_typeEPNSO_ISJ_E10value_typeEPSK_NS1_7vsmem_tEENKUlT_SI_SJ_SK_E_clISD_PiSD_S10_EESH_SX_SI_SJ_SK_EUlSX_E1_NS1_11comp_targetILNS1_3genE2ELNS1_11target_archE906ELNS1_3gpuE6ELNS1_3repE0EEENS1_36merge_oddeven_config_static_selectorELNS0_4arch9wavefront6targetE0EEEvSJ_.kd
    .uniform_work_group_size: 1
    .uses_dynamic_stack: false
    .vgpr_count:     0
    .vgpr_spill_count: 0
    .wavefront_size: 32
    .workgroup_processor_mode: 1
  - .args:
      - .offset:         0
        .size:           48
        .value_kind:     by_value
    .group_segment_fixed_size: 0
    .kernarg_segment_align: 8
    .kernarg_segment_size: 48
    .language:       OpenCL C
    .language_version:
      - 2
      - 0
    .max_flat_workgroup_size: 256
    .name:           _ZN7rocprim17ROCPRIM_400000_NS6detail17trampoline_kernelINS0_14default_configENS1_38merge_sort_block_merge_config_selectorIiiEEZZNS1_27merge_sort_block_merge_implIS3_N6thrust23THRUST_200600_302600_NS6detail15normal_iteratorINS8_10device_ptrIiEEEESD_jNS1_19radix_merge_compareILb0ELb0EiNS0_19identity_decomposerEEEEE10hipError_tT0_T1_T2_jT3_P12ihipStream_tbPNSt15iterator_traitsISI_E10value_typeEPNSO_ISJ_E10value_typeEPSK_NS1_7vsmem_tEENKUlT_SI_SJ_SK_E_clISD_PiSD_S10_EESH_SX_SI_SJ_SK_EUlSX_E1_NS1_11comp_targetILNS1_3genE9ELNS1_11target_archE1100ELNS1_3gpuE3ELNS1_3repE0EEENS1_36merge_oddeven_config_static_selectorELNS0_4arch9wavefront6targetE0EEEvSJ_
    .private_segment_fixed_size: 0
    .sgpr_count:     0
    .sgpr_spill_count: 0
    .symbol:         _ZN7rocprim17ROCPRIM_400000_NS6detail17trampoline_kernelINS0_14default_configENS1_38merge_sort_block_merge_config_selectorIiiEEZZNS1_27merge_sort_block_merge_implIS3_N6thrust23THRUST_200600_302600_NS6detail15normal_iteratorINS8_10device_ptrIiEEEESD_jNS1_19radix_merge_compareILb0ELb0EiNS0_19identity_decomposerEEEEE10hipError_tT0_T1_T2_jT3_P12ihipStream_tbPNSt15iterator_traitsISI_E10value_typeEPNSO_ISJ_E10value_typeEPSK_NS1_7vsmem_tEENKUlT_SI_SJ_SK_E_clISD_PiSD_S10_EESH_SX_SI_SJ_SK_EUlSX_E1_NS1_11comp_targetILNS1_3genE9ELNS1_11target_archE1100ELNS1_3gpuE3ELNS1_3repE0EEENS1_36merge_oddeven_config_static_selectorELNS0_4arch9wavefront6targetE0EEEvSJ_.kd
    .uniform_work_group_size: 1
    .uses_dynamic_stack: false
    .vgpr_count:     0
    .vgpr_spill_count: 0
    .wavefront_size: 32
    .workgroup_processor_mode: 1
  - .args:
      - .offset:         0
        .size:           48
        .value_kind:     by_value
    .group_segment_fixed_size: 0
    .kernarg_segment_align: 8
    .kernarg_segment_size: 48
    .language:       OpenCL C
    .language_version:
      - 2
      - 0
    .max_flat_workgroup_size: 256
    .name:           _ZN7rocprim17ROCPRIM_400000_NS6detail17trampoline_kernelINS0_14default_configENS1_38merge_sort_block_merge_config_selectorIiiEEZZNS1_27merge_sort_block_merge_implIS3_N6thrust23THRUST_200600_302600_NS6detail15normal_iteratorINS8_10device_ptrIiEEEESD_jNS1_19radix_merge_compareILb0ELb0EiNS0_19identity_decomposerEEEEE10hipError_tT0_T1_T2_jT3_P12ihipStream_tbPNSt15iterator_traitsISI_E10value_typeEPNSO_ISJ_E10value_typeEPSK_NS1_7vsmem_tEENKUlT_SI_SJ_SK_E_clISD_PiSD_S10_EESH_SX_SI_SJ_SK_EUlSX_E1_NS1_11comp_targetILNS1_3genE8ELNS1_11target_archE1030ELNS1_3gpuE2ELNS1_3repE0EEENS1_36merge_oddeven_config_static_selectorELNS0_4arch9wavefront6targetE0EEEvSJ_
    .private_segment_fixed_size: 0
    .sgpr_count:     24
    .sgpr_spill_count: 0
    .symbol:         _ZN7rocprim17ROCPRIM_400000_NS6detail17trampoline_kernelINS0_14default_configENS1_38merge_sort_block_merge_config_selectorIiiEEZZNS1_27merge_sort_block_merge_implIS3_N6thrust23THRUST_200600_302600_NS6detail15normal_iteratorINS8_10device_ptrIiEEEESD_jNS1_19radix_merge_compareILb0ELb0EiNS0_19identity_decomposerEEEEE10hipError_tT0_T1_T2_jT3_P12ihipStream_tbPNSt15iterator_traitsISI_E10value_typeEPNSO_ISJ_E10value_typeEPSK_NS1_7vsmem_tEENKUlT_SI_SJ_SK_E_clISD_PiSD_S10_EESH_SX_SI_SJ_SK_EUlSX_E1_NS1_11comp_targetILNS1_3genE8ELNS1_11target_archE1030ELNS1_3gpuE2ELNS1_3repE0EEENS1_36merge_oddeven_config_static_selectorELNS0_4arch9wavefront6targetE0EEEvSJ_.kd
    .uniform_work_group_size: 1
    .uses_dynamic_stack: false
    .vgpr_count:     9
    .vgpr_spill_count: 0
    .wavefront_size: 32
    .workgroup_processor_mode: 1
  - .args:
      - .offset:         0
        .size:           40
        .value_kind:     by_value
    .group_segment_fixed_size: 0
    .kernarg_segment_align: 8
    .kernarg_segment_size: 40
    .language:       OpenCL C
    .language_version:
      - 2
      - 0
    .max_flat_workgroup_size: 128
    .name:           _ZN7rocprim17ROCPRIM_400000_NS6detail17trampoline_kernelINS0_14default_configENS1_38merge_sort_block_merge_config_selectorIiiEEZZNS1_27merge_sort_block_merge_implIS3_N6thrust23THRUST_200600_302600_NS6detail15normal_iteratorINS8_10device_ptrIiEEEESD_jNS1_19radix_merge_compareILb0ELb1EiNS0_19identity_decomposerEEEEE10hipError_tT0_T1_T2_jT3_P12ihipStream_tbPNSt15iterator_traitsISI_E10value_typeEPNSO_ISJ_E10value_typeEPSK_NS1_7vsmem_tEENKUlT_SI_SJ_SK_E_clIPiSD_S10_SD_EESH_SX_SI_SJ_SK_EUlSX_E_NS1_11comp_targetILNS1_3genE0ELNS1_11target_archE4294967295ELNS1_3gpuE0ELNS1_3repE0EEENS1_48merge_mergepath_partition_config_static_selectorELNS0_4arch9wavefront6targetE0EEEvSJ_
    .private_segment_fixed_size: 0
    .sgpr_count:     0
    .sgpr_spill_count: 0
    .symbol:         _ZN7rocprim17ROCPRIM_400000_NS6detail17trampoline_kernelINS0_14default_configENS1_38merge_sort_block_merge_config_selectorIiiEEZZNS1_27merge_sort_block_merge_implIS3_N6thrust23THRUST_200600_302600_NS6detail15normal_iteratorINS8_10device_ptrIiEEEESD_jNS1_19radix_merge_compareILb0ELb1EiNS0_19identity_decomposerEEEEE10hipError_tT0_T1_T2_jT3_P12ihipStream_tbPNSt15iterator_traitsISI_E10value_typeEPNSO_ISJ_E10value_typeEPSK_NS1_7vsmem_tEENKUlT_SI_SJ_SK_E_clIPiSD_S10_SD_EESH_SX_SI_SJ_SK_EUlSX_E_NS1_11comp_targetILNS1_3genE0ELNS1_11target_archE4294967295ELNS1_3gpuE0ELNS1_3repE0EEENS1_48merge_mergepath_partition_config_static_selectorELNS0_4arch9wavefront6targetE0EEEvSJ_.kd
    .uniform_work_group_size: 1
    .uses_dynamic_stack: false
    .vgpr_count:     0
    .vgpr_spill_count: 0
    .wavefront_size: 32
    .workgroup_processor_mode: 1
  - .args:
      - .offset:         0
        .size:           40
        .value_kind:     by_value
    .group_segment_fixed_size: 0
    .kernarg_segment_align: 8
    .kernarg_segment_size: 40
    .language:       OpenCL C
    .language_version:
      - 2
      - 0
    .max_flat_workgroup_size: 128
    .name:           _ZN7rocprim17ROCPRIM_400000_NS6detail17trampoline_kernelINS0_14default_configENS1_38merge_sort_block_merge_config_selectorIiiEEZZNS1_27merge_sort_block_merge_implIS3_N6thrust23THRUST_200600_302600_NS6detail15normal_iteratorINS8_10device_ptrIiEEEESD_jNS1_19radix_merge_compareILb0ELb1EiNS0_19identity_decomposerEEEEE10hipError_tT0_T1_T2_jT3_P12ihipStream_tbPNSt15iterator_traitsISI_E10value_typeEPNSO_ISJ_E10value_typeEPSK_NS1_7vsmem_tEENKUlT_SI_SJ_SK_E_clIPiSD_S10_SD_EESH_SX_SI_SJ_SK_EUlSX_E_NS1_11comp_targetILNS1_3genE10ELNS1_11target_archE1201ELNS1_3gpuE5ELNS1_3repE0EEENS1_48merge_mergepath_partition_config_static_selectorELNS0_4arch9wavefront6targetE0EEEvSJ_
    .private_segment_fixed_size: 0
    .sgpr_count:     0
    .sgpr_spill_count: 0
    .symbol:         _ZN7rocprim17ROCPRIM_400000_NS6detail17trampoline_kernelINS0_14default_configENS1_38merge_sort_block_merge_config_selectorIiiEEZZNS1_27merge_sort_block_merge_implIS3_N6thrust23THRUST_200600_302600_NS6detail15normal_iteratorINS8_10device_ptrIiEEEESD_jNS1_19radix_merge_compareILb0ELb1EiNS0_19identity_decomposerEEEEE10hipError_tT0_T1_T2_jT3_P12ihipStream_tbPNSt15iterator_traitsISI_E10value_typeEPNSO_ISJ_E10value_typeEPSK_NS1_7vsmem_tEENKUlT_SI_SJ_SK_E_clIPiSD_S10_SD_EESH_SX_SI_SJ_SK_EUlSX_E_NS1_11comp_targetILNS1_3genE10ELNS1_11target_archE1201ELNS1_3gpuE5ELNS1_3repE0EEENS1_48merge_mergepath_partition_config_static_selectorELNS0_4arch9wavefront6targetE0EEEvSJ_.kd
    .uniform_work_group_size: 1
    .uses_dynamic_stack: false
    .vgpr_count:     0
    .vgpr_spill_count: 0
    .wavefront_size: 32
    .workgroup_processor_mode: 1
  - .args:
      - .offset:         0
        .size:           40
        .value_kind:     by_value
    .group_segment_fixed_size: 0
    .kernarg_segment_align: 8
    .kernarg_segment_size: 40
    .language:       OpenCL C
    .language_version:
      - 2
      - 0
    .max_flat_workgroup_size: 128
    .name:           _ZN7rocprim17ROCPRIM_400000_NS6detail17trampoline_kernelINS0_14default_configENS1_38merge_sort_block_merge_config_selectorIiiEEZZNS1_27merge_sort_block_merge_implIS3_N6thrust23THRUST_200600_302600_NS6detail15normal_iteratorINS8_10device_ptrIiEEEESD_jNS1_19radix_merge_compareILb0ELb1EiNS0_19identity_decomposerEEEEE10hipError_tT0_T1_T2_jT3_P12ihipStream_tbPNSt15iterator_traitsISI_E10value_typeEPNSO_ISJ_E10value_typeEPSK_NS1_7vsmem_tEENKUlT_SI_SJ_SK_E_clIPiSD_S10_SD_EESH_SX_SI_SJ_SK_EUlSX_E_NS1_11comp_targetILNS1_3genE5ELNS1_11target_archE942ELNS1_3gpuE9ELNS1_3repE0EEENS1_48merge_mergepath_partition_config_static_selectorELNS0_4arch9wavefront6targetE0EEEvSJ_
    .private_segment_fixed_size: 0
    .sgpr_count:     0
    .sgpr_spill_count: 0
    .symbol:         _ZN7rocprim17ROCPRIM_400000_NS6detail17trampoline_kernelINS0_14default_configENS1_38merge_sort_block_merge_config_selectorIiiEEZZNS1_27merge_sort_block_merge_implIS3_N6thrust23THRUST_200600_302600_NS6detail15normal_iteratorINS8_10device_ptrIiEEEESD_jNS1_19radix_merge_compareILb0ELb1EiNS0_19identity_decomposerEEEEE10hipError_tT0_T1_T2_jT3_P12ihipStream_tbPNSt15iterator_traitsISI_E10value_typeEPNSO_ISJ_E10value_typeEPSK_NS1_7vsmem_tEENKUlT_SI_SJ_SK_E_clIPiSD_S10_SD_EESH_SX_SI_SJ_SK_EUlSX_E_NS1_11comp_targetILNS1_3genE5ELNS1_11target_archE942ELNS1_3gpuE9ELNS1_3repE0EEENS1_48merge_mergepath_partition_config_static_selectorELNS0_4arch9wavefront6targetE0EEEvSJ_.kd
    .uniform_work_group_size: 1
    .uses_dynamic_stack: false
    .vgpr_count:     0
    .vgpr_spill_count: 0
    .wavefront_size: 32
    .workgroup_processor_mode: 1
  - .args:
      - .offset:         0
        .size:           40
        .value_kind:     by_value
    .group_segment_fixed_size: 0
    .kernarg_segment_align: 8
    .kernarg_segment_size: 40
    .language:       OpenCL C
    .language_version:
      - 2
      - 0
    .max_flat_workgroup_size: 128
    .name:           _ZN7rocprim17ROCPRIM_400000_NS6detail17trampoline_kernelINS0_14default_configENS1_38merge_sort_block_merge_config_selectorIiiEEZZNS1_27merge_sort_block_merge_implIS3_N6thrust23THRUST_200600_302600_NS6detail15normal_iteratorINS8_10device_ptrIiEEEESD_jNS1_19radix_merge_compareILb0ELb1EiNS0_19identity_decomposerEEEEE10hipError_tT0_T1_T2_jT3_P12ihipStream_tbPNSt15iterator_traitsISI_E10value_typeEPNSO_ISJ_E10value_typeEPSK_NS1_7vsmem_tEENKUlT_SI_SJ_SK_E_clIPiSD_S10_SD_EESH_SX_SI_SJ_SK_EUlSX_E_NS1_11comp_targetILNS1_3genE4ELNS1_11target_archE910ELNS1_3gpuE8ELNS1_3repE0EEENS1_48merge_mergepath_partition_config_static_selectorELNS0_4arch9wavefront6targetE0EEEvSJ_
    .private_segment_fixed_size: 0
    .sgpr_count:     0
    .sgpr_spill_count: 0
    .symbol:         _ZN7rocprim17ROCPRIM_400000_NS6detail17trampoline_kernelINS0_14default_configENS1_38merge_sort_block_merge_config_selectorIiiEEZZNS1_27merge_sort_block_merge_implIS3_N6thrust23THRUST_200600_302600_NS6detail15normal_iteratorINS8_10device_ptrIiEEEESD_jNS1_19radix_merge_compareILb0ELb1EiNS0_19identity_decomposerEEEEE10hipError_tT0_T1_T2_jT3_P12ihipStream_tbPNSt15iterator_traitsISI_E10value_typeEPNSO_ISJ_E10value_typeEPSK_NS1_7vsmem_tEENKUlT_SI_SJ_SK_E_clIPiSD_S10_SD_EESH_SX_SI_SJ_SK_EUlSX_E_NS1_11comp_targetILNS1_3genE4ELNS1_11target_archE910ELNS1_3gpuE8ELNS1_3repE0EEENS1_48merge_mergepath_partition_config_static_selectorELNS0_4arch9wavefront6targetE0EEEvSJ_.kd
    .uniform_work_group_size: 1
    .uses_dynamic_stack: false
    .vgpr_count:     0
    .vgpr_spill_count: 0
    .wavefront_size: 32
    .workgroup_processor_mode: 1
  - .args:
      - .offset:         0
        .size:           40
        .value_kind:     by_value
    .group_segment_fixed_size: 0
    .kernarg_segment_align: 8
    .kernarg_segment_size: 40
    .language:       OpenCL C
    .language_version:
      - 2
      - 0
    .max_flat_workgroup_size: 128
    .name:           _ZN7rocprim17ROCPRIM_400000_NS6detail17trampoline_kernelINS0_14default_configENS1_38merge_sort_block_merge_config_selectorIiiEEZZNS1_27merge_sort_block_merge_implIS3_N6thrust23THRUST_200600_302600_NS6detail15normal_iteratorINS8_10device_ptrIiEEEESD_jNS1_19radix_merge_compareILb0ELb1EiNS0_19identity_decomposerEEEEE10hipError_tT0_T1_T2_jT3_P12ihipStream_tbPNSt15iterator_traitsISI_E10value_typeEPNSO_ISJ_E10value_typeEPSK_NS1_7vsmem_tEENKUlT_SI_SJ_SK_E_clIPiSD_S10_SD_EESH_SX_SI_SJ_SK_EUlSX_E_NS1_11comp_targetILNS1_3genE3ELNS1_11target_archE908ELNS1_3gpuE7ELNS1_3repE0EEENS1_48merge_mergepath_partition_config_static_selectorELNS0_4arch9wavefront6targetE0EEEvSJ_
    .private_segment_fixed_size: 0
    .sgpr_count:     0
    .sgpr_spill_count: 0
    .symbol:         _ZN7rocprim17ROCPRIM_400000_NS6detail17trampoline_kernelINS0_14default_configENS1_38merge_sort_block_merge_config_selectorIiiEEZZNS1_27merge_sort_block_merge_implIS3_N6thrust23THRUST_200600_302600_NS6detail15normal_iteratorINS8_10device_ptrIiEEEESD_jNS1_19radix_merge_compareILb0ELb1EiNS0_19identity_decomposerEEEEE10hipError_tT0_T1_T2_jT3_P12ihipStream_tbPNSt15iterator_traitsISI_E10value_typeEPNSO_ISJ_E10value_typeEPSK_NS1_7vsmem_tEENKUlT_SI_SJ_SK_E_clIPiSD_S10_SD_EESH_SX_SI_SJ_SK_EUlSX_E_NS1_11comp_targetILNS1_3genE3ELNS1_11target_archE908ELNS1_3gpuE7ELNS1_3repE0EEENS1_48merge_mergepath_partition_config_static_selectorELNS0_4arch9wavefront6targetE0EEEvSJ_.kd
    .uniform_work_group_size: 1
    .uses_dynamic_stack: false
    .vgpr_count:     0
    .vgpr_spill_count: 0
    .wavefront_size: 32
    .workgroup_processor_mode: 1
  - .args:
      - .offset:         0
        .size:           40
        .value_kind:     by_value
    .group_segment_fixed_size: 0
    .kernarg_segment_align: 8
    .kernarg_segment_size: 40
    .language:       OpenCL C
    .language_version:
      - 2
      - 0
    .max_flat_workgroup_size: 128
    .name:           _ZN7rocprim17ROCPRIM_400000_NS6detail17trampoline_kernelINS0_14default_configENS1_38merge_sort_block_merge_config_selectorIiiEEZZNS1_27merge_sort_block_merge_implIS3_N6thrust23THRUST_200600_302600_NS6detail15normal_iteratorINS8_10device_ptrIiEEEESD_jNS1_19radix_merge_compareILb0ELb1EiNS0_19identity_decomposerEEEEE10hipError_tT0_T1_T2_jT3_P12ihipStream_tbPNSt15iterator_traitsISI_E10value_typeEPNSO_ISJ_E10value_typeEPSK_NS1_7vsmem_tEENKUlT_SI_SJ_SK_E_clIPiSD_S10_SD_EESH_SX_SI_SJ_SK_EUlSX_E_NS1_11comp_targetILNS1_3genE2ELNS1_11target_archE906ELNS1_3gpuE6ELNS1_3repE0EEENS1_48merge_mergepath_partition_config_static_selectorELNS0_4arch9wavefront6targetE0EEEvSJ_
    .private_segment_fixed_size: 0
    .sgpr_count:     0
    .sgpr_spill_count: 0
    .symbol:         _ZN7rocprim17ROCPRIM_400000_NS6detail17trampoline_kernelINS0_14default_configENS1_38merge_sort_block_merge_config_selectorIiiEEZZNS1_27merge_sort_block_merge_implIS3_N6thrust23THRUST_200600_302600_NS6detail15normal_iteratorINS8_10device_ptrIiEEEESD_jNS1_19radix_merge_compareILb0ELb1EiNS0_19identity_decomposerEEEEE10hipError_tT0_T1_T2_jT3_P12ihipStream_tbPNSt15iterator_traitsISI_E10value_typeEPNSO_ISJ_E10value_typeEPSK_NS1_7vsmem_tEENKUlT_SI_SJ_SK_E_clIPiSD_S10_SD_EESH_SX_SI_SJ_SK_EUlSX_E_NS1_11comp_targetILNS1_3genE2ELNS1_11target_archE906ELNS1_3gpuE6ELNS1_3repE0EEENS1_48merge_mergepath_partition_config_static_selectorELNS0_4arch9wavefront6targetE0EEEvSJ_.kd
    .uniform_work_group_size: 1
    .uses_dynamic_stack: false
    .vgpr_count:     0
    .vgpr_spill_count: 0
    .wavefront_size: 32
    .workgroup_processor_mode: 1
  - .args:
      - .offset:         0
        .size:           40
        .value_kind:     by_value
    .group_segment_fixed_size: 0
    .kernarg_segment_align: 8
    .kernarg_segment_size: 40
    .language:       OpenCL C
    .language_version:
      - 2
      - 0
    .max_flat_workgroup_size: 128
    .name:           _ZN7rocprim17ROCPRIM_400000_NS6detail17trampoline_kernelINS0_14default_configENS1_38merge_sort_block_merge_config_selectorIiiEEZZNS1_27merge_sort_block_merge_implIS3_N6thrust23THRUST_200600_302600_NS6detail15normal_iteratorINS8_10device_ptrIiEEEESD_jNS1_19radix_merge_compareILb0ELb1EiNS0_19identity_decomposerEEEEE10hipError_tT0_T1_T2_jT3_P12ihipStream_tbPNSt15iterator_traitsISI_E10value_typeEPNSO_ISJ_E10value_typeEPSK_NS1_7vsmem_tEENKUlT_SI_SJ_SK_E_clIPiSD_S10_SD_EESH_SX_SI_SJ_SK_EUlSX_E_NS1_11comp_targetILNS1_3genE9ELNS1_11target_archE1100ELNS1_3gpuE3ELNS1_3repE0EEENS1_48merge_mergepath_partition_config_static_selectorELNS0_4arch9wavefront6targetE0EEEvSJ_
    .private_segment_fixed_size: 0
    .sgpr_count:     0
    .sgpr_spill_count: 0
    .symbol:         _ZN7rocprim17ROCPRIM_400000_NS6detail17trampoline_kernelINS0_14default_configENS1_38merge_sort_block_merge_config_selectorIiiEEZZNS1_27merge_sort_block_merge_implIS3_N6thrust23THRUST_200600_302600_NS6detail15normal_iteratorINS8_10device_ptrIiEEEESD_jNS1_19radix_merge_compareILb0ELb1EiNS0_19identity_decomposerEEEEE10hipError_tT0_T1_T2_jT3_P12ihipStream_tbPNSt15iterator_traitsISI_E10value_typeEPNSO_ISJ_E10value_typeEPSK_NS1_7vsmem_tEENKUlT_SI_SJ_SK_E_clIPiSD_S10_SD_EESH_SX_SI_SJ_SK_EUlSX_E_NS1_11comp_targetILNS1_3genE9ELNS1_11target_archE1100ELNS1_3gpuE3ELNS1_3repE0EEENS1_48merge_mergepath_partition_config_static_selectorELNS0_4arch9wavefront6targetE0EEEvSJ_.kd
    .uniform_work_group_size: 1
    .uses_dynamic_stack: false
    .vgpr_count:     0
    .vgpr_spill_count: 0
    .wavefront_size: 32
    .workgroup_processor_mode: 1
  - .args:
      - .offset:         0
        .size:           40
        .value_kind:     by_value
    .group_segment_fixed_size: 0
    .kernarg_segment_align: 8
    .kernarg_segment_size: 40
    .language:       OpenCL C
    .language_version:
      - 2
      - 0
    .max_flat_workgroup_size: 128
    .name:           _ZN7rocprim17ROCPRIM_400000_NS6detail17trampoline_kernelINS0_14default_configENS1_38merge_sort_block_merge_config_selectorIiiEEZZNS1_27merge_sort_block_merge_implIS3_N6thrust23THRUST_200600_302600_NS6detail15normal_iteratorINS8_10device_ptrIiEEEESD_jNS1_19radix_merge_compareILb0ELb1EiNS0_19identity_decomposerEEEEE10hipError_tT0_T1_T2_jT3_P12ihipStream_tbPNSt15iterator_traitsISI_E10value_typeEPNSO_ISJ_E10value_typeEPSK_NS1_7vsmem_tEENKUlT_SI_SJ_SK_E_clIPiSD_S10_SD_EESH_SX_SI_SJ_SK_EUlSX_E_NS1_11comp_targetILNS1_3genE8ELNS1_11target_archE1030ELNS1_3gpuE2ELNS1_3repE0EEENS1_48merge_mergepath_partition_config_static_selectorELNS0_4arch9wavefront6targetE0EEEvSJ_
    .private_segment_fixed_size: 0
    .sgpr_count:     10
    .sgpr_spill_count: 0
    .symbol:         _ZN7rocprim17ROCPRIM_400000_NS6detail17trampoline_kernelINS0_14default_configENS1_38merge_sort_block_merge_config_selectorIiiEEZZNS1_27merge_sort_block_merge_implIS3_N6thrust23THRUST_200600_302600_NS6detail15normal_iteratorINS8_10device_ptrIiEEEESD_jNS1_19radix_merge_compareILb0ELb1EiNS0_19identity_decomposerEEEEE10hipError_tT0_T1_T2_jT3_P12ihipStream_tbPNSt15iterator_traitsISI_E10value_typeEPNSO_ISJ_E10value_typeEPSK_NS1_7vsmem_tEENKUlT_SI_SJ_SK_E_clIPiSD_S10_SD_EESH_SX_SI_SJ_SK_EUlSX_E_NS1_11comp_targetILNS1_3genE8ELNS1_11target_archE1030ELNS1_3gpuE2ELNS1_3repE0EEENS1_48merge_mergepath_partition_config_static_selectorELNS0_4arch9wavefront6targetE0EEEvSJ_.kd
    .uniform_work_group_size: 1
    .uses_dynamic_stack: false
    .vgpr_count:     15
    .vgpr_spill_count: 0
    .wavefront_size: 32
    .workgroup_processor_mode: 1
  - .args:
      - .offset:         0
        .size:           64
        .value_kind:     by_value
    .group_segment_fixed_size: 0
    .kernarg_segment_align: 8
    .kernarg_segment_size: 64
    .language:       OpenCL C
    .language_version:
      - 2
      - 0
    .max_flat_workgroup_size: 256
    .name:           _ZN7rocprim17ROCPRIM_400000_NS6detail17trampoline_kernelINS0_14default_configENS1_38merge_sort_block_merge_config_selectorIiiEEZZNS1_27merge_sort_block_merge_implIS3_N6thrust23THRUST_200600_302600_NS6detail15normal_iteratorINS8_10device_ptrIiEEEESD_jNS1_19radix_merge_compareILb0ELb1EiNS0_19identity_decomposerEEEEE10hipError_tT0_T1_T2_jT3_P12ihipStream_tbPNSt15iterator_traitsISI_E10value_typeEPNSO_ISJ_E10value_typeEPSK_NS1_7vsmem_tEENKUlT_SI_SJ_SK_E_clIPiSD_S10_SD_EESH_SX_SI_SJ_SK_EUlSX_E0_NS1_11comp_targetILNS1_3genE0ELNS1_11target_archE4294967295ELNS1_3gpuE0ELNS1_3repE0EEENS1_38merge_mergepath_config_static_selectorELNS0_4arch9wavefront6targetE0EEEvSJ_
    .private_segment_fixed_size: 0
    .sgpr_count:     0
    .sgpr_spill_count: 0
    .symbol:         _ZN7rocprim17ROCPRIM_400000_NS6detail17trampoline_kernelINS0_14default_configENS1_38merge_sort_block_merge_config_selectorIiiEEZZNS1_27merge_sort_block_merge_implIS3_N6thrust23THRUST_200600_302600_NS6detail15normal_iteratorINS8_10device_ptrIiEEEESD_jNS1_19radix_merge_compareILb0ELb1EiNS0_19identity_decomposerEEEEE10hipError_tT0_T1_T2_jT3_P12ihipStream_tbPNSt15iterator_traitsISI_E10value_typeEPNSO_ISJ_E10value_typeEPSK_NS1_7vsmem_tEENKUlT_SI_SJ_SK_E_clIPiSD_S10_SD_EESH_SX_SI_SJ_SK_EUlSX_E0_NS1_11comp_targetILNS1_3genE0ELNS1_11target_archE4294967295ELNS1_3gpuE0ELNS1_3repE0EEENS1_38merge_mergepath_config_static_selectorELNS0_4arch9wavefront6targetE0EEEvSJ_.kd
    .uniform_work_group_size: 1
    .uses_dynamic_stack: false
    .vgpr_count:     0
    .vgpr_spill_count: 0
    .wavefront_size: 32
    .workgroup_processor_mode: 1
  - .args:
      - .offset:         0
        .size:           64
        .value_kind:     by_value
    .group_segment_fixed_size: 0
    .kernarg_segment_align: 8
    .kernarg_segment_size: 64
    .language:       OpenCL C
    .language_version:
      - 2
      - 0
    .max_flat_workgroup_size: 256
    .name:           _ZN7rocprim17ROCPRIM_400000_NS6detail17trampoline_kernelINS0_14default_configENS1_38merge_sort_block_merge_config_selectorIiiEEZZNS1_27merge_sort_block_merge_implIS3_N6thrust23THRUST_200600_302600_NS6detail15normal_iteratorINS8_10device_ptrIiEEEESD_jNS1_19radix_merge_compareILb0ELb1EiNS0_19identity_decomposerEEEEE10hipError_tT0_T1_T2_jT3_P12ihipStream_tbPNSt15iterator_traitsISI_E10value_typeEPNSO_ISJ_E10value_typeEPSK_NS1_7vsmem_tEENKUlT_SI_SJ_SK_E_clIPiSD_S10_SD_EESH_SX_SI_SJ_SK_EUlSX_E0_NS1_11comp_targetILNS1_3genE10ELNS1_11target_archE1201ELNS1_3gpuE5ELNS1_3repE0EEENS1_38merge_mergepath_config_static_selectorELNS0_4arch9wavefront6targetE0EEEvSJ_
    .private_segment_fixed_size: 0
    .sgpr_count:     0
    .sgpr_spill_count: 0
    .symbol:         _ZN7rocprim17ROCPRIM_400000_NS6detail17trampoline_kernelINS0_14default_configENS1_38merge_sort_block_merge_config_selectorIiiEEZZNS1_27merge_sort_block_merge_implIS3_N6thrust23THRUST_200600_302600_NS6detail15normal_iteratorINS8_10device_ptrIiEEEESD_jNS1_19radix_merge_compareILb0ELb1EiNS0_19identity_decomposerEEEEE10hipError_tT0_T1_T2_jT3_P12ihipStream_tbPNSt15iterator_traitsISI_E10value_typeEPNSO_ISJ_E10value_typeEPSK_NS1_7vsmem_tEENKUlT_SI_SJ_SK_E_clIPiSD_S10_SD_EESH_SX_SI_SJ_SK_EUlSX_E0_NS1_11comp_targetILNS1_3genE10ELNS1_11target_archE1201ELNS1_3gpuE5ELNS1_3repE0EEENS1_38merge_mergepath_config_static_selectorELNS0_4arch9wavefront6targetE0EEEvSJ_.kd
    .uniform_work_group_size: 1
    .uses_dynamic_stack: false
    .vgpr_count:     0
    .vgpr_spill_count: 0
    .wavefront_size: 32
    .workgroup_processor_mode: 1
  - .args:
      - .offset:         0
        .size:           64
        .value_kind:     by_value
    .group_segment_fixed_size: 0
    .kernarg_segment_align: 8
    .kernarg_segment_size: 64
    .language:       OpenCL C
    .language_version:
      - 2
      - 0
    .max_flat_workgroup_size: 128
    .name:           _ZN7rocprim17ROCPRIM_400000_NS6detail17trampoline_kernelINS0_14default_configENS1_38merge_sort_block_merge_config_selectorIiiEEZZNS1_27merge_sort_block_merge_implIS3_N6thrust23THRUST_200600_302600_NS6detail15normal_iteratorINS8_10device_ptrIiEEEESD_jNS1_19radix_merge_compareILb0ELb1EiNS0_19identity_decomposerEEEEE10hipError_tT0_T1_T2_jT3_P12ihipStream_tbPNSt15iterator_traitsISI_E10value_typeEPNSO_ISJ_E10value_typeEPSK_NS1_7vsmem_tEENKUlT_SI_SJ_SK_E_clIPiSD_S10_SD_EESH_SX_SI_SJ_SK_EUlSX_E0_NS1_11comp_targetILNS1_3genE5ELNS1_11target_archE942ELNS1_3gpuE9ELNS1_3repE0EEENS1_38merge_mergepath_config_static_selectorELNS0_4arch9wavefront6targetE0EEEvSJ_
    .private_segment_fixed_size: 0
    .sgpr_count:     0
    .sgpr_spill_count: 0
    .symbol:         _ZN7rocprim17ROCPRIM_400000_NS6detail17trampoline_kernelINS0_14default_configENS1_38merge_sort_block_merge_config_selectorIiiEEZZNS1_27merge_sort_block_merge_implIS3_N6thrust23THRUST_200600_302600_NS6detail15normal_iteratorINS8_10device_ptrIiEEEESD_jNS1_19radix_merge_compareILb0ELb1EiNS0_19identity_decomposerEEEEE10hipError_tT0_T1_T2_jT3_P12ihipStream_tbPNSt15iterator_traitsISI_E10value_typeEPNSO_ISJ_E10value_typeEPSK_NS1_7vsmem_tEENKUlT_SI_SJ_SK_E_clIPiSD_S10_SD_EESH_SX_SI_SJ_SK_EUlSX_E0_NS1_11comp_targetILNS1_3genE5ELNS1_11target_archE942ELNS1_3gpuE9ELNS1_3repE0EEENS1_38merge_mergepath_config_static_selectorELNS0_4arch9wavefront6targetE0EEEvSJ_.kd
    .uniform_work_group_size: 1
    .uses_dynamic_stack: false
    .vgpr_count:     0
    .vgpr_spill_count: 0
    .wavefront_size: 32
    .workgroup_processor_mode: 1
  - .args:
      - .offset:         0
        .size:           64
        .value_kind:     by_value
    .group_segment_fixed_size: 0
    .kernarg_segment_align: 8
    .kernarg_segment_size: 64
    .language:       OpenCL C
    .language_version:
      - 2
      - 0
    .max_flat_workgroup_size: 256
    .name:           _ZN7rocprim17ROCPRIM_400000_NS6detail17trampoline_kernelINS0_14default_configENS1_38merge_sort_block_merge_config_selectorIiiEEZZNS1_27merge_sort_block_merge_implIS3_N6thrust23THRUST_200600_302600_NS6detail15normal_iteratorINS8_10device_ptrIiEEEESD_jNS1_19radix_merge_compareILb0ELb1EiNS0_19identity_decomposerEEEEE10hipError_tT0_T1_T2_jT3_P12ihipStream_tbPNSt15iterator_traitsISI_E10value_typeEPNSO_ISJ_E10value_typeEPSK_NS1_7vsmem_tEENKUlT_SI_SJ_SK_E_clIPiSD_S10_SD_EESH_SX_SI_SJ_SK_EUlSX_E0_NS1_11comp_targetILNS1_3genE4ELNS1_11target_archE910ELNS1_3gpuE8ELNS1_3repE0EEENS1_38merge_mergepath_config_static_selectorELNS0_4arch9wavefront6targetE0EEEvSJ_
    .private_segment_fixed_size: 0
    .sgpr_count:     0
    .sgpr_spill_count: 0
    .symbol:         _ZN7rocprim17ROCPRIM_400000_NS6detail17trampoline_kernelINS0_14default_configENS1_38merge_sort_block_merge_config_selectorIiiEEZZNS1_27merge_sort_block_merge_implIS3_N6thrust23THRUST_200600_302600_NS6detail15normal_iteratorINS8_10device_ptrIiEEEESD_jNS1_19radix_merge_compareILb0ELb1EiNS0_19identity_decomposerEEEEE10hipError_tT0_T1_T2_jT3_P12ihipStream_tbPNSt15iterator_traitsISI_E10value_typeEPNSO_ISJ_E10value_typeEPSK_NS1_7vsmem_tEENKUlT_SI_SJ_SK_E_clIPiSD_S10_SD_EESH_SX_SI_SJ_SK_EUlSX_E0_NS1_11comp_targetILNS1_3genE4ELNS1_11target_archE910ELNS1_3gpuE8ELNS1_3repE0EEENS1_38merge_mergepath_config_static_selectorELNS0_4arch9wavefront6targetE0EEEvSJ_.kd
    .uniform_work_group_size: 1
    .uses_dynamic_stack: false
    .vgpr_count:     0
    .vgpr_spill_count: 0
    .wavefront_size: 32
    .workgroup_processor_mode: 1
  - .args:
      - .offset:         0
        .size:           64
        .value_kind:     by_value
    .group_segment_fixed_size: 0
    .kernarg_segment_align: 8
    .kernarg_segment_size: 64
    .language:       OpenCL C
    .language_version:
      - 2
      - 0
    .max_flat_workgroup_size: 256
    .name:           _ZN7rocprim17ROCPRIM_400000_NS6detail17trampoline_kernelINS0_14default_configENS1_38merge_sort_block_merge_config_selectorIiiEEZZNS1_27merge_sort_block_merge_implIS3_N6thrust23THRUST_200600_302600_NS6detail15normal_iteratorINS8_10device_ptrIiEEEESD_jNS1_19radix_merge_compareILb0ELb1EiNS0_19identity_decomposerEEEEE10hipError_tT0_T1_T2_jT3_P12ihipStream_tbPNSt15iterator_traitsISI_E10value_typeEPNSO_ISJ_E10value_typeEPSK_NS1_7vsmem_tEENKUlT_SI_SJ_SK_E_clIPiSD_S10_SD_EESH_SX_SI_SJ_SK_EUlSX_E0_NS1_11comp_targetILNS1_3genE3ELNS1_11target_archE908ELNS1_3gpuE7ELNS1_3repE0EEENS1_38merge_mergepath_config_static_selectorELNS0_4arch9wavefront6targetE0EEEvSJ_
    .private_segment_fixed_size: 0
    .sgpr_count:     0
    .sgpr_spill_count: 0
    .symbol:         _ZN7rocprim17ROCPRIM_400000_NS6detail17trampoline_kernelINS0_14default_configENS1_38merge_sort_block_merge_config_selectorIiiEEZZNS1_27merge_sort_block_merge_implIS3_N6thrust23THRUST_200600_302600_NS6detail15normal_iteratorINS8_10device_ptrIiEEEESD_jNS1_19radix_merge_compareILb0ELb1EiNS0_19identity_decomposerEEEEE10hipError_tT0_T1_T2_jT3_P12ihipStream_tbPNSt15iterator_traitsISI_E10value_typeEPNSO_ISJ_E10value_typeEPSK_NS1_7vsmem_tEENKUlT_SI_SJ_SK_E_clIPiSD_S10_SD_EESH_SX_SI_SJ_SK_EUlSX_E0_NS1_11comp_targetILNS1_3genE3ELNS1_11target_archE908ELNS1_3gpuE7ELNS1_3repE0EEENS1_38merge_mergepath_config_static_selectorELNS0_4arch9wavefront6targetE0EEEvSJ_.kd
    .uniform_work_group_size: 1
    .uses_dynamic_stack: false
    .vgpr_count:     0
    .vgpr_spill_count: 0
    .wavefront_size: 32
    .workgroup_processor_mode: 1
  - .args:
      - .offset:         0
        .size:           64
        .value_kind:     by_value
    .group_segment_fixed_size: 0
    .kernarg_segment_align: 8
    .kernarg_segment_size: 64
    .language:       OpenCL C
    .language_version:
      - 2
      - 0
    .max_flat_workgroup_size: 256
    .name:           _ZN7rocprim17ROCPRIM_400000_NS6detail17trampoline_kernelINS0_14default_configENS1_38merge_sort_block_merge_config_selectorIiiEEZZNS1_27merge_sort_block_merge_implIS3_N6thrust23THRUST_200600_302600_NS6detail15normal_iteratorINS8_10device_ptrIiEEEESD_jNS1_19radix_merge_compareILb0ELb1EiNS0_19identity_decomposerEEEEE10hipError_tT0_T1_T2_jT3_P12ihipStream_tbPNSt15iterator_traitsISI_E10value_typeEPNSO_ISJ_E10value_typeEPSK_NS1_7vsmem_tEENKUlT_SI_SJ_SK_E_clIPiSD_S10_SD_EESH_SX_SI_SJ_SK_EUlSX_E0_NS1_11comp_targetILNS1_3genE2ELNS1_11target_archE906ELNS1_3gpuE6ELNS1_3repE0EEENS1_38merge_mergepath_config_static_selectorELNS0_4arch9wavefront6targetE0EEEvSJ_
    .private_segment_fixed_size: 0
    .sgpr_count:     0
    .sgpr_spill_count: 0
    .symbol:         _ZN7rocprim17ROCPRIM_400000_NS6detail17trampoline_kernelINS0_14default_configENS1_38merge_sort_block_merge_config_selectorIiiEEZZNS1_27merge_sort_block_merge_implIS3_N6thrust23THRUST_200600_302600_NS6detail15normal_iteratorINS8_10device_ptrIiEEEESD_jNS1_19radix_merge_compareILb0ELb1EiNS0_19identity_decomposerEEEEE10hipError_tT0_T1_T2_jT3_P12ihipStream_tbPNSt15iterator_traitsISI_E10value_typeEPNSO_ISJ_E10value_typeEPSK_NS1_7vsmem_tEENKUlT_SI_SJ_SK_E_clIPiSD_S10_SD_EESH_SX_SI_SJ_SK_EUlSX_E0_NS1_11comp_targetILNS1_3genE2ELNS1_11target_archE906ELNS1_3gpuE6ELNS1_3repE0EEENS1_38merge_mergepath_config_static_selectorELNS0_4arch9wavefront6targetE0EEEvSJ_.kd
    .uniform_work_group_size: 1
    .uses_dynamic_stack: false
    .vgpr_count:     0
    .vgpr_spill_count: 0
    .wavefront_size: 32
    .workgroup_processor_mode: 1
  - .args:
      - .offset:         0
        .size:           64
        .value_kind:     by_value
    .group_segment_fixed_size: 0
    .kernarg_segment_align: 8
    .kernarg_segment_size: 64
    .language:       OpenCL C
    .language_version:
      - 2
      - 0
    .max_flat_workgroup_size: 512
    .name:           _ZN7rocprim17ROCPRIM_400000_NS6detail17trampoline_kernelINS0_14default_configENS1_38merge_sort_block_merge_config_selectorIiiEEZZNS1_27merge_sort_block_merge_implIS3_N6thrust23THRUST_200600_302600_NS6detail15normal_iteratorINS8_10device_ptrIiEEEESD_jNS1_19radix_merge_compareILb0ELb1EiNS0_19identity_decomposerEEEEE10hipError_tT0_T1_T2_jT3_P12ihipStream_tbPNSt15iterator_traitsISI_E10value_typeEPNSO_ISJ_E10value_typeEPSK_NS1_7vsmem_tEENKUlT_SI_SJ_SK_E_clIPiSD_S10_SD_EESH_SX_SI_SJ_SK_EUlSX_E0_NS1_11comp_targetILNS1_3genE9ELNS1_11target_archE1100ELNS1_3gpuE3ELNS1_3repE0EEENS1_38merge_mergepath_config_static_selectorELNS0_4arch9wavefront6targetE0EEEvSJ_
    .private_segment_fixed_size: 0
    .sgpr_count:     0
    .sgpr_spill_count: 0
    .symbol:         _ZN7rocprim17ROCPRIM_400000_NS6detail17trampoline_kernelINS0_14default_configENS1_38merge_sort_block_merge_config_selectorIiiEEZZNS1_27merge_sort_block_merge_implIS3_N6thrust23THRUST_200600_302600_NS6detail15normal_iteratorINS8_10device_ptrIiEEEESD_jNS1_19radix_merge_compareILb0ELb1EiNS0_19identity_decomposerEEEEE10hipError_tT0_T1_T2_jT3_P12ihipStream_tbPNSt15iterator_traitsISI_E10value_typeEPNSO_ISJ_E10value_typeEPSK_NS1_7vsmem_tEENKUlT_SI_SJ_SK_E_clIPiSD_S10_SD_EESH_SX_SI_SJ_SK_EUlSX_E0_NS1_11comp_targetILNS1_3genE9ELNS1_11target_archE1100ELNS1_3gpuE3ELNS1_3repE0EEENS1_38merge_mergepath_config_static_selectorELNS0_4arch9wavefront6targetE0EEEvSJ_.kd
    .uniform_work_group_size: 1
    .uses_dynamic_stack: false
    .vgpr_count:     0
    .vgpr_spill_count: 0
    .wavefront_size: 32
    .workgroup_processor_mode: 1
  - .args:
      - .offset:         0
        .size:           64
        .value_kind:     by_value
      - .offset:         64
        .size:           4
        .value_kind:     hidden_block_count_x
      - .offset:         68
        .size:           4
        .value_kind:     hidden_block_count_y
      - .offset:         72
        .size:           4
        .value_kind:     hidden_block_count_z
      - .offset:         76
        .size:           2
        .value_kind:     hidden_group_size_x
      - .offset:         78
        .size:           2
        .value_kind:     hidden_group_size_y
      - .offset:         80
        .size:           2
        .value_kind:     hidden_group_size_z
      - .offset:         82
        .size:           2
        .value_kind:     hidden_remainder_x
      - .offset:         84
        .size:           2
        .value_kind:     hidden_remainder_y
      - .offset:         86
        .size:           2
        .value_kind:     hidden_remainder_z
      - .offset:         104
        .size:           8
        .value_kind:     hidden_global_offset_x
      - .offset:         112
        .size:           8
        .value_kind:     hidden_global_offset_y
      - .offset:         120
        .size:           8
        .value_kind:     hidden_global_offset_z
      - .offset:         128
        .size:           2
        .value_kind:     hidden_grid_dims
    .group_segment_fixed_size: 4112
    .kernarg_segment_align: 8
    .kernarg_segment_size: 320
    .language:       OpenCL C
    .language_version:
      - 2
      - 0
    .max_flat_workgroup_size: 1024
    .name:           _ZN7rocprim17ROCPRIM_400000_NS6detail17trampoline_kernelINS0_14default_configENS1_38merge_sort_block_merge_config_selectorIiiEEZZNS1_27merge_sort_block_merge_implIS3_N6thrust23THRUST_200600_302600_NS6detail15normal_iteratorINS8_10device_ptrIiEEEESD_jNS1_19radix_merge_compareILb0ELb1EiNS0_19identity_decomposerEEEEE10hipError_tT0_T1_T2_jT3_P12ihipStream_tbPNSt15iterator_traitsISI_E10value_typeEPNSO_ISJ_E10value_typeEPSK_NS1_7vsmem_tEENKUlT_SI_SJ_SK_E_clIPiSD_S10_SD_EESH_SX_SI_SJ_SK_EUlSX_E0_NS1_11comp_targetILNS1_3genE8ELNS1_11target_archE1030ELNS1_3gpuE2ELNS1_3repE0EEENS1_38merge_mergepath_config_static_selectorELNS0_4arch9wavefront6targetE0EEEvSJ_
    .private_segment_fixed_size: 0
    .sgpr_count:     26
    .sgpr_spill_count: 0
    .symbol:         _ZN7rocprim17ROCPRIM_400000_NS6detail17trampoline_kernelINS0_14default_configENS1_38merge_sort_block_merge_config_selectorIiiEEZZNS1_27merge_sort_block_merge_implIS3_N6thrust23THRUST_200600_302600_NS6detail15normal_iteratorINS8_10device_ptrIiEEEESD_jNS1_19radix_merge_compareILb0ELb1EiNS0_19identity_decomposerEEEEE10hipError_tT0_T1_T2_jT3_P12ihipStream_tbPNSt15iterator_traitsISI_E10value_typeEPNSO_ISJ_E10value_typeEPSK_NS1_7vsmem_tEENKUlT_SI_SJ_SK_E_clIPiSD_S10_SD_EESH_SX_SI_SJ_SK_EUlSX_E0_NS1_11comp_targetILNS1_3genE8ELNS1_11target_archE1030ELNS1_3gpuE2ELNS1_3repE0EEENS1_38merge_mergepath_config_static_selectorELNS0_4arch9wavefront6targetE0EEEvSJ_.kd
    .uniform_work_group_size: 1
    .uses_dynamic_stack: false
    .vgpr_count:     12
    .vgpr_spill_count: 0
    .wavefront_size: 32
    .workgroup_processor_mode: 1
  - .args:
      - .offset:         0
        .size:           48
        .value_kind:     by_value
    .group_segment_fixed_size: 0
    .kernarg_segment_align: 8
    .kernarg_segment_size: 48
    .language:       OpenCL C
    .language_version:
      - 2
      - 0
    .max_flat_workgroup_size: 256
    .name:           _ZN7rocprim17ROCPRIM_400000_NS6detail17trampoline_kernelINS0_14default_configENS1_38merge_sort_block_merge_config_selectorIiiEEZZNS1_27merge_sort_block_merge_implIS3_N6thrust23THRUST_200600_302600_NS6detail15normal_iteratorINS8_10device_ptrIiEEEESD_jNS1_19radix_merge_compareILb0ELb1EiNS0_19identity_decomposerEEEEE10hipError_tT0_T1_T2_jT3_P12ihipStream_tbPNSt15iterator_traitsISI_E10value_typeEPNSO_ISJ_E10value_typeEPSK_NS1_7vsmem_tEENKUlT_SI_SJ_SK_E_clIPiSD_S10_SD_EESH_SX_SI_SJ_SK_EUlSX_E1_NS1_11comp_targetILNS1_3genE0ELNS1_11target_archE4294967295ELNS1_3gpuE0ELNS1_3repE0EEENS1_36merge_oddeven_config_static_selectorELNS0_4arch9wavefront6targetE0EEEvSJ_
    .private_segment_fixed_size: 0
    .sgpr_count:     0
    .sgpr_spill_count: 0
    .symbol:         _ZN7rocprim17ROCPRIM_400000_NS6detail17trampoline_kernelINS0_14default_configENS1_38merge_sort_block_merge_config_selectorIiiEEZZNS1_27merge_sort_block_merge_implIS3_N6thrust23THRUST_200600_302600_NS6detail15normal_iteratorINS8_10device_ptrIiEEEESD_jNS1_19radix_merge_compareILb0ELb1EiNS0_19identity_decomposerEEEEE10hipError_tT0_T1_T2_jT3_P12ihipStream_tbPNSt15iterator_traitsISI_E10value_typeEPNSO_ISJ_E10value_typeEPSK_NS1_7vsmem_tEENKUlT_SI_SJ_SK_E_clIPiSD_S10_SD_EESH_SX_SI_SJ_SK_EUlSX_E1_NS1_11comp_targetILNS1_3genE0ELNS1_11target_archE4294967295ELNS1_3gpuE0ELNS1_3repE0EEENS1_36merge_oddeven_config_static_selectorELNS0_4arch9wavefront6targetE0EEEvSJ_.kd
    .uniform_work_group_size: 1
    .uses_dynamic_stack: false
    .vgpr_count:     0
    .vgpr_spill_count: 0
    .wavefront_size: 32
    .workgroup_processor_mode: 1
  - .args:
      - .offset:         0
        .size:           48
        .value_kind:     by_value
    .group_segment_fixed_size: 0
    .kernarg_segment_align: 8
    .kernarg_segment_size: 48
    .language:       OpenCL C
    .language_version:
      - 2
      - 0
    .max_flat_workgroup_size: 256
    .name:           _ZN7rocprim17ROCPRIM_400000_NS6detail17trampoline_kernelINS0_14default_configENS1_38merge_sort_block_merge_config_selectorIiiEEZZNS1_27merge_sort_block_merge_implIS3_N6thrust23THRUST_200600_302600_NS6detail15normal_iteratorINS8_10device_ptrIiEEEESD_jNS1_19radix_merge_compareILb0ELb1EiNS0_19identity_decomposerEEEEE10hipError_tT0_T1_T2_jT3_P12ihipStream_tbPNSt15iterator_traitsISI_E10value_typeEPNSO_ISJ_E10value_typeEPSK_NS1_7vsmem_tEENKUlT_SI_SJ_SK_E_clIPiSD_S10_SD_EESH_SX_SI_SJ_SK_EUlSX_E1_NS1_11comp_targetILNS1_3genE10ELNS1_11target_archE1201ELNS1_3gpuE5ELNS1_3repE0EEENS1_36merge_oddeven_config_static_selectorELNS0_4arch9wavefront6targetE0EEEvSJ_
    .private_segment_fixed_size: 0
    .sgpr_count:     0
    .sgpr_spill_count: 0
    .symbol:         _ZN7rocprim17ROCPRIM_400000_NS6detail17trampoline_kernelINS0_14default_configENS1_38merge_sort_block_merge_config_selectorIiiEEZZNS1_27merge_sort_block_merge_implIS3_N6thrust23THRUST_200600_302600_NS6detail15normal_iteratorINS8_10device_ptrIiEEEESD_jNS1_19radix_merge_compareILb0ELb1EiNS0_19identity_decomposerEEEEE10hipError_tT0_T1_T2_jT3_P12ihipStream_tbPNSt15iterator_traitsISI_E10value_typeEPNSO_ISJ_E10value_typeEPSK_NS1_7vsmem_tEENKUlT_SI_SJ_SK_E_clIPiSD_S10_SD_EESH_SX_SI_SJ_SK_EUlSX_E1_NS1_11comp_targetILNS1_3genE10ELNS1_11target_archE1201ELNS1_3gpuE5ELNS1_3repE0EEENS1_36merge_oddeven_config_static_selectorELNS0_4arch9wavefront6targetE0EEEvSJ_.kd
    .uniform_work_group_size: 1
    .uses_dynamic_stack: false
    .vgpr_count:     0
    .vgpr_spill_count: 0
    .wavefront_size: 32
    .workgroup_processor_mode: 1
  - .args:
      - .offset:         0
        .size:           48
        .value_kind:     by_value
    .group_segment_fixed_size: 0
    .kernarg_segment_align: 8
    .kernarg_segment_size: 48
    .language:       OpenCL C
    .language_version:
      - 2
      - 0
    .max_flat_workgroup_size: 256
    .name:           _ZN7rocprim17ROCPRIM_400000_NS6detail17trampoline_kernelINS0_14default_configENS1_38merge_sort_block_merge_config_selectorIiiEEZZNS1_27merge_sort_block_merge_implIS3_N6thrust23THRUST_200600_302600_NS6detail15normal_iteratorINS8_10device_ptrIiEEEESD_jNS1_19radix_merge_compareILb0ELb1EiNS0_19identity_decomposerEEEEE10hipError_tT0_T1_T2_jT3_P12ihipStream_tbPNSt15iterator_traitsISI_E10value_typeEPNSO_ISJ_E10value_typeEPSK_NS1_7vsmem_tEENKUlT_SI_SJ_SK_E_clIPiSD_S10_SD_EESH_SX_SI_SJ_SK_EUlSX_E1_NS1_11comp_targetILNS1_3genE5ELNS1_11target_archE942ELNS1_3gpuE9ELNS1_3repE0EEENS1_36merge_oddeven_config_static_selectorELNS0_4arch9wavefront6targetE0EEEvSJ_
    .private_segment_fixed_size: 0
    .sgpr_count:     0
    .sgpr_spill_count: 0
    .symbol:         _ZN7rocprim17ROCPRIM_400000_NS6detail17trampoline_kernelINS0_14default_configENS1_38merge_sort_block_merge_config_selectorIiiEEZZNS1_27merge_sort_block_merge_implIS3_N6thrust23THRUST_200600_302600_NS6detail15normal_iteratorINS8_10device_ptrIiEEEESD_jNS1_19radix_merge_compareILb0ELb1EiNS0_19identity_decomposerEEEEE10hipError_tT0_T1_T2_jT3_P12ihipStream_tbPNSt15iterator_traitsISI_E10value_typeEPNSO_ISJ_E10value_typeEPSK_NS1_7vsmem_tEENKUlT_SI_SJ_SK_E_clIPiSD_S10_SD_EESH_SX_SI_SJ_SK_EUlSX_E1_NS1_11comp_targetILNS1_3genE5ELNS1_11target_archE942ELNS1_3gpuE9ELNS1_3repE0EEENS1_36merge_oddeven_config_static_selectorELNS0_4arch9wavefront6targetE0EEEvSJ_.kd
    .uniform_work_group_size: 1
    .uses_dynamic_stack: false
    .vgpr_count:     0
    .vgpr_spill_count: 0
    .wavefront_size: 32
    .workgroup_processor_mode: 1
  - .args:
      - .offset:         0
        .size:           48
        .value_kind:     by_value
    .group_segment_fixed_size: 0
    .kernarg_segment_align: 8
    .kernarg_segment_size: 48
    .language:       OpenCL C
    .language_version:
      - 2
      - 0
    .max_flat_workgroup_size: 256
    .name:           _ZN7rocprim17ROCPRIM_400000_NS6detail17trampoline_kernelINS0_14default_configENS1_38merge_sort_block_merge_config_selectorIiiEEZZNS1_27merge_sort_block_merge_implIS3_N6thrust23THRUST_200600_302600_NS6detail15normal_iteratorINS8_10device_ptrIiEEEESD_jNS1_19radix_merge_compareILb0ELb1EiNS0_19identity_decomposerEEEEE10hipError_tT0_T1_T2_jT3_P12ihipStream_tbPNSt15iterator_traitsISI_E10value_typeEPNSO_ISJ_E10value_typeEPSK_NS1_7vsmem_tEENKUlT_SI_SJ_SK_E_clIPiSD_S10_SD_EESH_SX_SI_SJ_SK_EUlSX_E1_NS1_11comp_targetILNS1_3genE4ELNS1_11target_archE910ELNS1_3gpuE8ELNS1_3repE0EEENS1_36merge_oddeven_config_static_selectorELNS0_4arch9wavefront6targetE0EEEvSJ_
    .private_segment_fixed_size: 0
    .sgpr_count:     0
    .sgpr_spill_count: 0
    .symbol:         _ZN7rocprim17ROCPRIM_400000_NS6detail17trampoline_kernelINS0_14default_configENS1_38merge_sort_block_merge_config_selectorIiiEEZZNS1_27merge_sort_block_merge_implIS3_N6thrust23THRUST_200600_302600_NS6detail15normal_iteratorINS8_10device_ptrIiEEEESD_jNS1_19radix_merge_compareILb0ELb1EiNS0_19identity_decomposerEEEEE10hipError_tT0_T1_T2_jT3_P12ihipStream_tbPNSt15iterator_traitsISI_E10value_typeEPNSO_ISJ_E10value_typeEPSK_NS1_7vsmem_tEENKUlT_SI_SJ_SK_E_clIPiSD_S10_SD_EESH_SX_SI_SJ_SK_EUlSX_E1_NS1_11comp_targetILNS1_3genE4ELNS1_11target_archE910ELNS1_3gpuE8ELNS1_3repE0EEENS1_36merge_oddeven_config_static_selectorELNS0_4arch9wavefront6targetE0EEEvSJ_.kd
    .uniform_work_group_size: 1
    .uses_dynamic_stack: false
    .vgpr_count:     0
    .vgpr_spill_count: 0
    .wavefront_size: 32
    .workgroup_processor_mode: 1
  - .args:
      - .offset:         0
        .size:           48
        .value_kind:     by_value
    .group_segment_fixed_size: 0
    .kernarg_segment_align: 8
    .kernarg_segment_size: 48
    .language:       OpenCL C
    .language_version:
      - 2
      - 0
    .max_flat_workgroup_size: 256
    .name:           _ZN7rocprim17ROCPRIM_400000_NS6detail17trampoline_kernelINS0_14default_configENS1_38merge_sort_block_merge_config_selectorIiiEEZZNS1_27merge_sort_block_merge_implIS3_N6thrust23THRUST_200600_302600_NS6detail15normal_iteratorINS8_10device_ptrIiEEEESD_jNS1_19radix_merge_compareILb0ELb1EiNS0_19identity_decomposerEEEEE10hipError_tT0_T1_T2_jT3_P12ihipStream_tbPNSt15iterator_traitsISI_E10value_typeEPNSO_ISJ_E10value_typeEPSK_NS1_7vsmem_tEENKUlT_SI_SJ_SK_E_clIPiSD_S10_SD_EESH_SX_SI_SJ_SK_EUlSX_E1_NS1_11comp_targetILNS1_3genE3ELNS1_11target_archE908ELNS1_3gpuE7ELNS1_3repE0EEENS1_36merge_oddeven_config_static_selectorELNS0_4arch9wavefront6targetE0EEEvSJ_
    .private_segment_fixed_size: 0
    .sgpr_count:     0
    .sgpr_spill_count: 0
    .symbol:         _ZN7rocprim17ROCPRIM_400000_NS6detail17trampoline_kernelINS0_14default_configENS1_38merge_sort_block_merge_config_selectorIiiEEZZNS1_27merge_sort_block_merge_implIS3_N6thrust23THRUST_200600_302600_NS6detail15normal_iteratorINS8_10device_ptrIiEEEESD_jNS1_19radix_merge_compareILb0ELb1EiNS0_19identity_decomposerEEEEE10hipError_tT0_T1_T2_jT3_P12ihipStream_tbPNSt15iterator_traitsISI_E10value_typeEPNSO_ISJ_E10value_typeEPSK_NS1_7vsmem_tEENKUlT_SI_SJ_SK_E_clIPiSD_S10_SD_EESH_SX_SI_SJ_SK_EUlSX_E1_NS1_11comp_targetILNS1_3genE3ELNS1_11target_archE908ELNS1_3gpuE7ELNS1_3repE0EEENS1_36merge_oddeven_config_static_selectorELNS0_4arch9wavefront6targetE0EEEvSJ_.kd
    .uniform_work_group_size: 1
    .uses_dynamic_stack: false
    .vgpr_count:     0
    .vgpr_spill_count: 0
    .wavefront_size: 32
    .workgroup_processor_mode: 1
  - .args:
      - .offset:         0
        .size:           48
        .value_kind:     by_value
    .group_segment_fixed_size: 0
    .kernarg_segment_align: 8
    .kernarg_segment_size: 48
    .language:       OpenCL C
    .language_version:
      - 2
      - 0
    .max_flat_workgroup_size: 256
    .name:           _ZN7rocprim17ROCPRIM_400000_NS6detail17trampoline_kernelINS0_14default_configENS1_38merge_sort_block_merge_config_selectorIiiEEZZNS1_27merge_sort_block_merge_implIS3_N6thrust23THRUST_200600_302600_NS6detail15normal_iteratorINS8_10device_ptrIiEEEESD_jNS1_19radix_merge_compareILb0ELb1EiNS0_19identity_decomposerEEEEE10hipError_tT0_T1_T2_jT3_P12ihipStream_tbPNSt15iterator_traitsISI_E10value_typeEPNSO_ISJ_E10value_typeEPSK_NS1_7vsmem_tEENKUlT_SI_SJ_SK_E_clIPiSD_S10_SD_EESH_SX_SI_SJ_SK_EUlSX_E1_NS1_11comp_targetILNS1_3genE2ELNS1_11target_archE906ELNS1_3gpuE6ELNS1_3repE0EEENS1_36merge_oddeven_config_static_selectorELNS0_4arch9wavefront6targetE0EEEvSJ_
    .private_segment_fixed_size: 0
    .sgpr_count:     0
    .sgpr_spill_count: 0
    .symbol:         _ZN7rocprim17ROCPRIM_400000_NS6detail17trampoline_kernelINS0_14default_configENS1_38merge_sort_block_merge_config_selectorIiiEEZZNS1_27merge_sort_block_merge_implIS3_N6thrust23THRUST_200600_302600_NS6detail15normal_iteratorINS8_10device_ptrIiEEEESD_jNS1_19radix_merge_compareILb0ELb1EiNS0_19identity_decomposerEEEEE10hipError_tT0_T1_T2_jT3_P12ihipStream_tbPNSt15iterator_traitsISI_E10value_typeEPNSO_ISJ_E10value_typeEPSK_NS1_7vsmem_tEENKUlT_SI_SJ_SK_E_clIPiSD_S10_SD_EESH_SX_SI_SJ_SK_EUlSX_E1_NS1_11comp_targetILNS1_3genE2ELNS1_11target_archE906ELNS1_3gpuE6ELNS1_3repE0EEENS1_36merge_oddeven_config_static_selectorELNS0_4arch9wavefront6targetE0EEEvSJ_.kd
    .uniform_work_group_size: 1
    .uses_dynamic_stack: false
    .vgpr_count:     0
    .vgpr_spill_count: 0
    .wavefront_size: 32
    .workgroup_processor_mode: 1
  - .args:
      - .offset:         0
        .size:           48
        .value_kind:     by_value
    .group_segment_fixed_size: 0
    .kernarg_segment_align: 8
    .kernarg_segment_size: 48
    .language:       OpenCL C
    .language_version:
      - 2
      - 0
    .max_flat_workgroup_size: 256
    .name:           _ZN7rocprim17ROCPRIM_400000_NS6detail17trampoline_kernelINS0_14default_configENS1_38merge_sort_block_merge_config_selectorIiiEEZZNS1_27merge_sort_block_merge_implIS3_N6thrust23THRUST_200600_302600_NS6detail15normal_iteratorINS8_10device_ptrIiEEEESD_jNS1_19radix_merge_compareILb0ELb1EiNS0_19identity_decomposerEEEEE10hipError_tT0_T1_T2_jT3_P12ihipStream_tbPNSt15iterator_traitsISI_E10value_typeEPNSO_ISJ_E10value_typeEPSK_NS1_7vsmem_tEENKUlT_SI_SJ_SK_E_clIPiSD_S10_SD_EESH_SX_SI_SJ_SK_EUlSX_E1_NS1_11comp_targetILNS1_3genE9ELNS1_11target_archE1100ELNS1_3gpuE3ELNS1_3repE0EEENS1_36merge_oddeven_config_static_selectorELNS0_4arch9wavefront6targetE0EEEvSJ_
    .private_segment_fixed_size: 0
    .sgpr_count:     0
    .sgpr_spill_count: 0
    .symbol:         _ZN7rocprim17ROCPRIM_400000_NS6detail17trampoline_kernelINS0_14default_configENS1_38merge_sort_block_merge_config_selectorIiiEEZZNS1_27merge_sort_block_merge_implIS3_N6thrust23THRUST_200600_302600_NS6detail15normal_iteratorINS8_10device_ptrIiEEEESD_jNS1_19radix_merge_compareILb0ELb1EiNS0_19identity_decomposerEEEEE10hipError_tT0_T1_T2_jT3_P12ihipStream_tbPNSt15iterator_traitsISI_E10value_typeEPNSO_ISJ_E10value_typeEPSK_NS1_7vsmem_tEENKUlT_SI_SJ_SK_E_clIPiSD_S10_SD_EESH_SX_SI_SJ_SK_EUlSX_E1_NS1_11comp_targetILNS1_3genE9ELNS1_11target_archE1100ELNS1_3gpuE3ELNS1_3repE0EEENS1_36merge_oddeven_config_static_selectorELNS0_4arch9wavefront6targetE0EEEvSJ_.kd
    .uniform_work_group_size: 1
    .uses_dynamic_stack: false
    .vgpr_count:     0
    .vgpr_spill_count: 0
    .wavefront_size: 32
    .workgroup_processor_mode: 1
  - .args:
      - .offset:         0
        .size:           48
        .value_kind:     by_value
    .group_segment_fixed_size: 0
    .kernarg_segment_align: 8
    .kernarg_segment_size: 48
    .language:       OpenCL C
    .language_version:
      - 2
      - 0
    .max_flat_workgroup_size: 256
    .name:           _ZN7rocprim17ROCPRIM_400000_NS6detail17trampoline_kernelINS0_14default_configENS1_38merge_sort_block_merge_config_selectorIiiEEZZNS1_27merge_sort_block_merge_implIS3_N6thrust23THRUST_200600_302600_NS6detail15normal_iteratorINS8_10device_ptrIiEEEESD_jNS1_19radix_merge_compareILb0ELb1EiNS0_19identity_decomposerEEEEE10hipError_tT0_T1_T2_jT3_P12ihipStream_tbPNSt15iterator_traitsISI_E10value_typeEPNSO_ISJ_E10value_typeEPSK_NS1_7vsmem_tEENKUlT_SI_SJ_SK_E_clIPiSD_S10_SD_EESH_SX_SI_SJ_SK_EUlSX_E1_NS1_11comp_targetILNS1_3genE8ELNS1_11target_archE1030ELNS1_3gpuE2ELNS1_3repE0EEENS1_36merge_oddeven_config_static_selectorELNS0_4arch9wavefront6targetE0EEEvSJ_
    .private_segment_fixed_size: 0
    .sgpr_count:     24
    .sgpr_spill_count: 0
    .symbol:         _ZN7rocprim17ROCPRIM_400000_NS6detail17trampoline_kernelINS0_14default_configENS1_38merge_sort_block_merge_config_selectorIiiEEZZNS1_27merge_sort_block_merge_implIS3_N6thrust23THRUST_200600_302600_NS6detail15normal_iteratorINS8_10device_ptrIiEEEESD_jNS1_19radix_merge_compareILb0ELb1EiNS0_19identity_decomposerEEEEE10hipError_tT0_T1_T2_jT3_P12ihipStream_tbPNSt15iterator_traitsISI_E10value_typeEPNSO_ISJ_E10value_typeEPSK_NS1_7vsmem_tEENKUlT_SI_SJ_SK_E_clIPiSD_S10_SD_EESH_SX_SI_SJ_SK_EUlSX_E1_NS1_11comp_targetILNS1_3genE8ELNS1_11target_archE1030ELNS1_3gpuE2ELNS1_3repE0EEENS1_36merge_oddeven_config_static_selectorELNS0_4arch9wavefront6targetE0EEEvSJ_.kd
    .uniform_work_group_size: 1
    .uses_dynamic_stack: false
    .vgpr_count:     10
    .vgpr_spill_count: 0
    .wavefront_size: 32
    .workgroup_processor_mode: 1
  - .args:
      - .offset:         0
        .size:           40
        .value_kind:     by_value
    .group_segment_fixed_size: 0
    .kernarg_segment_align: 8
    .kernarg_segment_size: 40
    .language:       OpenCL C
    .language_version:
      - 2
      - 0
    .max_flat_workgroup_size: 128
    .name:           _ZN7rocprim17ROCPRIM_400000_NS6detail17trampoline_kernelINS0_14default_configENS1_38merge_sort_block_merge_config_selectorIiiEEZZNS1_27merge_sort_block_merge_implIS3_N6thrust23THRUST_200600_302600_NS6detail15normal_iteratorINS8_10device_ptrIiEEEESD_jNS1_19radix_merge_compareILb0ELb1EiNS0_19identity_decomposerEEEEE10hipError_tT0_T1_T2_jT3_P12ihipStream_tbPNSt15iterator_traitsISI_E10value_typeEPNSO_ISJ_E10value_typeEPSK_NS1_7vsmem_tEENKUlT_SI_SJ_SK_E_clISD_PiSD_S10_EESH_SX_SI_SJ_SK_EUlSX_E_NS1_11comp_targetILNS1_3genE0ELNS1_11target_archE4294967295ELNS1_3gpuE0ELNS1_3repE0EEENS1_48merge_mergepath_partition_config_static_selectorELNS0_4arch9wavefront6targetE0EEEvSJ_
    .private_segment_fixed_size: 0
    .sgpr_count:     0
    .sgpr_spill_count: 0
    .symbol:         _ZN7rocprim17ROCPRIM_400000_NS6detail17trampoline_kernelINS0_14default_configENS1_38merge_sort_block_merge_config_selectorIiiEEZZNS1_27merge_sort_block_merge_implIS3_N6thrust23THRUST_200600_302600_NS6detail15normal_iteratorINS8_10device_ptrIiEEEESD_jNS1_19radix_merge_compareILb0ELb1EiNS0_19identity_decomposerEEEEE10hipError_tT0_T1_T2_jT3_P12ihipStream_tbPNSt15iterator_traitsISI_E10value_typeEPNSO_ISJ_E10value_typeEPSK_NS1_7vsmem_tEENKUlT_SI_SJ_SK_E_clISD_PiSD_S10_EESH_SX_SI_SJ_SK_EUlSX_E_NS1_11comp_targetILNS1_3genE0ELNS1_11target_archE4294967295ELNS1_3gpuE0ELNS1_3repE0EEENS1_48merge_mergepath_partition_config_static_selectorELNS0_4arch9wavefront6targetE0EEEvSJ_.kd
    .uniform_work_group_size: 1
    .uses_dynamic_stack: false
    .vgpr_count:     0
    .vgpr_spill_count: 0
    .wavefront_size: 32
    .workgroup_processor_mode: 1
  - .args:
      - .offset:         0
        .size:           40
        .value_kind:     by_value
    .group_segment_fixed_size: 0
    .kernarg_segment_align: 8
    .kernarg_segment_size: 40
    .language:       OpenCL C
    .language_version:
      - 2
      - 0
    .max_flat_workgroup_size: 128
    .name:           _ZN7rocprim17ROCPRIM_400000_NS6detail17trampoline_kernelINS0_14default_configENS1_38merge_sort_block_merge_config_selectorIiiEEZZNS1_27merge_sort_block_merge_implIS3_N6thrust23THRUST_200600_302600_NS6detail15normal_iteratorINS8_10device_ptrIiEEEESD_jNS1_19radix_merge_compareILb0ELb1EiNS0_19identity_decomposerEEEEE10hipError_tT0_T1_T2_jT3_P12ihipStream_tbPNSt15iterator_traitsISI_E10value_typeEPNSO_ISJ_E10value_typeEPSK_NS1_7vsmem_tEENKUlT_SI_SJ_SK_E_clISD_PiSD_S10_EESH_SX_SI_SJ_SK_EUlSX_E_NS1_11comp_targetILNS1_3genE10ELNS1_11target_archE1201ELNS1_3gpuE5ELNS1_3repE0EEENS1_48merge_mergepath_partition_config_static_selectorELNS0_4arch9wavefront6targetE0EEEvSJ_
    .private_segment_fixed_size: 0
    .sgpr_count:     0
    .sgpr_spill_count: 0
    .symbol:         _ZN7rocprim17ROCPRIM_400000_NS6detail17trampoline_kernelINS0_14default_configENS1_38merge_sort_block_merge_config_selectorIiiEEZZNS1_27merge_sort_block_merge_implIS3_N6thrust23THRUST_200600_302600_NS6detail15normal_iteratorINS8_10device_ptrIiEEEESD_jNS1_19radix_merge_compareILb0ELb1EiNS0_19identity_decomposerEEEEE10hipError_tT0_T1_T2_jT3_P12ihipStream_tbPNSt15iterator_traitsISI_E10value_typeEPNSO_ISJ_E10value_typeEPSK_NS1_7vsmem_tEENKUlT_SI_SJ_SK_E_clISD_PiSD_S10_EESH_SX_SI_SJ_SK_EUlSX_E_NS1_11comp_targetILNS1_3genE10ELNS1_11target_archE1201ELNS1_3gpuE5ELNS1_3repE0EEENS1_48merge_mergepath_partition_config_static_selectorELNS0_4arch9wavefront6targetE0EEEvSJ_.kd
    .uniform_work_group_size: 1
    .uses_dynamic_stack: false
    .vgpr_count:     0
    .vgpr_spill_count: 0
    .wavefront_size: 32
    .workgroup_processor_mode: 1
  - .args:
      - .offset:         0
        .size:           40
        .value_kind:     by_value
    .group_segment_fixed_size: 0
    .kernarg_segment_align: 8
    .kernarg_segment_size: 40
    .language:       OpenCL C
    .language_version:
      - 2
      - 0
    .max_flat_workgroup_size: 128
    .name:           _ZN7rocprim17ROCPRIM_400000_NS6detail17trampoline_kernelINS0_14default_configENS1_38merge_sort_block_merge_config_selectorIiiEEZZNS1_27merge_sort_block_merge_implIS3_N6thrust23THRUST_200600_302600_NS6detail15normal_iteratorINS8_10device_ptrIiEEEESD_jNS1_19radix_merge_compareILb0ELb1EiNS0_19identity_decomposerEEEEE10hipError_tT0_T1_T2_jT3_P12ihipStream_tbPNSt15iterator_traitsISI_E10value_typeEPNSO_ISJ_E10value_typeEPSK_NS1_7vsmem_tEENKUlT_SI_SJ_SK_E_clISD_PiSD_S10_EESH_SX_SI_SJ_SK_EUlSX_E_NS1_11comp_targetILNS1_3genE5ELNS1_11target_archE942ELNS1_3gpuE9ELNS1_3repE0EEENS1_48merge_mergepath_partition_config_static_selectorELNS0_4arch9wavefront6targetE0EEEvSJ_
    .private_segment_fixed_size: 0
    .sgpr_count:     0
    .sgpr_spill_count: 0
    .symbol:         _ZN7rocprim17ROCPRIM_400000_NS6detail17trampoline_kernelINS0_14default_configENS1_38merge_sort_block_merge_config_selectorIiiEEZZNS1_27merge_sort_block_merge_implIS3_N6thrust23THRUST_200600_302600_NS6detail15normal_iteratorINS8_10device_ptrIiEEEESD_jNS1_19radix_merge_compareILb0ELb1EiNS0_19identity_decomposerEEEEE10hipError_tT0_T1_T2_jT3_P12ihipStream_tbPNSt15iterator_traitsISI_E10value_typeEPNSO_ISJ_E10value_typeEPSK_NS1_7vsmem_tEENKUlT_SI_SJ_SK_E_clISD_PiSD_S10_EESH_SX_SI_SJ_SK_EUlSX_E_NS1_11comp_targetILNS1_3genE5ELNS1_11target_archE942ELNS1_3gpuE9ELNS1_3repE0EEENS1_48merge_mergepath_partition_config_static_selectorELNS0_4arch9wavefront6targetE0EEEvSJ_.kd
    .uniform_work_group_size: 1
    .uses_dynamic_stack: false
    .vgpr_count:     0
    .vgpr_spill_count: 0
    .wavefront_size: 32
    .workgroup_processor_mode: 1
  - .args:
      - .offset:         0
        .size:           40
        .value_kind:     by_value
    .group_segment_fixed_size: 0
    .kernarg_segment_align: 8
    .kernarg_segment_size: 40
    .language:       OpenCL C
    .language_version:
      - 2
      - 0
    .max_flat_workgroup_size: 128
    .name:           _ZN7rocprim17ROCPRIM_400000_NS6detail17trampoline_kernelINS0_14default_configENS1_38merge_sort_block_merge_config_selectorIiiEEZZNS1_27merge_sort_block_merge_implIS3_N6thrust23THRUST_200600_302600_NS6detail15normal_iteratorINS8_10device_ptrIiEEEESD_jNS1_19radix_merge_compareILb0ELb1EiNS0_19identity_decomposerEEEEE10hipError_tT0_T1_T2_jT3_P12ihipStream_tbPNSt15iterator_traitsISI_E10value_typeEPNSO_ISJ_E10value_typeEPSK_NS1_7vsmem_tEENKUlT_SI_SJ_SK_E_clISD_PiSD_S10_EESH_SX_SI_SJ_SK_EUlSX_E_NS1_11comp_targetILNS1_3genE4ELNS1_11target_archE910ELNS1_3gpuE8ELNS1_3repE0EEENS1_48merge_mergepath_partition_config_static_selectorELNS0_4arch9wavefront6targetE0EEEvSJ_
    .private_segment_fixed_size: 0
    .sgpr_count:     0
    .sgpr_spill_count: 0
    .symbol:         _ZN7rocprim17ROCPRIM_400000_NS6detail17trampoline_kernelINS0_14default_configENS1_38merge_sort_block_merge_config_selectorIiiEEZZNS1_27merge_sort_block_merge_implIS3_N6thrust23THRUST_200600_302600_NS6detail15normal_iteratorINS8_10device_ptrIiEEEESD_jNS1_19radix_merge_compareILb0ELb1EiNS0_19identity_decomposerEEEEE10hipError_tT0_T1_T2_jT3_P12ihipStream_tbPNSt15iterator_traitsISI_E10value_typeEPNSO_ISJ_E10value_typeEPSK_NS1_7vsmem_tEENKUlT_SI_SJ_SK_E_clISD_PiSD_S10_EESH_SX_SI_SJ_SK_EUlSX_E_NS1_11comp_targetILNS1_3genE4ELNS1_11target_archE910ELNS1_3gpuE8ELNS1_3repE0EEENS1_48merge_mergepath_partition_config_static_selectorELNS0_4arch9wavefront6targetE0EEEvSJ_.kd
    .uniform_work_group_size: 1
    .uses_dynamic_stack: false
    .vgpr_count:     0
    .vgpr_spill_count: 0
    .wavefront_size: 32
    .workgroup_processor_mode: 1
  - .args:
      - .offset:         0
        .size:           40
        .value_kind:     by_value
    .group_segment_fixed_size: 0
    .kernarg_segment_align: 8
    .kernarg_segment_size: 40
    .language:       OpenCL C
    .language_version:
      - 2
      - 0
    .max_flat_workgroup_size: 128
    .name:           _ZN7rocprim17ROCPRIM_400000_NS6detail17trampoline_kernelINS0_14default_configENS1_38merge_sort_block_merge_config_selectorIiiEEZZNS1_27merge_sort_block_merge_implIS3_N6thrust23THRUST_200600_302600_NS6detail15normal_iteratorINS8_10device_ptrIiEEEESD_jNS1_19radix_merge_compareILb0ELb1EiNS0_19identity_decomposerEEEEE10hipError_tT0_T1_T2_jT3_P12ihipStream_tbPNSt15iterator_traitsISI_E10value_typeEPNSO_ISJ_E10value_typeEPSK_NS1_7vsmem_tEENKUlT_SI_SJ_SK_E_clISD_PiSD_S10_EESH_SX_SI_SJ_SK_EUlSX_E_NS1_11comp_targetILNS1_3genE3ELNS1_11target_archE908ELNS1_3gpuE7ELNS1_3repE0EEENS1_48merge_mergepath_partition_config_static_selectorELNS0_4arch9wavefront6targetE0EEEvSJ_
    .private_segment_fixed_size: 0
    .sgpr_count:     0
    .sgpr_spill_count: 0
    .symbol:         _ZN7rocprim17ROCPRIM_400000_NS6detail17trampoline_kernelINS0_14default_configENS1_38merge_sort_block_merge_config_selectorIiiEEZZNS1_27merge_sort_block_merge_implIS3_N6thrust23THRUST_200600_302600_NS6detail15normal_iteratorINS8_10device_ptrIiEEEESD_jNS1_19radix_merge_compareILb0ELb1EiNS0_19identity_decomposerEEEEE10hipError_tT0_T1_T2_jT3_P12ihipStream_tbPNSt15iterator_traitsISI_E10value_typeEPNSO_ISJ_E10value_typeEPSK_NS1_7vsmem_tEENKUlT_SI_SJ_SK_E_clISD_PiSD_S10_EESH_SX_SI_SJ_SK_EUlSX_E_NS1_11comp_targetILNS1_3genE3ELNS1_11target_archE908ELNS1_3gpuE7ELNS1_3repE0EEENS1_48merge_mergepath_partition_config_static_selectorELNS0_4arch9wavefront6targetE0EEEvSJ_.kd
    .uniform_work_group_size: 1
    .uses_dynamic_stack: false
    .vgpr_count:     0
    .vgpr_spill_count: 0
    .wavefront_size: 32
    .workgroup_processor_mode: 1
  - .args:
      - .offset:         0
        .size:           40
        .value_kind:     by_value
    .group_segment_fixed_size: 0
    .kernarg_segment_align: 8
    .kernarg_segment_size: 40
    .language:       OpenCL C
    .language_version:
      - 2
      - 0
    .max_flat_workgroup_size: 128
    .name:           _ZN7rocprim17ROCPRIM_400000_NS6detail17trampoline_kernelINS0_14default_configENS1_38merge_sort_block_merge_config_selectorIiiEEZZNS1_27merge_sort_block_merge_implIS3_N6thrust23THRUST_200600_302600_NS6detail15normal_iteratorINS8_10device_ptrIiEEEESD_jNS1_19radix_merge_compareILb0ELb1EiNS0_19identity_decomposerEEEEE10hipError_tT0_T1_T2_jT3_P12ihipStream_tbPNSt15iterator_traitsISI_E10value_typeEPNSO_ISJ_E10value_typeEPSK_NS1_7vsmem_tEENKUlT_SI_SJ_SK_E_clISD_PiSD_S10_EESH_SX_SI_SJ_SK_EUlSX_E_NS1_11comp_targetILNS1_3genE2ELNS1_11target_archE906ELNS1_3gpuE6ELNS1_3repE0EEENS1_48merge_mergepath_partition_config_static_selectorELNS0_4arch9wavefront6targetE0EEEvSJ_
    .private_segment_fixed_size: 0
    .sgpr_count:     0
    .sgpr_spill_count: 0
    .symbol:         _ZN7rocprim17ROCPRIM_400000_NS6detail17trampoline_kernelINS0_14default_configENS1_38merge_sort_block_merge_config_selectorIiiEEZZNS1_27merge_sort_block_merge_implIS3_N6thrust23THRUST_200600_302600_NS6detail15normal_iteratorINS8_10device_ptrIiEEEESD_jNS1_19radix_merge_compareILb0ELb1EiNS0_19identity_decomposerEEEEE10hipError_tT0_T1_T2_jT3_P12ihipStream_tbPNSt15iterator_traitsISI_E10value_typeEPNSO_ISJ_E10value_typeEPSK_NS1_7vsmem_tEENKUlT_SI_SJ_SK_E_clISD_PiSD_S10_EESH_SX_SI_SJ_SK_EUlSX_E_NS1_11comp_targetILNS1_3genE2ELNS1_11target_archE906ELNS1_3gpuE6ELNS1_3repE0EEENS1_48merge_mergepath_partition_config_static_selectorELNS0_4arch9wavefront6targetE0EEEvSJ_.kd
    .uniform_work_group_size: 1
    .uses_dynamic_stack: false
    .vgpr_count:     0
    .vgpr_spill_count: 0
    .wavefront_size: 32
    .workgroup_processor_mode: 1
  - .args:
      - .offset:         0
        .size:           40
        .value_kind:     by_value
    .group_segment_fixed_size: 0
    .kernarg_segment_align: 8
    .kernarg_segment_size: 40
    .language:       OpenCL C
    .language_version:
      - 2
      - 0
    .max_flat_workgroup_size: 128
    .name:           _ZN7rocprim17ROCPRIM_400000_NS6detail17trampoline_kernelINS0_14default_configENS1_38merge_sort_block_merge_config_selectorIiiEEZZNS1_27merge_sort_block_merge_implIS3_N6thrust23THRUST_200600_302600_NS6detail15normal_iteratorINS8_10device_ptrIiEEEESD_jNS1_19radix_merge_compareILb0ELb1EiNS0_19identity_decomposerEEEEE10hipError_tT0_T1_T2_jT3_P12ihipStream_tbPNSt15iterator_traitsISI_E10value_typeEPNSO_ISJ_E10value_typeEPSK_NS1_7vsmem_tEENKUlT_SI_SJ_SK_E_clISD_PiSD_S10_EESH_SX_SI_SJ_SK_EUlSX_E_NS1_11comp_targetILNS1_3genE9ELNS1_11target_archE1100ELNS1_3gpuE3ELNS1_3repE0EEENS1_48merge_mergepath_partition_config_static_selectorELNS0_4arch9wavefront6targetE0EEEvSJ_
    .private_segment_fixed_size: 0
    .sgpr_count:     0
    .sgpr_spill_count: 0
    .symbol:         _ZN7rocprim17ROCPRIM_400000_NS6detail17trampoline_kernelINS0_14default_configENS1_38merge_sort_block_merge_config_selectorIiiEEZZNS1_27merge_sort_block_merge_implIS3_N6thrust23THRUST_200600_302600_NS6detail15normal_iteratorINS8_10device_ptrIiEEEESD_jNS1_19radix_merge_compareILb0ELb1EiNS0_19identity_decomposerEEEEE10hipError_tT0_T1_T2_jT3_P12ihipStream_tbPNSt15iterator_traitsISI_E10value_typeEPNSO_ISJ_E10value_typeEPSK_NS1_7vsmem_tEENKUlT_SI_SJ_SK_E_clISD_PiSD_S10_EESH_SX_SI_SJ_SK_EUlSX_E_NS1_11comp_targetILNS1_3genE9ELNS1_11target_archE1100ELNS1_3gpuE3ELNS1_3repE0EEENS1_48merge_mergepath_partition_config_static_selectorELNS0_4arch9wavefront6targetE0EEEvSJ_.kd
    .uniform_work_group_size: 1
    .uses_dynamic_stack: false
    .vgpr_count:     0
    .vgpr_spill_count: 0
    .wavefront_size: 32
    .workgroup_processor_mode: 1
  - .args:
      - .offset:         0
        .size:           40
        .value_kind:     by_value
    .group_segment_fixed_size: 0
    .kernarg_segment_align: 8
    .kernarg_segment_size: 40
    .language:       OpenCL C
    .language_version:
      - 2
      - 0
    .max_flat_workgroup_size: 128
    .name:           _ZN7rocprim17ROCPRIM_400000_NS6detail17trampoline_kernelINS0_14default_configENS1_38merge_sort_block_merge_config_selectorIiiEEZZNS1_27merge_sort_block_merge_implIS3_N6thrust23THRUST_200600_302600_NS6detail15normal_iteratorINS8_10device_ptrIiEEEESD_jNS1_19radix_merge_compareILb0ELb1EiNS0_19identity_decomposerEEEEE10hipError_tT0_T1_T2_jT3_P12ihipStream_tbPNSt15iterator_traitsISI_E10value_typeEPNSO_ISJ_E10value_typeEPSK_NS1_7vsmem_tEENKUlT_SI_SJ_SK_E_clISD_PiSD_S10_EESH_SX_SI_SJ_SK_EUlSX_E_NS1_11comp_targetILNS1_3genE8ELNS1_11target_archE1030ELNS1_3gpuE2ELNS1_3repE0EEENS1_48merge_mergepath_partition_config_static_selectorELNS0_4arch9wavefront6targetE0EEEvSJ_
    .private_segment_fixed_size: 0
    .sgpr_count:     10
    .sgpr_spill_count: 0
    .symbol:         _ZN7rocprim17ROCPRIM_400000_NS6detail17trampoline_kernelINS0_14default_configENS1_38merge_sort_block_merge_config_selectorIiiEEZZNS1_27merge_sort_block_merge_implIS3_N6thrust23THRUST_200600_302600_NS6detail15normal_iteratorINS8_10device_ptrIiEEEESD_jNS1_19radix_merge_compareILb0ELb1EiNS0_19identity_decomposerEEEEE10hipError_tT0_T1_T2_jT3_P12ihipStream_tbPNSt15iterator_traitsISI_E10value_typeEPNSO_ISJ_E10value_typeEPSK_NS1_7vsmem_tEENKUlT_SI_SJ_SK_E_clISD_PiSD_S10_EESH_SX_SI_SJ_SK_EUlSX_E_NS1_11comp_targetILNS1_3genE8ELNS1_11target_archE1030ELNS1_3gpuE2ELNS1_3repE0EEENS1_48merge_mergepath_partition_config_static_selectorELNS0_4arch9wavefront6targetE0EEEvSJ_.kd
    .uniform_work_group_size: 1
    .uses_dynamic_stack: false
    .vgpr_count:     15
    .vgpr_spill_count: 0
    .wavefront_size: 32
    .workgroup_processor_mode: 1
  - .args:
      - .offset:         0
        .size:           64
        .value_kind:     by_value
    .group_segment_fixed_size: 0
    .kernarg_segment_align: 8
    .kernarg_segment_size: 64
    .language:       OpenCL C
    .language_version:
      - 2
      - 0
    .max_flat_workgroup_size: 256
    .name:           _ZN7rocprim17ROCPRIM_400000_NS6detail17trampoline_kernelINS0_14default_configENS1_38merge_sort_block_merge_config_selectorIiiEEZZNS1_27merge_sort_block_merge_implIS3_N6thrust23THRUST_200600_302600_NS6detail15normal_iteratorINS8_10device_ptrIiEEEESD_jNS1_19radix_merge_compareILb0ELb1EiNS0_19identity_decomposerEEEEE10hipError_tT0_T1_T2_jT3_P12ihipStream_tbPNSt15iterator_traitsISI_E10value_typeEPNSO_ISJ_E10value_typeEPSK_NS1_7vsmem_tEENKUlT_SI_SJ_SK_E_clISD_PiSD_S10_EESH_SX_SI_SJ_SK_EUlSX_E0_NS1_11comp_targetILNS1_3genE0ELNS1_11target_archE4294967295ELNS1_3gpuE0ELNS1_3repE0EEENS1_38merge_mergepath_config_static_selectorELNS0_4arch9wavefront6targetE0EEEvSJ_
    .private_segment_fixed_size: 0
    .sgpr_count:     0
    .sgpr_spill_count: 0
    .symbol:         _ZN7rocprim17ROCPRIM_400000_NS6detail17trampoline_kernelINS0_14default_configENS1_38merge_sort_block_merge_config_selectorIiiEEZZNS1_27merge_sort_block_merge_implIS3_N6thrust23THRUST_200600_302600_NS6detail15normal_iteratorINS8_10device_ptrIiEEEESD_jNS1_19radix_merge_compareILb0ELb1EiNS0_19identity_decomposerEEEEE10hipError_tT0_T1_T2_jT3_P12ihipStream_tbPNSt15iterator_traitsISI_E10value_typeEPNSO_ISJ_E10value_typeEPSK_NS1_7vsmem_tEENKUlT_SI_SJ_SK_E_clISD_PiSD_S10_EESH_SX_SI_SJ_SK_EUlSX_E0_NS1_11comp_targetILNS1_3genE0ELNS1_11target_archE4294967295ELNS1_3gpuE0ELNS1_3repE0EEENS1_38merge_mergepath_config_static_selectorELNS0_4arch9wavefront6targetE0EEEvSJ_.kd
    .uniform_work_group_size: 1
    .uses_dynamic_stack: false
    .vgpr_count:     0
    .vgpr_spill_count: 0
    .wavefront_size: 32
    .workgroup_processor_mode: 1
  - .args:
      - .offset:         0
        .size:           64
        .value_kind:     by_value
    .group_segment_fixed_size: 0
    .kernarg_segment_align: 8
    .kernarg_segment_size: 64
    .language:       OpenCL C
    .language_version:
      - 2
      - 0
    .max_flat_workgroup_size: 256
    .name:           _ZN7rocprim17ROCPRIM_400000_NS6detail17trampoline_kernelINS0_14default_configENS1_38merge_sort_block_merge_config_selectorIiiEEZZNS1_27merge_sort_block_merge_implIS3_N6thrust23THRUST_200600_302600_NS6detail15normal_iteratorINS8_10device_ptrIiEEEESD_jNS1_19radix_merge_compareILb0ELb1EiNS0_19identity_decomposerEEEEE10hipError_tT0_T1_T2_jT3_P12ihipStream_tbPNSt15iterator_traitsISI_E10value_typeEPNSO_ISJ_E10value_typeEPSK_NS1_7vsmem_tEENKUlT_SI_SJ_SK_E_clISD_PiSD_S10_EESH_SX_SI_SJ_SK_EUlSX_E0_NS1_11comp_targetILNS1_3genE10ELNS1_11target_archE1201ELNS1_3gpuE5ELNS1_3repE0EEENS1_38merge_mergepath_config_static_selectorELNS0_4arch9wavefront6targetE0EEEvSJ_
    .private_segment_fixed_size: 0
    .sgpr_count:     0
    .sgpr_spill_count: 0
    .symbol:         _ZN7rocprim17ROCPRIM_400000_NS6detail17trampoline_kernelINS0_14default_configENS1_38merge_sort_block_merge_config_selectorIiiEEZZNS1_27merge_sort_block_merge_implIS3_N6thrust23THRUST_200600_302600_NS6detail15normal_iteratorINS8_10device_ptrIiEEEESD_jNS1_19radix_merge_compareILb0ELb1EiNS0_19identity_decomposerEEEEE10hipError_tT0_T1_T2_jT3_P12ihipStream_tbPNSt15iterator_traitsISI_E10value_typeEPNSO_ISJ_E10value_typeEPSK_NS1_7vsmem_tEENKUlT_SI_SJ_SK_E_clISD_PiSD_S10_EESH_SX_SI_SJ_SK_EUlSX_E0_NS1_11comp_targetILNS1_3genE10ELNS1_11target_archE1201ELNS1_3gpuE5ELNS1_3repE0EEENS1_38merge_mergepath_config_static_selectorELNS0_4arch9wavefront6targetE0EEEvSJ_.kd
    .uniform_work_group_size: 1
    .uses_dynamic_stack: false
    .vgpr_count:     0
    .vgpr_spill_count: 0
    .wavefront_size: 32
    .workgroup_processor_mode: 1
  - .args:
      - .offset:         0
        .size:           64
        .value_kind:     by_value
    .group_segment_fixed_size: 0
    .kernarg_segment_align: 8
    .kernarg_segment_size: 64
    .language:       OpenCL C
    .language_version:
      - 2
      - 0
    .max_flat_workgroup_size: 128
    .name:           _ZN7rocprim17ROCPRIM_400000_NS6detail17trampoline_kernelINS0_14default_configENS1_38merge_sort_block_merge_config_selectorIiiEEZZNS1_27merge_sort_block_merge_implIS3_N6thrust23THRUST_200600_302600_NS6detail15normal_iteratorINS8_10device_ptrIiEEEESD_jNS1_19radix_merge_compareILb0ELb1EiNS0_19identity_decomposerEEEEE10hipError_tT0_T1_T2_jT3_P12ihipStream_tbPNSt15iterator_traitsISI_E10value_typeEPNSO_ISJ_E10value_typeEPSK_NS1_7vsmem_tEENKUlT_SI_SJ_SK_E_clISD_PiSD_S10_EESH_SX_SI_SJ_SK_EUlSX_E0_NS1_11comp_targetILNS1_3genE5ELNS1_11target_archE942ELNS1_3gpuE9ELNS1_3repE0EEENS1_38merge_mergepath_config_static_selectorELNS0_4arch9wavefront6targetE0EEEvSJ_
    .private_segment_fixed_size: 0
    .sgpr_count:     0
    .sgpr_spill_count: 0
    .symbol:         _ZN7rocprim17ROCPRIM_400000_NS6detail17trampoline_kernelINS0_14default_configENS1_38merge_sort_block_merge_config_selectorIiiEEZZNS1_27merge_sort_block_merge_implIS3_N6thrust23THRUST_200600_302600_NS6detail15normal_iteratorINS8_10device_ptrIiEEEESD_jNS1_19radix_merge_compareILb0ELb1EiNS0_19identity_decomposerEEEEE10hipError_tT0_T1_T2_jT3_P12ihipStream_tbPNSt15iterator_traitsISI_E10value_typeEPNSO_ISJ_E10value_typeEPSK_NS1_7vsmem_tEENKUlT_SI_SJ_SK_E_clISD_PiSD_S10_EESH_SX_SI_SJ_SK_EUlSX_E0_NS1_11comp_targetILNS1_3genE5ELNS1_11target_archE942ELNS1_3gpuE9ELNS1_3repE0EEENS1_38merge_mergepath_config_static_selectorELNS0_4arch9wavefront6targetE0EEEvSJ_.kd
    .uniform_work_group_size: 1
    .uses_dynamic_stack: false
    .vgpr_count:     0
    .vgpr_spill_count: 0
    .wavefront_size: 32
    .workgroup_processor_mode: 1
  - .args:
      - .offset:         0
        .size:           64
        .value_kind:     by_value
    .group_segment_fixed_size: 0
    .kernarg_segment_align: 8
    .kernarg_segment_size: 64
    .language:       OpenCL C
    .language_version:
      - 2
      - 0
    .max_flat_workgroup_size: 256
    .name:           _ZN7rocprim17ROCPRIM_400000_NS6detail17trampoline_kernelINS0_14default_configENS1_38merge_sort_block_merge_config_selectorIiiEEZZNS1_27merge_sort_block_merge_implIS3_N6thrust23THRUST_200600_302600_NS6detail15normal_iteratorINS8_10device_ptrIiEEEESD_jNS1_19radix_merge_compareILb0ELb1EiNS0_19identity_decomposerEEEEE10hipError_tT0_T1_T2_jT3_P12ihipStream_tbPNSt15iterator_traitsISI_E10value_typeEPNSO_ISJ_E10value_typeEPSK_NS1_7vsmem_tEENKUlT_SI_SJ_SK_E_clISD_PiSD_S10_EESH_SX_SI_SJ_SK_EUlSX_E0_NS1_11comp_targetILNS1_3genE4ELNS1_11target_archE910ELNS1_3gpuE8ELNS1_3repE0EEENS1_38merge_mergepath_config_static_selectorELNS0_4arch9wavefront6targetE0EEEvSJ_
    .private_segment_fixed_size: 0
    .sgpr_count:     0
    .sgpr_spill_count: 0
    .symbol:         _ZN7rocprim17ROCPRIM_400000_NS6detail17trampoline_kernelINS0_14default_configENS1_38merge_sort_block_merge_config_selectorIiiEEZZNS1_27merge_sort_block_merge_implIS3_N6thrust23THRUST_200600_302600_NS6detail15normal_iteratorINS8_10device_ptrIiEEEESD_jNS1_19radix_merge_compareILb0ELb1EiNS0_19identity_decomposerEEEEE10hipError_tT0_T1_T2_jT3_P12ihipStream_tbPNSt15iterator_traitsISI_E10value_typeEPNSO_ISJ_E10value_typeEPSK_NS1_7vsmem_tEENKUlT_SI_SJ_SK_E_clISD_PiSD_S10_EESH_SX_SI_SJ_SK_EUlSX_E0_NS1_11comp_targetILNS1_3genE4ELNS1_11target_archE910ELNS1_3gpuE8ELNS1_3repE0EEENS1_38merge_mergepath_config_static_selectorELNS0_4arch9wavefront6targetE0EEEvSJ_.kd
    .uniform_work_group_size: 1
    .uses_dynamic_stack: false
    .vgpr_count:     0
    .vgpr_spill_count: 0
    .wavefront_size: 32
    .workgroup_processor_mode: 1
  - .args:
      - .offset:         0
        .size:           64
        .value_kind:     by_value
    .group_segment_fixed_size: 0
    .kernarg_segment_align: 8
    .kernarg_segment_size: 64
    .language:       OpenCL C
    .language_version:
      - 2
      - 0
    .max_flat_workgroup_size: 256
    .name:           _ZN7rocprim17ROCPRIM_400000_NS6detail17trampoline_kernelINS0_14default_configENS1_38merge_sort_block_merge_config_selectorIiiEEZZNS1_27merge_sort_block_merge_implIS3_N6thrust23THRUST_200600_302600_NS6detail15normal_iteratorINS8_10device_ptrIiEEEESD_jNS1_19radix_merge_compareILb0ELb1EiNS0_19identity_decomposerEEEEE10hipError_tT0_T1_T2_jT3_P12ihipStream_tbPNSt15iterator_traitsISI_E10value_typeEPNSO_ISJ_E10value_typeEPSK_NS1_7vsmem_tEENKUlT_SI_SJ_SK_E_clISD_PiSD_S10_EESH_SX_SI_SJ_SK_EUlSX_E0_NS1_11comp_targetILNS1_3genE3ELNS1_11target_archE908ELNS1_3gpuE7ELNS1_3repE0EEENS1_38merge_mergepath_config_static_selectorELNS0_4arch9wavefront6targetE0EEEvSJ_
    .private_segment_fixed_size: 0
    .sgpr_count:     0
    .sgpr_spill_count: 0
    .symbol:         _ZN7rocprim17ROCPRIM_400000_NS6detail17trampoline_kernelINS0_14default_configENS1_38merge_sort_block_merge_config_selectorIiiEEZZNS1_27merge_sort_block_merge_implIS3_N6thrust23THRUST_200600_302600_NS6detail15normal_iteratorINS8_10device_ptrIiEEEESD_jNS1_19radix_merge_compareILb0ELb1EiNS0_19identity_decomposerEEEEE10hipError_tT0_T1_T2_jT3_P12ihipStream_tbPNSt15iterator_traitsISI_E10value_typeEPNSO_ISJ_E10value_typeEPSK_NS1_7vsmem_tEENKUlT_SI_SJ_SK_E_clISD_PiSD_S10_EESH_SX_SI_SJ_SK_EUlSX_E0_NS1_11comp_targetILNS1_3genE3ELNS1_11target_archE908ELNS1_3gpuE7ELNS1_3repE0EEENS1_38merge_mergepath_config_static_selectorELNS0_4arch9wavefront6targetE0EEEvSJ_.kd
    .uniform_work_group_size: 1
    .uses_dynamic_stack: false
    .vgpr_count:     0
    .vgpr_spill_count: 0
    .wavefront_size: 32
    .workgroup_processor_mode: 1
  - .args:
      - .offset:         0
        .size:           64
        .value_kind:     by_value
    .group_segment_fixed_size: 0
    .kernarg_segment_align: 8
    .kernarg_segment_size: 64
    .language:       OpenCL C
    .language_version:
      - 2
      - 0
    .max_flat_workgroup_size: 256
    .name:           _ZN7rocprim17ROCPRIM_400000_NS6detail17trampoline_kernelINS0_14default_configENS1_38merge_sort_block_merge_config_selectorIiiEEZZNS1_27merge_sort_block_merge_implIS3_N6thrust23THRUST_200600_302600_NS6detail15normal_iteratorINS8_10device_ptrIiEEEESD_jNS1_19radix_merge_compareILb0ELb1EiNS0_19identity_decomposerEEEEE10hipError_tT0_T1_T2_jT3_P12ihipStream_tbPNSt15iterator_traitsISI_E10value_typeEPNSO_ISJ_E10value_typeEPSK_NS1_7vsmem_tEENKUlT_SI_SJ_SK_E_clISD_PiSD_S10_EESH_SX_SI_SJ_SK_EUlSX_E0_NS1_11comp_targetILNS1_3genE2ELNS1_11target_archE906ELNS1_3gpuE6ELNS1_3repE0EEENS1_38merge_mergepath_config_static_selectorELNS0_4arch9wavefront6targetE0EEEvSJ_
    .private_segment_fixed_size: 0
    .sgpr_count:     0
    .sgpr_spill_count: 0
    .symbol:         _ZN7rocprim17ROCPRIM_400000_NS6detail17trampoline_kernelINS0_14default_configENS1_38merge_sort_block_merge_config_selectorIiiEEZZNS1_27merge_sort_block_merge_implIS3_N6thrust23THRUST_200600_302600_NS6detail15normal_iteratorINS8_10device_ptrIiEEEESD_jNS1_19radix_merge_compareILb0ELb1EiNS0_19identity_decomposerEEEEE10hipError_tT0_T1_T2_jT3_P12ihipStream_tbPNSt15iterator_traitsISI_E10value_typeEPNSO_ISJ_E10value_typeEPSK_NS1_7vsmem_tEENKUlT_SI_SJ_SK_E_clISD_PiSD_S10_EESH_SX_SI_SJ_SK_EUlSX_E0_NS1_11comp_targetILNS1_3genE2ELNS1_11target_archE906ELNS1_3gpuE6ELNS1_3repE0EEENS1_38merge_mergepath_config_static_selectorELNS0_4arch9wavefront6targetE0EEEvSJ_.kd
    .uniform_work_group_size: 1
    .uses_dynamic_stack: false
    .vgpr_count:     0
    .vgpr_spill_count: 0
    .wavefront_size: 32
    .workgroup_processor_mode: 1
  - .args:
      - .offset:         0
        .size:           64
        .value_kind:     by_value
    .group_segment_fixed_size: 0
    .kernarg_segment_align: 8
    .kernarg_segment_size: 64
    .language:       OpenCL C
    .language_version:
      - 2
      - 0
    .max_flat_workgroup_size: 512
    .name:           _ZN7rocprim17ROCPRIM_400000_NS6detail17trampoline_kernelINS0_14default_configENS1_38merge_sort_block_merge_config_selectorIiiEEZZNS1_27merge_sort_block_merge_implIS3_N6thrust23THRUST_200600_302600_NS6detail15normal_iteratorINS8_10device_ptrIiEEEESD_jNS1_19radix_merge_compareILb0ELb1EiNS0_19identity_decomposerEEEEE10hipError_tT0_T1_T2_jT3_P12ihipStream_tbPNSt15iterator_traitsISI_E10value_typeEPNSO_ISJ_E10value_typeEPSK_NS1_7vsmem_tEENKUlT_SI_SJ_SK_E_clISD_PiSD_S10_EESH_SX_SI_SJ_SK_EUlSX_E0_NS1_11comp_targetILNS1_3genE9ELNS1_11target_archE1100ELNS1_3gpuE3ELNS1_3repE0EEENS1_38merge_mergepath_config_static_selectorELNS0_4arch9wavefront6targetE0EEEvSJ_
    .private_segment_fixed_size: 0
    .sgpr_count:     0
    .sgpr_spill_count: 0
    .symbol:         _ZN7rocprim17ROCPRIM_400000_NS6detail17trampoline_kernelINS0_14default_configENS1_38merge_sort_block_merge_config_selectorIiiEEZZNS1_27merge_sort_block_merge_implIS3_N6thrust23THRUST_200600_302600_NS6detail15normal_iteratorINS8_10device_ptrIiEEEESD_jNS1_19radix_merge_compareILb0ELb1EiNS0_19identity_decomposerEEEEE10hipError_tT0_T1_T2_jT3_P12ihipStream_tbPNSt15iterator_traitsISI_E10value_typeEPNSO_ISJ_E10value_typeEPSK_NS1_7vsmem_tEENKUlT_SI_SJ_SK_E_clISD_PiSD_S10_EESH_SX_SI_SJ_SK_EUlSX_E0_NS1_11comp_targetILNS1_3genE9ELNS1_11target_archE1100ELNS1_3gpuE3ELNS1_3repE0EEENS1_38merge_mergepath_config_static_selectorELNS0_4arch9wavefront6targetE0EEEvSJ_.kd
    .uniform_work_group_size: 1
    .uses_dynamic_stack: false
    .vgpr_count:     0
    .vgpr_spill_count: 0
    .wavefront_size: 32
    .workgroup_processor_mode: 1
  - .args:
      - .offset:         0
        .size:           64
        .value_kind:     by_value
      - .offset:         64
        .size:           4
        .value_kind:     hidden_block_count_x
      - .offset:         68
        .size:           4
        .value_kind:     hidden_block_count_y
      - .offset:         72
        .size:           4
        .value_kind:     hidden_block_count_z
      - .offset:         76
        .size:           2
        .value_kind:     hidden_group_size_x
      - .offset:         78
        .size:           2
        .value_kind:     hidden_group_size_y
      - .offset:         80
        .size:           2
        .value_kind:     hidden_group_size_z
      - .offset:         82
        .size:           2
        .value_kind:     hidden_remainder_x
      - .offset:         84
        .size:           2
        .value_kind:     hidden_remainder_y
      - .offset:         86
        .size:           2
        .value_kind:     hidden_remainder_z
      - .offset:         104
        .size:           8
        .value_kind:     hidden_global_offset_x
      - .offset:         112
        .size:           8
        .value_kind:     hidden_global_offset_y
      - .offset:         120
        .size:           8
        .value_kind:     hidden_global_offset_z
      - .offset:         128
        .size:           2
        .value_kind:     hidden_grid_dims
    .group_segment_fixed_size: 4112
    .kernarg_segment_align: 8
    .kernarg_segment_size: 320
    .language:       OpenCL C
    .language_version:
      - 2
      - 0
    .max_flat_workgroup_size: 1024
    .name:           _ZN7rocprim17ROCPRIM_400000_NS6detail17trampoline_kernelINS0_14default_configENS1_38merge_sort_block_merge_config_selectorIiiEEZZNS1_27merge_sort_block_merge_implIS3_N6thrust23THRUST_200600_302600_NS6detail15normal_iteratorINS8_10device_ptrIiEEEESD_jNS1_19radix_merge_compareILb0ELb1EiNS0_19identity_decomposerEEEEE10hipError_tT0_T1_T2_jT3_P12ihipStream_tbPNSt15iterator_traitsISI_E10value_typeEPNSO_ISJ_E10value_typeEPSK_NS1_7vsmem_tEENKUlT_SI_SJ_SK_E_clISD_PiSD_S10_EESH_SX_SI_SJ_SK_EUlSX_E0_NS1_11comp_targetILNS1_3genE8ELNS1_11target_archE1030ELNS1_3gpuE2ELNS1_3repE0EEENS1_38merge_mergepath_config_static_selectorELNS0_4arch9wavefront6targetE0EEEvSJ_
    .private_segment_fixed_size: 0
    .sgpr_count:     28
    .sgpr_spill_count: 0
    .symbol:         _ZN7rocprim17ROCPRIM_400000_NS6detail17trampoline_kernelINS0_14default_configENS1_38merge_sort_block_merge_config_selectorIiiEEZZNS1_27merge_sort_block_merge_implIS3_N6thrust23THRUST_200600_302600_NS6detail15normal_iteratorINS8_10device_ptrIiEEEESD_jNS1_19radix_merge_compareILb0ELb1EiNS0_19identity_decomposerEEEEE10hipError_tT0_T1_T2_jT3_P12ihipStream_tbPNSt15iterator_traitsISI_E10value_typeEPNSO_ISJ_E10value_typeEPSK_NS1_7vsmem_tEENKUlT_SI_SJ_SK_E_clISD_PiSD_S10_EESH_SX_SI_SJ_SK_EUlSX_E0_NS1_11comp_targetILNS1_3genE8ELNS1_11target_archE1030ELNS1_3gpuE2ELNS1_3repE0EEENS1_38merge_mergepath_config_static_selectorELNS0_4arch9wavefront6targetE0EEEvSJ_.kd
    .uniform_work_group_size: 1
    .uses_dynamic_stack: false
    .vgpr_count:     13
    .vgpr_spill_count: 0
    .wavefront_size: 32
    .workgroup_processor_mode: 1
  - .args:
      - .offset:         0
        .size:           48
        .value_kind:     by_value
    .group_segment_fixed_size: 0
    .kernarg_segment_align: 8
    .kernarg_segment_size: 48
    .language:       OpenCL C
    .language_version:
      - 2
      - 0
    .max_flat_workgroup_size: 256
    .name:           _ZN7rocprim17ROCPRIM_400000_NS6detail17trampoline_kernelINS0_14default_configENS1_38merge_sort_block_merge_config_selectorIiiEEZZNS1_27merge_sort_block_merge_implIS3_N6thrust23THRUST_200600_302600_NS6detail15normal_iteratorINS8_10device_ptrIiEEEESD_jNS1_19radix_merge_compareILb0ELb1EiNS0_19identity_decomposerEEEEE10hipError_tT0_T1_T2_jT3_P12ihipStream_tbPNSt15iterator_traitsISI_E10value_typeEPNSO_ISJ_E10value_typeEPSK_NS1_7vsmem_tEENKUlT_SI_SJ_SK_E_clISD_PiSD_S10_EESH_SX_SI_SJ_SK_EUlSX_E1_NS1_11comp_targetILNS1_3genE0ELNS1_11target_archE4294967295ELNS1_3gpuE0ELNS1_3repE0EEENS1_36merge_oddeven_config_static_selectorELNS0_4arch9wavefront6targetE0EEEvSJ_
    .private_segment_fixed_size: 0
    .sgpr_count:     0
    .sgpr_spill_count: 0
    .symbol:         _ZN7rocprim17ROCPRIM_400000_NS6detail17trampoline_kernelINS0_14default_configENS1_38merge_sort_block_merge_config_selectorIiiEEZZNS1_27merge_sort_block_merge_implIS3_N6thrust23THRUST_200600_302600_NS6detail15normal_iteratorINS8_10device_ptrIiEEEESD_jNS1_19radix_merge_compareILb0ELb1EiNS0_19identity_decomposerEEEEE10hipError_tT0_T1_T2_jT3_P12ihipStream_tbPNSt15iterator_traitsISI_E10value_typeEPNSO_ISJ_E10value_typeEPSK_NS1_7vsmem_tEENKUlT_SI_SJ_SK_E_clISD_PiSD_S10_EESH_SX_SI_SJ_SK_EUlSX_E1_NS1_11comp_targetILNS1_3genE0ELNS1_11target_archE4294967295ELNS1_3gpuE0ELNS1_3repE0EEENS1_36merge_oddeven_config_static_selectorELNS0_4arch9wavefront6targetE0EEEvSJ_.kd
    .uniform_work_group_size: 1
    .uses_dynamic_stack: false
    .vgpr_count:     0
    .vgpr_spill_count: 0
    .wavefront_size: 32
    .workgroup_processor_mode: 1
  - .args:
      - .offset:         0
        .size:           48
        .value_kind:     by_value
    .group_segment_fixed_size: 0
    .kernarg_segment_align: 8
    .kernarg_segment_size: 48
    .language:       OpenCL C
    .language_version:
      - 2
      - 0
    .max_flat_workgroup_size: 256
    .name:           _ZN7rocprim17ROCPRIM_400000_NS6detail17trampoline_kernelINS0_14default_configENS1_38merge_sort_block_merge_config_selectorIiiEEZZNS1_27merge_sort_block_merge_implIS3_N6thrust23THRUST_200600_302600_NS6detail15normal_iteratorINS8_10device_ptrIiEEEESD_jNS1_19radix_merge_compareILb0ELb1EiNS0_19identity_decomposerEEEEE10hipError_tT0_T1_T2_jT3_P12ihipStream_tbPNSt15iterator_traitsISI_E10value_typeEPNSO_ISJ_E10value_typeEPSK_NS1_7vsmem_tEENKUlT_SI_SJ_SK_E_clISD_PiSD_S10_EESH_SX_SI_SJ_SK_EUlSX_E1_NS1_11comp_targetILNS1_3genE10ELNS1_11target_archE1201ELNS1_3gpuE5ELNS1_3repE0EEENS1_36merge_oddeven_config_static_selectorELNS0_4arch9wavefront6targetE0EEEvSJ_
    .private_segment_fixed_size: 0
    .sgpr_count:     0
    .sgpr_spill_count: 0
    .symbol:         _ZN7rocprim17ROCPRIM_400000_NS6detail17trampoline_kernelINS0_14default_configENS1_38merge_sort_block_merge_config_selectorIiiEEZZNS1_27merge_sort_block_merge_implIS3_N6thrust23THRUST_200600_302600_NS6detail15normal_iteratorINS8_10device_ptrIiEEEESD_jNS1_19radix_merge_compareILb0ELb1EiNS0_19identity_decomposerEEEEE10hipError_tT0_T1_T2_jT3_P12ihipStream_tbPNSt15iterator_traitsISI_E10value_typeEPNSO_ISJ_E10value_typeEPSK_NS1_7vsmem_tEENKUlT_SI_SJ_SK_E_clISD_PiSD_S10_EESH_SX_SI_SJ_SK_EUlSX_E1_NS1_11comp_targetILNS1_3genE10ELNS1_11target_archE1201ELNS1_3gpuE5ELNS1_3repE0EEENS1_36merge_oddeven_config_static_selectorELNS0_4arch9wavefront6targetE0EEEvSJ_.kd
    .uniform_work_group_size: 1
    .uses_dynamic_stack: false
    .vgpr_count:     0
    .vgpr_spill_count: 0
    .wavefront_size: 32
    .workgroup_processor_mode: 1
  - .args:
      - .offset:         0
        .size:           48
        .value_kind:     by_value
    .group_segment_fixed_size: 0
    .kernarg_segment_align: 8
    .kernarg_segment_size: 48
    .language:       OpenCL C
    .language_version:
      - 2
      - 0
    .max_flat_workgroup_size: 256
    .name:           _ZN7rocprim17ROCPRIM_400000_NS6detail17trampoline_kernelINS0_14default_configENS1_38merge_sort_block_merge_config_selectorIiiEEZZNS1_27merge_sort_block_merge_implIS3_N6thrust23THRUST_200600_302600_NS6detail15normal_iteratorINS8_10device_ptrIiEEEESD_jNS1_19radix_merge_compareILb0ELb1EiNS0_19identity_decomposerEEEEE10hipError_tT0_T1_T2_jT3_P12ihipStream_tbPNSt15iterator_traitsISI_E10value_typeEPNSO_ISJ_E10value_typeEPSK_NS1_7vsmem_tEENKUlT_SI_SJ_SK_E_clISD_PiSD_S10_EESH_SX_SI_SJ_SK_EUlSX_E1_NS1_11comp_targetILNS1_3genE5ELNS1_11target_archE942ELNS1_3gpuE9ELNS1_3repE0EEENS1_36merge_oddeven_config_static_selectorELNS0_4arch9wavefront6targetE0EEEvSJ_
    .private_segment_fixed_size: 0
    .sgpr_count:     0
    .sgpr_spill_count: 0
    .symbol:         _ZN7rocprim17ROCPRIM_400000_NS6detail17trampoline_kernelINS0_14default_configENS1_38merge_sort_block_merge_config_selectorIiiEEZZNS1_27merge_sort_block_merge_implIS3_N6thrust23THRUST_200600_302600_NS6detail15normal_iteratorINS8_10device_ptrIiEEEESD_jNS1_19radix_merge_compareILb0ELb1EiNS0_19identity_decomposerEEEEE10hipError_tT0_T1_T2_jT3_P12ihipStream_tbPNSt15iterator_traitsISI_E10value_typeEPNSO_ISJ_E10value_typeEPSK_NS1_7vsmem_tEENKUlT_SI_SJ_SK_E_clISD_PiSD_S10_EESH_SX_SI_SJ_SK_EUlSX_E1_NS1_11comp_targetILNS1_3genE5ELNS1_11target_archE942ELNS1_3gpuE9ELNS1_3repE0EEENS1_36merge_oddeven_config_static_selectorELNS0_4arch9wavefront6targetE0EEEvSJ_.kd
    .uniform_work_group_size: 1
    .uses_dynamic_stack: false
    .vgpr_count:     0
    .vgpr_spill_count: 0
    .wavefront_size: 32
    .workgroup_processor_mode: 1
  - .args:
      - .offset:         0
        .size:           48
        .value_kind:     by_value
    .group_segment_fixed_size: 0
    .kernarg_segment_align: 8
    .kernarg_segment_size: 48
    .language:       OpenCL C
    .language_version:
      - 2
      - 0
    .max_flat_workgroup_size: 256
    .name:           _ZN7rocprim17ROCPRIM_400000_NS6detail17trampoline_kernelINS0_14default_configENS1_38merge_sort_block_merge_config_selectorIiiEEZZNS1_27merge_sort_block_merge_implIS3_N6thrust23THRUST_200600_302600_NS6detail15normal_iteratorINS8_10device_ptrIiEEEESD_jNS1_19radix_merge_compareILb0ELb1EiNS0_19identity_decomposerEEEEE10hipError_tT0_T1_T2_jT3_P12ihipStream_tbPNSt15iterator_traitsISI_E10value_typeEPNSO_ISJ_E10value_typeEPSK_NS1_7vsmem_tEENKUlT_SI_SJ_SK_E_clISD_PiSD_S10_EESH_SX_SI_SJ_SK_EUlSX_E1_NS1_11comp_targetILNS1_3genE4ELNS1_11target_archE910ELNS1_3gpuE8ELNS1_3repE0EEENS1_36merge_oddeven_config_static_selectorELNS0_4arch9wavefront6targetE0EEEvSJ_
    .private_segment_fixed_size: 0
    .sgpr_count:     0
    .sgpr_spill_count: 0
    .symbol:         _ZN7rocprim17ROCPRIM_400000_NS6detail17trampoline_kernelINS0_14default_configENS1_38merge_sort_block_merge_config_selectorIiiEEZZNS1_27merge_sort_block_merge_implIS3_N6thrust23THRUST_200600_302600_NS6detail15normal_iteratorINS8_10device_ptrIiEEEESD_jNS1_19radix_merge_compareILb0ELb1EiNS0_19identity_decomposerEEEEE10hipError_tT0_T1_T2_jT3_P12ihipStream_tbPNSt15iterator_traitsISI_E10value_typeEPNSO_ISJ_E10value_typeEPSK_NS1_7vsmem_tEENKUlT_SI_SJ_SK_E_clISD_PiSD_S10_EESH_SX_SI_SJ_SK_EUlSX_E1_NS1_11comp_targetILNS1_3genE4ELNS1_11target_archE910ELNS1_3gpuE8ELNS1_3repE0EEENS1_36merge_oddeven_config_static_selectorELNS0_4arch9wavefront6targetE0EEEvSJ_.kd
    .uniform_work_group_size: 1
    .uses_dynamic_stack: false
    .vgpr_count:     0
    .vgpr_spill_count: 0
    .wavefront_size: 32
    .workgroup_processor_mode: 1
  - .args:
      - .offset:         0
        .size:           48
        .value_kind:     by_value
    .group_segment_fixed_size: 0
    .kernarg_segment_align: 8
    .kernarg_segment_size: 48
    .language:       OpenCL C
    .language_version:
      - 2
      - 0
    .max_flat_workgroup_size: 256
    .name:           _ZN7rocprim17ROCPRIM_400000_NS6detail17trampoline_kernelINS0_14default_configENS1_38merge_sort_block_merge_config_selectorIiiEEZZNS1_27merge_sort_block_merge_implIS3_N6thrust23THRUST_200600_302600_NS6detail15normal_iteratorINS8_10device_ptrIiEEEESD_jNS1_19radix_merge_compareILb0ELb1EiNS0_19identity_decomposerEEEEE10hipError_tT0_T1_T2_jT3_P12ihipStream_tbPNSt15iterator_traitsISI_E10value_typeEPNSO_ISJ_E10value_typeEPSK_NS1_7vsmem_tEENKUlT_SI_SJ_SK_E_clISD_PiSD_S10_EESH_SX_SI_SJ_SK_EUlSX_E1_NS1_11comp_targetILNS1_3genE3ELNS1_11target_archE908ELNS1_3gpuE7ELNS1_3repE0EEENS1_36merge_oddeven_config_static_selectorELNS0_4arch9wavefront6targetE0EEEvSJ_
    .private_segment_fixed_size: 0
    .sgpr_count:     0
    .sgpr_spill_count: 0
    .symbol:         _ZN7rocprim17ROCPRIM_400000_NS6detail17trampoline_kernelINS0_14default_configENS1_38merge_sort_block_merge_config_selectorIiiEEZZNS1_27merge_sort_block_merge_implIS3_N6thrust23THRUST_200600_302600_NS6detail15normal_iteratorINS8_10device_ptrIiEEEESD_jNS1_19radix_merge_compareILb0ELb1EiNS0_19identity_decomposerEEEEE10hipError_tT0_T1_T2_jT3_P12ihipStream_tbPNSt15iterator_traitsISI_E10value_typeEPNSO_ISJ_E10value_typeEPSK_NS1_7vsmem_tEENKUlT_SI_SJ_SK_E_clISD_PiSD_S10_EESH_SX_SI_SJ_SK_EUlSX_E1_NS1_11comp_targetILNS1_3genE3ELNS1_11target_archE908ELNS1_3gpuE7ELNS1_3repE0EEENS1_36merge_oddeven_config_static_selectorELNS0_4arch9wavefront6targetE0EEEvSJ_.kd
    .uniform_work_group_size: 1
    .uses_dynamic_stack: false
    .vgpr_count:     0
    .vgpr_spill_count: 0
    .wavefront_size: 32
    .workgroup_processor_mode: 1
  - .args:
      - .offset:         0
        .size:           48
        .value_kind:     by_value
    .group_segment_fixed_size: 0
    .kernarg_segment_align: 8
    .kernarg_segment_size: 48
    .language:       OpenCL C
    .language_version:
      - 2
      - 0
    .max_flat_workgroup_size: 256
    .name:           _ZN7rocprim17ROCPRIM_400000_NS6detail17trampoline_kernelINS0_14default_configENS1_38merge_sort_block_merge_config_selectorIiiEEZZNS1_27merge_sort_block_merge_implIS3_N6thrust23THRUST_200600_302600_NS6detail15normal_iteratorINS8_10device_ptrIiEEEESD_jNS1_19radix_merge_compareILb0ELb1EiNS0_19identity_decomposerEEEEE10hipError_tT0_T1_T2_jT3_P12ihipStream_tbPNSt15iterator_traitsISI_E10value_typeEPNSO_ISJ_E10value_typeEPSK_NS1_7vsmem_tEENKUlT_SI_SJ_SK_E_clISD_PiSD_S10_EESH_SX_SI_SJ_SK_EUlSX_E1_NS1_11comp_targetILNS1_3genE2ELNS1_11target_archE906ELNS1_3gpuE6ELNS1_3repE0EEENS1_36merge_oddeven_config_static_selectorELNS0_4arch9wavefront6targetE0EEEvSJ_
    .private_segment_fixed_size: 0
    .sgpr_count:     0
    .sgpr_spill_count: 0
    .symbol:         _ZN7rocprim17ROCPRIM_400000_NS6detail17trampoline_kernelINS0_14default_configENS1_38merge_sort_block_merge_config_selectorIiiEEZZNS1_27merge_sort_block_merge_implIS3_N6thrust23THRUST_200600_302600_NS6detail15normal_iteratorINS8_10device_ptrIiEEEESD_jNS1_19radix_merge_compareILb0ELb1EiNS0_19identity_decomposerEEEEE10hipError_tT0_T1_T2_jT3_P12ihipStream_tbPNSt15iterator_traitsISI_E10value_typeEPNSO_ISJ_E10value_typeEPSK_NS1_7vsmem_tEENKUlT_SI_SJ_SK_E_clISD_PiSD_S10_EESH_SX_SI_SJ_SK_EUlSX_E1_NS1_11comp_targetILNS1_3genE2ELNS1_11target_archE906ELNS1_3gpuE6ELNS1_3repE0EEENS1_36merge_oddeven_config_static_selectorELNS0_4arch9wavefront6targetE0EEEvSJ_.kd
    .uniform_work_group_size: 1
    .uses_dynamic_stack: false
    .vgpr_count:     0
    .vgpr_spill_count: 0
    .wavefront_size: 32
    .workgroup_processor_mode: 1
  - .args:
      - .offset:         0
        .size:           48
        .value_kind:     by_value
    .group_segment_fixed_size: 0
    .kernarg_segment_align: 8
    .kernarg_segment_size: 48
    .language:       OpenCL C
    .language_version:
      - 2
      - 0
    .max_flat_workgroup_size: 256
    .name:           _ZN7rocprim17ROCPRIM_400000_NS6detail17trampoline_kernelINS0_14default_configENS1_38merge_sort_block_merge_config_selectorIiiEEZZNS1_27merge_sort_block_merge_implIS3_N6thrust23THRUST_200600_302600_NS6detail15normal_iteratorINS8_10device_ptrIiEEEESD_jNS1_19radix_merge_compareILb0ELb1EiNS0_19identity_decomposerEEEEE10hipError_tT0_T1_T2_jT3_P12ihipStream_tbPNSt15iterator_traitsISI_E10value_typeEPNSO_ISJ_E10value_typeEPSK_NS1_7vsmem_tEENKUlT_SI_SJ_SK_E_clISD_PiSD_S10_EESH_SX_SI_SJ_SK_EUlSX_E1_NS1_11comp_targetILNS1_3genE9ELNS1_11target_archE1100ELNS1_3gpuE3ELNS1_3repE0EEENS1_36merge_oddeven_config_static_selectorELNS0_4arch9wavefront6targetE0EEEvSJ_
    .private_segment_fixed_size: 0
    .sgpr_count:     0
    .sgpr_spill_count: 0
    .symbol:         _ZN7rocprim17ROCPRIM_400000_NS6detail17trampoline_kernelINS0_14default_configENS1_38merge_sort_block_merge_config_selectorIiiEEZZNS1_27merge_sort_block_merge_implIS3_N6thrust23THRUST_200600_302600_NS6detail15normal_iteratorINS8_10device_ptrIiEEEESD_jNS1_19radix_merge_compareILb0ELb1EiNS0_19identity_decomposerEEEEE10hipError_tT0_T1_T2_jT3_P12ihipStream_tbPNSt15iterator_traitsISI_E10value_typeEPNSO_ISJ_E10value_typeEPSK_NS1_7vsmem_tEENKUlT_SI_SJ_SK_E_clISD_PiSD_S10_EESH_SX_SI_SJ_SK_EUlSX_E1_NS1_11comp_targetILNS1_3genE9ELNS1_11target_archE1100ELNS1_3gpuE3ELNS1_3repE0EEENS1_36merge_oddeven_config_static_selectorELNS0_4arch9wavefront6targetE0EEEvSJ_.kd
    .uniform_work_group_size: 1
    .uses_dynamic_stack: false
    .vgpr_count:     0
    .vgpr_spill_count: 0
    .wavefront_size: 32
    .workgroup_processor_mode: 1
  - .args:
      - .offset:         0
        .size:           48
        .value_kind:     by_value
    .group_segment_fixed_size: 0
    .kernarg_segment_align: 8
    .kernarg_segment_size: 48
    .language:       OpenCL C
    .language_version:
      - 2
      - 0
    .max_flat_workgroup_size: 256
    .name:           _ZN7rocprim17ROCPRIM_400000_NS6detail17trampoline_kernelINS0_14default_configENS1_38merge_sort_block_merge_config_selectorIiiEEZZNS1_27merge_sort_block_merge_implIS3_N6thrust23THRUST_200600_302600_NS6detail15normal_iteratorINS8_10device_ptrIiEEEESD_jNS1_19radix_merge_compareILb0ELb1EiNS0_19identity_decomposerEEEEE10hipError_tT0_T1_T2_jT3_P12ihipStream_tbPNSt15iterator_traitsISI_E10value_typeEPNSO_ISJ_E10value_typeEPSK_NS1_7vsmem_tEENKUlT_SI_SJ_SK_E_clISD_PiSD_S10_EESH_SX_SI_SJ_SK_EUlSX_E1_NS1_11comp_targetILNS1_3genE8ELNS1_11target_archE1030ELNS1_3gpuE2ELNS1_3repE0EEENS1_36merge_oddeven_config_static_selectorELNS0_4arch9wavefront6targetE0EEEvSJ_
    .private_segment_fixed_size: 0
    .sgpr_count:     24
    .sgpr_spill_count: 0
    .symbol:         _ZN7rocprim17ROCPRIM_400000_NS6detail17trampoline_kernelINS0_14default_configENS1_38merge_sort_block_merge_config_selectorIiiEEZZNS1_27merge_sort_block_merge_implIS3_N6thrust23THRUST_200600_302600_NS6detail15normal_iteratorINS8_10device_ptrIiEEEESD_jNS1_19radix_merge_compareILb0ELb1EiNS0_19identity_decomposerEEEEE10hipError_tT0_T1_T2_jT3_P12ihipStream_tbPNSt15iterator_traitsISI_E10value_typeEPNSO_ISJ_E10value_typeEPSK_NS1_7vsmem_tEENKUlT_SI_SJ_SK_E_clISD_PiSD_S10_EESH_SX_SI_SJ_SK_EUlSX_E1_NS1_11comp_targetILNS1_3genE8ELNS1_11target_archE1030ELNS1_3gpuE2ELNS1_3repE0EEENS1_36merge_oddeven_config_static_selectorELNS0_4arch9wavefront6targetE0EEEvSJ_.kd
    .uniform_work_group_size: 1
    .uses_dynamic_stack: false
    .vgpr_count:     10
    .vgpr_spill_count: 0
    .wavefront_size: 32
    .workgroup_processor_mode: 1
  - .args:
      - .offset:         0
        .size:           40
        .value_kind:     by_value
    .group_segment_fixed_size: 0
    .kernarg_segment_align: 8
    .kernarg_segment_size: 40
    .language:       OpenCL C
    .language_version:
      - 2
      - 0
    .max_flat_workgroup_size: 256
    .name:           _ZN7rocprim17ROCPRIM_400000_NS6detail17trampoline_kernelINS0_14default_configENS1_35radix_sort_onesweep_config_selectorIiiEEZNS1_34radix_sort_onesweep_global_offsetsIS3_Lb0EN6thrust23THRUST_200600_302600_NS6detail15normal_iteratorINS8_10device_ptrIiEEEESD_jNS0_19identity_decomposerEEE10hipError_tT1_T2_PT3_SI_jT4_jjP12ihipStream_tbEUlT_E_NS1_11comp_targetILNS1_3genE0ELNS1_11target_archE4294967295ELNS1_3gpuE0ELNS1_3repE0EEENS1_52radix_sort_onesweep_histogram_config_static_selectorELNS0_4arch9wavefront6targetE0EEEvSG_
    .private_segment_fixed_size: 0
    .sgpr_count:     0
    .sgpr_spill_count: 0
    .symbol:         _ZN7rocprim17ROCPRIM_400000_NS6detail17trampoline_kernelINS0_14default_configENS1_35radix_sort_onesweep_config_selectorIiiEEZNS1_34radix_sort_onesweep_global_offsetsIS3_Lb0EN6thrust23THRUST_200600_302600_NS6detail15normal_iteratorINS8_10device_ptrIiEEEESD_jNS0_19identity_decomposerEEE10hipError_tT1_T2_PT3_SI_jT4_jjP12ihipStream_tbEUlT_E_NS1_11comp_targetILNS1_3genE0ELNS1_11target_archE4294967295ELNS1_3gpuE0ELNS1_3repE0EEENS1_52radix_sort_onesweep_histogram_config_static_selectorELNS0_4arch9wavefront6targetE0EEEvSG_.kd
    .uniform_work_group_size: 1
    .uses_dynamic_stack: false
    .vgpr_count:     0
    .vgpr_spill_count: 0
    .wavefront_size: 32
    .workgroup_processor_mode: 1
  - .args:
      - .offset:         0
        .size:           40
        .value_kind:     by_value
    .group_segment_fixed_size: 0
    .kernarg_segment_align: 8
    .kernarg_segment_size: 40
    .language:       OpenCL C
    .language_version:
      - 2
      - 0
    .max_flat_workgroup_size: 1024
    .name:           _ZN7rocprim17ROCPRIM_400000_NS6detail17trampoline_kernelINS0_14default_configENS1_35radix_sort_onesweep_config_selectorIiiEEZNS1_34radix_sort_onesweep_global_offsetsIS3_Lb0EN6thrust23THRUST_200600_302600_NS6detail15normal_iteratorINS8_10device_ptrIiEEEESD_jNS0_19identity_decomposerEEE10hipError_tT1_T2_PT3_SI_jT4_jjP12ihipStream_tbEUlT_E_NS1_11comp_targetILNS1_3genE6ELNS1_11target_archE950ELNS1_3gpuE13ELNS1_3repE0EEENS1_52radix_sort_onesweep_histogram_config_static_selectorELNS0_4arch9wavefront6targetE0EEEvSG_
    .private_segment_fixed_size: 0
    .sgpr_count:     0
    .sgpr_spill_count: 0
    .symbol:         _ZN7rocprim17ROCPRIM_400000_NS6detail17trampoline_kernelINS0_14default_configENS1_35radix_sort_onesweep_config_selectorIiiEEZNS1_34radix_sort_onesweep_global_offsetsIS3_Lb0EN6thrust23THRUST_200600_302600_NS6detail15normal_iteratorINS8_10device_ptrIiEEEESD_jNS0_19identity_decomposerEEE10hipError_tT1_T2_PT3_SI_jT4_jjP12ihipStream_tbEUlT_E_NS1_11comp_targetILNS1_3genE6ELNS1_11target_archE950ELNS1_3gpuE13ELNS1_3repE0EEENS1_52radix_sort_onesweep_histogram_config_static_selectorELNS0_4arch9wavefront6targetE0EEEvSG_.kd
    .uniform_work_group_size: 1
    .uses_dynamic_stack: false
    .vgpr_count:     0
    .vgpr_spill_count: 0
    .wavefront_size: 32
    .workgroup_processor_mode: 1
  - .args:
      - .offset:         0
        .size:           40
        .value_kind:     by_value
    .group_segment_fixed_size: 0
    .kernarg_segment_align: 8
    .kernarg_segment_size: 40
    .language:       OpenCL C
    .language_version:
      - 2
      - 0
    .max_flat_workgroup_size: 1024
    .name:           _ZN7rocprim17ROCPRIM_400000_NS6detail17trampoline_kernelINS0_14default_configENS1_35radix_sort_onesweep_config_selectorIiiEEZNS1_34radix_sort_onesweep_global_offsetsIS3_Lb0EN6thrust23THRUST_200600_302600_NS6detail15normal_iteratorINS8_10device_ptrIiEEEESD_jNS0_19identity_decomposerEEE10hipError_tT1_T2_PT3_SI_jT4_jjP12ihipStream_tbEUlT_E_NS1_11comp_targetILNS1_3genE5ELNS1_11target_archE942ELNS1_3gpuE9ELNS1_3repE0EEENS1_52radix_sort_onesweep_histogram_config_static_selectorELNS0_4arch9wavefront6targetE0EEEvSG_
    .private_segment_fixed_size: 0
    .sgpr_count:     0
    .sgpr_spill_count: 0
    .symbol:         _ZN7rocprim17ROCPRIM_400000_NS6detail17trampoline_kernelINS0_14default_configENS1_35radix_sort_onesweep_config_selectorIiiEEZNS1_34radix_sort_onesweep_global_offsetsIS3_Lb0EN6thrust23THRUST_200600_302600_NS6detail15normal_iteratorINS8_10device_ptrIiEEEESD_jNS0_19identity_decomposerEEE10hipError_tT1_T2_PT3_SI_jT4_jjP12ihipStream_tbEUlT_E_NS1_11comp_targetILNS1_3genE5ELNS1_11target_archE942ELNS1_3gpuE9ELNS1_3repE0EEENS1_52radix_sort_onesweep_histogram_config_static_selectorELNS0_4arch9wavefront6targetE0EEEvSG_.kd
    .uniform_work_group_size: 1
    .uses_dynamic_stack: false
    .vgpr_count:     0
    .vgpr_spill_count: 0
    .wavefront_size: 32
    .workgroup_processor_mode: 1
  - .args:
      - .offset:         0
        .size:           40
        .value_kind:     by_value
    .group_segment_fixed_size: 0
    .kernarg_segment_align: 8
    .kernarg_segment_size: 40
    .language:       OpenCL C
    .language_version:
      - 2
      - 0
    .max_flat_workgroup_size: 512
    .name:           _ZN7rocprim17ROCPRIM_400000_NS6detail17trampoline_kernelINS0_14default_configENS1_35radix_sort_onesweep_config_selectorIiiEEZNS1_34radix_sort_onesweep_global_offsetsIS3_Lb0EN6thrust23THRUST_200600_302600_NS6detail15normal_iteratorINS8_10device_ptrIiEEEESD_jNS0_19identity_decomposerEEE10hipError_tT1_T2_PT3_SI_jT4_jjP12ihipStream_tbEUlT_E_NS1_11comp_targetILNS1_3genE2ELNS1_11target_archE906ELNS1_3gpuE6ELNS1_3repE0EEENS1_52radix_sort_onesweep_histogram_config_static_selectorELNS0_4arch9wavefront6targetE0EEEvSG_
    .private_segment_fixed_size: 0
    .sgpr_count:     0
    .sgpr_spill_count: 0
    .symbol:         _ZN7rocprim17ROCPRIM_400000_NS6detail17trampoline_kernelINS0_14default_configENS1_35radix_sort_onesweep_config_selectorIiiEEZNS1_34radix_sort_onesweep_global_offsetsIS3_Lb0EN6thrust23THRUST_200600_302600_NS6detail15normal_iteratorINS8_10device_ptrIiEEEESD_jNS0_19identity_decomposerEEE10hipError_tT1_T2_PT3_SI_jT4_jjP12ihipStream_tbEUlT_E_NS1_11comp_targetILNS1_3genE2ELNS1_11target_archE906ELNS1_3gpuE6ELNS1_3repE0EEENS1_52radix_sort_onesweep_histogram_config_static_selectorELNS0_4arch9wavefront6targetE0EEEvSG_.kd
    .uniform_work_group_size: 1
    .uses_dynamic_stack: false
    .vgpr_count:     0
    .vgpr_spill_count: 0
    .wavefront_size: 32
    .workgroup_processor_mode: 1
  - .args:
      - .offset:         0
        .size:           40
        .value_kind:     by_value
    .group_segment_fixed_size: 0
    .kernarg_segment_align: 8
    .kernarg_segment_size: 40
    .language:       OpenCL C
    .language_version:
      - 2
      - 0
    .max_flat_workgroup_size: 512
    .name:           _ZN7rocprim17ROCPRIM_400000_NS6detail17trampoline_kernelINS0_14default_configENS1_35radix_sort_onesweep_config_selectorIiiEEZNS1_34radix_sort_onesweep_global_offsetsIS3_Lb0EN6thrust23THRUST_200600_302600_NS6detail15normal_iteratorINS8_10device_ptrIiEEEESD_jNS0_19identity_decomposerEEE10hipError_tT1_T2_PT3_SI_jT4_jjP12ihipStream_tbEUlT_E_NS1_11comp_targetILNS1_3genE4ELNS1_11target_archE910ELNS1_3gpuE8ELNS1_3repE0EEENS1_52radix_sort_onesweep_histogram_config_static_selectorELNS0_4arch9wavefront6targetE0EEEvSG_
    .private_segment_fixed_size: 0
    .sgpr_count:     0
    .sgpr_spill_count: 0
    .symbol:         _ZN7rocprim17ROCPRIM_400000_NS6detail17trampoline_kernelINS0_14default_configENS1_35radix_sort_onesweep_config_selectorIiiEEZNS1_34radix_sort_onesweep_global_offsetsIS3_Lb0EN6thrust23THRUST_200600_302600_NS6detail15normal_iteratorINS8_10device_ptrIiEEEESD_jNS0_19identity_decomposerEEE10hipError_tT1_T2_PT3_SI_jT4_jjP12ihipStream_tbEUlT_E_NS1_11comp_targetILNS1_3genE4ELNS1_11target_archE910ELNS1_3gpuE8ELNS1_3repE0EEENS1_52radix_sort_onesweep_histogram_config_static_selectorELNS0_4arch9wavefront6targetE0EEEvSG_.kd
    .uniform_work_group_size: 1
    .uses_dynamic_stack: false
    .vgpr_count:     0
    .vgpr_spill_count: 0
    .wavefront_size: 32
    .workgroup_processor_mode: 1
  - .args:
      - .offset:         0
        .size:           40
        .value_kind:     by_value
    .group_segment_fixed_size: 0
    .kernarg_segment_align: 8
    .kernarg_segment_size: 40
    .language:       OpenCL C
    .language_version:
      - 2
      - 0
    .max_flat_workgroup_size: 256
    .name:           _ZN7rocprim17ROCPRIM_400000_NS6detail17trampoline_kernelINS0_14default_configENS1_35radix_sort_onesweep_config_selectorIiiEEZNS1_34radix_sort_onesweep_global_offsetsIS3_Lb0EN6thrust23THRUST_200600_302600_NS6detail15normal_iteratorINS8_10device_ptrIiEEEESD_jNS0_19identity_decomposerEEE10hipError_tT1_T2_PT3_SI_jT4_jjP12ihipStream_tbEUlT_E_NS1_11comp_targetILNS1_3genE3ELNS1_11target_archE908ELNS1_3gpuE7ELNS1_3repE0EEENS1_52radix_sort_onesweep_histogram_config_static_selectorELNS0_4arch9wavefront6targetE0EEEvSG_
    .private_segment_fixed_size: 0
    .sgpr_count:     0
    .sgpr_spill_count: 0
    .symbol:         _ZN7rocprim17ROCPRIM_400000_NS6detail17trampoline_kernelINS0_14default_configENS1_35radix_sort_onesweep_config_selectorIiiEEZNS1_34radix_sort_onesweep_global_offsetsIS3_Lb0EN6thrust23THRUST_200600_302600_NS6detail15normal_iteratorINS8_10device_ptrIiEEEESD_jNS0_19identity_decomposerEEE10hipError_tT1_T2_PT3_SI_jT4_jjP12ihipStream_tbEUlT_E_NS1_11comp_targetILNS1_3genE3ELNS1_11target_archE908ELNS1_3gpuE7ELNS1_3repE0EEENS1_52radix_sort_onesweep_histogram_config_static_selectorELNS0_4arch9wavefront6targetE0EEEvSG_.kd
    .uniform_work_group_size: 1
    .uses_dynamic_stack: false
    .vgpr_count:     0
    .vgpr_spill_count: 0
    .wavefront_size: 32
    .workgroup_processor_mode: 1
  - .args:
      - .offset:         0
        .size:           40
        .value_kind:     by_value
    .group_segment_fixed_size: 0
    .kernarg_segment_align: 8
    .kernarg_segment_size: 40
    .language:       OpenCL C
    .language_version:
      - 2
      - 0
    .max_flat_workgroup_size: 1024
    .name:           _ZN7rocprim17ROCPRIM_400000_NS6detail17trampoline_kernelINS0_14default_configENS1_35radix_sort_onesweep_config_selectorIiiEEZNS1_34radix_sort_onesweep_global_offsetsIS3_Lb0EN6thrust23THRUST_200600_302600_NS6detail15normal_iteratorINS8_10device_ptrIiEEEESD_jNS0_19identity_decomposerEEE10hipError_tT1_T2_PT3_SI_jT4_jjP12ihipStream_tbEUlT_E_NS1_11comp_targetILNS1_3genE10ELNS1_11target_archE1201ELNS1_3gpuE5ELNS1_3repE0EEENS1_52radix_sort_onesweep_histogram_config_static_selectorELNS0_4arch9wavefront6targetE0EEEvSG_
    .private_segment_fixed_size: 0
    .sgpr_count:     0
    .sgpr_spill_count: 0
    .symbol:         _ZN7rocprim17ROCPRIM_400000_NS6detail17trampoline_kernelINS0_14default_configENS1_35radix_sort_onesweep_config_selectorIiiEEZNS1_34radix_sort_onesweep_global_offsetsIS3_Lb0EN6thrust23THRUST_200600_302600_NS6detail15normal_iteratorINS8_10device_ptrIiEEEESD_jNS0_19identity_decomposerEEE10hipError_tT1_T2_PT3_SI_jT4_jjP12ihipStream_tbEUlT_E_NS1_11comp_targetILNS1_3genE10ELNS1_11target_archE1201ELNS1_3gpuE5ELNS1_3repE0EEENS1_52radix_sort_onesweep_histogram_config_static_selectorELNS0_4arch9wavefront6targetE0EEEvSG_.kd
    .uniform_work_group_size: 1
    .uses_dynamic_stack: false
    .vgpr_count:     0
    .vgpr_spill_count: 0
    .wavefront_size: 32
    .workgroup_processor_mode: 1
  - .args:
      - .offset:         0
        .size:           40
        .value_kind:     by_value
    .group_segment_fixed_size: 0
    .kernarg_segment_align: 8
    .kernarg_segment_size: 40
    .language:       OpenCL C
    .language_version:
      - 2
      - 0
    .max_flat_workgroup_size: 1024
    .name:           _ZN7rocprim17ROCPRIM_400000_NS6detail17trampoline_kernelINS0_14default_configENS1_35radix_sort_onesweep_config_selectorIiiEEZNS1_34radix_sort_onesweep_global_offsetsIS3_Lb0EN6thrust23THRUST_200600_302600_NS6detail15normal_iteratorINS8_10device_ptrIiEEEESD_jNS0_19identity_decomposerEEE10hipError_tT1_T2_PT3_SI_jT4_jjP12ihipStream_tbEUlT_E_NS1_11comp_targetILNS1_3genE9ELNS1_11target_archE1100ELNS1_3gpuE3ELNS1_3repE0EEENS1_52radix_sort_onesweep_histogram_config_static_selectorELNS0_4arch9wavefront6targetE0EEEvSG_
    .private_segment_fixed_size: 0
    .sgpr_count:     0
    .sgpr_spill_count: 0
    .symbol:         _ZN7rocprim17ROCPRIM_400000_NS6detail17trampoline_kernelINS0_14default_configENS1_35radix_sort_onesweep_config_selectorIiiEEZNS1_34radix_sort_onesweep_global_offsetsIS3_Lb0EN6thrust23THRUST_200600_302600_NS6detail15normal_iteratorINS8_10device_ptrIiEEEESD_jNS0_19identity_decomposerEEE10hipError_tT1_T2_PT3_SI_jT4_jjP12ihipStream_tbEUlT_E_NS1_11comp_targetILNS1_3genE9ELNS1_11target_archE1100ELNS1_3gpuE3ELNS1_3repE0EEENS1_52radix_sort_onesweep_histogram_config_static_selectorELNS0_4arch9wavefront6targetE0EEEvSG_.kd
    .uniform_work_group_size: 1
    .uses_dynamic_stack: false
    .vgpr_count:     0
    .vgpr_spill_count: 0
    .wavefront_size: 32
    .workgroup_processor_mode: 1
  - .args:
      - .offset:         0
        .size:           40
        .value_kind:     by_value
    .group_segment_fixed_size: 16384
    .kernarg_segment_align: 8
    .kernarg_segment_size: 40
    .language:       OpenCL C
    .language_version:
      - 2
      - 0
    .max_flat_workgroup_size: 1024
    .name:           _ZN7rocprim17ROCPRIM_400000_NS6detail17trampoline_kernelINS0_14default_configENS1_35radix_sort_onesweep_config_selectorIiiEEZNS1_34radix_sort_onesweep_global_offsetsIS3_Lb0EN6thrust23THRUST_200600_302600_NS6detail15normal_iteratorINS8_10device_ptrIiEEEESD_jNS0_19identity_decomposerEEE10hipError_tT1_T2_PT3_SI_jT4_jjP12ihipStream_tbEUlT_E_NS1_11comp_targetILNS1_3genE8ELNS1_11target_archE1030ELNS1_3gpuE2ELNS1_3repE0EEENS1_52radix_sort_onesweep_histogram_config_static_selectorELNS0_4arch9wavefront6targetE0EEEvSG_
    .private_segment_fixed_size: 0
    .sgpr_count:     16
    .sgpr_spill_count: 0
    .symbol:         _ZN7rocprim17ROCPRIM_400000_NS6detail17trampoline_kernelINS0_14default_configENS1_35radix_sort_onesweep_config_selectorIiiEEZNS1_34radix_sort_onesweep_global_offsetsIS3_Lb0EN6thrust23THRUST_200600_302600_NS6detail15normal_iteratorINS8_10device_ptrIiEEEESD_jNS0_19identity_decomposerEEE10hipError_tT1_T2_PT3_SI_jT4_jjP12ihipStream_tbEUlT_E_NS1_11comp_targetILNS1_3genE8ELNS1_11target_archE1030ELNS1_3gpuE2ELNS1_3repE0EEENS1_52radix_sort_onesweep_histogram_config_static_selectorELNS0_4arch9wavefront6targetE0EEEvSG_.kd
    .uniform_work_group_size: 1
    .uses_dynamic_stack: false
    .vgpr_count:     28
    .vgpr_spill_count: 0
    .wavefront_size: 32
    .workgroup_processor_mode: 1
  - .args:
      - .address_space:  global
        .offset:         0
        .size:           8
        .value_kind:     global_buffer
    .group_segment_fixed_size: 0
    .kernarg_segment_align: 8
    .kernarg_segment_size: 8
    .language:       OpenCL C
    .language_version:
      - 2
      - 0
    .max_flat_workgroup_size: 256
    .name:           _ZN7rocprim17ROCPRIM_400000_NS6detail17trampoline_kernelINS0_14default_configENS1_35radix_sort_onesweep_config_selectorIiiEEZNS1_34radix_sort_onesweep_global_offsetsIS3_Lb0EN6thrust23THRUST_200600_302600_NS6detail15normal_iteratorINS8_10device_ptrIiEEEESD_jNS0_19identity_decomposerEEE10hipError_tT1_T2_PT3_SI_jT4_jjP12ihipStream_tbEUlT_E0_NS1_11comp_targetILNS1_3genE0ELNS1_11target_archE4294967295ELNS1_3gpuE0ELNS1_3repE0EEENS1_52radix_sort_onesweep_histogram_config_static_selectorELNS0_4arch9wavefront6targetE0EEEvSG_
    .private_segment_fixed_size: 0
    .sgpr_count:     0
    .sgpr_spill_count: 0
    .symbol:         _ZN7rocprim17ROCPRIM_400000_NS6detail17trampoline_kernelINS0_14default_configENS1_35radix_sort_onesweep_config_selectorIiiEEZNS1_34radix_sort_onesweep_global_offsetsIS3_Lb0EN6thrust23THRUST_200600_302600_NS6detail15normal_iteratorINS8_10device_ptrIiEEEESD_jNS0_19identity_decomposerEEE10hipError_tT1_T2_PT3_SI_jT4_jjP12ihipStream_tbEUlT_E0_NS1_11comp_targetILNS1_3genE0ELNS1_11target_archE4294967295ELNS1_3gpuE0ELNS1_3repE0EEENS1_52radix_sort_onesweep_histogram_config_static_selectorELNS0_4arch9wavefront6targetE0EEEvSG_.kd
    .uniform_work_group_size: 1
    .uses_dynamic_stack: false
    .vgpr_count:     0
    .vgpr_spill_count: 0
    .wavefront_size: 32
    .workgroup_processor_mode: 1
  - .args:
      - .address_space:  global
        .offset:         0
        .size:           8
        .value_kind:     global_buffer
    .group_segment_fixed_size: 0
    .kernarg_segment_align: 8
    .kernarg_segment_size: 8
    .language:       OpenCL C
    .language_version:
      - 2
      - 0
    .max_flat_workgroup_size: 1024
    .name:           _ZN7rocprim17ROCPRIM_400000_NS6detail17trampoline_kernelINS0_14default_configENS1_35radix_sort_onesweep_config_selectorIiiEEZNS1_34radix_sort_onesweep_global_offsetsIS3_Lb0EN6thrust23THRUST_200600_302600_NS6detail15normal_iteratorINS8_10device_ptrIiEEEESD_jNS0_19identity_decomposerEEE10hipError_tT1_T2_PT3_SI_jT4_jjP12ihipStream_tbEUlT_E0_NS1_11comp_targetILNS1_3genE6ELNS1_11target_archE950ELNS1_3gpuE13ELNS1_3repE0EEENS1_52radix_sort_onesweep_histogram_config_static_selectorELNS0_4arch9wavefront6targetE0EEEvSG_
    .private_segment_fixed_size: 0
    .sgpr_count:     0
    .sgpr_spill_count: 0
    .symbol:         _ZN7rocprim17ROCPRIM_400000_NS6detail17trampoline_kernelINS0_14default_configENS1_35radix_sort_onesweep_config_selectorIiiEEZNS1_34radix_sort_onesweep_global_offsetsIS3_Lb0EN6thrust23THRUST_200600_302600_NS6detail15normal_iteratorINS8_10device_ptrIiEEEESD_jNS0_19identity_decomposerEEE10hipError_tT1_T2_PT3_SI_jT4_jjP12ihipStream_tbEUlT_E0_NS1_11comp_targetILNS1_3genE6ELNS1_11target_archE950ELNS1_3gpuE13ELNS1_3repE0EEENS1_52radix_sort_onesweep_histogram_config_static_selectorELNS0_4arch9wavefront6targetE0EEEvSG_.kd
    .uniform_work_group_size: 1
    .uses_dynamic_stack: false
    .vgpr_count:     0
    .vgpr_spill_count: 0
    .wavefront_size: 32
    .workgroup_processor_mode: 1
  - .args:
      - .address_space:  global
        .offset:         0
        .size:           8
        .value_kind:     global_buffer
    .group_segment_fixed_size: 0
    .kernarg_segment_align: 8
    .kernarg_segment_size: 8
    .language:       OpenCL C
    .language_version:
      - 2
      - 0
    .max_flat_workgroup_size: 1024
    .name:           _ZN7rocprim17ROCPRIM_400000_NS6detail17trampoline_kernelINS0_14default_configENS1_35radix_sort_onesweep_config_selectorIiiEEZNS1_34radix_sort_onesweep_global_offsetsIS3_Lb0EN6thrust23THRUST_200600_302600_NS6detail15normal_iteratorINS8_10device_ptrIiEEEESD_jNS0_19identity_decomposerEEE10hipError_tT1_T2_PT3_SI_jT4_jjP12ihipStream_tbEUlT_E0_NS1_11comp_targetILNS1_3genE5ELNS1_11target_archE942ELNS1_3gpuE9ELNS1_3repE0EEENS1_52radix_sort_onesweep_histogram_config_static_selectorELNS0_4arch9wavefront6targetE0EEEvSG_
    .private_segment_fixed_size: 0
    .sgpr_count:     0
    .sgpr_spill_count: 0
    .symbol:         _ZN7rocprim17ROCPRIM_400000_NS6detail17trampoline_kernelINS0_14default_configENS1_35radix_sort_onesweep_config_selectorIiiEEZNS1_34radix_sort_onesweep_global_offsetsIS3_Lb0EN6thrust23THRUST_200600_302600_NS6detail15normal_iteratorINS8_10device_ptrIiEEEESD_jNS0_19identity_decomposerEEE10hipError_tT1_T2_PT3_SI_jT4_jjP12ihipStream_tbEUlT_E0_NS1_11comp_targetILNS1_3genE5ELNS1_11target_archE942ELNS1_3gpuE9ELNS1_3repE0EEENS1_52radix_sort_onesweep_histogram_config_static_selectorELNS0_4arch9wavefront6targetE0EEEvSG_.kd
    .uniform_work_group_size: 1
    .uses_dynamic_stack: false
    .vgpr_count:     0
    .vgpr_spill_count: 0
    .wavefront_size: 32
    .workgroup_processor_mode: 1
  - .args:
      - .address_space:  global
        .offset:         0
        .size:           8
        .value_kind:     global_buffer
    .group_segment_fixed_size: 0
    .kernarg_segment_align: 8
    .kernarg_segment_size: 8
    .language:       OpenCL C
    .language_version:
      - 2
      - 0
    .max_flat_workgroup_size: 512
    .name:           _ZN7rocprim17ROCPRIM_400000_NS6detail17trampoline_kernelINS0_14default_configENS1_35radix_sort_onesweep_config_selectorIiiEEZNS1_34radix_sort_onesweep_global_offsetsIS3_Lb0EN6thrust23THRUST_200600_302600_NS6detail15normal_iteratorINS8_10device_ptrIiEEEESD_jNS0_19identity_decomposerEEE10hipError_tT1_T2_PT3_SI_jT4_jjP12ihipStream_tbEUlT_E0_NS1_11comp_targetILNS1_3genE2ELNS1_11target_archE906ELNS1_3gpuE6ELNS1_3repE0EEENS1_52radix_sort_onesweep_histogram_config_static_selectorELNS0_4arch9wavefront6targetE0EEEvSG_
    .private_segment_fixed_size: 0
    .sgpr_count:     0
    .sgpr_spill_count: 0
    .symbol:         _ZN7rocprim17ROCPRIM_400000_NS6detail17trampoline_kernelINS0_14default_configENS1_35radix_sort_onesweep_config_selectorIiiEEZNS1_34radix_sort_onesweep_global_offsetsIS3_Lb0EN6thrust23THRUST_200600_302600_NS6detail15normal_iteratorINS8_10device_ptrIiEEEESD_jNS0_19identity_decomposerEEE10hipError_tT1_T2_PT3_SI_jT4_jjP12ihipStream_tbEUlT_E0_NS1_11comp_targetILNS1_3genE2ELNS1_11target_archE906ELNS1_3gpuE6ELNS1_3repE0EEENS1_52radix_sort_onesweep_histogram_config_static_selectorELNS0_4arch9wavefront6targetE0EEEvSG_.kd
    .uniform_work_group_size: 1
    .uses_dynamic_stack: false
    .vgpr_count:     0
    .vgpr_spill_count: 0
    .wavefront_size: 32
    .workgroup_processor_mode: 1
  - .args:
      - .address_space:  global
        .offset:         0
        .size:           8
        .value_kind:     global_buffer
    .group_segment_fixed_size: 0
    .kernarg_segment_align: 8
    .kernarg_segment_size: 8
    .language:       OpenCL C
    .language_version:
      - 2
      - 0
    .max_flat_workgroup_size: 512
    .name:           _ZN7rocprim17ROCPRIM_400000_NS6detail17trampoline_kernelINS0_14default_configENS1_35radix_sort_onesweep_config_selectorIiiEEZNS1_34radix_sort_onesweep_global_offsetsIS3_Lb0EN6thrust23THRUST_200600_302600_NS6detail15normal_iteratorINS8_10device_ptrIiEEEESD_jNS0_19identity_decomposerEEE10hipError_tT1_T2_PT3_SI_jT4_jjP12ihipStream_tbEUlT_E0_NS1_11comp_targetILNS1_3genE4ELNS1_11target_archE910ELNS1_3gpuE8ELNS1_3repE0EEENS1_52radix_sort_onesweep_histogram_config_static_selectorELNS0_4arch9wavefront6targetE0EEEvSG_
    .private_segment_fixed_size: 0
    .sgpr_count:     0
    .sgpr_spill_count: 0
    .symbol:         _ZN7rocprim17ROCPRIM_400000_NS6detail17trampoline_kernelINS0_14default_configENS1_35radix_sort_onesweep_config_selectorIiiEEZNS1_34radix_sort_onesweep_global_offsetsIS3_Lb0EN6thrust23THRUST_200600_302600_NS6detail15normal_iteratorINS8_10device_ptrIiEEEESD_jNS0_19identity_decomposerEEE10hipError_tT1_T2_PT3_SI_jT4_jjP12ihipStream_tbEUlT_E0_NS1_11comp_targetILNS1_3genE4ELNS1_11target_archE910ELNS1_3gpuE8ELNS1_3repE0EEENS1_52radix_sort_onesweep_histogram_config_static_selectorELNS0_4arch9wavefront6targetE0EEEvSG_.kd
    .uniform_work_group_size: 1
    .uses_dynamic_stack: false
    .vgpr_count:     0
    .vgpr_spill_count: 0
    .wavefront_size: 32
    .workgroup_processor_mode: 1
  - .args:
      - .address_space:  global
        .offset:         0
        .size:           8
        .value_kind:     global_buffer
    .group_segment_fixed_size: 0
    .kernarg_segment_align: 8
    .kernarg_segment_size: 8
    .language:       OpenCL C
    .language_version:
      - 2
      - 0
    .max_flat_workgroup_size: 256
    .name:           _ZN7rocprim17ROCPRIM_400000_NS6detail17trampoline_kernelINS0_14default_configENS1_35radix_sort_onesweep_config_selectorIiiEEZNS1_34radix_sort_onesweep_global_offsetsIS3_Lb0EN6thrust23THRUST_200600_302600_NS6detail15normal_iteratorINS8_10device_ptrIiEEEESD_jNS0_19identity_decomposerEEE10hipError_tT1_T2_PT3_SI_jT4_jjP12ihipStream_tbEUlT_E0_NS1_11comp_targetILNS1_3genE3ELNS1_11target_archE908ELNS1_3gpuE7ELNS1_3repE0EEENS1_52radix_sort_onesweep_histogram_config_static_selectorELNS0_4arch9wavefront6targetE0EEEvSG_
    .private_segment_fixed_size: 0
    .sgpr_count:     0
    .sgpr_spill_count: 0
    .symbol:         _ZN7rocprim17ROCPRIM_400000_NS6detail17trampoline_kernelINS0_14default_configENS1_35radix_sort_onesweep_config_selectorIiiEEZNS1_34radix_sort_onesweep_global_offsetsIS3_Lb0EN6thrust23THRUST_200600_302600_NS6detail15normal_iteratorINS8_10device_ptrIiEEEESD_jNS0_19identity_decomposerEEE10hipError_tT1_T2_PT3_SI_jT4_jjP12ihipStream_tbEUlT_E0_NS1_11comp_targetILNS1_3genE3ELNS1_11target_archE908ELNS1_3gpuE7ELNS1_3repE0EEENS1_52radix_sort_onesweep_histogram_config_static_selectorELNS0_4arch9wavefront6targetE0EEEvSG_.kd
    .uniform_work_group_size: 1
    .uses_dynamic_stack: false
    .vgpr_count:     0
    .vgpr_spill_count: 0
    .wavefront_size: 32
    .workgroup_processor_mode: 1
  - .args:
      - .address_space:  global
        .offset:         0
        .size:           8
        .value_kind:     global_buffer
    .group_segment_fixed_size: 0
    .kernarg_segment_align: 8
    .kernarg_segment_size: 8
    .language:       OpenCL C
    .language_version:
      - 2
      - 0
    .max_flat_workgroup_size: 1024
    .name:           _ZN7rocprim17ROCPRIM_400000_NS6detail17trampoline_kernelINS0_14default_configENS1_35radix_sort_onesweep_config_selectorIiiEEZNS1_34radix_sort_onesweep_global_offsetsIS3_Lb0EN6thrust23THRUST_200600_302600_NS6detail15normal_iteratorINS8_10device_ptrIiEEEESD_jNS0_19identity_decomposerEEE10hipError_tT1_T2_PT3_SI_jT4_jjP12ihipStream_tbEUlT_E0_NS1_11comp_targetILNS1_3genE10ELNS1_11target_archE1201ELNS1_3gpuE5ELNS1_3repE0EEENS1_52radix_sort_onesweep_histogram_config_static_selectorELNS0_4arch9wavefront6targetE0EEEvSG_
    .private_segment_fixed_size: 0
    .sgpr_count:     0
    .sgpr_spill_count: 0
    .symbol:         _ZN7rocprim17ROCPRIM_400000_NS6detail17trampoline_kernelINS0_14default_configENS1_35radix_sort_onesweep_config_selectorIiiEEZNS1_34radix_sort_onesweep_global_offsetsIS3_Lb0EN6thrust23THRUST_200600_302600_NS6detail15normal_iteratorINS8_10device_ptrIiEEEESD_jNS0_19identity_decomposerEEE10hipError_tT1_T2_PT3_SI_jT4_jjP12ihipStream_tbEUlT_E0_NS1_11comp_targetILNS1_3genE10ELNS1_11target_archE1201ELNS1_3gpuE5ELNS1_3repE0EEENS1_52radix_sort_onesweep_histogram_config_static_selectorELNS0_4arch9wavefront6targetE0EEEvSG_.kd
    .uniform_work_group_size: 1
    .uses_dynamic_stack: false
    .vgpr_count:     0
    .vgpr_spill_count: 0
    .wavefront_size: 32
    .workgroup_processor_mode: 1
  - .args:
      - .address_space:  global
        .offset:         0
        .size:           8
        .value_kind:     global_buffer
    .group_segment_fixed_size: 0
    .kernarg_segment_align: 8
    .kernarg_segment_size: 8
    .language:       OpenCL C
    .language_version:
      - 2
      - 0
    .max_flat_workgroup_size: 1024
    .name:           _ZN7rocprim17ROCPRIM_400000_NS6detail17trampoline_kernelINS0_14default_configENS1_35radix_sort_onesweep_config_selectorIiiEEZNS1_34radix_sort_onesweep_global_offsetsIS3_Lb0EN6thrust23THRUST_200600_302600_NS6detail15normal_iteratorINS8_10device_ptrIiEEEESD_jNS0_19identity_decomposerEEE10hipError_tT1_T2_PT3_SI_jT4_jjP12ihipStream_tbEUlT_E0_NS1_11comp_targetILNS1_3genE9ELNS1_11target_archE1100ELNS1_3gpuE3ELNS1_3repE0EEENS1_52radix_sort_onesweep_histogram_config_static_selectorELNS0_4arch9wavefront6targetE0EEEvSG_
    .private_segment_fixed_size: 0
    .sgpr_count:     0
    .sgpr_spill_count: 0
    .symbol:         _ZN7rocprim17ROCPRIM_400000_NS6detail17trampoline_kernelINS0_14default_configENS1_35radix_sort_onesweep_config_selectorIiiEEZNS1_34radix_sort_onesweep_global_offsetsIS3_Lb0EN6thrust23THRUST_200600_302600_NS6detail15normal_iteratorINS8_10device_ptrIiEEEESD_jNS0_19identity_decomposerEEE10hipError_tT1_T2_PT3_SI_jT4_jjP12ihipStream_tbEUlT_E0_NS1_11comp_targetILNS1_3genE9ELNS1_11target_archE1100ELNS1_3gpuE3ELNS1_3repE0EEENS1_52radix_sort_onesweep_histogram_config_static_selectorELNS0_4arch9wavefront6targetE0EEEvSG_.kd
    .uniform_work_group_size: 1
    .uses_dynamic_stack: false
    .vgpr_count:     0
    .vgpr_spill_count: 0
    .wavefront_size: 32
    .workgroup_processor_mode: 1
  - .args:
      - .address_space:  global
        .offset:         0
        .size:           8
        .value_kind:     global_buffer
    .group_segment_fixed_size: 128
    .kernarg_segment_align: 8
    .kernarg_segment_size: 8
    .language:       OpenCL C
    .language_version:
      - 2
      - 0
    .max_flat_workgroup_size: 1024
    .name:           _ZN7rocprim17ROCPRIM_400000_NS6detail17trampoline_kernelINS0_14default_configENS1_35radix_sort_onesweep_config_selectorIiiEEZNS1_34radix_sort_onesweep_global_offsetsIS3_Lb0EN6thrust23THRUST_200600_302600_NS6detail15normal_iteratorINS8_10device_ptrIiEEEESD_jNS0_19identity_decomposerEEE10hipError_tT1_T2_PT3_SI_jT4_jjP12ihipStream_tbEUlT_E0_NS1_11comp_targetILNS1_3genE8ELNS1_11target_archE1030ELNS1_3gpuE2ELNS1_3repE0EEENS1_52radix_sort_onesweep_histogram_config_static_selectorELNS0_4arch9wavefront6targetE0EEEvSG_
    .private_segment_fixed_size: 0
    .sgpr_count:     12
    .sgpr_spill_count: 0
    .symbol:         _ZN7rocprim17ROCPRIM_400000_NS6detail17trampoline_kernelINS0_14default_configENS1_35radix_sort_onesweep_config_selectorIiiEEZNS1_34radix_sort_onesweep_global_offsetsIS3_Lb0EN6thrust23THRUST_200600_302600_NS6detail15normal_iteratorINS8_10device_ptrIiEEEESD_jNS0_19identity_decomposerEEE10hipError_tT1_T2_PT3_SI_jT4_jjP12ihipStream_tbEUlT_E0_NS1_11comp_targetILNS1_3genE8ELNS1_11target_archE1030ELNS1_3gpuE2ELNS1_3repE0EEENS1_52radix_sort_onesweep_histogram_config_static_selectorELNS0_4arch9wavefront6targetE0EEEvSG_.kd
    .uniform_work_group_size: 1
    .uses_dynamic_stack: false
    .vgpr_count:     8
    .vgpr_spill_count: 0
    .wavefront_size: 32
    .workgroup_processor_mode: 1
  - .args:
      - .offset:         0
        .size:           88
        .value_kind:     by_value
    .group_segment_fixed_size: 0
    .kernarg_segment_align: 8
    .kernarg_segment_size: 88
    .language:       OpenCL C
    .language_version:
      - 2
      - 0
    .max_flat_workgroup_size: 256
    .name:           _ZN7rocprim17ROCPRIM_400000_NS6detail17trampoline_kernelINS0_14default_configENS1_35radix_sort_onesweep_config_selectorIiiEEZZNS1_29radix_sort_onesweep_iterationIS3_Lb0EN6thrust23THRUST_200600_302600_NS6detail15normal_iteratorINS8_10device_ptrIiEEEESD_SD_SD_jNS0_19identity_decomposerENS1_16block_id_wrapperIjLb1EEEEE10hipError_tT1_PNSt15iterator_traitsISI_E10value_typeET2_T3_PNSJ_ISO_E10value_typeET4_T5_PST_SU_PNS1_23onesweep_lookback_stateEbbT6_jjT7_P12ihipStream_tbENKUlT_T0_SI_SN_E_clISD_SD_SD_SD_EEDaS11_S12_SI_SN_EUlS11_E_NS1_11comp_targetILNS1_3genE0ELNS1_11target_archE4294967295ELNS1_3gpuE0ELNS1_3repE0EEENS1_47radix_sort_onesweep_sort_config_static_selectorELNS0_4arch9wavefront6targetE0EEEvSI_
    .private_segment_fixed_size: 0
    .sgpr_count:     0
    .sgpr_spill_count: 0
    .symbol:         _ZN7rocprim17ROCPRIM_400000_NS6detail17trampoline_kernelINS0_14default_configENS1_35radix_sort_onesweep_config_selectorIiiEEZZNS1_29radix_sort_onesweep_iterationIS3_Lb0EN6thrust23THRUST_200600_302600_NS6detail15normal_iteratorINS8_10device_ptrIiEEEESD_SD_SD_jNS0_19identity_decomposerENS1_16block_id_wrapperIjLb1EEEEE10hipError_tT1_PNSt15iterator_traitsISI_E10value_typeET2_T3_PNSJ_ISO_E10value_typeET4_T5_PST_SU_PNS1_23onesweep_lookback_stateEbbT6_jjT7_P12ihipStream_tbENKUlT_T0_SI_SN_E_clISD_SD_SD_SD_EEDaS11_S12_SI_SN_EUlS11_E_NS1_11comp_targetILNS1_3genE0ELNS1_11target_archE4294967295ELNS1_3gpuE0ELNS1_3repE0EEENS1_47radix_sort_onesweep_sort_config_static_selectorELNS0_4arch9wavefront6targetE0EEEvSI_.kd
    .uniform_work_group_size: 1
    .uses_dynamic_stack: false
    .vgpr_count:     0
    .vgpr_spill_count: 0
    .wavefront_size: 32
    .workgroup_processor_mode: 1
  - .args:
      - .offset:         0
        .size:           88
        .value_kind:     by_value
    .group_segment_fixed_size: 0
    .kernarg_segment_align: 8
    .kernarg_segment_size: 88
    .language:       OpenCL C
    .language_version:
      - 2
      - 0
    .max_flat_workgroup_size: 1024
    .name:           _ZN7rocprim17ROCPRIM_400000_NS6detail17trampoline_kernelINS0_14default_configENS1_35radix_sort_onesweep_config_selectorIiiEEZZNS1_29radix_sort_onesweep_iterationIS3_Lb0EN6thrust23THRUST_200600_302600_NS6detail15normal_iteratorINS8_10device_ptrIiEEEESD_SD_SD_jNS0_19identity_decomposerENS1_16block_id_wrapperIjLb1EEEEE10hipError_tT1_PNSt15iterator_traitsISI_E10value_typeET2_T3_PNSJ_ISO_E10value_typeET4_T5_PST_SU_PNS1_23onesweep_lookback_stateEbbT6_jjT7_P12ihipStream_tbENKUlT_T0_SI_SN_E_clISD_SD_SD_SD_EEDaS11_S12_SI_SN_EUlS11_E_NS1_11comp_targetILNS1_3genE6ELNS1_11target_archE950ELNS1_3gpuE13ELNS1_3repE0EEENS1_47radix_sort_onesweep_sort_config_static_selectorELNS0_4arch9wavefront6targetE0EEEvSI_
    .private_segment_fixed_size: 0
    .sgpr_count:     0
    .sgpr_spill_count: 0
    .symbol:         _ZN7rocprim17ROCPRIM_400000_NS6detail17trampoline_kernelINS0_14default_configENS1_35radix_sort_onesweep_config_selectorIiiEEZZNS1_29radix_sort_onesweep_iterationIS3_Lb0EN6thrust23THRUST_200600_302600_NS6detail15normal_iteratorINS8_10device_ptrIiEEEESD_SD_SD_jNS0_19identity_decomposerENS1_16block_id_wrapperIjLb1EEEEE10hipError_tT1_PNSt15iterator_traitsISI_E10value_typeET2_T3_PNSJ_ISO_E10value_typeET4_T5_PST_SU_PNS1_23onesweep_lookback_stateEbbT6_jjT7_P12ihipStream_tbENKUlT_T0_SI_SN_E_clISD_SD_SD_SD_EEDaS11_S12_SI_SN_EUlS11_E_NS1_11comp_targetILNS1_3genE6ELNS1_11target_archE950ELNS1_3gpuE13ELNS1_3repE0EEENS1_47radix_sort_onesweep_sort_config_static_selectorELNS0_4arch9wavefront6targetE0EEEvSI_.kd
    .uniform_work_group_size: 1
    .uses_dynamic_stack: false
    .vgpr_count:     0
    .vgpr_spill_count: 0
    .wavefront_size: 32
    .workgroup_processor_mode: 1
  - .args:
      - .offset:         0
        .size:           88
        .value_kind:     by_value
    .group_segment_fixed_size: 0
    .kernarg_segment_align: 8
    .kernarg_segment_size: 88
    .language:       OpenCL C
    .language_version:
      - 2
      - 0
    .max_flat_workgroup_size: 1024
    .name:           _ZN7rocprim17ROCPRIM_400000_NS6detail17trampoline_kernelINS0_14default_configENS1_35radix_sort_onesweep_config_selectorIiiEEZZNS1_29radix_sort_onesweep_iterationIS3_Lb0EN6thrust23THRUST_200600_302600_NS6detail15normal_iteratorINS8_10device_ptrIiEEEESD_SD_SD_jNS0_19identity_decomposerENS1_16block_id_wrapperIjLb1EEEEE10hipError_tT1_PNSt15iterator_traitsISI_E10value_typeET2_T3_PNSJ_ISO_E10value_typeET4_T5_PST_SU_PNS1_23onesweep_lookback_stateEbbT6_jjT7_P12ihipStream_tbENKUlT_T0_SI_SN_E_clISD_SD_SD_SD_EEDaS11_S12_SI_SN_EUlS11_E_NS1_11comp_targetILNS1_3genE5ELNS1_11target_archE942ELNS1_3gpuE9ELNS1_3repE0EEENS1_47radix_sort_onesweep_sort_config_static_selectorELNS0_4arch9wavefront6targetE0EEEvSI_
    .private_segment_fixed_size: 0
    .sgpr_count:     0
    .sgpr_spill_count: 0
    .symbol:         _ZN7rocprim17ROCPRIM_400000_NS6detail17trampoline_kernelINS0_14default_configENS1_35radix_sort_onesweep_config_selectorIiiEEZZNS1_29radix_sort_onesweep_iterationIS3_Lb0EN6thrust23THRUST_200600_302600_NS6detail15normal_iteratorINS8_10device_ptrIiEEEESD_SD_SD_jNS0_19identity_decomposerENS1_16block_id_wrapperIjLb1EEEEE10hipError_tT1_PNSt15iterator_traitsISI_E10value_typeET2_T3_PNSJ_ISO_E10value_typeET4_T5_PST_SU_PNS1_23onesweep_lookback_stateEbbT6_jjT7_P12ihipStream_tbENKUlT_T0_SI_SN_E_clISD_SD_SD_SD_EEDaS11_S12_SI_SN_EUlS11_E_NS1_11comp_targetILNS1_3genE5ELNS1_11target_archE942ELNS1_3gpuE9ELNS1_3repE0EEENS1_47radix_sort_onesweep_sort_config_static_selectorELNS0_4arch9wavefront6targetE0EEEvSI_.kd
    .uniform_work_group_size: 1
    .uses_dynamic_stack: false
    .vgpr_count:     0
    .vgpr_spill_count: 0
    .wavefront_size: 32
    .workgroup_processor_mode: 1
  - .args:
      - .offset:         0
        .size:           88
        .value_kind:     by_value
    .group_segment_fixed_size: 0
    .kernarg_segment_align: 8
    .kernarg_segment_size: 88
    .language:       OpenCL C
    .language_version:
      - 2
      - 0
    .max_flat_workgroup_size: 512
    .name:           _ZN7rocprim17ROCPRIM_400000_NS6detail17trampoline_kernelINS0_14default_configENS1_35radix_sort_onesweep_config_selectorIiiEEZZNS1_29radix_sort_onesweep_iterationIS3_Lb0EN6thrust23THRUST_200600_302600_NS6detail15normal_iteratorINS8_10device_ptrIiEEEESD_SD_SD_jNS0_19identity_decomposerENS1_16block_id_wrapperIjLb1EEEEE10hipError_tT1_PNSt15iterator_traitsISI_E10value_typeET2_T3_PNSJ_ISO_E10value_typeET4_T5_PST_SU_PNS1_23onesweep_lookback_stateEbbT6_jjT7_P12ihipStream_tbENKUlT_T0_SI_SN_E_clISD_SD_SD_SD_EEDaS11_S12_SI_SN_EUlS11_E_NS1_11comp_targetILNS1_3genE2ELNS1_11target_archE906ELNS1_3gpuE6ELNS1_3repE0EEENS1_47radix_sort_onesweep_sort_config_static_selectorELNS0_4arch9wavefront6targetE0EEEvSI_
    .private_segment_fixed_size: 0
    .sgpr_count:     0
    .sgpr_spill_count: 0
    .symbol:         _ZN7rocprim17ROCPRIM_400000_NS6detail17trampoline_kernelINS0_14default_configENS1_35radix_sort_onesweep_config_selectorIiiEEZZNS1_29radix_sort_onesweep_iterationIS3_Lb0EN6thrust23THRUST_200600_302600_NS6detail15normal_iteratorINS8_10device_ptrIiEEEESD_SD_SD_jNS0_19identity_decomposerENS1_16block_id_wrapperIjLb1EEEEE10hipError_tT1_PNSt15iterator_traitsISI_E10value_typeET2_T3_PNSJ_ISO_E10value_typeET4_T5_PST_SU_PNS1_23onesweep_lookback_stateEbbT6_jjT7_P12ihipStream_tbENKUlT_T0_SI_SN_E_clISD_SD_SD_SD_EEDaS11_S12_SI_SN_EUlS11_E_NS1_11comp_targetILNS1_3genE2ELNS1_11target_archE906ELNS1_3gpuE6ELNS1_3repE0EEENS1_47radix_sort_onesweep_sort_config_static_selectorELNS0_4arch9wavefront6targetE0EEEvSI_.kd
    .uniform_work_group_size: 1
    .uses_dynamic_stack: false
    .vgpr_count:     0
    .vgpr_spill_count: 0
    .wavefront_size: 32
    .workgroup_processor_mode: 1
  - .args:
      - .offset:         0
        .size:           88
        .value_kind:     by_value
    .group_segment_fixed_size: 0
    .kernarg_segment_align: 8
    .kernarg_segment_size: 88
    .language:       OpenCL C
    .language_version:
      - 2
      - 0
    .max_flat_workgroup_size: 512
    .name:           _ZN7rocprim17ROCPRIM_400000_NS6detail17trampoline_kernelINS0_14default_configENS1_35radix_sort_onesweep_config_selectorIiiEEZZNS1_29radix_sort_onesweep_iterationIS3_Lb0EN6thrust23THRUST_200600_302600_NS6detail15normal_iteratorINS8_10device_ptrIiEEEESD_SD_SD_jNS0_19identity_decomposerENS1_16block_id_wrapperIjLb1EEEEE10hipError_tT1_PNSt15iterator_traitsISI_E10value_typeET2_T3_PNSJ_ISO_E10value_typeET4_T5_PST_SU_PNS1_23onesweep_lookback_stateEbbT6_jjT7_P12ihipStream_tbENKUlT_T0_SI_SN_E_clISD_SD_SD_SD_EEDaS11_S12_SI_SN_EUlS11_E_NS1_11comp_targetILNS1_3genE4ELNS1_11target_archE910ELNS1_3gpuE8ELNS1_3repE0EEENS1_47radix_sort_onesweep_sort_config_static_selectorELNS0_4arch9wavefront6targetE0EEEvSI_
    .private_segment_fixed_size: 0
    .sgpr_count:     0
    .sgpr_spill_count: 0
    .symbol:         _ZN7rocprim17ROCPRIM_400000_NS6detail17trampoline_kernelINS0_14default_configENS1_35radix_sort_onesweep_config_selectorIiiEEZZNS1_29radix_sort_onesweep_iterationIS3_Lb0EN6thrust23THRUST_200600_302600_NS6detail15normal_iteratorINS8_10device_ptrIiEEEESD_SD_SD_jNS0_19identity_decomposerENS1_16block_id_wrapperIjLb1EEEEE10hipError_tT1_PNSt15iterator_traitsISI_E10value_typeET2_T3_PNSJ_ISO_E10value_typeET4_T5_PST_SU_PNS1_23onesweep_lookback_stateEbbT6_jjT7_P12ihipStream_tbENKUlT_T0_SI_SN_E_clISD_SD_SD_SD_EEDaS11_S12_SI_SN_EUlS11_E_NS1_11comp_targetILNS1_3genE4ELNS1_11target_archE910ELNS1_3gpuE8ELNS1_3repE0EEENS1_47radix_sort_onesweep_sort_config_static_selectorELNS0_4arch9wavefront6targetE0EEEvSI_.kd
    .uniform_work_group_size: 1
    .uses_dynamic_stack: false
    .vgpr_count:     0
    .vgpr_spill_count: 0
    .wavefront_size: 32
    .workgroup_processor_mode: 1
  - .args:
      - .offset:         0
        .size:           88
        .value_kind:     by_value
    .group_segment_fixed_size: 0
    .kernarg_segment_align: 8
    .kernarg_segment_size: 88
    .language:       OpenCL C
    .language_version:
      - 2
      - 0
    .max_flat_workgroup_size: 256
    .name:           _ZN7rocprim17ROCPRIM_400000_NS6detail17trampoline_kernelINS0_14default_configENS1_35radix_sort_onesweep_config_selectorIiiEEZZNS1_29radix_sort_onesweep_iterationIS3_Lb0EN6thrust23THRUST_200600_302600_NS6detail15normal_iteratorINS8_10device_ptrIiEEEESD_SD_SD_jNS0_19identity_decomposerENS1_16block_id_wrapperIjLb1EEEEE10hipError_tT1_PNSt15iterator_traitsISI_E10value_typeET2_T3_PNSJ_ISO_E10value_typeET4_T5_PST_SU_PNS1_23onesweep_lookback_stateEbbT6_jjT7_P12ihipStream_tbENKUlT_T0_SI_SN_E_clISD_SD_SD_SD_EEDaS11_S12_SI_SN_EUlS11_E_NS1_11comp_targetILNS1_3genE3ELNS1_11target_archE908ELNS1_3gpuE7ELNS1_3repE0EEENS1_47radix_sort_onesweep_sort_config_static_selectorELNS0_4arch9wavefront6targetE0EEEvSI_
    .private_segment_fixed_size: 0
    .sgpr_count:     0
    .sgpr_spill_count: 0
    .symbol:         _ZN7rocprim17ROCPRIM_400000_NS6detail17trampoline_kernelINS0_14default_configENS1_35radix_sort_onesweep_config_selectorIiiEEZZNS1_29radix_sort_onesweep_iterationIS3_Lb0EN6thrust23THRUST_200600_302600_NS6detail15normal_iteratorINS8_10device_ptrIiEEEESD_SD_SD_jNS0_19identity_decomposerENS1_16block_id_wrapperIjLb1EEEEE10hipError_tT1_PNSt15iterator_traitsISI_E10value_typeET2_T3_PNSJ_ISO_E10value_typeET4_T5_PST_SU_PNS1_23onesweep_lookback_stateEbbT6_jjT7_P12ihipStream_tbENKUlT_T0_SI_SN_E_clISD_SD_SD_SD_EEDaS11_S12_SI_SN_EUlS11_E_NS1_11comp_targetILNS1_3genE3ELNS1_11target_archE908ELNS1_3gpuE7ELNS1_3repE0EEENS1_47radix_sort_onesweep_sort_config_static_selectorELNS0_4arch9wavefront6targetE0EEEvSI_.kd
    .uniform_work_group_size: 1
    .uses_dynamic_stack: false
    .vgpr_count:     0
    .vgpr_spill_count: 0
    .wavefront_size: 32
    .workgroup_processor_mode: 1
  - .args:
      - .offset:         0
        .size:           88
        .value_kind:     by_value
    .group_segment_fixed_size: 0
    .kernarg_segment_align: 8
    .kernarg_segment_size: 88
    .language:       OpenCL C
    .language_version:
      - 2
      - 0
    .max_flat_workgroup_size: 1024
    .name:           _ZN7rocprim17ROCPRIM_400000_NS6detail17trampoline_kernelINS0_14default_configENS1_35radix_sort_onesweep_config_selectorIiiEEZZNS1_29radix_sort_onesweep_iterationIS3_Lb0EN6thrust23THRUST_200600_302600_NS6detail15normal_iteratorINS8_10device_ptrIiEEEESD_SD_SD_jNS0_19identity_decomposerENS1_16block_id_wrapperIjLb1EEEEE10hipError_tT1_PNSt15iterator_traitsISI_E10value_typeET2_T3_PNSJ_ISO_E10value_typeET4_T5_PST_SU_PNS1_23onesweep_lookback_stateEbbT6_jjT7_P12ihipStream_tbENKUlT_T0_SI_SN_E_clISD_SD_SD_SD_EEDaS11_S12_SI_SN_EUlS11_E_NS1_11comp_targetILNS1_3genE10ELNS1_11target_archE1201ELNS1_3gpuE5ELNS1_3repE0EEENS1_47radix_sort_onesweep_sort_config_static_selectorELNS0_4arch9wavefront6targetE0EEEvSI_
    .private_segment_fixed_size: 0
    .sgpr_count:     0
    .sgpr_spill_count: 0
    .symbol:         _ZN7rocprim17ROCPRIM_400000_NS6detail17trampoline_kernelINS0_14default_configENS1_35radix_sort_onesweep_config_selectorIiiEEZZNS1_29radix_sort_onesweep_iterationIS3_Lb0EN6thrust23THRUST_200600_302600_NS6detail15normal_iteratorINS8_10device_ptrIiEEEESD_SD_SD_jNS0_19identity_decomposerENS1_16block_id_wrapperIjLb1EEEEE10hipError_tT1_PNSt15iterator_traitsISI_E10value_typeET2_T3_PNSJ_ISO_E10value_typeET4_T5_PST_SU_PNS1_23onesweep_lookback_stateEbbT6_jjT7_P12ihipStream_tbENKUlT_T0_SI_SN_E_clISD_SD_SD_SD_EEDaS11_S12_SI_SN_EUlS11_E_NS1_11comp_targetILNS1_3genE10ELNS1_11target_archE1201ELNS1_3gpuE5ELNS1_3repE0EEENS1_47radix_sort_onesweep_sort_config_static_selectorELNS0_4arch9wavefront6targetE0EEEvSI_.kd
    .uniform_work_group_size: 1
    .uses_dynamic_stack: false
    .vgpr_count:     0
    .vgpr_spill_count: 0
    .wavefront_size: 32
    .workgroup_processor_mode: 1
  - .args:
      - .offset:         0
        .size:           88
        .value_kind:     by_value
    .group_segment_fixed_size: 0
    .kernarg_segment_align: 8
    .kernarg_segment_size: 88
    .language:       OpenCL C
    .language_version:
      - 2
      - 0
    .max_flat_workgroup_size: 1024
    .name:           _ZN7rocprim17ROCPRIM_400000_NS6detail17trampoline_kernelINS0_14default_configENS1_35radix_sort_onesweep_config_selectorIiiEEZZNS1_29radix_sort_onesweep_iterationIS3_Lb0EN6thrust23THRUST_200600_302600_NS6detail15normal_iteratorINS8_10device_ptrIiEEEESD_SD_SD_jNS0_19identity_decomposerENS1_16block_id_wrapperIjLb1EEEEE10hipError_tT1_PNSt15iterator_traitsISI_E10value_typeET2_T3_PNSJ_ISO_E10value_typeET4_T5_PST_SU_PNS1_23onesweep_lookback_stateEbbT6_jjT7_P12ihipStream_tbENKUlT_T0_SI_SN_E_clISD_SD_SD_SD_EEDaS11_S12_SI_SN_EUlS11_E_NS1_11comp_targetILNS1_3genE9ELNS1_11target_archE1100ELNS1_3gpuE3ELNS1_3repE0EEENS1_47radix_sort_onesweep_sort_config_static_selectorELNS0_4arch9wavefront6targetE0EEEvSI_
    .private_segment_fixed_size: 0
    .sgpr_count:     0
    .sgpr_spill_count: 0
    .symbol:         _ZN7rocprim17ROCPRIM_400000_NS6detail17trampoline_kernelINS0_14default_configENS1_35radix_sort_onesweep_config_selectorIiiEEZZNS1_29radix_sort_onesweep_iterationIS3_Lb0EN6thrust23THRUST_200600_302600_NS6detail15normal_iteratorINS8_10device_ptrIiEEEESD_SD_SD_jNS0_19identity_decomposerENS1_16block_id_wrapperIjLb1EEEEE10hipError_tT1_PNSt15iterator_traitsISI_E10value_typeET2_T3_PNSJ_ISO_E10value_typeET4_T5_PST_SU_PNS1_23onesweep_lookback_stateEbbT6_jjT7_P12ihipStream_tbENKUlT_T0_SI_SN_E_clISD_SD_SD_SD_EEDaS11_S12_SI_SN_EUlS11_E_NS1_11comp_targetILNS1_3genE9ELNS1_11target_archE1100ELNS1_3gpuE3ELNS1_3repE0EEENS1_47radix_sort_onesweep_sort_config_static_selectorELNS0_4arch9wavefront6targetE0EEEvSI_.kd
    .uniform_work_group_size: 1
    .uses_dynamic_stack: false
    .vgpr_count:     0
    .vgpr_spill_count: 0
    .wavefront_size: 32
    .workgroup_processor_mode: 1
  - .args:
      - .offset:         0
        .size:           88
        .value_kind:     by_value
      - .offset:         88
        .size:           4
        .value_kind:     hidden_block_count_x
      - .offset:         92
        .size:           4
        .value_kind:     hidden_block_count_y
      - .offset:         96
        .size:           4
        .value_kind:     hidden_block_count_z
      - .offset:         100
        .size:           2
        .value_kind:     hidden_group_size_x
      - .offset:         102
        .size:           2
        .value_kind:     hidden_group_size_y
      - .offset:         104
        .size:           2
        .value_kind:     hidden_group_size_z
      - .offset:         106
        .size:           2
        .value_kind:     hidden_remainder_x
      - .offset:         108
        .size:           2
        .value_kind:     hidden_remainder_y
      - .offset:         110
        .size:           2
        .value_kind:     hidden_remainder_z
      - .offset:         128
        .size:           8
        .value_kind:     hidden_global_offset_x
      - .offset:         136
        .size:           8
        .value_kind:     hidden_global_offset_y
      - .offset:         144
        .size:           8
        .value_kind:     hidden_global_offset_z
      - .offset:         152
        .size:           2
        .value_kind:     hidden_grid_dims
    .group_segment_fixed_size: 37000
    .kernarg_segment_align: 8
    .kernarg_segment_size: 344
    .language:       OpenCL C
    .language_version:
      - 2
      - 0
    .max_flat_workgroup_size: 1024
    .name:           _ZN7rocprim17ROCPRIM_400000_NS6detail17trampoline_kernelINS0_14default_configENS1_35radix_sort_onesweep_config_selectorIiiEEZZNS1_29radix_sort_onesweep_iterationIS3_Lb0EN6thrust23THRUST_200600_302600_NS6detail15normal_iteratorINS8_10device_ptrIiEEEESD_SD_SD_jNS0_19identity_decomposerENS1_16block_id_wrapperIjLb1EEEEE10hipError_tT1_PNSt15iterator_traitsISI_E10value_typeET2_T3_PNSJ_ISO_E10value_typeET4_T5_PST_SU_PNS1_23onesweep_lookback_stateEbbT6_jjT7_P12ihipStream_tbENKUlT_T0_SI_SN_E_clISD_SD_SD_SD_EEDaS11_S12_SI_SN_EUlS11_E_NS1_11comp_targetILNS1_3genE8ELNS1_11target_archE1030ELNS1_3gpuE2ELNS1_3repE0EEENS1_47radix_sort_onesweep_sort_config_static_selectorELNS0_4arch9wavefront6targetE0EEEvSI_
    .private_segment_fixed_size: 64
    .sgpr_count:     53
    .sgpr_spill_count: 0
    .symbol:         _ZN7rocprim17ROCPRIM_400000_NS6detail17trampoline_kernelINS0_14default_configENS1_35radix_sort_onesweep_config_selectorIiiEEZZNS1_29radix_sort_onesweep_iterationIS3_Lb0EN6thrust23THRUST_200600_302600_NS6detail15normal_iteratorINS8_10device_ptrIiEEEESD_SD_SD_jNS0_19identity_decomposerENS1_16block_id_wrapperIjLb1EEEEE10hipError_tT1_PNSt15iterator_traitsISI_E10value_typeET2_T3_PNSJ_ISO_E10value_typeET4_T5_PST_SU_PNS1_23onesweep_lookback_stateEbbT6_jjT7_P12ihipStream_tbENKUlT_T0_SI_SN_E_clISD_SD_SD_SD_EEDaS11_S12_SI_SN_EUlS11_E_NS1_11comp_targetILNS1_3genE8ELNS1_11target_archE1030ELNS1_3gpuE2ELNS1_3repE0EEENS1_47radix_sort_onesweep_sort_config_static_selectorELNS0_4arch9wavefront6targetE0EEEvSI_.kd
    .uniform_work_group_size: 1
    .uses_dynamic_stack: false
    .vgpr_count:     68
    .vgpr_spill_count: 0
    .wavefront_size: 32
    .workgroup_processor_mode: 1
  - .args:
      - .offset:         0
        .size:           88
        .value_kind:     by_value
    .group_segment_fixed_size: 0
    .kernarg_segment_align: 8
    .kernarg_segment_size: 88
    .language:       OpenCL C
    .language_version:
      - 2
      - 0
    .max_flat_workgroup_size: 256
    .name:           _ZN7rocprim17ROCPRIM_400000_NS6detail17trampoline_kernelINS0_14default_configENS1_35radix_sort_onesweep_config_selectorIiiEEZZNS1_29radix_sort_onesweep_iterationIS3_Lb0EN6thrust23THRUST_200600_302600_NS6detail15normal_iteratorINS8_10device_ptrIiEEEESD_SD_SD_jNS0_19identity_decomposerENS1_16block_id_wrapperIjLb1EEEEE10hipError_tT1_PNSt15iterator_traitsISI_E10value_typeET2_T3_PNSJ_ISO_E10value_typeET4_T5_PST_SU_PNS1_23onesweep_lookback_stateEbbT6_jjT7_P12ihipStream_tbENKUlT_T0_SI_SN_E_clISD_PiSD_S15_EEDaS11_S12_SI_SN_EUlS11_E_NS1_11comp_targetILNS1_3genE0ELNS1_11target_archE4294967295ELNS1_3gpuE0ELNS1_3repE0EEENS1_47radix_sort_onesweep_sort_config_static_selectorELNS0_4arch9wavefront6targetE0EEEvSI_
    .private_segment_fixed_size: 0
    .sgpr_count:     0
    .sgpr_spill_count: 0
    .symbol:         _ZN7rocprim17ROCPRIM_400000_NS6detail17trampoline_kernelINS0_14default_configENS1_35radix_sort_onesweep_config_selectorIiiEEZZNS1_29radix_sort_onesweep_iterationIS3_Lb0EN6thrust23THRUST_200600_302600_NS6detail15normal_iteratorINS8_10device_ptrIiEEEESD_SD_SD_jNS0_19identity_decomposerENS1_16block_id_wrapperIjLb1EEEEE10hipError_tT1_PNSt15iterator_traitsISI_E10value_typeET2_T3_PNSJ_ISO_E10value_typeET4_T5_PST_SU_PNS1_23onesweep_lookback_stateEbbT6_jjT7_P12ihipStream_tbENKUlT_T0_SI_SN_E_clISD_PiSD_S15_EEDaS11_S12_SI_SN_EUlS11_E_NS1_11comp_targetILNS1_3genE0ELNS1_11target_archE4294967295ELNS1_3gpuE0ELNS1_3repE0EEENS1_47radix_sort_onesweep_sort_config_static_selectorELNS0_4arch9wavefront6targetE0EEEvSI_.kd
    .uniform_work_group_size: 1
    .uses_dynamic_stack: false
    .vgpr_count:     0
    .vgpr_spill_count: 0
    .wavefront_size: 32
    .workgroup_processor_mode: 1
  - .args:
      - .offset:         0
        .size:           88
        .value_kind:     by_value
    .group_segment_fixed_size: 0
    .kernarg_segment_align: 8
    .kernarg_segment_size: 88
    .language:       OpenCL C
    .language_version:
      - 2
      - 0
    .max_flat_workgroup_size: 1024
    .name:           _ZN7rocprim17ROCPRIM_400000_NS6detail17trampoline_kernelINS0_14default_configENS1_35radix_sort_onesweep_config_selectorIiiEEZZNS1_29radix_sort_onesweep_iterationIS3_Lb0EN6thrust23THRUST_200600_302600_NS6detail15normal_iteratorINS8_10device_ptrIiEEEESD_SD_SD_jNS0_19identity_decomposerENS1_16block_id_wrapperIjLb1EEEEE10hipError_tT1_PNSt15iterator_traitsISI_E10value_typeET2_T3_PNSJ_ISO_E10value_typeET4_T5_PST_SU_PNS1_23onesweep_lookback_stateEbbT6_jjT7_P12ihipStream_tbENKUlT_T0_SI_SN_E_clISD_PiSD_S15_EEDaS11_S12_SI_SN_EUlS11_E_NS1_11comp_targetILNS1_3genE6ELNS1_11target_archE950ELNS1_3gpuE13ELNS1_3repE0EEENS1_47radix_sort_onesweep_sort_config_static_selectorELNS0_4arch9wavefront6targetE0EEEvSI_
    .private_segment_fixed_size: 0
    .sgpr_count:     0
    .sgpr_spill_count: 0
    .symbol:         _ZN7rocprim17ROCPRIM_400000_NS6detail17trampoline_kernelINS0_14default_configENS1_35radix_sort_onesweep_config_selectorIiiEEZZNS1_29radix_sort_onesweep_iterationIS3_Lb0EN6thrust23THRUST_200600_302600_NS6detail15normal_iteratorINS8_10device_ptrIiEEEESD_SD_SD_jNS0_19identity_decomposerENS1_16block_id_wrapperIjLb1EEEEE10hipError_tT1_PNSt15iterator_traitsISI_E10value_typeET2_T3_PNSJ_ISO_E10value_typeET4_T5_PST_SU_PNS1_23onesweep_lookback_stateEbbT6_jjT7_P12ihipStream_tbENKUlT_T0_SI_SN_E_clISD_PiSD_S15_EEDaS11_S12_SI_SN_EUlS11_E_NS1_11comp_targetILNS1_3genE6ELNS1_11target_archE950ELNS1_3gpuE13ELNS1_3repE0EEENS1_47radix_sort_onesweep_sort_config_static_selectorELNS0_4arch9wavefront6targetE0EEEvSI_.kd
    .uniform_work_group_size: 1
    .uses_dynamic_stack: false
    .vgpr_count:     0
    .vgpr_spill_count: 0
    .wavefront_size: 32
    .workgroup_processor_mode: 1
  - .args:
      - .offset:         0
        .size:           88
        .value_kind:     by_value
    .group_segment_fixed_size: 0
    .kernarg_segment_align: 8
    .kernarg_segment_size: 88
    .language:       OpenCL C
    .language_version:
      - 2
      - 0
    .max_flat_workgroup_size: 1024
    .name:           _ZN7rocprim17ROCPRIM_400000_NS6detail17trampoline_kernelINS0_14default_configENS1_35radix_sort_onesweep_config_selectorIiiEEZZNS1_29radix_sort_onesweep_iterationIS3_Lb0EN6thrust23THRUST_200600_302600_NS6detail15normal_iteratorINS8_10device_ptrIiEEEESD_SD_SD_jNS0_19identity_decomposerENS1_16block_id_wrapperIjLb1EEEEE10hipError_tT1_PNSt15iterator_traitsISI_E10value_typeET2_T3_PNSJ_ISO_E10value_typeET4_T5_PST_SU_PNS1_23onesweep_lookback_stateEbbT6_jjT7_P12ihipStream_tbENKUlT_T0_SI_SN_E_clISD_PiSD_S15_EEDaS11_S12_SI_SN_EUlS11_E_NS1_11comp_targetILNS1_3genE5ELNS1_11target_archE942ELNS1_3gpuE9ELNS1_3repE0EEENS1_47radix_sort_onesweep_sort_config_static_selectorELNS0_4arch9wavefront6targetE0EEEvSI_
    .private_segment_fixed_size: 0
    .sgpr_count:     0
    .sgpr_spill_count: 0
    .symbol:         _ZN7rocprim17ROCPRIM_400000_NS6detail17trampoline_kernelINS0_14default_configENS1_35radix_sort_onesweep_config_selectorIiiEEZZNS1_29radix_sort_onesweep_iterationIS3_Lb0EN6thrust23THRUST_200600_302600_NS6detail15normal_iteratorINS8_10device_ptrIiEEEESD_SD_SD_jNS0_19identity_decomposerENS1_16block_id_wrapperIjLb1EEEEE10hipError_tT1_PNSt15iterator_traitsISI_E10value_typeET2_T3_PNSJ_ISO_E10value_typeET4_T5_PST_SU_PNS1_23onesweep_lookback_stateEbbT6_jjT7_P12ihipStream_tbENKUlT_T0_SI_SN_E_clISD_PiSD_S15_EEDaS11_S12_SI_SN_EUlS11_E_NS1_11comp_targetILNS1_3genE5ELNS1_11target_archE942ELNS1_3gpuE9ELNS1_3repE0EEENS1_47radix_sort_onesweep_sort_config_static_selectorELNS0_4arch9wavefront6targetE0EEEvSI_.kd
    .uniform_work_group_size: 1
    .uses_dynamic_stack: false
    .vgpr_count:     0
    .vgpr_spill_count: 0
    .wavefront_size: 32
    .workgroup_processor_mode: 1
  - .args:
      - .offset:         0
        .size:           88
        .value_kind:     by_value
    .group_segment_fixed_size: 0
    .kernarg_segment_align: 8
    .kernarg_segment_size: 88
    .language:       OpenCL C
    .language_version:
      - 2
      - 0
    .max_flat_workgroup_size: 512
    .name:           _ZN7rocprim17ROCPRIM_400000_NS6detail17trampoline_kernelINS0_14default_configENS1_35radix_sort_onesweep_config_selectorIiiEEZZNS1_29radix_sort_onesweep_iterationIS3_Lb0EN6thrust23THRUST_200600_302600_NS6detail15normal_iteratorINS8_10device_ptrIiEEEESD_SD_SD_jNS0_19identity_decomposerENS1_16block_id_wrapperIjLb1EEEEE10hipError_tT1_PNSt15iterator_traitsISI_E10value_typeET2_T3_PNSJ_ISO_E10value_typeET4_T5_PST_SU_PNS1_23onesweep_lookback_stateEbbT6_jjT7_P12ihipStream_tbENKUlT_T0_SI_SN_E_clISD_PiSD_S15_EEDaS11_S12_SI_SN_EUlS11_E_NS1_11comp_targetILNS1_3genE2ELNS1_11target_archE906ELNS1_3gpuE6ELNS1_3repE0EEENS1_47radix_sort_onesweep_sort_config_static_selectorELNS0_4arch9wavefront6targetE0EEEvSI_
    .private_segment_fixed_size: 0
    .sgpr_count:     0
    .sgpr_spill_count: 0
    .symbol:         _ZN7rocprim17ROCPRIM_400000_NS6detail17trampoline_kernelINS0_14default_configENS1_35radix_sort_onesweep_config_selectorIiiEEZZNS1_29radix_sort_onesweep_iterationIS3_Lb0EN6thrust23THRUST_200600_302600_NS6detail15normal_iteratorINS8_10device_ptrIiEEEESD_SD_SD_jNS0_19identity_decomposerENS1_16block_id_wrapperIjLb1EEEEE10hipError_tT1_PNSt15iterator_traitsISI_E10value_typeET2_T3_PNSJ_ISO_E10value_typeET4_T5_PST_SU_PNS1_23onesweep_lookback_stateEbbT6_jjT7_P12ihipStream_tbENKUlT_T0_SI_SN_E_clISD_PiSD_S15_EEDaS11_S12_SI_SN_EUlS11_E_NS1_11comp_targetILNS1_3genE2ELNS1_11target_archE906ELNS1_3gpuE6ELNS1_3repE0EEENS1_47radix_sort_onesweep_sort_config_static_selectorELNS0_4arch9wavefront6targetE0EEEvSI_.kd
    .uniform_work_group_size: 1
    .uses_dynamic_stack: false
    .vgpr_count:     0
    .vgpr_spill_count: 0
    .wavefront_size: 32
    .workgroup_processor_mode: 1
  - .args:
      - .offset:         0
        .size:           88
        .value_kind:     by_value
    .group_segment_fixed_size: 0
    .kernarg_segment_align: 8
    .kernarg_segment_size: 88
    .language:       OpenCL C
    .language_version:
      - 2
      - 0
    .max_flat_workgroup_size: 512
    .name:           _ZN7rocprim17ROCPRIM_400000_NS6detail17trampoline_kernelINS0_14default_configENS1_35radix_sort_onesweep_config_selectorIiiEEZZNS1_29radix_sort_onesweep_iterationIS3_Lb0EN6thrust23THRUST_200600_302600_NS6detail15normal_iteratorINS8_10device_ptrIiEEEESD_SD_SD_jNS0_19identity_decomposerENS1_16block_id_wrapperIjLb1EEEEE10hipError_tT1_PNSt15iterator_traitsISI_E10value_typeET2_T3_PNSJ_ISO_E10value_typeET4_T5_PST_SU_PNS1_23onesweep_lookback_stateEbbT6_jjT7_P12ihipStream_tbENKUlT_T0_SI_SN_E_clISD_PiSD_S15_EEDaS11_S12_SI_SN_EUlS11_E_NS1_11comp_targetILNS1_3genE4ELNS1_11target_archE910ELNS1_3gpuE8ELNS1_3repE0EEENS1_47radix_sort_onesweep_sort_config_static_selectorELNS0_4arch9wavefront6targetE0EEEvSI_
    .private_segment_fixed_size: 0
    .sgpr_count:     0
    .sgpr_spill_count: 0
    .symbol:         _ZN7rocprim17ROCPRIM_400000_NS6detail17trampoline_kernelINS0_14default_configENS1_35radix_sort_onesweep_config_selectorIiiEEZZNS1_29radix_sort_onesweep_iterationIS3_Lb0EN6thrust23THRUST_200600_302600_NS6detail15normal_iteratorINS8_10device_ptrIiEEEESD_SD_SD_jNS0_19identity_decomposerENS1_16block_id_wrapperIjLb1EEEEE10hipError_tT1_PNSt15iterator_traitsISI_E10value_typeET2_T3_PNSJ_ISO_E10value_typeET4_T5_PST_SU_PNS1_23onesweep_lookback_stateEbbT6_jjT7_P12ihipStream_tbENKUlT_T0_SI_SN_E_clISD_PiSD_S15_EEDaS11_S12_SI_SN_EUlS11_E_NS1_11comp_targetILNS1_3genE4ELNS1_11target_archE910ELNS1_3gpuE8ELNS1_3repE0EEENS1_47radix_sort_onesweep_sort_config_static_selectorELNS0_4arch9wavefront6targetE0EEEvSI_.kd
    .uniform_work_group_size: 1
    .uses_dynamic_stack: false
    .vgpr_count:     0
    .vgpr_spill_count: 0
    .wavefront_size: 32
    .workgroup_processor_mode: 1
  - .args:
      - .offset:         0
        .size:           88
        .value_kind:     by_value
    .group_segment_fixed_size: 0
    .kernarg_segment_align: 8
    .kernarg_segment_size: 88
    .language:       OpenCL C
    .language_version:
      - 2
      - 0
    .max_flat_workgroup_size: 256
    .name:           _ZN7rocprim17ROCPRIM_400000_NS6detail17trampoline_kernelINS0_14default_configENS1_35radix_sort_onesweep_config_selectorIiiEEZZNS1_29radix_sort_onesweep_iterationIS3_Lb0EN6thrust23THRUST_200600_302600_NS6detail15normal_iteratorINS8_10device_ptrIiEEEESD_SD_SD_jNS0_19identity_decomposerENS1_16block_id_wrapperIjLb1EEEEE10hipError_tT1_PNSt15iterator_traitsISI_E10value_typeET2_T3_PNSJ_ISO_E10value_typeET4_T5_PST_SU_PNS1_23onesweep_lookback_stateEbbT6_jjT7_P12ihipStream_tbENKUlT_T0_SI_SN_E_clISD_PiSD_S15_EEDaS11_S12_SI_SN_EUlS11_E_NS1_11comp_targetILNS1_3genE3ELNS1_11target_archE908ELNS1_3gpuE7ELNS1_3repE0EEENS1_47radix_sort_onesweep_sort_config_static_selectorELNS0_4arch9wavefront6targetE0EEEvSI_
    .private_segment_fixed_size: 0
    .sgpr_count:     0
    .sgpr_spill_count: 0
    .symbol:         _ZN7rocprim17ROCPRIM_400000_NS6detail17trampoline_kernelINS0_14default_configENS1_35radix_sort_onesweep_config_selectorIiiEEZZNS1_29radix_sort_onesweep_iterationIS3_Lb0EN6thrust23THRUST_200600_302600_NS6detail15normal_iteratorINS8_10device_ptrIiEEEESD_SD_SD_jNS0_19identity_decomposerENS1_16block_id_wrapperIjLb1EEEEE10hipError_tT1_PNSt15iterator_traitsISI_E10value_typeET2_T3_PNSJ_ISO_E10value_typeET4_T5_PST_SU_PNS1_23onesweep_lookback_stateEbbT6_jjT7_P12ihipStream_tbENKUlT_T0_SI_SN_E_clISD_PiSD_S15_EEDaS11_S12_SI_SN_EUlS11_E_NS1_11comp_targetILNS1_3genE3ELNS1_11target_archE908ELNS1_3gpuE7ELNS1_3repE0EEENS1_47radix_sort_onesweep_sort_config_static_selectorELNS0_4arch9wavefront6targetE0EEEvSI_.kd
    .uniform_work_group_size: 1
    .uses_dynamic_stack: false
    .vgpr_count:     0
    .vgpr_spill_count: 0
    .wavefront_size: 32
    .workgroup_processor_mode: 1
  - .args:
      - .offset:         0
        .size:           88
        .value_kind:     by_value
    .group_segment_fixed_size: 0
    .kernarg_segment_align: 8
    .kernarg_segment_size: 88
    .language:       OpenCL C
    .language_version:
      - 2
      - 0
    .max_flat_workgroup_size: 1024
    .name:           _ZN7rocprim17ROCPRIM_400000_NS6detail17trampoline_kernelINS0_14default_configENS1_35radix_sort_onesweep_config_selectorIiiEEZZNS1_29radix_sort_onesweep_iterationIS3_Lb0EN6thrust23THRUST_200600_302600_NS6detail15normal_iteratorINS8_10device_ptrIiEEEESD_SD_SD_jNS0_19identity_decomposerENS1_16block_id_wrapperIjLb1EEEEE10hipError_tT1_PNSt15iterator_traitsISI_E10value_typeET2_T3_PNSJ_ISO_E10value_typeET4_T5_PST_SU_PNS1_23onesweep_lookback_stateEbbT6_jjT7_P12ihipStream_tbENKUlT_T0_SI_SN_E_clISD_PiSD_S15_EEDaS11_S12_SI_SN_EUlS11_E_NS1_11comp_targetILNS1_3genE10ELNS1_11target_archE1201ELNS1_3gpuE5ELNS1_3repE0EEENS1_47radix_sort_onesweep_sort_config_static_selectorELNS0_4arch9wavefront6targetE0EEEvSI_
    .private_segment_fixed_size: 0
    .sgpr_count:     0
    .sgpr_spill_count: 0
    .symbol:         _ZN7rocprim17ROCPRIM_400000_NS6detail17trampoline_kernelINS0_14default_configENS1_35radix_sort_onesweep_config_selectorIiiEEZZNS1_29radix_sort_onesweep_iterationIS3_Lb0EN6thrust23THRUST_200600_302600_NS6detail15normal_iteratorINS8_10device_ptrIiEEEESD_SD_SD_jNS0_19identity_decomposerENS1_16block_id_wrapperIjLb1EEEEE10hipError_tT1_PNSt15iterator_traitsISI_E10value_typeET2_T3_PNSJ_ISO_E10value_typeET4_T5_PST_SU_PNS1_23onesweep_lookback_stateEbbT6_jjT7_P12ihipStream_tbENKUlT_T0_SI_SN_E_clISD_PiSD_S15_EEDaS11_S12_SI_SN_EUlS11_E_NS1_11comp_targetILNS1_3genE10ELNS1_11target_archE1201ELNS1_3gpuE5ELNS1_3repE0EEENS1_47radix_sort_onesweep_sort_config_static_selectorELNS0_4arch9wavefront6targetE0EEEvSI_.kd
    .uniform_work_group_size: 1
    .uses_dynamic_stack: false
    .vgpr_count:     0
    .vgpr_spill_count: 0
    .wavefront_size: 32
    .workgroup_processor_mode: 1
  - .args:
      - .offset:         0
        .size:           88
        .value_kind:     by_value
    .group_segment_fixed_size: 0
    .kernarg_segment_align: 8
    .kernarg_segment_size: 88
    .language:       OpenCL C
    .language_version:
      - 2
      - 0
    .max_flat_workgroup_size: 1024
    .name:           _ZN7rocprim17ROCPRIM_400000_NS6detail17trampoline_kernelINS0_14default_configENS1_35radix_sort_onesweep_config_selectorIiiEEZZNS1_29radix_sort_onesweep_iterationIS3_Lb0EN6thrust23THRUST_200600_302600_NS6detail15normal_iteratorINS8_10device_ptrIiEEEESD_SD_SD_jNS0_19identity_decomposerENS1_16block_id_wrapperIjLb1EEEEE10hipError_tT1_PNSt15iterator_traitsISI_E10value_typeET2_T3_PNSJ_ISO_E10value_typeET4_T5_PST_SU_PNS1_23onesweep_lookback_stateEbbT6_jjT7_P12ihipStream_tbENKUlT_T0_SI_SN_E_clISD_PiSD_S15_EEDaS11_S12_SI_SN_EUlS11_E_NS1_11comp_targetILNS1_3genE9ELNS1_11target_archE1100ELNS1_3gpuE3ELNS1_3repE0EEENS1_47radix_sort_onesweep_sort_config_static_selectorELNS0_4arch9wavefront6targetE0EEEvSI_
    .private_segment_fixed_size: 0
    .sgpr_count:     0
    .sgpr_spill_count: 0
    .symbol:         _ZN7rocprim17ROCPRIM_400000_NS6detail17trampoline_kernelINS0_14default_configENS1_35radix_sort_onesweep_config_selectorIiiEEZZNS1_29radix_sort_onesweep_iterationIS3_Lb0EN6thrust23THRUST_200600_302600_NS6detail15normal_iteratorINS8_10device_ptrIiEEEESD_SD_SD_jNS0_19identity_decomposerENS1_16block_id_wrapperIjLb1EEEEE10hipError_tT1_PNSt15iterator_traitsISI_E10value_typeET2_T3_PNSJ_ISO_E10value_typeET4_T5_PST_SU_PNS1_23onesweep_lookback_stateEbbT6_jjT7_P12ihipStream_tbENKUlT_T0_SI_SN_E_clISD_PiSD_S15_EEDaS11_S12_SI_SN_EUlS11_E_NS1_11comp_targetILNS1_3genE9ELNS1_11target_archE1100ELNS1_3gpuE3ELNS1_3repE0EEENS1_47radix_sort_onesweep_sort_config_static_selectorELNS0_4arch9wavefront6targetE0EEEvSI_.kd
    .uniform_work_group_size: 1
    .uses_dynamic_stack: false
    .vgpr_count:     0
    .vgpr_spill_count: 0
    .wavefront_size: 32
    .workgroup_processor_mode: 1
  - .args:
      - .offset:         0
        .size:           88
        .value_kind:     by_value
      - .offset:         88
        .size:           4
        .value_kind:     hidden_block_count_x
      - .offset:         92
        .size:           4
        .value_kind:     hidden_block_count_y
      - .offset:         96
        .size:           4
        .value_kind:     hidden_block_count_z
      - .offset:         100
        .size:           2
        .value_kind:     hidden_group_size_x
      - .offset:         102
        .size:           2
        .value_kind:     hidden_group_size_y
      - .offset:         104
        .size:           2
        .value_kind:     hidden_group_size_z
      - .offset:         106
        .size:           2
        .value_kind:     hidden_remainder_x
      - .offset:         108
        .size:           2
        .value_kind:     hidden_remainder_y
      - .offset:         110
        .size:           2
        .value_kind:     hidden_remainder_z
      - .offset:         128
        .size:           8
        .value_kind:     hidden_global_offset_x
      - .offset:         136
        .size:           8
        .value_kind:     hidden_global_offset_y
      - .offset:         144
        .size:           8
        .value_kind:     hidden_global_offset_z
      - .offset:         152
        .size:           2
        .value_kind:     hidden_grid_dims
    .group_segment_fixed_size: 37000
    .kernarg_segment_align: 8
    .kernarg_segment_size: 344
    .language:       OpenCL C
    .language_version:
      - 2
      - 0
    .max_flat_workgroup_size: 1024
    .name:           _ZN7rocprim17ROCPRIM_400000_NS6detail17trampoline_kernelINS0_14default_configENS1_35radix_sort_onesweep_config_selectorIiiEEZZNS1_29radix_sort_onesweep_iterationIS3_Lb0EN6thrust23THRUST_200600_302600_NS6detail15normal_iteratorINS8_10device_ptrIiEEEESD_SD_SD_jNS0_19identity_decomposerENS1_16block_id_wrapperIjLb1EEEEE10hipError_tT1_PNSt15iterator_traitsISI_E10value_typeET2_T3_PNSJ_ISO_E10value_typeET4_T5_PST_SU_PNS1_23onesweep_lookback_stateEbbT6_jjT7_P12ihipStream_tbENKUlT_T0_SI_SN_E_clISD_PiSD_S15_EEDaS11_S12_SI_SN_EUlS11_E_NS1_11comp_targetILNS1_3genE8ELNS1_11target_archE1030ELNS1_3gpuE2ELNS1_3repE0EEENS1_47radix_sort_onesweep_sort_config_static_selectorELNS0_4arch9wavefront6targetE0EEEvSI_
    .private_segment_fixed_size: 64
    .sgpr_count:     53
    .sgpr_spill_count: 0
    .symbol:         _ZN7rocprim17ROCPRIM_400000_NS6detail17trampoline_kernelINS0_14default_configENS1_35radix_sort_onesweep_config_selectorIiiEEZZNS1_29radix_sort_onesweep_iterationIS3_Lb0EN6thrust23THRUST_200600_302600_NS6detail15normal_iteratorINS8_10device_ptrIiEEEESD_SD_SD_jNS0_19identity_decomposerENS1_16block_id_wrapperIjLb1EEEEE10hipError_tT1_PNSt15iterator_traitsISI_E10value_typeET2_T3_PNSJ_ISO_E10value_typeET4_T5_PST_SU_PNS1_23onesweep_lookback_stateEbbT6_jjT7_P12ihipStream_tbENKUlT_T0_SI_SN_E_clISD_PiSD_S15_EEDaS11_S12_SI_SN_EUlS11_E_NS1_11comp_targetILNS1_3genE8ELNS1_11target_archE1030ELNS1_3gpuE2ELNS1_3repE0EEENS1_47radix_sort_onesweep_sort_config_static_selectorELNS0_4arch9wavefront6targetE0EEEvSI_.kd
    .uniform_work_group_size: 1
    .uses_dynamic_stack: false
    .vgpr_count:     68
    .vgpr_spill_count: 0
    .wavefront_size: 32
    .workgroup_processor_mode: 1
  - .args:
      - .offset:         0
        .size:           88
        .value_kind:     by_value
    .group_segment_fixed_size: 0
    .kernarg_segment_align: 8
    .kernarg_segment_size: 88
    .language:       OpenCL C
    .language_version:
      - 2
      - 0
    .max_flat_workgroup_size: 256
    .name:           _ZN7rocprim17ROCPRIM_400000_NS6detail17trampoline_kernelINS0_14default_configENS1_35radix_sort_onesweep_config_selectorIiiEEZZNS1_29radix_sort_onesweep_iterationIS3_Lb0EN6thrust23THRUST_200600_302600_NS6detail15normal_iteratorINS8_10device_ptrIiEEEESD_SD_SD_jNS0_19identity_decomposerENS1_16block_id_wrapperIjLb1EEEEE10hipError_tT1_PNSt15iterator_traitsISI_E10value_typeET2_T3_PNSJ_ISO_E10value_typeET4_T5_PST_SU_PNS1_23onesweep_lookback_stateEbbT6_jjT7_P12ihipStream_tbENKUlT_T0_SI_SN_E_clIPiSD_S15_SD_EEDaS11_S12_SI_SN_EUlS11_E_NS1_11comp_targetILNS1_3genE0ELNS1_11target_archE4294967295ELNS1_3gpuE0ELNS1_3repE0EEENS1_47radix_sort_onesweep_sort_config_static_selectorELNS0_4arch9wavefront6targetE0EEEvSI_
    .private_segment_fixed_size: 0
    .sgpr_count:     0
    .sgpr_spill_count: 0
    .symbol:         _ZN7rocprim17ROCPRIM_400000_NS6detail17trampoline_kernelINS0_14default_configENS1_35radix_sort_onesweep_config_selectorIiiEEZZNS1_29radix_sort_onesweep_iterationIS3_Lb0EN6thrust23THRUST_200600_302600_NS6detail15normal_iteratorINS8_10device_ptrIiEEEESD_SD_SD_jNS0_19identity_decomposerENS1_16block_id_wrapperIjLb1EEEEE10hipError_tT1_PNSt15iterator_traitsISI_E10value_typeET2_T3_PNSJ_ISO_E10value_typeET4_T5_PST_SU_PNS1_23onesweep_lookback_stateEbbT6_jjT7_P12ihipStream_tbENKUlT_T0_SI_SN_E_clIPiSD_S15_SD_EEDaS11_S12_SI_SN_EUlS11_E_NS1_11comp_targetILNS1_3genE0ELNS1_11target_archE4294967295ELNS1_3gpuE0ELNS1_3repE0EEENS1_47radix_sort_onesweep_sort_config_static_selectorELNS0_4arch9wavefront6targetE0EEEvSI_.kd
    .uniform_work_group_size: 1
    .uses_dynamic_stack: false
    .vgpr_count:     0
    .vgpr_spill_count: 0
    .wavefront_size: 32
    .workgroup_processor_mode: 1
  - .args:
      - .offset:         0
        .size:           88
        .value_kind:     by_value
    .group_segment_fixed_size: 0
    .kernarg_segment_align: 8
    .kernarg_segment_size: 88
    .language:       OpenCL C
    .language_version:
      - 2
      - 0
    .max_flat_workgroup_size: 1024
    .name:           _ZN7rocprim17ROCPRIM_400000_NS6detail17trampoline_kernelINS0_14default_configENS1_35radix_sort_onesweep_config_selectorIiiEEZZNS1_29radix_sort_onesweep_iterationIS3_Lb0EN6thrust23THRUST_200600_302600_NS6detail15normal_iteratorINS8_10device_ptrIiEEEESD_SD_SD_jNS0_19identity_decomposerENS1_16block_id_wrapperIjLb1EEEEE10hipError_tT1_PNSt15iterator_traitsISI_E10value_typeET2_T3_PNSJ_ISO_E10value_typeET4_T5_PST_SU_PNS1_23onesweep_lookback_stateEbbT6_jjT7_P12ihipStream_tbENKUlT_T0_SI_SN_E_clIPiSD_S15_SD_EEDaS11_S12_SI_SN_EUlS11_E_NS1_11comp_targetILNS1_3genE6ELNS1_11target_archE950ELNS1_3gpuE13ELNS1_3repE0EEENS1_47radix_sort_onesweep_sort_config_static_selectorELNS0_4arch9wavefront6targetE0EEEvSI_
    .private_segment_fixed_size: 0
    .sgpr_count:     0
    .sgpr_spill_count: 0
    .symbol:         _ZN7rocprim17ROCPRIM_400000_NS6detail17trampoline_kernelINS0_14default_configENS1_35radix_sort_onesweep_config_selectorIiiEEZZNS1_29radix_sort_onesweep_iterationIS3_Lb0EN6thrust23THRUST_200600_302600_NS6detail15normal_iteratorINS8_10device_ptrIiEEEESD_SD_SD_jNS0_19identity_decomposerENS1_16block_id_wrapperIjLb1EEEEE10hipError_tT1_PNSt15iterator_traitsISI_E10value_typeET2_T3_PNSJ_ISO_E10value_typeET4_T5_PST_SU_PNS1_23onesweep_lookback_stateEbbT6_jjT7_P12ihipStream_tbENKUlT_T0_SI_SN_E_clIPiSD_S15_SD_EEDaS11_S12_SI_SN_EUlS11_E_NS1_11comp_targetILNS1_3genE6ELNS1_11target_archE950ELNS1_3gpuE13ELNS1_3repE0EEENS1_47radix_sort_onesweep_sort_config_static_selectorELNS0_4arch9wavefront6targetE0EEEvSI_.kd
    .uniform_work_group_size: 1
    .uses_dynamic_stack: false
    .vgpr_count:     0
    .vgpr_spill_count: 0
    .wavefront_size: 32
    .workgroup_processor_mode: 1
  - .args:
      - .offset:         0
        .size:           88
        .value_kind:     by_value
    .group_segment_fixed_size: 0
    .kernarg_segment_align: 8
    .kernarg_segment_size: 88
    .language:       OpenCL C
    .language_version:
      - 2
      - 0
    .max_flat_workgroup_size: 1024
    .name:           _ZN7rocprim17ROCPRIM_400000_NS6detail17trampoline_kernelINS0_14default_configENS1_35radix_sort_onesweep_config_selectorIiiEEZZNS1_29radix_sort_onesweep_iterationIS3_Lb0EN6thrust23THRUST_200600_302600_NS6detail15normal_iteratorINS8_10device_ptrIiEEEESD_SD_SD_jNS0_19identity_decomposerENS1_16block_id_wrapperIjLb1EEEEE10hipError_tT1_PNSt15iterator_traitsISI_E10value_typeET2_T3_PNSJ_ISO_E10value_typeET4_T5_PST_SU_PNS1_23onesweep_lookback_stateEbbT6_jjT7_P12ihipStream_tbENKUlT_T0_SI_SN_E_clIPiSD_S15_SD_EEDaS11_S12_SI_SN_EUlS11_E_NS1_11comp_targetILNS1_3genE5ELNS1_11target_archE942ELNS1_3gpuE9ELNS1_3repE0EEENS1_47radix_sort_onesweep_sort_config_static_selectorELNS0_4arch9wavefront6targetE0EEEvSI_
    .private_segment_fixed_size: 0
    .sgpr_count:     0
    .sgpr_spill_count: 0
    .symbol:         _ZN7rocprim17ROCPRIM_400000_NS6detail17trampoline_kernelINS0_14default_configENS1_35radix_sort_onesweep_config_selectorIiiEEZZNS1_29radix_sort_onesweep_iterationIS3_Lb0EN6thrust23THRUST_200600_302600_NS6detail15normal_iteratorINS8_10device_ptrIiEEEESD_SD_SD_jNS0_19identity_decomposerENS1_16block_id_wrapperIjLb1EEEEE10hipError_tT1_PNSt15iterator_traitsISI_E10value_typeET2_T3_PNSJ_ISO_E10value_typeET4_T5_PST_SU_PNS1_23onesweep_lookback_stateEbbT6_jjT7_P12ihipStream_tbENKUlT_T0_SI_SN_E_clIPiSD_S15_SD_EEDaS11_S12_SI_SN_EUlS11_E_NS1_11comp_targetILNS1_3genE5ELNS1_11target_archE942ELNS1_3gpuE9ELNS1_3repE0EEENS1_47radix_sort_onesweep_sort_config_static_selectorELNS0_4arch9wavefront6targetE0EEEvSI_.kd
    .uniform_work_group_size: 1
    .uses_dynamic_stack: false
    .vgpr_count:     0
    .vgpr_spill_count: 0
    .wavefront_size: 32
    .workgroup_processor_mode: 1
  - .args:
      - .offset:         0
        .size:           88
        .value_kind:     by_value
    .group_segment_fixed_size: 0
    .kernarg_segment_align: 8
    .kernarg_segment_size: 88
    .language:       OpenCL C
    .language_version:
      - 2
      - 0
    .max_flat_workgroup_size: 512
    .name:           _ZN7rocprim17ROCPRIM_400000_NS6detail17trampoline_kernelINS0_14default_configENS1_35radix_sort_onesweep_config_selectorIiiEEZZNS1_29radix_sort_onesweep_iterationIS3_Lb0EN6thrust23THRUST_200600_302600_NS6detail15normal_iteratorINS8_10device_ptrIiEEEESD_SD_SD_jNS0_19identity_decomposerENS1_16block_id_wrapperIjLb1EEEEE10hipError_tT1_PNSt15iterator_traitsISI_E10value_typeET2_T3_PNSJ_ISO_E10value_typeET4_T5_PST_SU_PNS1_23onesweep_lookback_stateEbbT6_jjT7_P12ihipStream_tbENKUlT_T0_SI_SN_E_clIPiSD_S15_SD_EEDaS11_S12_SI_SN_EUlS11_E_NS1_11comp_targetILNS1_3genE2ELNS1_11target_archE906ELNS1_3gpuE6ELNS1_3repE0EEENS1_47radix_sort_onesweep_sort_config_static_selectorELNS0_4arch9wavefront6targetE0EEEvSI_
    .private_segment_fixed_size: 0
    .sgpr_count:     0
    .sgpr_spill_count: 0
    .symbol:         _ZN7rocprim17ROCPRIM_400000_NS6detail17trampoline_kernelINS0_14default_configENS1_35radix_sort_onesweep_config_selectorIiiEEZZNS1_29radix_sort_onesweep_iterationIS3_Lb0EN6thrust23THRUST_200600_302600_NS6detail15normal_iteratorINS8_10device_ptrIiEEEESD_SD_SD_jNS0_19identity_decomposerENS1_16block_id_wrapperIjLb1EEEEE10hipError_tT1_PNSt15iterator_traitsISI_E10value_typeET2_T3_PNSJ_ISO_E10value_typeET4_T5_PST_SU_PNS1_23onesweep_lookback_stateEbbT6_jjT7_P12ihipStream_tbENKUlT_T0_SI_SN_E_clIPiSD_S15_SD_EEDaS11_S12_SI_SN_EUlS11_E_NS1_11comp_targetILNS1_3genE2ELNS1_11target_archE906ELNS1_3gpuE6ELNS1_3repE0EEENS1_47radix_sort_onesweep_sort_config_static_selectorELNS0_4arch9wavefront6targetE0EEEvSI_.kd
    .uniform_work_group_size: 1
    .uses_dynamic_stack: false
    .vgpr_count:     0
    .vgpr_spill_count: 0
    .wavefront_size: 32
    .workgroup_processor_mode: 1
  - .args:
      - .offset:         0
        .size:           88
        .value_kind:     by_value
    .group_segment_fixed_size: 0
    .kernarg_segment_align: 8
    .kernarg_segment_size: 88
    .language:       OpenCL C
    .language_version:
      - 2
      - 0
    .max_flat_workgroup_size: 512
    .name:           _ZN7rocprim17ROCPRIM_400000_NS6detail17trampoline_kernelINS0_14default_configENS1_35radix_sort_onesweep_config_selectorIiiEEZZNS1_29radix_sort_onesweep_iterationIS3_Lb0EN6thrust23THRUST_200600_302600_NS6detail15normal_iteratorINS8_10device_ptrIiEEEESD_SD_SD_jNS0_19identity_decomposerENS1_16block_id_wrapperIjLb1EEEEE10hipError_tT1_PNSt15iterator_traitsISI_E10value_typeET2_T3_PNSJ_ISO_E10value_typeET4_T5_PST_SU_PNS1_23onesweep_lookback_stateEbbT6_jjT7_P12ihipStream_tbENKUlT_T0_SI_SN_E_clIPiSD_S15_SD_EEDaS11_S12_SI_SN_EUlS11_E_NS1_11comp_targetILNS1_3genE4ELNS1_11target_archE910ELNS1_3gpuE8ELNS1_3repE0EEENS1_47radix_sort_onesweep_sort_config_static_selectorELNS0_4arch9wavefront6targetE0EEEvSI_
    .private_segment_fixed_size: 0
    .sgpr_count:     0
    .sgpr_spill_count: 0
    .symbol:         _ZN7rocprim17ROCPRIM_400000_NS6detail17trampoline_kernelINS0_14default_configENS1_35radix_sort_onesweep_config_selectorIiiEEZZNS1_29radix_sort_onesweep_iterationIS3_Lb0EN6thrust23THRUST_200600_302600_NS6detail15normal_iteratorINS8_10device_ptrIiEEEESD_SD_SD_jNS0_19identity_decomposerENS1_16block_id_wrapperIjLb1EEEEE10hipError_tT1_PNSt15iterator_traitsISI_E10value_typeET2_T3_PNSJ_ISO_E10value_typeET4_T5_PST_SU_PNS1_23onesweep_lookback_stateEbbT6_jjT7_P12ihipStream_tbENKUlT_T0_SI_SN_E_clIPiSD_S15_SD_EEDaS11_S12_SI_SN_EUlS11_E_NS1_11comp_targetILNS1_3genE4ELNS1_11target_archE910ELNS1_3gpuE8ELNS1_3repE0EEENS1_47radix_sort_onesweep_sort_config_static_selectorELNS0_4arch9wavefront6targetE0EEEvSI_.kd
    .uniform_work_group_size: 1
    .uses_dynamic_stack: false
    .vgpr_count:     0
    .vgpr_spill_count: 0
    .wavefront_size: 32
    .workgroup_processor_mode: 1
  - .args:
      - .offset:         0
        .size:           88
        .value_kind:     by_value
    .group_segment_fixed_size: 0
    .kernarg_segment_align: 8
    .kernarg_segment_size: 88
    .language:       OpenCL C
    .language_version:
      - 2
      - 0
    .max_flat_workgroup_size: 256
    .name:           _ZN7rocprim17ROCPRIM_400000_NS6detail17trampoline_kernelINS0_14default_configENS1_35radix_sort_onesweep_config_selectorIiiEEZZNS1_29radix_sort_onesweep_iterationIS3_Lb0EN6thrust23THRUST_200600_302600_NS6detail15normal_iteratorINS8_10device_ptrIiEEEESD_SD_SD_jNS0_19identity_decomposerENS1_16block_id_wrapperIjLb1EEEEE10hipError_tT1_PNSt15iterator_traitsISI_E10value_typeET2_T3_PNSJ_ISO_E10value_typeET4_T5_PST_SU_PNS1_23onesweep_lookback_stateEbbT6_jjT7_P12ihipStream_tbENKUlT_T0_SI_SN_E_clIPiSD_S15_SD_EEDaS11_S12_SI_SN_EUlS11_E_NS1_11comp_targetILNS1_3genE3ELNS1_11target_archE908ELNS1_3gpuE7ELNS1_3repE0EEENS1_47radix_sort_onesweep_sort_config_static_selectorELNS0_4arch9wavefront6targetE0EEEvSI_
    .private_segment_fixed_size: 0
    .sgpr_count:     0
    .sgpr_spill_count: 0
    .symbol:         _ZN7rocprim17ROCPRIM_400000_NS6detail17trampoline_kernelINS0_14default_configENS1_35radix_sort_onesweep_config_selectorIiiEEZZNS1_29radix_sort_onesweep_iterationIS3_Lb0EN6thrust23THRUST_200600_302600_NS6detail15normal_iteratorINS8_10device_ptrIiEEEESD_SD_SD_jNS0_19identity_decomposerENS1_16block_id_wrapperIjLb1EEEEE10hipError_tT1_PNSt15iterator_traitsISI_E10value_typeET2_T3_PNSJ_ISO_E10value_typeET4_T5_PST_SU_PNS1_23onesweep_lookback_stateEbbT6_jjT7_P12ihipStream_tbENKUlT_T0_SI_SN_E_clIPiSD_S15_SD_EEDaS11_S12_SI_SN_EUlS11_E_NS1_11comp_targetILNS1_3genE3ELNS1_11target_archE908ELNS1_3gpuE7ELNS1_3repE0EEENS1_47radix_sort_onesweep_sort_config_static_selectorELNS0_4arch9wavefront6targetE0EEEvSI_.kd
    .uniform_work_group_size: 1
    .uses_dynamic_stack: false
    .vgpr_count:     0
    .vgpr_spill_count: 0
    .wavefront_size: 32
    .workgroup_processor_mode: 1
  - .args:
      - .offset:         0
        .size:           88
        .value_kind:     by_value
    .group_segment_fixed_size: 0
    .kernarg_segment_align: 8
    .kernarg_segment_size: 88
    .language:       OpenCL C
    .language_version:
      - 2
      - 0
    .max_flat_workgroup_size: 1024
    .name:           _ZN7rocprim17ROCPRIM_400000_NS6detail17trampoline_kernelINS0_14default_configENS1_35radix_sort_onesweep_config_selectorIiiEEZZNS1_29radix_sort_onesweep_iterationIS3_Lb0EN6thrust23THRUST_200600_302600_NS6detail15normal_iteratorINS8_10device_ptrIiEEEESD_SD_SD_jNS0_19identity_decomposerENS1_16block_id_wrapperIjLb1EEEEE10hipError_tT1_PNSt15iterator_traitsISI_E10value_typeET2_T3_PNSJ_ISO_E10value_typeET4_T5_PST_SU_PNS1_23onesweep_lookback_stateEbbT6_jjT7_P12ihipStream_tbENKUlT_T0_SI_SN_E_clIPiSD_S15_SD_EEDaS11_S12_SI_SN_EUlS11_E_NS1_11comp_targetILNS1_3genE10ELNS1_11target_archE1201ELNS1_3gpuE5ELNS1_3repE0EEENS1_47radix_sort_onesweep_sort_config_static_selectorELNS0_4arch9wavefront6targetE0EEEvSI_
    .private_segment_fixed_size: 0
    .sgpr_count:     0
    .sgpr_spill_count: 0
    .symbol:         _ZN7rocprim17ROCPRIM_400000_NS6detail17trampoline_kernelINS0_14default_configENS1_35radix_sort_onesweep_config_selectorIiiEEZZNS1_29radix_sort_onesweep_iterationIS3_Lb0EN6thrust23THRUST_200600_302600_NS6detail15normal_iteratorINS8_10device_ptrIiEEEESD_SD_SD_jNS0_19identity_decomposerENS1_16block_id_wrapperIjLb1EEEEE10hipError_tT1_PNSt15iterator_traitsISI_E10value_typeET2_T3_PNSJ_ISO_E10value_typeET4_T5_PST_SU_PNS1_23onesweep_lookback_stateEbbT6_jjT7_P12ihipStream_tbENKUlT_T0_SI_SN_E_clIPiSD_S15_SD_EEDaS11_S12_SI_SN_EUlS11_E_NS1_11comp_targetILNS1_3genE10ELNS1_11target_archE1201ELNS1_3gpuE5ELNS1_3repE0EEENS1_47radix_sort_onesweep_sort_config_static_selectorELNS0_4arch9wavefront6targetE0EEEvSI_.kd
    .uniform_work_group_size: 1
    .uses_dynamic_stack: false
    .vgpr_count:     0
    .vgpr_spill_count: 0
    .wavefront_size: 32
    .workgroup_processor_mode: 1
  - .args:
      - .offset:         0
        .size:           88
        .value_kind:     by_value
    .group_segment_fixed_size: 0
    .kernarg_segment_align: 8
    .kernarg_segment_size: 88
    .language:       OpenCL C
    .language_version:
      - 2
      - 0
    .max_flat_workgroup_size: 1024
    .name:           _ZN7rocprim17ROCPRIM_400000_NS6detail17trampoline_kernelINS0_14default_configENS1_35radix_sort_onesweep_config_selectorIiiEEZZNS1_29radix_sort_onesweep_iterationIS3_Lb0EN6thrust23THRUST_200600_302600_NS6detail15normal_iteratorINS8_10device_ptrIiEEEESD_SD_SD_jNS0_19identity_decomposerENS1_16block_id_wrapperIjLb1EEEEE10hipError_tT1_PNSt15iterator_traitsISI_E10value_typeET2_T3_PNSJ_ISO_E10value_typeET4_T5_PST_SU_PNS1_23onesweep_lookback_stateEbbT6_jjT7_P12ihipStream_tbENKUlT_T0_SI_SN_E_clIPiSD_S15_SD_EEDaS11_S12_SI_SN_EUlS11_E_NS1_11comp_targetILNS1_3genE9ELNS1_11target_archE1100ELNS1_3gpuE3ELNS1_3repE0EEENS1_47radix_sort_onesweep_sort_config_static_selectorELNS0_4arch9wavefront6targetE0EEEvSI_
    .private_segment_fixed_size: 0
    .sgpr_count:     0
    .sgpr_spill_count: 0
    .symbol:         _ZN7rocprim17ROCPRIM_400000_NS6detail17trampoline_kernelINS0_14default_configENS1_35radix_sort_onesweep_config_selectorIiiEEZZNS1_29radix_sort_onesweep_iterationIS3_Lb0EN6thrust23THRUST_200600_302600_NS6detail15normal_iteratorINS8_10device_ptrIiEEEESD_SD_SD_jNS0_19identity_decomposerENS1_16block_id_wrapperIjLb1EEEEE10hipError_tT1_PNSt15iterator_traitsISI_E10value_typeET2_T3_PNSJ_ISO_E10value_typeET4_T5_PST_SU_PNS1_23onesweep_lookback_stateEbbT6_jjT7_P12ihipStream_tbENKUlT_T0_SI_SN_E_clIPiSD_S15_SD_EEDaS11_S12_SI_SN_EUlS11_E_NS1_11comp_targetILNS1_3genE9ELNS1_11target_archE1100ELNS1_3gpuE3ELNS1_3repE0EEENS1_47radix_sort_onesweep_sort_config_static_selectorELNS0_4arch9wavefront6targetE0EEEvSI_.kd
    .uniform_work_group_size: 1
    .uses_dynamic_stack: false
    .vgpr_count:     0
    .vgpr_spill_count: 0
    .wavefront_size: 32
    .workgroup_processor_mode: 1
  - .args:
      - .offset:         0
        .size:           88
        .value_kind:     by_value
      - .offset:         88
        .size:           4
        .value_kind:     hidden_block_count_x
      - .offset:         92
        .size:           4
        .value_kind:     hidden_block_count_y
      - .offset:         96
        .size:           4
        .value_kind:     hidden_block_count_z
      - .offset:         100
        .size:           2
        .value_kind:     hidden_group_size_x
      - .offset:         102
        .size:           2
        .value_kind:     hidden_group_size_y
      - .offset:         104
        .size:           2
        .value_kind:     hidden_group_size_z
      - .offset:         106
        .size:           2
        .value_kind:     hidden_remainder_x
      - .offset:         108
        .size:           2
        .value_kind:     hidden_remainder_y
      - .offset:         110
        .size:           2
        .value_kind:     hidden_remainder_z
      - .offset:         128
        .size:           8
        .value_kind:     hidden_global_offset_x
      - .offset:         136
        .size:           8
        .value_kind:     hidden_global_offset_y
      - .offset:         144
        .size:           8
        .value_kind:     hidden_global_offset_z
      - .offset:         152
        .size:           2
        .value_kind:     hidden_grid_dims
    .group_segment_fixed_size: 37000
    .kernarg_segment_align: 8
    .kernarg_segment_size: 344
    .language:       OpenCL C
    .language_version:
      - 2
      - 0
    .max_flat_workgroup_size: 1024
    .name:           _ZN7rocprim17ROCPRIM_400000_NS6detail17trampoline_kernelINS0_14default_configENS1_35radix_sort_onesweep_config_selectorIiiEEZZNS1_29radix_sort_onesweep_iterationIS3_Lb0EN6thrust23THRUST_200600_302600_NS6detail15normal_iteratorINS8_10device_ptrIiEEEESD_SD_SD_jNS0_19identity_decomposerENS1_16block_id_wrapperIjLb1EEEEE10hipError_tT1_PNSt15iterator_traitsISI_E10value_typeET2_T3_PNSJ_ISO_E10value_typeET4_T5_PST_SU_PNS1_23onesweep_lookback_stateEbbT6_jjT7_P12ihipStream_tbENKUlT_T0_SI_SN_E_clIPiSD_S15_SD_EEDaS11_S12_SI_SN_EUlS11_E_NS1_11comp_targetILNS1_3genE8ELNS1_11target_archE1030ELNS1_3gpuE2ELNS1_3repE0EEENS1_47radix_sort_onesweep_sort_config_static_selectorELNS0_4arch9wavefront6targetE0EEEvSI_
    .private_segment_fixed_size: 64
    .sgpr_count:     53
    .sgpr_spill_count: 0
    .symbol:         _ZN7rocprim17ROCPRIM_400000_NS6detail17trampoline_kernelINS0_14default_configENS1_35radix_sort_onesweep_config_selectorIiiEEZZNS1_29radix_sort_onesweep_iterationIS3_Lb0EN6thrust23THRUST_200600_302600_NS6detail15normal_iteratorINS8_10device_ptrIiEEEESD_SD_SD_jNS0_19identity_decomposerENS1_16block_id_wrapperIjLb1EEEEE10hipError_tT1_PNSt15iterator_traitsISI_E10value_typeET2_T3_PNSJ_ISO_E10value_typeET4_T5_PST_SU_PNS1_23onesweep_lookback_stateEbbT6_jjT7_P12ihipStream_tbENKUlT_T0_SI_SN_E_clIPiSD_S15_SD_EEDaS11_S12_SI_SN_EUlS11_E_NS1_11comp_targetILNS1_3genE8ELNS1_11target_archE1030ELNS1_3gpuE2ELNS1_3repE0EEENS1_47radix_sort_onesweep_sort_config_static_selectorELNS0_4arch9wavefront6targetE0EEEvSI_.kd
    .uniform_work_group_size: 1
    .uses_dynamic_stack: false
    .vgpr_count:     68
    .vgpr_spill_count: 0
    .wavefront_size: 32
    .workgroup_processor_mode: 1
  - .args:
      - .offset:         0
        .size:           88
        .value_kind:     by_value
    .group_segment_fixed_size: 0
    .kernarg_segment_align: 8
    .kernarg_segment_size: 88
    .language:       OpenCL C
    .language_version:
      - 2
      - 0
    .max_flat_workgroup_size: 256
    .name:           _ZN7rocprim17ROCPRIM_400000_NS6detail17trampoline_kernelINS0_14default_configENS1_35radix_sort_onesweep_config_selectorIiiEEZZNS1_29radix_sort_onesweep_iterationIS3_Lb0EN6thrust23THRUST_200600_302600_NS6detail15normal_iteratorINS8_10device_ptrIiEEEESD_SD_SD_jNS0_19identity_decomposerENS1_16block_id_wrapperIjLb0EEEEE10hipError_tT1_PNSt15iterator_traitsISI_E10value_typeET2_T3_PNSJ_ISO_E10value_typeET4_T5_PST_SU_PNS1_23onesweep_lookback_stateEbbT6_jjT7_P12ihipStream_tbENKUlT_T0_SI_SN_E_clISD_SD_SD_SD_EEDaS11_S12_SI_SN_EUlS11_E_NS1_11comp_targetILNS1_3genE0ELNS1_11target_archE4294967295ELNS1_3gpuE0ELNS1_3repE0EEENS1_47radix_sort_onesweep_sort_config_static_selectorELNS0_4arch9wavefront6targetE0EEEvSI_
    .private_segment_fixed_size: 0
    .sgpr_count:     0
    .sgpr_spill_count: 0
    .symbol:         _ZN7rocprim17ROCPRIM_400000_NS6detail17trampoline_kernelINS0_14default_configENS1_35radix_sort_onesweep_config_selectorIiiEEZZNS1_29radix_sort_onesweep_iterationIS3_Lb0EN6thrust23THRUST_200600_302600_NS6detail15normal_iteratorINS8_10device_ptrIiEEEESD_SD_SD_jNS0_19identity_decomposerENS1_16block_id_wrapperIjLb0EEEEE10hipError_tT1_PNSt15iterator_traitsISI_E10value_typeET2_T3_PNSJ_ISO_E10value_typeET4_T5_PST_SU_PNS1_23onesweep_lookback_stateEbbT6_jjT7_P12ihipStream_tbENKUlT_T0_SI_SN_E_clISD_SD_SD_SD_EEDaS11_S12_SI_SN_EUlS11_E_NS1_11comp_targetILNS1_3genE0ELNS1_11target_archE4294967295ELNS1_3gpuE0ELNS1_3repE0EEENS1_47radix_sort_onesweep_sort_config_static_selectorELNS0_4arch9wavefront6targetE0EEEvSI_.kd
    .uniform_work_group_size: 1
    .uses_dynamic_stack: false
    .vgpr_count:     0
    .vgpr_spill_count: 0
    .wavefront_size: 32
    .workgroup_processor_mode: 1
  - .args:
      - .offset:         0
        .size:           88
        .value_kind:     by_value
    .group_segment_fixed_size: 0
    .kernarg_segment_align: 8
    .kernarg_segment_size: 88
    .language:       OpenCL C
    .language_version:
      - 2
      - 0
    .max_flat_workgroup_size: 1024
    .name:           _ZN7rocprim17ROCPRIM_400000_NS6detail17trampoline_kernelINS0_14default_configENS1_35radix_sort_onesweep_config_selectorIiiEEZZNS1_29radix_sort_onesweep_iterationIS3_Lb0EN6thrust23THRUST_200600_302600_NS6detail15normal_iteratorINS8_10device_ptrIiEEEESD_SD_SD_jNS0_19identity_decomposerENS1_16block_id_wrapperIjLb0EEEEE10hipError_tT1_PNSt15iterator_traitsISI_E10value_typeET2_T3_PNSJ_ISO_E10value_typeET4_T5_PST_SU_PNS1_23onesweep_lookback_stateEbbT6_jjT7_P12ihipStream_tbENKUlT_T0_SI_SN_E_clISD_SD_SD_SD_EEDaS11_S12_SI_SN_EUlS11_E_NS1_11comp_targetILNS1_3genE6ELNS1_11target_archE950ELNS1_3gpuE13ELNS1_3repE0EEENS1_47radix_sort_onesweep_sort_config_static_selectorELNS0_4arch9wavefront6targetE0EEEvSI_
    .private_segment_fixed_size: 0
    .sgpr_count:     0
    .sgpr_spill_count: 0
    .symbol:         _ZN7rocprim17ROCPRIM_400000_NS6detail17trampoline_kernelINS0_14default_configENS1_35radix_sort_onesweep_config_selectorIiiEEZZNS1_29radix_sort_onesweep_iterationIS3_Lb0EN6thrust23THRUST_200600_302600_NS6detail15normal_iteratorINS8_10device_ptrIiEEEESD_SD_SD_jNS0_19identity_decomposerENS1_16block_id_wrapperIjLb0EEEEE10hipError_tT1_PNSt15iterator_traitsISI_E10value_typeET2_T3_PNSJ_ISO_E10value_typeET4_T5_PST_SU_PNS1_23onesweep_lookback_stateEbbT6_jjT7_P12ihipStream_tbENKUlT_T0_SI_SN_E_clISD_SD_SD_SD_EEDaS11_S12_SI_SN_EUlS11_E_NS1_11comp_targetILNS1_3genE6ELNS1_11target_archE950ELNS1_3gpuE13ELNS1_3repE0EEENS1_47radix_sort_onesweep_sort_config_static_selectorELNS0_4arch9wavefront6targetE0EEEvSI_.kd
    .uniform_work_group_size: 1
    .uses_dynamic_stack: false
    .vgpr_count:     0
    .vgpr_spill_count: 0
    .wavefront_size: 32
    .workgroup_processor_mode: 1
  - .args:
      - .offset:         0
        .size:           88
        .value_kind:     by_value
    .group_segment_fixed_size: 0
    .kernarg_segment_align: 8
    .kernarg_segment_size: 88
    .language:       OpenCL C
    .language_version:
      - 2
      - 0
    .max_flat_workgroup_size: 1024
    .name:           _ZN7rocprim17ROCPRIM_400000_NS6detail17trampoline_kernelINS0_14default_configENS1_35radix_sort_onesweep_config_selectorIiiEEZZNS1_29radix_sort_onesweep_iterationIS3_Lb0EN6thrust23THRUST_200600_302600_NS6detail15normal_iteratorINS8_10device_ptrIiEEEESD_SD_SD_jNS0_19identity_decomposerENS1_16block_id_wrapperIjLb0EEEEE10hipError_tT1_PNSt15iterator_traitsISI_E10value_typeET2_T3_PNSJ_ISO_E10value_typeET4_T5_PST_SU_PNS1_23onesweep_lookback_stateEbbT6_jjT7_P12ihipStream_tbENKUlT_T0_SI_SN_E_clISD_SD_SD_SD_EEDaS11_S12_SI_SN_EUlS11_E_NS1_11comp_targetILNS1_3genE5ELNS1_11target_archE942ELNS1_3gpuE9ELNS1_3repE0EEENS1_47radix_sort_onesweep_sort_config_static_selectorELNS0_4arch9wavefront6targetE0EEEvSI_
    .private_segment_fixed_size: 0
    .sgpr_count:     0
    .sgpr_spill_count: 0
    .symbol:         _ZN7rocprim17ROCPRIM_400000_NS6detail17trampoline_kernelINS0_14default_configENS1_35radix_sort_onesweep_config_selectorIiiEEZZNS1_29radix_sort_onesweep_iterationIS3_Lb0EN6thrust23THRUST_200600_302600_NS6detail15normal_iteratorINS8_10device_ptrIiEEEESD_SD_SD_jNS0_19identity_decomposerENS1_16block_id_wrapperIjLb0EEEEE10hipError_tT1_PNSt15iterator_traitsISI_E10value_typeET2_T3_PNSJ_ISO_E10value_typeET4_T5_PST_SU_PNS1_23onesweep_lookback_stateEbbT6_jjT7_P12ihipStream_tbENKUlT_T0_SI_SN_E_clISD_SD_SD_SD_EEDaS11_S12_SI_SN_EUlS11_E_NS1_11comp_targetILNS1_3genE5ELNS1_11target_archE942ELNS1_3gpuE9ELNS1_3repE0EEENS1_47radix_sort_onesweep_sort_config_static_selectorELNS0_4arch9wavefront6targetE0EEEvSI_.kd
    .uniform_work_group_size: 1
    .uses_dynamic_stack: false
    .vgpr_count:     0
    .vgpr_spill_count: 0
    .wavefront_size: 32
    .workgroup_processor_mode: 1
  - .args:
      - .offset:         0
        .size:           88
        .value_kind:     by_value
    .group_segment_fixed_size: 0
    .kernarg_segment_align: 8
    .kernarg_segment_size: 88
    .language:       OpenCL C
    .language_version:
      - 2
      - 0
    .max_flat_workgroup_size: 512
    .name:           _ZN7rocprim17ROCPRIM_400000_NS6detail17trampoline_kernelINS0_14default_configENS1_35radix_sort_onesweep_config_selectorIiiEEZZNS1_29radix_sort_onesweep_iterationIS3_Lb0EN6thrust23THRUST_200600_302600_NS6detail15normal_iteratorINS8_10device_ptrIiEEEESD_SD_SD_jNS0_19identity_decomposerENS1_16block_id_wrapperIjLb0EEEEE10hipError_tT1_PNSt15iterator_traitsISI_E10value_typeET2_T3_PNSJ_ISO_E10value_typeET4_T5_PST_SU_PNS1_23onesweep_lookback_stateEbbT6_jjT7_P12ihipStream_tbENKUlT_T0_SI_SN_E_clISD_SD_SD_SD_EEDaS11_S12_SI_SN_EUlS11_E_NS1_11comp_targetILNS1_3genE2ELNS1_11target_archE906ELNS1_3gpuE6ELNS1_3repE0EEENS1_47radix_sort_onesweep_sort_config_static_selectorELNS0_4arch9wavefront6targetE0EEEvSI_
    .private_segment_fixed_size: 0
    .sgpr_count:     0
    .sgpr_spill_count: 0
    .symbol:         _ZN7rocprim17ROCPRIM_400000_NS6detail17trampoline_kernelINS0_14default_configENS1_35radix_sort_onesweep_config_selectorIiiEEZZNS1_29radix_sort_onesweep_iterationIS3_Lb0EN6thrust23THRUST_200600_302600_NS6detail15normal_iteratorINS8_10device_ptrIiEEEESD_SD_SD_jNS0_19identity_decomposerENS1_16block_id_wrapperIjLb0EEEEE10hipError_tT1_PNSt15iterator_traitsISI_E10value_typeET2_T3_PNSJ_ISO_E10value_typeET4_T5_PST_SU_PNS1_23onesweep_lookback_stateEbbT6_jjT7_P12ihipStream_tbENKUlT_T0_SI_SN_E_clISD_SD_SD_SD_EEDaS11_S12_SI_SN_EUlS11_E_NS1_11comp_targetILNS1_3genE2ELNS1_11target_archE906ELNS1_3gpuE6ELNS1_3repE0EEENS1_47radix_sort_onesweep_sort_config_static_selectorELNS0_4arch9wavefront6targetE0EEEvSI_.kd
    .uniform_work_group_size: 1
    .uses_dynamic_stack: false
    .vgpr_count:     0
    .vgpr_spill_count: 0
    .wavefront_size: 32
    .workgroup_processor_mode: 1
  - .args:
      - .offset:         0
        .size:           88
        .value_kind:     by_value
    .group_segment_fixed_size: 0
    .kernarg_segment_align: 8
    .kernarg_segment_size: 88
    .language:       OpenCL C
    .language_version:
      - 2
      - 0
    .max_flat_workgroup_size: 512
    .name:           _ZN7rocprim17ROCPRIM_400000_NS6detail17trampoline_kernelINS0_14default_configENS1_35radix_sort_onesweep_config_selectorIiiEEZZNS1_29radix_sort_onesweep_iterationIS3_Lb0EN6thrust23THRUST_200600_302600_NS6detail15normal_iteratorINS8_10device_ptrIiEEEESD_SD_SD_jNS0_19identity_decomposerENS1_16block_id_wrapperIjLb0EEEEE10hipError_tT1_PNSt15iterator_traitsISI_E10value_typeET2_T3_PNSJ_ISO_E10value_typeET4_T5_PST_SU_PNS1_23onesweep_lookback_stateEbbT6_jjT7_P12ihipStream_tbENKUlT_T0_SI_SN_E_clISD_SD_SD_SD_EEDaS11_S12_SI_SN_EUlS11_E_NS1_11comp_targetILNS1_3genE4ELNS1_11target_archE910ELNS1_3gpuE8ELNS1_3repE0EEENS1_47radix_sort_onesweep_sort_config_static_selectorELNS0_4arch9wavefront6targetE0EEEvSI_
    .private_segment_fixed_size: 0
    .sgpr_count:     0
    .sgpr_spill_count: 0
    .symbol:         _ZN7rocprim17ROCPRIM_400000_NS6detail17trampoline_kernelINS0_14default_configENS1_35radix_sort_onesweep_config_selectorIiiEEZZNS1_29radix_sort_onesweep_iterationIS3_Lb0EN6thrust23THRUST_200600_302600_NS6detail15normal_iteratorINS8_10device_ptrIiEEEESD_SD_SD_jNS0_19identity_decomposerENS1_16block_id_wrapperIjLb0EEEEE10hipError_tT1_PNSt15iterator_traitsISI_E10value_typeET2_T3_PNSJ_ISO_E10value_typeET4_T5_PST_SU_PNS1_23onesweep_lookback_stateEbbT6_jjT7_P12ihipStream_tbENKUlT_T0_SI_SN_E_clISD_SD_SD_SD_EEDaS11_S12_SI_SN_EUlS11_E_NS1_11comp_targetILNS1_3genE4ELNS1_11target_archE910ELNS1_3gpuE8ELNS1_3repE0EEENS1_47radix_sort_onesweep_sort_config_static_selectorELNS0_4arch9wavefront6targetE0EEEvSI_.kd
    .uniform_work_group_size: 1
    .uses_dynamic_stack: false
    .vgpr_count:     0
    .vgpr_spill_count: 0
    .wavefront_size: 32
    .workgroup_processor_mode: 1
  - .args:
      - .offset:         0
        .size:           88
        .value_kind:     by_value
    .group_segment_fixed_size: 0
    .kernarg_segment_align: 8
    .kernarg_segment_size: 88
    .language:       OpenCL C
    .language_version:
      - 2
      - 0
    .max_flat_workgroup_size: 256
    .name:           _ZN7rocprim17ROCPRIM_400000_NS6detail17trampoline_kernelINS0_14default_configENS1_35radix_sort_onesweep_config_selectorIiiEEZZNS1_29radix_sort_onesweep_iterationIS3_Lb0EN6thrust23THRUST_200600_302600_NS6detail15normal_iteratorINS8_10device_ptrIiEEEESD_SD_SD_jNS0_19identity_decomposerENS1_16block_id_wrapperIjLb0EEEEE10hipError_tT1_PNSt15iterator_traitsISI_E10value_typeET2_T3_PNSJ_ISO_E10value_typeET4_T5_PST_SU_PNS1_23onesweep_lookback_stateEbbT6_jjT7_P12ihipStream_tbENKUlT_T0_SI_SN_E_clISD_SD_SD_SD_EEDaS11_S12_SI_SN_EUlS11_E_NS1_11comp_targetILNS1_3genE3ELNS1_11target_archE908ELNS1_3gpuE7ELNS1_3repE0EEENS1_47radix_sort_onesweep_sort_config_static_selectorELNS0_4arch9wavefront6targetE0EEEvSI_
    .private_segment_fixed_size: 0
    .sgpr_count:     0
    .sgpr_spill_count: 0
    .symbol:         _ZN7rocprim17ROCPRIM_400000_NS6detail17trampoline_kernelINS0_14default_configENS1_35radix_sort_onesweep_config_selectorIiiEEZZNS1_29radix_sort_onesweep_iterationIS3_Lb0EN6thrust23THRUST_200600_302600_NS6detail15normal_iteratorINS8_10device_ptrIiEEEESD_SD_SD_jNS0_19identity_decomposerENS1_16block_id_wrapperIjLb0EEEEE10hipError_tT1_PNSt15iterator_traitsISI_E10value_typeET2_T3_PNSJ_ISO_E10value_typeET4_T5_PST_SU_PNS1_23onesweep_lookback_stateEbbT6_jjT7_P12ihipStream_tbENKUlT_T0_SI_SN_E_clISD_SD_SD_SD_EEDaS11_S12_SI_SN_EUlS11_E_NS1_11comp_targetILNS1_3genE3ELNS1_11target_archE908ELNS1_3gpuE7ELNS1_3repE0EEENS1_47radix_sort_onesweep_sort_config_static_selectorELNS0_4arch9wavefront6targetE0EEEvSI_.kd
    .uniform_work_group_size: 1
    .uses_dynamic_stack: false
    .vgpr_count:     0
    .vgpr_spill_count: 0
    .wavefront_size: 32
    .workgroup_processor_mode: 1
  - .args:
      - .offset:         0
        .size:           88
        .value_kind:     by_value
    .group_segment_fixed_size: 0
    .kernarg_segment_align: 8
    .kernarg_segment_size: 88
    .language:       OpenCL C
    .language_version:
      - 2
      - 0
    .max_flat_workgroup_size: 1024
    .name:           _ZN7rocprim17ROCPRIM_400000_NS6detail17trampoline_kernelINS0_14default_configENS1_35radix_sort_onesweep_config_selectorIiiEEZZNS1_29radix_sort_onesweep_iterationIS3_Lb0EN6thrust23THRUST_200600_302600_NS6detail15normal_iteratorINS8_10device_ptrIiEEEESD_SD_SD_jNS0_19identity_decomposerENS1_16block_id_wrapperIjLb0EEEEE10hipError_tT1_PNSt15iterator_traitsISI_E10value_typeET2_T3_PNSJ_ISO_E10value_typeET4_T5_PST_SU_PNS1_23onesweep_lookback_stateEbbT6_jjT7_P12ihipStream_tbENKUlT_T0_SI_SN_E_clISD_SD_SD_SD_EEDaS11_S12_SI_SN_EUlS11_E_NS1_11comp_targetILNS1_3genE10ELNS1_11target_archE1201ELNS1_3gpuE5ELNS1_3repE0EEENS1_47radix_sort_onesweep_sort_config_static_selectorELNS0_4arch9wavefront6targetE0EEEvSI_
    .private_segment_fixed_size: 0
    .sgpr_count:     0
    .sgpr_spill_count: 0
    .symbol:         _ZN7rocprim17ROCPRIM_400000_NS6detail17trampoline_kernelINS0_14default_configENS1_35radix_sort_onesweep_config_selectorIiiEEZZNS1_29radix_sort_onesweep_iterationIS3_Lb0EN6thrust23THRUST_200600_302600_NS6detail15normal_iteratorINS8_10device_ptrIiEEEESD_SD_SD_jNS0_19identity_decomposerENS1_16block_id_wrapperIjLb0EEEEE10hipError_tT1_PNSt15iterator_traitsISI_E10value_typeET2_T3_PNSJ_ISO_E10value_typeET4_T5_PST_SU_PNS1_23onesweep_lookback_stateEbbT6_jjT7_P12ihipStream_tbENKUlT_T0_SI_SN_E_clISD_SD_SD_SD_EEDaS11_S12_SI_SN_EUlS11_E_NS1_11comp_targetILNS1_3genE10ELNS1_11target_archE1201ELNS1_3gpuE5ELNS1_3repE0EEENS1_47radix_sort_onesweep_sort_config_static_selectorELNS0_4arch9wavefront6targetE0EEEvSI_.kd
    .uniform_work_group_size: 1
    .uses_dynamic_stack: false
    .vgpr_count:     0
    .vgpr_spill_count: 0
    .wavefront_size: 32
    .workgroup_processor_mode: 1
  - .args:
      - .offset:         0
        .size:           88
        .value_kind:     by_value
    .group_segment_fixed_size: 0
    .kernarg_segment_align: 8
    .kernarg_segment_size: 88
    .language:       OpenCL C
    .language_version:
      - 2
      - 0
    .max_flat_workgroup_size: 1024
    .name:           _ZN7rocprim17ROCPRIM_400000_NS6detail17trampoline_kernelINS0_14default_configENS1_35radix_sort_onesweep_config_selectorIiiEEZZNS1_29radix_sort_onesweep_iterationIS3_Lb0EN6thrust23THRUST_200600_302600_NS6detail15normal_iteratorINS8_10device_ptrIiEEEESD_SD_SD_jNS0_19identity_decomposerENS1_16block_id_wrapperIjLb0EEEEE10hipError_tT1_PNSt15iterator_traitsISI_E10value_typeET2_T3_PNSJ_ISO_E10value_typeET4_T5_PST_SU_PNS1_23onesweep_lookback_stateEbbT6_jjT7_P12ihipStream_tbENKUlT_T0_SI_SN_E_clISD_SD_SD_SD_EEDaS11_S12_SI_SN_EUlS11_E_NS1_11comp_targetILNS1_3genE9ELNS1_11target_archE1100ELNS1_3gpuE3ELNS1_3repE0EEENS1_47radix_sort_onesweep_sort_config_static_selectorELNS0_4arch9wavefront6targetE0EEEvSI_
    .private_segment_fixed_size: 0
    .sgpr_count:     0
    .sgpr_spill_count: 0
    .symbol:         _ZN7rocprim17ROCPRIM_400000_NS6detail17trampoline_kernelINS0_14default_configENS1_35radix_sort_onesweep_config_selectorIiiEEZZNS1_29radix_sort_onesweep_iterationIS3_Lb0EN6thrust23THRUST_200600_302600_NS6detail15normal_iteratorINS8_10device_ptrIiEEEESD_SD_SD_jNS0_19identity_decomposerENS1_16block_id_wrapperIjLb0EEEEE10hipError_tT1_PNSt15iterator_traitsISI_E10value_typeET2_T3_PNSJ_ISO_E10value_typeET4_T5_PST_SU_PNS1_23onesweep_lookback_stateEbbT6_jjT7_P12ihipStream_tbENKUlT_T0_SI_SN_E_clISD_SD_SD_SD_EEDaS11_S12_SI_SN_EUlS11_E_NS1_11comp_targetILNS1_3genE9ELNS1_11target_archE1100ELNS1_3gpuE3ELNS1_3repE0EEENS1_47radix_sort_onesweep_sort_config_static_selectorELNS0_4arch9wavefront6targetE0EEEvSI_.kd
    .uniform_work_group_size: 1
    .uses_dynamic_stack: false
    .vgpr_count:     0
    .vgpr_spill_count: 0
    .wavefront_size: 32
    .workgroup_processor_mode: 1
  - .args:
      - .offset:         0
        .size:           88
        .value_kind:     by_value
      - .offset:         88
        .size:           4
        .value_kind:     hidden_block_count_x
      - .offset:         92
        .size:           4
        .value_kind:     hidden_block_count_y
      - .offset:         96
        .size:           4
        .value_kind:     hidden_block_count_z
      - .offset:         100
        .size:           2
        .value_kind:     hidden_group_size_x
      - .offset:         102
        .size:           2
        .value_kind:     hidden_group_size_y
      - .offset:         104
        .size:           2
        .value_kind:     hidden_group_size_z
      - .offset:         106
        .size:           2
        .value_kind:     hidden_remainder_x
      - .offset:         108
        .size:           2
        .value_kind:     hidden_remainder_y
      - .offset:         110
        .size:           2
        .value_kind:     hidden_remainder_z
      - .offset:         128
        .size:           8
        .value_kind:     hidden_global_offset_x
      - .offset:         136
        .size:           8
        .value_kind:     hidden_global_offset_y
      - .offset:         144
        .size:           8
        .value_kind:     hidden_global_offset_z
      - .offset:         152
        .size:           2
        .value_kind:     hidden_grid_dims
    .group_segment_fixed_size: 37000
    .kernarg_segment_align: 8
    .kernarg_segment_size: 344
    .language:       OpenCL C
    .language_version:
      - 2
      - 0
    .max_flat_workgroup_size: 1024
    .name:           _ZN7rocprim17ROCPRIM_400000_NS6detail17trampoline_kernelINS0_14default_configENS1_35radix_sort_onesweep_config_selectorIiiEEZZNS1_29radix_sort_onesweep_iterationIS3_Lb0EN6thrust23THRUST_200600_302600_NS6detail15normal_iteratorINS8_10device_ptrIiEEEESD_SD_SD_jNS0_19identity_decomposerENS1_16block_id_wrapperIjLb0EEEEE10hipError_tT1_PNSt15iterator_traitsISI_E10value_typeET2_T3_PNSJ_ISO_E10value_typeET4_T5_PST_SU_PNS1_23onesweep_lookback_stateEbbT6_jjT7_P12ihipStream_tbENKUlT_T0_SI_SN_E_clISD_SD_SD_SD_EEDaS11_S12_SI_SN_EUlS11_E_NS1_11comp_targetILNS1_3genE8ELNS1_11target_archE1030ELNS1_3gpuE2ELNS1_3repE0EEENS1_47radix_sort_onesweep_sort_config_static_selectorELNS0_4arch9wavefront6targetE0EEEvSI_
    .private_segment_fixed_size: 64
    .sgpr_count:     51
    .sgpr_spill_count: 0
    .symbol:         _ZN7rocprim17ROCPRIM_400000_NS6detail17trampoline_kernelINS0_14default_configENS1_35radix_sort_onesweep_config_selectorIiiEEZZNS1_29radix_sort_onesweep_iterationIS3_Lb0EN6thrust23THRUST_200600_302600_NS6detail15normal_iteratorINS8_10device_ptrIiEEEESD_SD_SD_jNS0_19identity_decomposerENS1_16block_id_wrapperIjLb0EEEEE10hipError_tT1_PNSt15iterator_traitsISI_E10value_typeET2_T3_PNSJ_ISO_E10value_typeET4_T5_PST_SU_PNS1_23onesweep_lookback_stateEbbT6_jjT7_P12ihipStream_tbENKUlT_T0_SI_SN_E_clISD_SD_SD_SD_EEDaS11_S12_SI_SN_EUlS11_E_NS1_11comp_targetILNS1_3genE8ELNS1_11target_archE1030ELNS1_3gpuE2ELNS1_3repE0EEENS1_47radix_sort_onesweep_sort_config_static_selectorELNS0_4arch9wavefront6targetE0EEEvSI_.kd
    .uniform_work_group_size: 1
    .uses_dynamic_stack: false
    .vgpr_count:     68
    .vgpr_spill_count: 0
    .wavefront_size: 32
    .workgroup_processor_mode: 1
  - .args:
      - .offset:         0
        .size:           88
        .value_kind:     by_value
    .group_segment_fixed_size: 0
    .kernarg_segment_align: 8
    .kernarg_segment_size: 88
    .language:       OpenCL C
    .language_version:
      - 2
      - 0
    .max_flat_workgroup_size: 256
    .name:           _ZN7rocprim17ROCPRIM_400000_NS6detail17trampoline_kernelINS0_14default_configENS1_35radix_sort_onesweep_config_selectorIiiEEZZNS1_29radix_sort_onesweep_iterationIS3_Lb0EN6thrust23THRUST_200600_302600_NS6detail15normal_iteratorINS8_10device_ptrIiEEEESD_SD_SD_jNS0_19identity_decomposerENS1_16block_id_wrapperIjLb0EEEEE10hipError_tT1_PNSt15iterator_traitsISI_E10value_typeET2_T3_PNSJ_ISO_E10value_typeET4_T5_PST_SU_PNS1_23onesweep_lookback_stateEbbT6_jjT7_P12ihipStream_tbENKUlT_T0_SI_SN_E_clISD_PiSD_S15_EEDaS11_S12_SI_SN_EUlS11_E_NS1_11comp_targetILNS1_3genE0ELNS1_11target_archE4294967295ELNS1_3gpuE0ELNS1_3repE0EEENS1_47radix_sort_onesweep_sort_config_static_selectorELNS0_4arch9wavefront6targetE0EEEvSI_
    .private_segment_fixed_size: 0
    .sgpr_count:     0
    .sgpr_spill_count: 0
    .symbol:         _ZN7rocprim17ROCPRIM_400000_NS6detail17trampoline_kernelINS0_14default_configENS1_35radix_sort_onesweep_config_selectorIiiEEZZNS1_29radix_sort_onesweep_iterationIS3_Lb0EN6thrust23THRUST_200600_302600_NS6detail15normal_iteratorINS8_10device_ptrIiEEEESD_SD_SD_jNS0_19identity_decomposerENS1_16block_id_wrapperIjLb0EEEEE10hipError_tT1_PNSt15iterator_traitsISI_E10value_typeET2_T3_PNSJ_ISO_E10value_typeET4_T5_PST_SU_PNS1_23onesweep_lookback_stateEbbT6_jjT7_P12ihipStream_tbENKUlT_T0_SI_SN_E_clISD_PiSD_S15_EEDaS11_S12_SI_SN_EUlS11_E_NS1_11comp_targetILNS1_3genE0ELNS1_11target_archE4294967295ELNS1_3gpuE0ELNS1_3repE0EEENS1_47radix_sort_onesweep_sort_config_static_selectorELNS0_4arch9wavefront6targetE0EEEvSI_.kd
    .uniform_work_group_size: 1
    .uses_dynamic_stack: false
    .vgpr_count:     0
    .vgpr_spill_count: 0
    .wavefront_size: 32
    .workgroup_processor_mode: 1
  - .args:
      - .offset:         0
        .size:           88
        .value_kind:     by_value
    .group_segment_fixed_size: 0
    .kernarg_segment_align: 8
    .kernarg_segment_size: 88
    .language:       OpenCL C
    .language_version:
      - 2
      - 0
    .max_flat_workgroup_size: 1024
    .name:           _ZN7rocprim17ROCPRIM_400000_NS6detail17trampoline_kernelINS0_14default_configENS1_35radix_sort_onesweep_config_selectorIiiEEZZNS1_29radix_sort_onesweep_iterationIS3_Lb0EN6thrust23THRUST_200600_302600_NS6detail15normal_iteratorINS8_10device_ptrIiEEEESD_SD_SD_jNS0_19identity_decomposerENS1_16block_id_wrapperIjLb0EEEEE10hipError_tT1_PNSt15iterator_traitsISI_E10value_typeET2_T3_PNSJ_ISO_E10value_typeET4_T5_PST_SU_PNS1_23onesweep_lookback_stateEbbT6_jjT7_P12ihipStream_tbENKUlT_T0_SI_SN_E_clISD_PiSD_S15_EEDaS11_S12_SI_SN_EUlS11_E_NS1_11comp_targetILNS1_3genE6ELNS1_11target_archE950ELNS1_3gpuE13ELNS1_3repE0EEENS1_47radix_sort_onesweep_sort_config_static_selectorELNS0_4arch9wavefront6targetE0EEEvSI_
    .private_segment_fixed_size: 0
    .sgpr_count:     0
    .sgpr_spill_count: 0
    .symbol:         _ZN7rocprim17ROCPRIM_400000_NS6detail17trampoline_kernelINS0_14default_configENS1_35radix_sort_onesweep_config_selectorIiiEEZZNS1_29radix_sort_onesweep_iterationIS3_Lb0EN6thrust23THRUST_200600_302600_NS6detail15normal_iteratorINS8_10device_ptrIiEEEESD_SD_SD_jNS0_19identity_decomposerENS1_16block_id_wrapperIjLb0EEEEE10hipError_tT1_PNSt15iterator_traitsISI_E10value_typeET2_T3_PNSJ_ISO_E10value_typeET4_T5_PST_SU_PNS1_23onesweep_lookback_stateEbbT6_jjT7_P12ihipStream_tbENKUlT_T0_SI_SN_E_clISD_PiSD_S15_EEDaS11_S12_SI_SN_EUlS11_E_NS1_11comp_targetILNS1_3genE6ELNS1_11target_archE950ELNS1_3gpuE13ELNS1_3repE0EEENS1_47radix_sort_onesweep_sort_config_static_selectorELNS0_4arch9wavefront6targetE0EEEvSI_.kd
    .uniform_work_group_size: 1
    .uses_dynamic_stack: false
    .vgpr_count:     0
    .vgpr_spill_count: 0
    .wavefront_size: 32
    .workgroup_processor_mode: 1
  - .args:
      - .offset:         0
        .size:           88
        .value_kind:     by_value
    .group_segment_fixed_size: 0
    .kernarg_segment_align: 8
    .kernarg_segment_size: 88
    .language:       OpenCL C
    .language_version:
      - 2
      - 0
    .max_flat_workgroup_size: 1024
    .name:           _ZN7rocprim17ROCPRIM_400000_NS6detail17trampoline_kernelINS0_14default_configENS1_35radix_sort_onesweep_config_selectorIiiEEZZNS1_29radix_sort_onesweep_iterationIS3_Lb0EN6thrust23THRUST_200600_302600_NS6detail15normal_iteratorINS8_10device_ptrIiEEEESD_SD_SD_jNS0_19identity_decomposerENS1_16block_id_wrapperIjLb0EEEEE10hipError_tT1_PNSt15iterator_traitsISI_E10value_typeET2_T3_PNSJ_ISO_E10value_typeET4_T5_PST_SU_PNS1_23onesweep_lookback_stateEbbT6_jjT7_P12ihipStream_tbENKUlT_T0_SI_SN_E_clISD_PiSD_S15_EEDaS11_S12_SI_SN_EUlS11_E_NS1_11comp_targetILNS1_3genE5ELNS1_11target_archE942ELNS1_3gpuE9ELNS1_3repE0EEENS1_47radix_sort_onesweep_sort_config_static_selectorELNS0_4arch9wavefront6targetE0EEEvSI_
    .private_segment_fixed_size: 0
    .sgpr_count:     0
    .sgpr_spill_count: 0
    .symbol:         _ZN7rocprim17ROCPRIM_400000_NS6detail17trampoline_kernelINS0_14default_configENS1_35radix_sort_onesweep_config_selectorIiiEEZZNS1_29radix_sort_onesweep_iterationIS3_Lb0EN6thrust23THRUST_200600_302600_NS6detail15normal_iteratorINS8_10device_ptrIiEEEESD_SD_SD_jNS0_19identity_decomposerENS1_16block_id_wrapperIjLb0EEEEE10hipError_tT1_PNSt15iterator_traitsISI_E10value_typeET2_T3_PNSJ_ISO_E10value_typeET4_T5_PST_SU_PNS1_23onesweep_lookback_stateEbbT6_jjT7_P12ihipStream_tbENKUlT_T0_SI_SN_E_clISD_PiSD_S15_EEDaS11_S12_SI_SN_EUlS11_E_NS1_11comp_targetILNS1_3genE5ELNS1_11target_archE942ELNS1_3gpuE9ELNS1_3repE0EEENS1_47radix_sort_onesweep_sort_config_static_selectorELNS0_4arch9wavefront6targetE0EEEvSI_.kd
    .uniform_work_group_size: 1
    .uses_dynamic_stack: false
    .vgpr_count:     0
    .vgpr_spill_count: 0
    .wavefront_size: 32
    .workgroup_processor_mode: 1
  - .args:
      - .offset:         0
        .size:           88
        .value_kind:     by_value
    .group_segment_fixed_size: 0
    .kernarg_segment_align: 8
    .kernarg_segment_size: 88
    .language:       OpenCL C
    .language_version:
      - 2
      - 0
    .max_flat_workgroup_size: 512
    .name:           _ZN7rocprim17ROCPRIM_400000_NS6detail17trampoline_kernelINS0_14default_configENS1_35radix_sort_onesweep_config_selectorIiiEEZZNS1_29radix_sort_onesweep_iterationIS3_Lb0EN6thrust23THRUST_200600_302600_NS6detail15normal_iteratorINS8_10device_ptrIiEEEESD_SD_SD_jNS0_19identity_decomposerENS1_16block_id_wrapperIjLb0EEEEE10hipError_tT1_PNSt15iterator_traitsISI_E10value_typeET2_T3_PNSJ_ISO_E10value_typeET4_T5_PST_SU_PNS1_23onesweep_lookback_stateEbbT6_jjT7_P12ihipStream_tbENKUlT_T0_SI_SN_E_clISD_PiSD_S15_EEDaS11_S12_SI_SN_EUlS11_E_NS1_11comp_targetILNS1_3genE2ELNS1_11target_archE906ELNS1_3gpuE6ELNS1_3repE0EEENS1_47radix_sort_onesweep_sort_config_static_selectorELNS0_4arch9wavefront6targetE0EEEvSI_
    .private_segment_fixed_size: 0
    .sgpr_count:     0
    .sgpr_spill_count: 0
    .symbol:         _ZN7rocprim17ROCPRIM_400000_NS6detail17trampoline_kernelINS0_14default_configENS1_35radix_sort_onesweep_config_selectorIiiEEZZNS1_29radix_sort_onesweep_iterationIS3_Lb0EN6thrust23THRUST_200600_302600_NS6detail15normal_iteratorINS8_10device_ptrIiEEEESD_SD_SD_jNS0_19identity_decomposerENS1_16block_id_wrapperIjLb0EEEEE10hipError_tT1_PNSt15iterator_traitsISI_E10value_typeET2_T3_PNSJ_ISO_E10value_typeET4_T5_PST_SU_PNS1_23onesweep_lookback_stateEbbT6_jjT7_P12ihipStream_tbENKUlT_T0_SI_SN_E_clISD_PiSD_S15_EEDaS11_S12_SI_SN_EUlS11_E_NS1_11comp_targetILNS1_3genE2ELNS1_11target_archE906ELNS1_3gpuE6ELNS1_3repE0EEENS1_47radix_sort_onesweep_sort_config_static_selectorELNS0_4arch9wavefront6targetE0EEEvSI_.kd
    .uniform_work_group_size: 1
    .uses_dynamic_stack: false
    .vgpr_count:     0
    .vgpr_spill_count: 0
    .wavefront_size: 32
    .workgroup_processor_mode: 1
  - .args:
      - .offset:         0
        .size:           88
        .value_kind:     by_value
    .group_segment_fixed_size: 0
    .kernarg_segment_align: 8
    .kernarg_segment_size: 88
    .language:       OpenCL C
    .language_version:
      - 2
      - 0
    .max_flat_workgroup_size: 512
    .name:           _ZN7rocprim17ROCPRIM_400000_NS6detail17trampoline_kernelINS0_14default_configENS1_35radix_sort_onesweep_config_selectorIiiEEZZNS1_29radix_sort_onesweep_iterationIS3_Lb0EN6thrust23THRUST_200600_302600_NS6detail15normal_iteratorINS8_10device_ptrIiEEEESD_SD_SD_jNS0_19identity_decomposerENS1_16block_id_wrapperIjLb0EEEEE10hipError_tT1_PNSt15iterator_traitsISI_E10value_typeET2_T3_PNSJ_ISO_E10value_typeET4_T5_PST_SU_PNS1_23onesweep_lookback_stateEbbT6_jjT7_P12ihipStream_tbENKUlT_T0_SI_SN_E_clISD_PiSD_S15_EEDaS11_S12_SI_SN_EUlS11_E_NS1_11comp_targetILNS1_3genE4ELNS1_11target_archE910ELNS1_3gpuE8ELNS1_3repE0EEENS1_47radix_sort_onesweep_sort_config_static_selectorELNS0_4arch9wavefront6targetE0EEEvSI_
    .private_segment_fixed_size: 0
    .sgpr_count:     0
    .sgpr_spill_count: 0
    .symbol:         _ZN7rocprim17ROCPRIM_400000_NS6detail17trampoline_kernelINS0_14default_configENS1_35radix_sort_onesweep_config_selectorIiiEEZZNS1_29radix_sort_onesweep_iterationIS3_Lb0EN6thrust23THRUST_200600_302600_NS6detail15normal_iteratorINS8_10device_ptrIiEEEESD_SD_SD_jNS0_19identity_decomposerENS1_16block_id_wrapperIjLb0EEEEE10hipError_tT1_PNSt15iterator_traitsISI_E10value_typeET2_T3_PNSJ_ISO_E10value_typeET4_T5_PST_SU_PNS1_23onesweep_lookback_stateEbbT6_jjT7_P12ihipStream_tbENKUlT_T0_SI_SN_E_clISD_PiSD_S15_EEDaS11_S12_SI_SN_EUlS11_E_NS1_11comp_targetILNS1_3genE4ELNS1_11target_archE910ELNS1_3gpuE8ELNS1_3repE0EEENS1_47radix_sort_onesweep_sort_config_static_selectorELNS0_4arch9wavefront6targetE0EEEvSI_.kd
    .uniform_work_group_size: 1
    .uses_dynamic_stack: false
    .vgpr_count:     0
    .vgpr_spill_count: 0
    .wavefront_size: 32
    .workgroup_processor_mode: 1
  - .args:
      - .offset:         0
        .size:           88
        .value_kind:     by_value
    .group_segment_fixed_size: 0
    .kernarg_segment_align: 8
    .kernarg_segment_size: 88
    .language:       OpenCL C
    .language_version:
      - 2
      - 0
    .max_flat_workgroup_size: 256
    .name:           _ZN7rocprim17ROCPRIM_400000_NS6detail17trampoline_kernelINS0_14default_configENS1_35radix_sort_onesweep_config_selectorIiiEEZZNS1_29radix_sort_onesweep_iterationIS3_Lb0EN6thrust23THRUST_200600_302600_NS6detail15normal_iteratorINS8_10device_ptrIiEEEESD_SD_SD_jNS0_19identity_decomposerENS1_16block_id_wrapperIjLb0EEEEE10hipError_tT1_PNSt15iterator_traitsISI_E10value_typeET2_T3_PNSJ_ISO_E10value_typeET4_T5_PST_SU_PNS1_23onesweep_lookback_stateEbbT6_jjT7_P12ihipStream_tbENKUlT_T0_SI_SN_E_clISD_PiSD_S15_EEDaS11_S12_SI_SN_EUlS11_E_NS1_11comp_targetILNS1_3genE3ELNS1_11target_archE908ELNS1_3gpuE7ELNS1_3repE0EEENS1_47radix_sort_onesweep_sort_config_static_selectorELNS0_4arch9wavefront6targetE0EEEvSI_
    .private_segment_fixed_size: 0
    .sgpr_count:     0
    .sgpr_spill_count: 0
    .symbol:         _ZN7rocprim17ROCPRIM_400000_NS6detail17trampoline_kernelINS0_14default_configENS1_35radix_sort_onesweep_config_selectorIiiEEZZNS1_29radix_sort_onesweep_iterationIS3_Lb0EN6thrust23THRUST_200600_302600_NS6detail15normal_iteratorINS8_10device_ptrIiEEEESD_SD_SD_jNS0_19identity_decomposerENS1_16block_id_wrapperIjLb0EEEEE10hipError_tT1_PNSt15iterator_traitsISI_E10value_typeET2_T3_PNSJ_ISO_E10value_typeET4_T5_PST_SU_PNS1_23onesweep_lookback_stateEbbT6_jjT7_P12ihipStream_tbENKUlT_T0_SI_SN_E_clISD_PiSD_S15_EEDaS11_S12_SI_SN_EUlS11_E_NS1_11comp_targetILNS1_3genE3ELNS1_11target_archE908ELNS1_3gpuE7ELNS1_3repE0EEENS1_47radix_sort_onesweep_sort_config_static_selectorELNS0_4arch9wavefront6targetE0EEEvSI_.kd
    .uniform_work_group_size: 1
    .uses_dynamic_stack: false
    .vgpr_count:     0
    .vgpr_spill_count: 0
    .wavefront_size: 32
    .workgroup_processor_mode: 1
  - .args:
      - .offset:         0
        .size:           88
        .value_kind:     by_value
    .group_segment_fixed_size: 0
    .kernarg_segment_align: 8
    .kernarg_segment_size: 88
    .language:       OpenCL C
    .language_version:
      - 2
      - 0
    .max_flat_workgroup_size: 1024
    .name:           _ZN7rocprim17ROCPRIM_400000_NS6detail17trampoline_kernelINS0_14default_configENS1_35radix_sort_onesweep_config_selectorIiiEEZZNS1_29radix_sort_onesweep_iterationIS3_Lb0EN6thrust23THRUST_200600_302600_NS6detail15normal_iteratorINS8_10device_ptrIiEEEESD_SD_SD_jNS0_19identity_decomposerENS1_16block_id_wrapperIjLb0EEEEE10hipError_tT1_PNSt15iterator_traitsISI_E10value_typeET2_T3_PNSJ_ISO_E10value_typeET4_T5_PST_SU_PNS1_23onesweep_lookback_stateEbbT6_jjT7_P12ihipStream_tbENKUlT_T0_SI_SN_E_clISD_PiSD_S15_EEDaS11_S12_SI_SN_EUlS11_E_NS1_11comp_targetILNS1_3genE10ELNS1_11target_archE1201ELNS1_3gpuE5ELNS1_3repE0EEENS1_47radix_sort_onesweep_sort_config_static_selectorELNS0_4arch9wavefront6targetE0EEEvSI_
    .private_segment_fixed_size: 0
    .sgpr_count:     0
    .sgpr_spill_count: 0
    .symbol:         _ZN7rocprim17ROCPRIM_400000_NS6detail17trampoline_kernelINS0_14default_configENS1_35radix_sort_onesweep_config_selectorIiiEEZZNS1_29radix_sort_onesweep_iterationIS3_Lb0EN6thrust23THRUST_200600_302600_NS6detail15normal_iteratorINS8_10device_ptrIiEEEESD_SD_SD_jNS0_19identity_decomposerENS1_16block_id_wrapperIjLb0EEEEE10hipError_tT1_PNSt15iterator_traitsISI_E10value_typeET2_T3_PNSJ_ISO_E10value_typeET4_T5_PST_SU_PNS1_23onesweep_lookback_stateEbbT6_jjT7_P12ihipStream_tbENKUlT_T0_SI_SN_E_clISD_PiSD_S15_EEDaS11_S12_SI_SN_EUlS11_E_NS1_11comp_targetILNS1_3genE10ELNS1_11target_archE1201ELNS1_3gpuE5ELNS1_3repE0EEENS1_47radix_sort_onesweep_sort_config_static_selectorELNS0_4arch9wavefront6targetE0EEEvSI_.kd
    .uniform_work_group_size: 1
    .uses_dynamic_stack: false
    .vgpr_count:     0
    .vgpr_spill_count: 0
    .wavefront_size: 32
    .workgroup_processor_mode: 1
  - .args:
      - .offset:         0
        .size:           88
        .value_kind:     by_value
    .group_segment_fixed_size: 0
    .kernarg_segment_align: 8
    .kernarg_segment_size: 88
    .language:       OpenCL C
    .language_version:
      - 2
      - 0
    .max_flat_workgroup_size: 1024
    .name:           _ZN7rocprim17ROCPRIM_400000_NS6detail17trampoline_kernelINS0_14default_configENS1_35radix_sort_onesweep_config_selectorIiiEEZZNS1_29radix_sort_onesweep_iterationIS3_Lb0EN6thrust23THRUST_200600_302600_NS6detail15normal_iteratorINS8_10device_ptrIiEEEESD_SD_SD_jNS0_19identity_decomposerENS1_16block_id_wrapperIjLb0EEEEE10hipError_tT1_PNSt15iterator_traitsISI_E10value_typeET2_T3_PNSJ_ISO_E10value_typeET4_T5_PST_SU_PNS1_23onesweep_lookback_stateEbbT6_jjT7_P12ihipStream_tbENKUlT_T0_SI_SN_E_clISD_PiSD_S15_EEDaS11_S12_SI_SN_EUlS11_E_NS1_11comp_targetILNS1_3genE9ELNS1_11target_archE1100ELNS1_3gpuE3ELNS1_3repE0EEENS1_47radix_sort_onesweep_sort_config_static_selectorELNS0_4arch9wavefront6targetE0EEEvSI_
    .private_segment_fixed_size: 0
    .sgpr_count:     0
    .sgpr_spill_count: 0
    .symbol:         _ZN7rocprim17ROCPRIM_400000_NS6detail17trampoline_kernelINS0_14default_configENS1_35radix_sort_onesweep_config_selectorIiiEEZZNS1_29radix_sort_onesweep_iterationIS3_Lb0EN6thrust23THRUST_200600_302600_NS6detail15normal_iteratorINS8_10device_ptrIiEEEESD_SD_SD_jNS0_19identity_decomposerENS1_16block_id_wrapperIjLb0EEEEE10hipError_tT1_PNSt15iterator_traitsISI_E10value_typeET2_T3_PNSJ_ISO_E10value_typeET4_T5_PST_SU_PNS1_23onesweep_lookback_stateEbbT6_jjT7_P12ihipStream_tbENKUlT_T0_SI_SN_E_clISD_PiSD_S15_EEDaS11_S12_SI_SN_EUlS11_E_NS1_11comp_targetILNS1_3genE9ELNS1_11target_archE1100ELNS1_3gpuE3ELNS1_3repE0EEENS1_47radix_sort_onesweep_sort_config_static_selectorELNS0_4arch9wavefront6targetE0EEEvSI_.kd
    .uniform_work_group_size: 1
    .uses_dynamic_stack: false
    .vgpr_count:     0
    .vgpr_spill_count: 0
    .wavefront_size: 32
    .workgroup_processor_mode: 1
  - .args:
      - .offset:         0
        .size:           88
        .value_kind:     by_value
      - .offset:         88
        .size:           4
        .value_kind:     hidden_block_count_x
      - .offset:         92
        .size:           4
        .value_kind:     hidden_block_count_y
      - .offset:         96
        .size:           4
        .value_kind:     hidden_block_count_z
      - .offset:         100
        .size:           2
        .value_kind:     hidden_group_size_x
      - .offset:         102
        .size:           2
        .value_kind:     hidden_group_size_y
      - .offset:         104
        .size:           2
        .value_kind:     hidden_group_size_z
      - .offset:         106
        .size:           2
        .value_kind:     hidden_remainder_x
      - .offset:         108
        .size:           2
        .value_kind:     hidden_remainder_y
      - .offset:         110
        .size:           2
        .value_kind:     hidden_remainder_z
      - .offset:         128
        .size:           8
        .value_kind:     hidden_global_offset_x
      - .offset:         136
        .size:           8
        .value_kind:     hidden_global_offset_y
      - .offset:         144
        .size:           8
        .value_kind:     hidden_global_offset_z
      - .offset:         152
        .size:           2
        .value_kind:     hidden_grid_dims
    .group_segment_fixed_size: 37000
    .kernarg_segment_align: 8
    .kernarg_segment_size: 344
    .language:       OpenCL C
    .language_version:
      - 2
      - 0
    .max_flat_workgroup_size: 1024
    .name:           _ZN7rocprim17ROCPRIM_400000_NS6detail17trampoline_kernelINS0_14default_configENS1_35radix_sort_onesweep_config_selectorIiiEEZZNS1_29radix_sort_onesweep_iterationIS3_Lb0EN6thrust23THRUST_200600_302600_NS6detail15normal_iteratorINS8_10device_ptrIiEEEESD_SD_SD_jNS0_19identity_decomposerENS1_16block_id_wrapperIjLb0EEEEE10hipError_tT1_PNSt15iterator_traitsISI_E10value_typeET2_T3_PNSJ_ISO_E10value_typeET4_T5_PST_SU_PNS1_23onesweep_lookback_stateEbbT6_jjT7_P12ihipStream_tbENKUlT_T0_SI_SN_E_clISD_PiSD_S15_EEDaS11_S12_SI_SN_EUlS11_E_NS1_11comp_targetILNS1_3genE8ELNS1_11target_archE1030ELNS1_3gpuE2ELNS1_3repE0EEENS1_47radix_sort_onesweep_sort_config_static_selectorELNS0_4arch9wavefront6targetE0EEEvSI_
    .private_segment_fixed_size: 64
    .sgpr_count:     51
    .sgpr_spill_count: 0
    .symbol:         _ZN7rocprim17ROCPRIM_400000_NS6detail17trampoline_kernelINS0_14default_configENS1_35radix_sort_onesweep_config_selectorIiiEEZZNS1_29radix_sort_onesweep_iterationIS3_Lb0EN6thrust23THRUST_200600_302600_NS6detail15normal_iteratorINS8_10device_ptrIiEEEESD_SD_SD_jNS0_19identity_decomposerENS1_16block_id_wrapperIjLb0EEEEE10hipError_tT1_PNSt15iterator_traitsISI_E10value_typeET2_T3_PNSJ_ISO_E10value_typeET4_T5_PST_SU_PNS1_23onesweep_lookback_stateEbbT6_jjT7_P12ihipStream_tbENKUlT_T0_SI_SN_E_clISD_PiSD_S15_EEDaS11_S12_SI_SN_EUlS11_E_NS1_11comp_targetILNS1_3genE8ELNS1_11target_archE1030ELNS1_3gpuE2ELNS1_3repE0EEENS1_47radix_sort_onesweep_sort_config_static_selectorELNS0_4arch9wavefront6targetE0EEEvSI_.kd
    .uniform_work_group_size: 1
    .uses_dynamic_stack: false
    .vgpr_count:     68
    .vgpr_spill_count: 0
    .wavefront_size: 32
    .workgroup_processor_mode: 1
  - .args:
      - .offset:         0
        .size:           88
        .value_kind:     by_value
    .group_segment_fixed_size: 0
    .kernarg_segment_align: 8
    .kernarg_segment_size: 88
    .language:       OpenCL C
    .language_version:
      - 2
      - 0
    .max_flat_workgroup_size: 256
    .name:           _ZN7rocprim17ROCPRIM_400000_NS6detail17trampoline_kernelINS0_14default_configENS1_35radix_sort_onesweep_config_selectorIiiEEZZNS1_29radix_sort_onesweep_iterationIS3_Lb0EN6thrust23THRUST_200600_302600_NS6detail15normal_iteratorINS8_10device_ptrIiEEEESD_SD_SD_jNS0_19identity_decomposerENS1_16block_id_wrapperIjLb0EEEEE10hipError_tT1_PNSt15iterator_traitsISI_E10value_typeET2_T3_PNSJ_ISO_E10value_typeET4_T5_PST_SU_PNS1_23onesweep_lookback_stateEbbT6_jjT7_P12ihipStream_tbENKUlT_T0_SI_SN_E_clIPiSD_S15_SD_EEDaS11_S12_SI_SN_EUlS11_E_NS1_11comp_targetILNS1_3genE0ELNS1_11target_archE4294967295ELNS1_3gpuE0ELNS1_3repE0EEENS1_47radix_sort_onesweep_sort_config_static_selectorELNS0_4arch9wavefront6targetE0EEEvSI_
    .private_segment_fixed_size: 0
    .sgpr_count:     0
    .sgpr_spill_count: 0
    .symbol:         _ZN7rocprim17ROCPRIM_400000_NS6detail17trampoline_kernelINS0_14default_configENS1_35radix_sort_onesweep_config_selectorIiiEEZZNS1_29radix_sort_onesweep_iterationIS3_Lb0EN6thrust23THRUST_200600_302600_NS6detail15normal_iteratorINS8_10device_ptrIiEEEESD_SD_SD_jNS0_19identity_decomposerENS1_16block_id_wrapperIjLb0EEEEE10hipError_tT1_PNSt15iterator_traitsISI_E10value_typeET2_T3_PNSJ_ISO_E10value_typeET4_T5_PST_SU_PNS1_23onesweep_lookback_stateEbbT6_jjT7_P12ihipStream_tbENKUlT_T0_SI_SN_E_clIPiSD_S15_SD_EEDaS11_S12_SI_SN_EUlS11_E_NS1_11comp_targetILNS1_3genE0ELNS1_11target_archE4294967295ELNS1_3gpuE0ELNS1_3repE0EEENS1_47radix_sort_onesweep_sort_config_static_selectorELNS0_4arch9wavefront6targetE0EEEvSI_.kd
    .uniform_work_group_size: 1
    .uses_dynamic_stack: false
    .vgpr_count:     0
    .vgpr_spill_count: 0
    .wavefront_size: 32
    .workgroup_processor_mode: 1
  - .args:
      - .offset:         0
        .size:           88
        .value_kind:     by_value
    .group_segment_fixed_size: 0
    .kernarg_segment_align: 8
    .kernarg_segment_size: 88
    .language:       OpenCL C
    .language_version:
      - 2
      - 0
    .max_flat_workgroup_size: 1024
    .name:           _ZN7rocprim17ROCPRIM_400000_NS6detail17trampoline_kernelINS0_14default_configENS1_35radix_sort_onesweep_config_selectorIiiEEZZNS1_29radix_sort_onesweep_iterationIS3_Lb0EN6thrust23THRUST_200600_302600_NS6detail15normal_iteratorINS8_10device_ptrIiEEEESD_SD_SD_jNS0_19identity_decomposerENS1_16block_id_wrapperIjLb0EEEEE10hipError_tT1_PNSt15iterator_traitsISI_E10value_typeET2_T3_PNSJ_ISO_E10value_typeET4_T5_PST_SU_PNS1_23onesweep_lookback_stateEbbT6_jjT7_P12ihipStream_tbENKUlT_T0_SI_SN_E_clIPiSD_S15_SD_EEDaS11_S12_SI_SN_EUlS11_E_NS1_11comp_targetILNS1_3genE6ELNS1_11target_archE950ELNS1_3gpuE13ELNS1_3repE0EEENS1_47radix_sort_onesweep_sort_config_static_selectorELNS0_4arch9wavefront6targetE0EEEvSI_
    .private_segment_fixed_size: 0
    .sgpr_count:     0
    .sgpr_spill_count: 0
    .symbol:         _ZN7rocprim17ROCPRIM_400000_NS6detail17trampoline_kernelINS0_14default_configENS1_35radix_sort_onesweep_config_selectorIiiEEZZNS1_29radix_sort_onesweep_iterationIS3_Lb0EN6thrust23THRUST_200600_302600_NS6detail15normal_iteratorINS8_10device_ptrIiEEEESD_SD_SD_jNS0_19identity_decomposerENS1_16block_id_wrapperIjLb0EEEEE10hipError_tT1_PNSt15iterator_traitsISI_E10value_typeET2_T3_PNSJ_ISO_E10value_typeET4_T5_PST_SU_PNS1_23onesweep_lookback_stateEbbT6_jjT7_P12ihipStream_tbENKUlT_T0_SI_SN_E_clIPiSD_S15_SD_EEDaS11_S12_SI_SN_EUlS11_E_NS1_11comp_targetILNS1_3genE6ELNS1_11target_archE950ELNS1_3gpuE13ELNS1_3repE0EEENS1_47radix_sort_onesweep_sort_config_static_selectorELNS0_4arch9wavefront6targetE0EEEvSI_.kd
    .uniform_work_group_size: 1
    .uses_dynamic_stack: false
    .vgpr_count:     0
    .vgpr_spill_count: 0
    .wavefront_size: 32
    .workgroup_processor_mode: 1
  - .args:
      - .offset:         0
        .size:           88
        .value_kind:     by_value
    .group_segment_fixed_size: 0
    .kernarg_segment_align: 8
    .kernarg_segment_size: 88
    .language:       OpenCL C
    .language_version:
      - 2
      - 0
    .max_flat_workgroup_size: 1024
    .name:           _ZN7rocprim17ROCPRIM_400000_NS6detail17trampoline_kernelINS0_14default_configENS1_35radix_sort_onesweep_config_selectorIiiEEZZNS1_29radix_sort_onesweep_iterationIS3_Lb0EN6thrust23THRUST_200600_302600_NS6detail15normal_iteratorINS8_10device_ptrIiEEEESD_SD_SD_jNS0_19identity_decomposerENS1_16block_id_wrapperIjLb0EEEEE10hipError_tT1_PNSt15iterator_traitsISI_E10value_typeET2_T3_PNSJ_ISO_E10value_typeET4_T5_PST_SU_PNS1_23onesweep_lookback_stateEbbT6_jjT7_P12ihipStream_tbENKUlT_T0_SI_SN_E_clIPiSD_S15_SD_EEDaS11_S12_SI_SN_EUlS11_E_NS1_11comp_targetILNS1_3genE5ELNS1_11target_archE942ELNS1_3gpuE9ELNS1_3repE0EEENS1_47radix_sort_onesweep_sort_config_static_selectorELNS0_4arch9wavefront6targetE0EEEvSI_
    .private_segment_fixed_size: 0
    .sgpr_count:     0
    .sgpr_spill_count: 0
    .symbol:         _ZN7rocprim17ROCPRIM_400000_NS6detail17trampoline_kernelINS0_14default_configENS1_35radix_sort_onesweep_config_selectorIiiEEZZNS1_29radix_sort_onesweep_iterationIS3_Lb0EN6thrust23THRUST_200600_302600_NS6detail15normal_iteratorINS8_10device_ptrIiEEEESD_SD_SD_jNS0_19identity_decomposerENS1_16block_id_wrapperIjLb0EEEEE10hipError_tT1_PNSt15iterator_traitsISI_E10value_typeET2_T3_PNSJ_ISO_E10value_typeET4_T5_PST_SU_PNS1_23onesweep_lookback_stateEbbT6_jjT7_P12ihipStream_tbENKUlT_T0_SI_SN_E_clIPiSD_S15_SD_EEDaS11_S12_SI_SN_EUlS11_E_NS1_11comp_targetILNS1_3genE5ELNS1_11target_archE942ELNS1_3gpuE9ELNS1_3repE0EEENS1_47radix_sort_onesweep_sort_config_static_selectorELNS0_4arch9wavefront6targetE0EEEvSI_.kd
    .uniform_work_group_size: 1
    .uses_dynamic_stack: false
    .vgpr_count:     0
    .vgpr_spill_count: 0
    .wavefront_size: 32
    .workgroup_processor_mode: 1
  - .args:
      - .offset:         0
        .size:           88
        .value_kind:     by_value
    .group_segment_fixed_size: 0
    .kernarg_segment_align: 8
    .kernarg_segment_size: 88
    .language:       OpenCL C
    .language_version:
      - 2
      - 0
    .max_flat_workgroup_size: 512
    .name:           _ZN7rocprim17ROCPRIM_400000_NS6detail17trampoline_kernelINS0_14default_configENS1_35radix_sort_onesweep_config_selectorIiiEEZZNS1_29radix_sort_onesweep_iterationIS3_Lb0EN6thrust23THRUST_200600_302600_NS6detail15normal_iteratorINS8_10device_ptrIiEEEESD_SD_SD_jNS0_19identity_decomposerENS1_16block_id_wrapperIjLb0EEEEE10hipError_tT1_PNSt15iterator_traitsISI_E10value_typeET2_T3_PNSJ_ISO_E10value_typeET4_T5_PST_SU_PNS1_23onesweep_lookback_stateEbbT6_jjT7_P12ihipStream_tbENKUlT_T0_SI_SN_E_clIPiSD_S15_SD_EEDaS11_S12_SI_SN_EUlS11_E_NS1_11comp_targetILNS1_3genE2ELNS1_11target_archE906ELNS1_3gpuE6ELNS1_3repE0EEENS1_47radix_sort_onesweep_sort_config_static_selectorELNS0_4arch9wavefront6targetE0EEEvSI_
    .private_segment_fixed_size: 0
    .sgpr_count:     0
    .sgpr_spill_count: 0
    .symbol:         _ZN7rocprim17ROCPRIM_400000_NS6detail17trampoline_kernelINS0_14default_configENS1_35radix_sort_onesweep_config_selectorIiiEEZZNS1_29radix_sort_onesweep_iterationIS3_Lb0EN6thrust23THRUST_200600_302600_NS6detail15normal_iteratorINS8_10device_ptrIiEEEESD_SD_SD_jNS0_19identity_decomposerENS1_16block_id_wrapperIjLb0EEEEE10hipError_tT1_PNSt15iterator_traitsISI_E10value_typeET2_T3_PNSJ_ISO_E10value_typeET4_T5_PST_SU_PNS1_23onesweep_lookback_stateEbbT6_jjT7_P12ihipStream_tbENKUlT_T0_SI_SN_E_clIPiSD_S15_SD_EEDaS11_S12_SI_SN_EUlS11_E_NS1_11comp_targetILNS1_3genE2ELNS1_11target_archE906ELNS1_3gpuE6ELNS1_3repE0EEENS1_47radix_sort_onesweep_sort_config_static_selectorELNS0_4arch9wavefront6targetE0EEEvSI_.kd
    .uniform_work_group_size: 1
    .uses_dynamic_stack: false
    .vgpr_count:     0
    .vgpr_spill_count: 0
    .wavefront_size: 32
    .workgroup_processor_mode: 1
  - .args:
      - .offset:         0
        .size:           88
        .value_kind:     by_value
    .group_segment_fixed_size: 0
    .kernarg_segment_align: 8
    .kernarg_segment_size: 88
    .language:       OpenCL C
    .language_version:
      - 2
      - 0
    .max_flat_workgroup_size: 512
    .name:           _ZN7rocprim17ROCPRIM_400000_NS6detail17trampoline_kernelINS0_14default_configENS1_35radix_sort_onesweep_config_selectorIiiEEZZNS1_29radix_sort_onesweep_iterationIS3_Lb0EN6thrust23THRUST_200600_302600_NS6detail15normal_iteratorINS8_10device_ptrIiEEEESD_SD_SD_jNS0_19identity_decomposerENS1_16block_id_wrapperIjLb0EEEEE10hipError_tT1_PNSt15iterator_traitsISI_E10value_typeET2_T3_PNSJ_ISO_E10value_typeET4_T5_PST_SU_PNS1_23onesweep_lookback_stateEbbT6_jjT7_P12ihipStream_tbENKUlT_T0_SI_SN_E_clIPiSD_S15_SD_EEDaS11_S12_SI_SN_EUlS11_E_NS1_11comp_targetILNS1_3genE4ELNS1_11target_archE910ELNS1_3gpuE8ELNS1_3repE0EEENS1_47radix_sort_onesweep_sort_config_static_selectorELNS0_4arch9wavefront6targetE0EEEvSI_
    .private_segment_fixed_size: 0
    .sgpr_count:     0
    .sgpr_spill_count: 0
    .symbol:         _ZN7rocprim17ROCPRIM_400000_NS6detail17trampoline_kernelINS0_14default_configENS1_35radix_sort_onesweep_config_selectorIiiEEZZNS1_29radix_sort_onesweep_iterationIS3_Lb0EN6thrust23THRUST_200600_302600_NS6detail15normal_iteratorINS8_10device_ptrIiEEEESD_SD_SD_jNS0_19identity_decomposerENS1_16block_id_wrapperIjLb0EEEEE10hipError_tT1_PNSt15iterator_traitsISI_E10value_typeET2_T3_PNSJ_ISO_E10value_typeET4_T5_PST_SU_PNS1_23onesweep_lookback_stateEbbT6_jjT7_P12ihipStream_tbENKUlT_T0_SI_SN_E_clIPiSD_S15_SD_EEDaS11_S12_SI_SN_EUlS11_E_NS1_11comp_targetILNS1_3genE4ELNS1_11target_archE910ELNS1_3gpuE8ELNS1_3repE0EEENS1_47radix_sort_onesweep_sort_config_static_selectorELNS0_4arch9wavefront6targetE0EEEvSI_.kd
    .uniform_work_group_size: 1
    .uses_dynamic_stack: false
    .vgpr_count:     0
    .vgpr_spill_count: 0
    .wavefront_size: 32
    .workgroup_processor_mode: 1
  - .args:
      - .offset:         0
        .size:           88
        .value_kind:     by_value
    .group_segment_fixed_size: 0
    .kernarg_segment_align: 8
    .kernarg_segment_size: 88
    .language:       OpenCL C
    .language_version:
      - 2
      - 0
    .max_flat_workgroup_size: 256
    .name:           _ZN7rocprim17ROCPRIM_400000_NS6detail17trampoline_kernelINS0_14default_configENS1_35radix_sort_onesweep_config_selectorIiiEEZZNS1_29radix_sort_onesweep_iterationIS3_Lb0EN6thrust23THRUST_200600_302600_NS6detail15normal_iteratorINS8_10device_ptrIiEEEESD_SD_SD_jNS0_19identity_decomposerENS1_16block_id_wrapperIjLb0EEEEE10hipError_tT1_PNSt15iterator_traitsISI_E10value_typeET2_T3_PNSJ_ISO_E10value_typeET4_T5_PST_SU_PNS1_23onesweep_lookback_stateEbbT6_jjT7_P12ihipStream_tbENKUlT_T0_SI_SN_E_clIPiSD_S15_SD_EEDaS11_S12_SI_SN_EUlS11_E_NS1_11comp_targetILNS1_3genE3ELNS1_11target_archE908ELNS1_3gpuE7ELNS1_3repE0EEENS1_47radix_sort_onesweep_sort_config_static_selectorELNS0_4arch9wavefront6targetE0EEEvSI_
    .private_segment_fixed_size: 0
    .sgpr_count:     0
    .sgpr_spill_count: 0
    .symbol:         _ZN7rocprim17ROCPRIM_400000_NS6detail17trampoline_kernelINS0_14default_configENS1_35radix_sort_onesweep_config_selectorIiiEEZZNS1_29radix_sort_onesweep_iterationIS3_Lb0EN6thrust23THRUST_200600_302600_NS6detail15normal_iteratorINS8_10device_ptrIiEEEESD_SD_SD_jNS0_19identity_decomposerENS1_16block_id_wrapperIjLb0EEEEE10hipError_tT1_PNSt15iterator_traitsISI_E10value_typeET2_T3_PNSJ_ISO_E10value_typeET4_T5_PST_SU_PNS1_23onesweep_lookback_stateEbbT6_jjT7_P12ihipStream_tbENKUlT_T0_SI_SN_E_clIPiSD_S15_SD_EEDaS11_S12_SI_SN_EUlS11_E_NS1_11comp_targetILNS1_3genE3ELNS1_11target_archE908ELNS1_3gpuE7ELNS1_3repE0EEENS1_47radix_sort_onesweep_sort_config_static_selectorELNS0_4arch9wavefront6targetE0EEEvSI_.kd
    .uniform_work_group_size: 1
    .uses_dynamic_stack: false
    .vgpr_count:     0
    .vgpr_spill_count: 0
    .wavefront_size: 32
    .workgroup_processor_mode: 1
  - .args:
      - .offset:         0
        .size:           88
        .value_kind:     by_value
    .group_segment_fixed_size: 0
    .kernarg_segment_align: 8
    .kernarg_segment_size: 88
    .language:       OpenCL C
    .language_version:
      - 2
      - 0
    .max_flat_workgroup_size: 1024
    .name:           _ZN7rocprim17ROCPRIM_400000_NS6detail17trampoline_kernelINS0_14default_configENS1_35radix_sort_onesweep_config_selectorIiiEEZZNS1_29radix_sort_onesweep_iterationIS3_Lb0EN6thrust23THRUST_200600_302600_NS6detail15normal_iteratorINS8_10device_ptrIiEEEESD_SD_SD_jNS0_19identity_decomposerENS1_16block_id_wrapperIjLb0EEEEE10hipError_tT1_PNSt15iterator_traitsISI_E10value_typeET2_T3_PNSJ_ISO_E10value_typeET4_T5_PST_SU_PNS1_23onesweep_lookback_stateEbbT6_jjT7_P12ihipStream_tbENKUlT_T0_SI_SN_E_clIPiSD_S15_SD_EEDaS11_S12_SI_SN_EUlS11_E_NS1_11comp_targetILNS1_3genE10ELNS1_11target_archE1201ELNS1_3gpuE5ELNS1_3repE0EEENS1_47radix_sort_onesweep_sort_config_static_selectorELNS0_4arch9wavefront6targetE0EEEvSI_
    .private_segment_fixed_size: 0
    .sgpr_count:     0
    .sgpr_spill_count: 0
    .symbol:         _ZN7rocprim17ROCPRIM_400000_NS6detail17trampoline_kernelINS0_14default_configENS1_35radix_sort_onesweep_config_selectorIiiEEZZNS1_29radix_sort_onesweep_iterationIS3_Lb0EN6thrust23THRUST_200600_302600_NS6detail15normal_iteratorINS8_10device_ptrIiEEEESD_SD_SD_jNS0_19identity_decomposerENS1_16block_id_wrapperIjLb0EEEEE10hipError_tT1_PNSt15iterator_traitsISI_E10value_typeET2_T3_PNSJ_ISO_E10value_typeET4_T5_PST_SU_PNS1_23onesweep_lookback_stateEbbT6_jjT7_P12ihipStream_tbENKUlT_T0_SI_SN_E_clIPiSD_S15_SD_EEDaS11_S12_SI_SN_EUlS11_E_NS1_11comp_targetILNS1_3genE10ELNS1_11target_archE1201ELNS1_3gpuE5ELNS1_3repE0EEENS1_47radix_sort_onesweep_sort_config_static_selectorELNS0_4arch9wavefront6targetE0EEEvSI_.kd
    .uniform_work_group_size: 1
    .uses_dynamic_stack: false
    .vgpr_count:     0
    .vgpr_spill_count: 0
    .wavefront_size: 32
    .workgroup_processor_mode: 1
  - .args:
      - .offset:         0
        .size:           88
        .value_kind:     by_value
    .group_segment_fixed_size: 0
    .kernarg_segment_align: 8
    .kernarg_segment_size: 88
    .language:       OpenCL C
    .language_version:
      - 2
      - 0
    .max_flat_workgroup_size: 1024
    .name:           _ZN7rocprim17ROCPRIM_400000_NS6detail17trampoline_kernelINS0_14default_configENS1_35radix_sort_onesweep_config_selectorIiiEEZZNS1_29radix_sort_onesweep_iterationIS3_Lb0EN6thrust23THRUST_200600_302600_NS6detail15normal_iteratorINS8_10device_ptrIiEEEESD_SD_SD_jNS0_19identity_decomposerENS1_16block_id_wrapperIjLb0EEEEE10hipError_tT1_PNSt15iterator_traitsISI_E10value_typeET2_T3_PNSJ_ISO_E10value_typeET4_T5_PST_SU_PNS1_23onesweep_lookback_stateEbbT6_jjT7_P12ihipStream_tbENKUlT_T0_SI_SN_E_clIPiSD_S15_SD_EEDaS11_S12_SI_SN_EUlS11_E_NS1_11comp_targetILNS1_3genE9ELNS1_11target_archE1100ELNS1_3gpuE3ELNS1_3repE0EEENS1_47radix_sort_onesweep_sort_config_static_selectorELNS0_4arch9wavefront6targetE0EEEvSI_
    .private_segment_fixed_size: 0
    .sgpr_count:     0
    .sgpr_spill_count: 0
    .symbol:         _ZN7rocprim17ROCPRIM_400000_NS6detail17trampoline_kernelINS0_14default_configENS1_35radix_sort_onesweep_config_selectorIiiEEZZNS1_29radix_sort_onesweep_iterationIS3_Lb0EN6thrust23THRUST_200600_302600_NS6detail15normal_iteratorINS8_10device_ptrIiEEEESD_SD_SD_jNS0_19identity_decomposerENS1_16block_id_wrapperIjLb0EEEEE10hipError_tT1_PNSt15iterator_traitsISI_E10value_typeET2_T3_PNSJ_ISO_E10value_typeET4_T5_PST_SU_PNS1_23onesweep_lookback_stateEbbT6_jjT7_P12ihipStream_tbENKUlT_T0_SI_SN_E_clIPiSD_S15_SD_EEDaS11_S12_SI_SN_EUlS11_E_NS1_11comp_targetILNS1_3genE9ELNS1_11target_archE1100ELNS1_3gpuE3ELNS1_3repE0EEENS1_47radix_sort_onesweep_sort_config_static_selectorELNS0_4arch9wavefront6targetE0EEEvSI_.kd
    .uniform_work_group_size: 1
    .uses_dynamic_stack: false
    .vgpr_count:     0
    .vgpr_spill_count: 0
    .wavefront_size: 32
    .workgroup_processor_mode: 1
  - .args:
      - .offset:         0
        .size:           88
        .value_kind:     by_value
      - .offset:         88
        .size:           4
        .value_kind:     hidden_block_count_x
      - .offset:         92
        .size:           4
        .value_kind:     hidden_block_count_y
      - .offset:         96
        .size:           4
        .value_kind:     hidden_block_count_z
      - .offset:         100
        .size:           2
        .value_kind:     hidden_group_size_x
      - .offset:         102
        .size:           2
        .value_kind:     hidden_group_size_y
      - .offset:         104
        .size:           2
        .value_kind:     hidden_group_size_z
      - .offset:         106
        .size:           2
        .value_kind:     hidden_remainder_x
      - .offset:         108
        .size:           2
        .value_kind:     hidden_remainder_y
      - .offset:         110
        .size:           2
        .value_kind:     hidden_remainder_z
      - .offset:         128
        .size:           8
        .value_kind:     hidden_global_offset_x
      - .offset:         136
        .size:           8
        .value_kind:     hidden_global_offset_y
      - .offset:         144
        .size:           8
        .value_kind:     hidden_global_offset_z
      - .offset:         152
        .size:           2
        .value_kind:     hidden_grid_dims
    .group_segment_fixed_size: 37000
    .kernarg_segment_align: 8
    .kernarg_segment_size: 344
    .language:       OpenCL C
    .language_version:
      - 2
      - 0
    .max_flat_workgroup_size: 1024
    .name:           _ZN7rocprim17ROCPRIM_400000_NS6detail17trampoline_kernelINS0_14default_configENS1_35radix_sort_onesweep_config_selectorIiiEEZZNS1_29radix_sort_onesweep_iterationIS3_Lb0EN6thrust23THRUST_200600_302600_NS6detail15normal_iteratorINS8_10device_ptrIiEEEESD_SD_SD_jNS0_19identity_decomposerENS1_16block_id_wrapperIjLb0EEEEE10hipError_tT1_PNSt15iterator_traitsISI_E10value_typeET2_T3_PNSJ_ISO_E10value_typeET4_T5_PST_SU_PNS1_23onesweep_lookback_stateEbbT6_jjT7_P12ihipStream_tbENKUlT_T0_SI_SN_E_clIPiSD_S15_SD_EEDaS11_S12_SI_SN_EUlS11_E_NS1_11comp_targetILNS1_3genE8ELNS1_11target_archE1030ELNS1_3gpuE2ELNS1_3repE0EEENS1_47radix_sort_onesweep_sort_config_static_selectorELNS0_4arch9wavefront6targetE0EEEvSI_
    .private_segment_fixed_size: 64
    .sgpr_count:     51
    .sgpr_spill_count: 0
    .symbol:         _ZN7rocprim17ROCPRIM_400000_NS6detail17trampoline_kernelINS0_14default_configENS1_35radix_sort_onesweep_config_selectorIiiEEZZNS1_29radix_sort_onesweep_iterationIS3_Lb0EN6thrust23THRUST_200600_302600_NS6detail15normal_iteratorINS8_10device_ptrIiEEEESD_SD_SD_jNS0_19identity_decomposerENS1_16block_id_wrapperIjLb0EEEEE10hipError_tT1_PNSt15iterator_traitsISI_E10value_typeET2_T3_PNSJ_ISO_E10value_typeET4_T5_PST_SU_PNS1_23onesweep_lookback_stateEbbT6_jjT7_P12ihipStream_tbENKUlT_T0_SI_SN_E_clIPiSD_S15_SD_EEDaS11_S12_SI_SN_EUlS11_E_NS1_11comp_targetILNS1_3genE8ELNS1_11target_archE1030ELNS1_3gpuE2ELNS1_3repE0EEENS1_47radix_sort_onesweep_sort_config_static_selectorELNS0_4arch9wavefront6targetE0EEEvSI_.kd
    .uniform_work_group_size: 1
    .uses_dynamic_stack: false
    .vgpr_count:     68
    .vgpr_spill_count: 0
    .wavefront_size: 32
    .workgroup_processor_mode: 1
  - .args:
      - .offset:         0
        .size:           48
        .value_kind:     by_value
    .group_segment_fixed_size: 0
    .kernarg_segment_align: 8
    .kernarg_segment_size: 48
    .language:       OpenCL C
    .language_version:
      - 2
      - 0
    .max_flat_workgroup_size: 256
    .name:           _ZN7rocprim17ROCPRIM_400000_NS6detail17trampoline_kernelINS0_13kernel_configILj256ELj4ELj4294967295EEENS1_37radix_sort_block_sort_config_selectorIiiEEZNS1_21radix_sort_block_sortIS4_Lb1EN6thrust23THRUST_200600_302600_NS6detail15normal_iteratorINS9_10device_ptrIiEEEESE_SE_SE_NS0_19identity_decomposerEEE10hipError_tT1_T2_T3_T4_jRjT5_jjP12ihipStream_tbEUlT_E_NS1_11comp_targetILNS1_3genE0ELNS1_11target_archE4294967295ELNS1_3gpuE0ELNS1_3repE0EEENS1_44radix_sort_block_sort_config_static_selectorELNS0_4arch9wavefront6targetE0EEEvSH_
    .private_segment_fixed_size: 0
    .sgpr_count:     0
    .sgpr_spill_count: 0
    .symbol:         _ZN7rocprim17ROCPRIM_400000_NS6detail17trampoline_kernelINS0_13kernel_configILj256ELj4ELj4294967295EEENS1_37radix_sort_block_sort_config_selectorIiiEEZNS1_21radix_sort_block_sortIS4_Lb1EN6thrust23THRUST_200600_302600_NS6detail15normal_iteratorINS9_10device_ptrIiEEEESE_SE_SE_NS0_19identity_decomposerEEE10hipError_tT1_T2_T3_T4_jRjT5_jjP12ihipStream_tbEUlT_E_NS1_11comp_targetILNS1_3genE0ELNS1_11target_archE4294967295ELNS1_3gpuE0ELNS1_3repE0EEENS1_44radix_sort_block_sort_config_static_selectorELNS0_4arch9wavefront6targetE0EEEvSH_.kd
    .uniform_work_group_size: 1
    .uses_dynamic_stack: false
    .vgpr_count:     0
    .vgpr_spill_count: 0
    .wavefront_size: 32
    .workgroup_processor_mode: 1
  - .args:
      - .offset:         0
        .size:           48
        .value_kind:     by_value
    .group_segment_fixed_size: 0
    .kernarg_segment_align: 8
    .kernarg_segment_size: 48
    .language:       OpenCL C
    .language_version:
      - 2
      - 0
    .max_flat_workgroup_size: 256
    .name:           _ZN7rocprim17ROCPRIM_400000_NS6detail17trampoline_kernelINS0_13kernel_configILj256ELj4ELj4294967295EEENS1_37radix_sort_block_sort_config_selectorIiiEEZNS1_21radix_sort_block_sortIS4_Lb1EN6thrust23THRUST_200600_302600_NS6detail15normal_iteratorINS9_10device_ptrIiEEEESE_SE_SE_NS0_19identity_decomposerEEE10hipError_tT1_T2_T3_T4_jRjT5_jjP12ihipStream_tbEUlT_E_NS1_11comp_targetILNS1_3genE5ELNS1_11target_archE942ELNS1_3gpuE9ELNS1_3repE0EEENS1_44radix_sort_block_sort_config_static_selectorELNS0_4arch9wavefront6targetE0EEEvSH_
    .private_segment_fixed_size: 0
    .sgpr_count:     0
    .sgpr_spill_count: 0
    .symbol:         _ZN7rocprim17ROCPRIM_400000_NS6detail17trampoline_kernelINS0_13kernel_configILj256ELj4ELj4294967295EEENS1_37radix_sort_block_sort_config_selectorIiiEEZNS1_21radix_sort_block_sortIS4_Lb1EN6thrust23THRUST_200600_302600_NS6detail15normal_iteratorINS9_10device_ptrIiEEEESE_SE_SE_NS0_19identity_decomposerEEE10hipError_tT1_T2_T3_T4_jRjT5_jjP12ihipStream_tbEUlT_E_NS1_11comp_targetILNS1_3genE5ELNS1_11target_archE942ELNS1_3gpuE9ELNS1_3repE0EEENS1_44radix_sort_block_sort_config_static_selectorELNS0_4arch9wavefront6targetE0EEEvSH_.kd
    .uniform_work_group_size: 1
    .uses_dynamic_stack: false
    .vgpr_count:     0
    .vgpr_spill_count: 0
    .wavefront_size: 32
    .workgroup_processor_mode: 1
  - .args:
      - .offset:         0
        .size:           48
        .value_kind:     by_value
    .group_segment_fixed_size: 0
    .kernarg_segment_align: 8
    .kernarg_segment_size: 48
    .language:       OpenCL C
    .language_version:
      - 2
      - 0
    .max_flat_workgroup_size: 256
    .name:           _ZN7rocprim17ROCPRIM_400000_NS6detail17trampoline_kernelINS0_13kernel_configILj256ELj4ELj4294967295EEENS1_37radix_sort_block_sort_config_selectorIiiEEZNS1_21radix_sort_block_sortIS4_Lb1EN6thrust23THRUST_200600_302600_NS6detail15normal_iteratorINS9_10device_ptrIiEEEESE_SE_SE_NS0_19identity_decomposerEEE10hipError_tT1_T2_T3_T4_jRjT5_jjP12ihipStream_tbEUlT_E_NS1_11comp_targetILNS1_3genE4ELNS1_11target_archE910ELNS1_3gpuE8ELNS1_3repE0EEENS1_44radix_sort_block_sort_config_static_selectorELNS0_4arch9wavefront6targetE0EEEvSH_
    .private_segment_fixed_size: 0
    .sgpr_count:     0
    .sgpr_spill_count: 0
    .symbol:         _ZN7rocprim17ROCPRIM_400000_NS6detail17trampoline_kernelINS0_13kernel_configILj256ELj4ELj4294967295EEENS1_37radix_sort_block_sort_config_selectorIiiEEZNS1_21radix_sort_block_sortIS4_Lb1EN6thrust23THRUST_200600_302600_NS6detail15normal_iteratorINS9_10device_ptrIiEEEESE_SE_SE_NS0_19identity_decomposerEEE10hipError_tT1_T2_T3_T4_jRjT5_jjP12ihipStream_tbEUlT_E_NS1_11comp_targetILNS1_3genE4ELNS1_11target_archE910ELNS1_3gpuE8ELNS1_3repE0EEENS1_44radix_sort_block_sort_config_static_selectorELNS0_4arch9wavefront6targetE0EEEvSH_.kd
    .uniform_work_group_size: 1
    .uses_dynamic_stack: false
    .vgpr_count:     0
    .vgpr_spill_count: 0
    .wavefront_size: 32
    .workgroup_processor_mode: 1
  - .args:
      - .offset:         0
        .size:           48
        .value_kind:     by_value
    .group_segment_fixed_size: 0
    .kernarg_segment_align: 8
    .kernarg_segment_size: 48
    .language:       OpenCL C
    .language_version:
      - 2
      - 0
    .max_flat_workgroup_size: 256
    .name:           _ZN7rocprim17ROCPRIM_400000_NS6detail17trampoline_kernelINS0_13kernel_configILj256ELj4ELj4294967295EEENS1_37radix_sort_block_sort_config_selectorIiiEEZNS1_21radix_sort_block_sortIS4_Lb1EN6thrust23THRUST_200600_302600_NS6detail15normal_iteratorINS9_10device_ptrIiEEEESE_SE_SE_NS0_19identity_decomposerEEE10hipError_tT1_T2_T3_T4_jRjT5_jjP12ihipStream_tbEUlT_E_NS1_11comp_targetILNS1_3genE3ELNS1_11target_archE908ELNS1_3gpuE7ELNS1_3repE0EEENS1_44radix_sort_block_sort_config_static_selectorELNS0_4arch9wavefront6targetE0EEEvSH_
    .private_segment_fixed_size: 0
    .sgpr_count:     0
    .sgpr_spill_count: 0
    .symbol:         _ZN7rocprim17ROCPRIM_400000_NS6detail17trampoline_kernelINS0_13kernel_configILj256ELj4ELj4294967295EEENS1_37radix_sort_block_sort_config_selectorIiiEEZNS1_21radix_sort_block_sortIS4_Lb1EN6thrust23THRUST_200600_302600_NS6detail15normal_iteratorINS9_10device_ptrIiEEEESE_SE_SE_NS0_19identity_decomposerEEE10hipError_tT1_T2_T3_T4_jRjT5_jjP12ihipStream_tbEUlT_E_NS1_11comp_targetILNS1_3genE3ELNS1_11target_archE908ELNS1_3gpuE7ELNS1_3repE0EEENS1_44radix_sort_block_sort_config_static_selectorELNS0_4arch9wavefront6targetE0EEEvSH_.kd
    .uniform_work_group_size: 1
    .uses_dynamic_stack: false
    .vgpr_count:     0
    .vgpr_spill_count: 0
    .wavefront_size: 32
    .workgroup_processor_mode: 1
  - .args:
      - .offset:         0
        .size:           48
        .value_kind:     by_value
    .group_segment_fixed_size: 0
    .kernarg_segment_align: 8
    .kernarg_segment_size: 48
    .language:       OpenCL C
    .language_version:
      - 2
      - 0
    .max_flat_workgroup_size: 256
    .name:           _ZN7rocprim17ROCPRIM_400000_NS6detail17trampoline_kernelINS0_13kernel_configILj256ELj4ELj4294967295EEENS1_37radix_sort_block_sort_config_selectorIiiEEZNS1_21radix_sort_block_sortIS4_Lb1EN6thrust23THRUST_200600_302600_NS6detail15normal_iteratorINS9_10device_ptrIiEEEESE_SE_SE_NS0_19identity_decomposerEEE10hipError_tT1_T2_T3_T4_jRjT5_jjP12ihipStream_tbEUlT_E_NS1_11comp_targetILNS1_3genE2ELNS1_11target_archE906ELNS1_3gpuE6ELNS1_3repE0EEENS1_44radix_sort_block_sort_config_static_selectorELNS0_4arch9wavefront6targetE0EEEvSH_
    .private_segment_fixed_size: 0
    .sgpr_count:     0
    .sgpr_spill_count: 0
    .symbol:         _ZN7rocprim17ROCPRIM_400000_NS6detail17trampoline_kernelINS0_13kernel_configILj256ELj4ELj4294967295EEENS1_37radix_sort_block_sort_config_selectorIiiEEZNS1_21radix_sort_block_sortIS4_Lb1EN6thrust23THRUST_200600_302600_NS6detail15normal_iteratorINS9_10device_ptrIiEEEESE_SE_SE_NS0_19identity_decomposerEEE10hipError_tT1_T2_T3_T4_jRjT5_jjP12ihipStream_tbEUlT_E_NS1_11comp_targetILNS1_3genE2ELNS1_11target_archE906ELNS1_3gpuE6ELNS1_3repE0EEENS1_44radix_sort_block_sort_config_static_selectorELNS0_4arch9wavefront6targetE0EEEvSH_.kd
    .uniform_work_group_size: 1
    .uses_dynamic_stack: false
    .vgpr_count:     0
    .vgpr_spill_count: 0
    .wavefront_size: 32
    .workgroup_processor_mode: 1
  - .args:
      - .offset:         0
        .size:           48
        .value_kind:     by_value
    .group_segment_fixed_size: 0
    .kernarg_segment_align: 8
    .kernarg_segment_size: 48
    .language:       OpenCL C
    .language_version:
      - 2
      - 0
    .max_flat_workgroup_size: 256
    .name:           _ZN7rocprim17ROCPRIM_400000_NS6detail17trampoline_kernelINS0_13kernel_configILj256ELj4ELj4294967295EEENS1_37radix_sort_block_sort_config_selectorIiiEEZNS1_21radix_sort_block_sortIS4_Lb1EN6thrust23THRUST_200600_302600_NS6detail15normal_iteratorINS9_10device_ptrIiEEEESE_SE_SE_NS0_19identity_decomposerEEE10hipError_tT1_T2_T3_T4_jRjT5_jjP12ihipStream_tbEUlT_E_NS1_11comp_targetILNS1_3genE10ELNS1_11target_archE1201ELNS1_3gpuE5ELNS1_3repE0EEENS1_44radix_sort_block_sort_config_static_selectorELNS0_4arch9wavefront6targetE0EEEvSH_
    .private_segment_fixed_size: 0
    .sgpr_count:     0
    .sgpr_spill_count: 0
    .symbol:         _ZN7rocprim17ROCPRIM_400000_NS6detail17trampoline_kernelINS0_13kernel_configILj256ELj4ELj4294967295EEENS1_37radix_sort_block_sort_config_selectorIiiEEZNS1_21radix_sort_block_sortIS4_Lb1EN6thrust23THRUST_200600_302600_NS6detail15normal_iteratorINS9_10device_ptrIiEEEESE_SE_SE_NS0_19identity_decomposerEEE10hipError_tT1_T2_T3_T4_jRjT5_jjP12ihipStream_tbEUlT_E_NS1_11comp_targetILNS1_3genE10ELNS1_11target_archE1201ELNS1_3gpuE5ELNS1_3repE0EEENS1_44radix_sort_block_sort_config_static_selectorELNS0_4arch9wavefront6targetE0EEEvSH_.kd
    .uniform_work_group_size: 1
    .uses_dynamic_stack: false
    .vgpr_count:     0
    .vgpr_spill_count: 0
    .wavefront_size: 32
    .workgroup_processor_mode: 1
  - .args:
      - .offset:         0
        .size:           48
        .value_kind:     by_value
    .group_segment_fixed_size: 0
    .kernarg_segment_align: 8
    .kernarg_segment_size: 48
    .language:       OpenCL C
    .language_version:
      - 2
      - 0
    .max_flat_workgroup_size: 256
    .name:           _ZN7rocprim17ROCPRIM_400000_NS6detail17trampoline_kernelINS0_13kernel_configILj256ELj4ELj4294967295EEENS1_37radix_sort_block_sort_config_selectorIiiEEZNS1_21radix_sort_block_sortIS4_Lb1EN6thrust23THRUST_200600_302600_NS6detail15normal_iteratorINS9_10device_ptrIiEEEESE_SE_SE_NS0_19identity_decomposerEEE10hipError_tT1_T2_T3_T4_jRjT5_jjP12ihipStream_tbEUlT_E_NS1_11comp_targetILNS1_3genE10ELNS1_11target_archE1200ELNS1_3gpuE4ELNS1_3repE0EEENS1_44radix_sort_block_sort_config_static_selectorELNS0_4arch9wavefront6targetE0EEEvSH_
    .private_segment_fixed_size: 0
    .sgpr_count:     0
    .sgpr_spill_count: 0
    .symbol:         _ZN7rocprim17ROCPRIM_400000_NS6detail17trampoline_kernelINS0_13kernel_configILj256ELj4ELj4294967295EEENS1_37radix_sort_block_sort_config_selectorIiiEEZNS1_21radix_sort_block_sortIS4_Lb1EN6thrust23THRUST_200600_302600_NS6detail15normal_iteratorINS9_10device_ptrIiEEEESE_SE_SE_NS0_19identity_decomposerEEE10hipError_tT1_T2_T3_T4_jRjT5_jjP12ihipStream_tbEUlT_E_NS1_11comp_targetILNS1_3genE10ELNS1_11target_archE1200ELNS1_3gpuE4ELNS1_3repE0EEENS1_44radix_sort_block_sort_config_static_selectorELNS0_4arch9wavefront6targetE0EEEvSH_.kd
    .uniform_work_group_size: 1
    .uses_dynamic_stack: false
    .vgpr_count:     0
    .vgpr_spill_count: 0
    .wavefront_size: 32
    .workgroup_processor_mode: 1
  - .args:
      - .offset:         0
        .size:           48
        .value_kind:     by_value
    .group_segment_fixed_size: 0
    .kernarg_segment_align: 8
    .kernarg_segment_size: 48
    .language:       OpenCL C
    .language_version:
      - 2
      - 0
    .max_flat_workgroup_size: 256
    .name:           _ZN7rocprim17ROCPRIM_400000_NS6detail17trampoline_kernelINS0_13kernel_configILj256ELj4ELj4294967295EEENS1_37radix_sort_block_sort_config_selectorIiiEEZNS1_21radix_sort_block_sortIS4_Lb1EN6thrust23THRUST_200600_302600_NS6detail15normal_iteratorINS9_10device_ptrIiEEEESE_SE_SE_NS0_19identity_decomposerEEE10hipError_tT1_T2_T3_T4_jRjT5_jjP12ihipStream_tbEUlT_E_NS1_11comp_targetILNS1_3genE9ELNS1_11target_archE1100ELNS1_3gpuE3ELNS1_3repE0EEENS1_44radix_sort_block_sort_config_static_selectorELNS0_4arch9wavefront6targetE0EEEvSH_
    .private_segment_fixed_size: 0
    .sgpr_count:     0
    .sgpr_spill_count: 0
    .symbol:         _ZN7rocprim17ROCPRIM_400000_NS6detail17trampoline_kernelINS0_13kernel_configILj256ELj4ELj4294967295EEENS1_37radix_sort_block_sort_config_selectorIiiEEZNS1_21radix_sort_block_sortIS4_Lb1EN6thrust23THRUST_200600_302600_NS6detail15normal_iteratorINS9_10device_ptrIiEEEESE_SE_SE_NS0_19identity_decomposerEEE10hipError_tT1_T2_T3_T4_jRjT5_jjP12ihipStream_tbEUlT_E_NS1_11comp_targetILNS1_3genE9ELNS1_11target_archE1100ELNS1_3gpuE3ELNS1_3repE0EEENS1_44radix_sort_block_sort_config_static_selectorELNS0_4arch9wavefront6targetE0EEEvSH_.kd
    .uniform_work_group_size: 1
    .uses_dynamic_stack: false
    .vgpr_count:     0
    .vgpr_spill_count: 0
    .wavefront_size: 32
    .workgroup_processor_mode: 1
  - .args:
      - .offset:         0
        .size:           48
        .value_kind:     by_value
      - .offset:         48
        .size:           4
        .value_kind:     hidden_block_count_x
      - .offset:         52
        .size:           4
        .value_kind:     hidden_block_count_y
      - .offset:         56
        .size:           4
        .value_kind:     hidden_block_count_z
      - .offset:         60
        .size:           2
        .value_kind:     hidden_group_size_x
      - .offset:         62
        .size:           2
        .value_kind:     hidden_group_size_y
      - .offset:         64
        .size:           2
        .value_kind:     hidden_group_size_z
      - .offset:         66
        .size:           2
        .value_kind:     hidden_remainder_x
      - .offset:         68
        .size:           2
        .value_kind:     hidden_remainder_y
      - .offset:         70
        .size:           2
        .value_kind:     hidden_remainder_z
      - .offset:         88
        .size:           8
        .value_kind:     hidden_global_offset_x
      - .offset:         96
        .size:           8
        .value_kind:     hidden_global_offset_y
      - .offset:         104
        .size:           8
        .value_kind:     hidden_global_offset_z
      - .offset:         112
        .size:           2
        .value_kind:     hidden_grid_dims
    .group_segment_fixed_size: 8224
    .kernarg_segment_align: 8
    .kernarg_segment_size: 304
    .language:       OpenCL C
    .language_version:
      - 2
      - 0
    .max_flat_workgroup_size: 256
    .name:           _ZN7rocprim17ROCPRIM_400000_NS6detail17trampoline_kernelINS0_13kernel_configILj256ELj4ELj4294967295EEENS1_37radix_sort_block_sort_config_selectorIiiEEZNS1_21radix_sort_block_sortIS4_Lb1EN6thrust23THRUST_200600_302600_NS6detail15normal_iteratorINS9_10device_ptrIiEEEESE_SE_SE_NS0_19identity_decomposerEEE10hipError_tT1_T2_T3_T4_jRjT5_jjP12ihipStream_tbEUlT_E_NS1_11comp_targetILNS1_3genE8ELNS1_11target_archE1030ELNS1_3gpuE2ELNS1_3repE0EEENS1_44radix_sort_block_sort_config_static_selectorELNS0_4arch9wavefront6targetE0EEEvSH_
    .private_segment_fixed_size: 0
    .sgpr_count:     32
    .sgpr_spill_count: 0
    .symbol:         _ZN7rocprim17ROCPRIM_400000_NS6detail17trampoline_kernelINS0_13kernel_configILj256ELj4ELj4294967295EEENS1_37radix_sort_block_sort_config_selectorIiiEEZNS1_21radix_sort_block_sortIS4_Lb1EN6thrust23THRUST_200600_302600_NS6detail15normal_iteratorINS9_10device_ptrIiEEEESE_SE_SE_NS0_19identity_decomposerEEE10hipError_tT1_T2_T3_T4_jRjT5_jjP12ihipStream_tbEUlT_E_NS1_11comp_targetILNS1_3genE8ELNS1_11target_archE1030ELNS1_3gpuE2ELNS1_3repE0EEENS1_44radix_sort_block_sort_config_static_selectorELNS0_4arch9wavefront6targetE0EEEvSH_.kd
    .uniform_work_group_size: 1
    .uses_dynamic_stack: false
    .vgpr_count:     42
    .vgpr_spill_count: 0
    .wavefront_size: 32
    .workgroup_processor_mode: 1
  - .args:
      - .offset:         0
        .size:           40
        .value_kind:     by_value
    .group_segment_fixed_size: 0
    .kernarg_segment_align: 8
    .kernarg_segment_size: 40
    .language:       OpenCL C
    .language_version:
      - 2
      - 0
    .max_flat_workgroup_size: 128
    .name:           _ZN7rocprim17ROCPRIM_400000_NS6detail17trampoline_kernelINS0_14default_configENS1_38merge_sort_block_merge_config_selectorIiiEEZZNS1_27merge_sort_block_merge_implIS3_N6thrust23THRUST_200600_302600_NS6detail15normal_iteratorINS8_10device_ptrIiEEEESD_jNS1_19radix_merge_compareILb1ELb0EiNS0_19identity_decomposerEEEEE10hipError_tT0_T1_T2_jT3_P12ihipStream_tbPNSt15iterator_traitsISI_E10value_typeEPNSO_ISJ_E10value_typeEPSK_NS1_7vsmem_tEENKUlT_SI_SJ_SK_E_clIPiSD_S10_SD_EESH_SX_SI_SJ_SK_EUlSX_E_NS1_11comp_targetILNS1_3genE0ELNS1_11target_archE4294967295ELNS1_3gpuE0ELNS1_3repE0EEENS1_48merge_mergepath_partition_config_static_selectorELNS0_4arch9wavefront6targetE0EEEvSJ_
    .private_segment_fixed_size: 0
    .sgpr_count:     0
    .sgpr_spill_count: 0
    .symbol:         _ZN7rocprim17ROCPRIM_400000_NS6detail17trampoline_kernelINS0_14default_configENS1_38merge_sort_block_merge_config_selectorIiiEEZZNS1_27merge_sort_block_merge_implIS3_N6thrust23THRUST_200600_302600_NS6detail15normal_iteratorINS8_10device_ptrIiEEEESD_jNS1_19radix_merge_compareILb1ELb0EiNS0_19identity_decomposerEEEEE10hipError_tT0_T1_T2_jT3_P12ihipStream_tbPNSt15iterator_traitsISI_E10value_typeEPNSO_ISJ_E10value_typeEPSK_NS1_7vsmem_tEENKUlT_SI_SJ_SK_E_clIPiSD_S10_SD_EESH_SX_SI_SJ_SK_EUlSX_E_NS1_11comp_targetILNS1_3genE0ELNS1_11target_archE4294967295ELNS1_3gpuE0ELNS1_3repE0EEENS1_48merge_mergepath_partition_config_static_selectorELNS0_4arch9wavefront6targetE0EEEvSJ_.kd
    .uniform_work_group_size: 1
    .uses_dynamic_stack: false
    .vgpr_count:     0
    .vgpr_spill_count: 0
    .wavefront_size: 32
    .workgroup_processor_mode: 1
  - .args:
      - .offset:         0
        .size:           40
        .value_kind:     by_value
    .group_segment_fixed_size: 0
    .kernarg_segment_align: 8
    .kernarg_segment_size: 40
    .language:       OpenCL C
    .language_version:
      - 2
      - 0
    .max_flat_workgroup_size: 128
    .name:           _ZN7rocprim17ROCPRIM_400000_NS6detail17trampoline_kernelINS0_14default_configENS1_38merge_sort_block_merge_config_selectorIiiEEZZNS1_27merge_sort_block_merge_implIS3_N6thrust23THRUST_200600_302600_NS6detail15normal_iteratorINS8_10device_ptrIiEEEESD_jNS1_19radix_merge_compareILb1ELb0EiNS0_19identity_decomposerEEEEE10hipError_tT0_T1_T2_jT3_P12ihipStream_tbPNSt15iterator_traitsISI_E10value_typeEPNSO_ISJ_E10value_typeEPSK_NS1_7vsmem_tEENKUlT_SI_SJ_SK_E_clIPiSD_S10_SD_EESH_SX_SI_SJ_SK_EUlSX_E_NS1_11comp_targetILNS1_3genE10ELNS1_11target_archE1201ELNS1_3gpuE5ELNS1_3repE0EEENS1_48merge_mergepath_partition_config_static_selectorELNS0_4arch9wavefront6targetE0EEEvSJ_
    .private_segment_fixed_size: 0
    .sgpr_count:     0
    .sgpr_spill_count: 0
    .symbol:         _ZN7rocprim17ROCPRIM_400000_NS6detail17trampoline_kernelINS0_14default_configENS1_38merge_sort_block_merge_config_selectorIiiEEZZNS1_27merge_sort_block_merge_implIS3_N6thrust23THRUST_200600_302600_NS6detail15normal_iteratorINS8_10device_ptrIiEEEESD_jNS1_19radix_merge_compareILb1ELb0EiNS0_19identity_decomposerEEEEE10hipError_tT0_T1_T2_jT3_P12ihipStream_tbPNSt15iterator_traitsISI_E10value_typeEPNSO_ISJ_E10value_typeEPSK_NS1_7vsmem_tEENKUlT_SI_SJ_SK_E_clIPiSD_S10_SD_EESH_SX_SI_SJ_SK_EUlSX_E_NS1_11comp_targetILNS1_3genE10ELNS1_11target_archE1201ELNS1_3gpuE5ELNS1_3repE0EEENS1_48merge_mergepath_partition_config_static_selectorELNS0_4arch9wavefront6targetE0EEEvSJ_.kd
    .uniform_work_group_size: 1
    .uses_dynamic_stack: false
    .vgpr_count:     0
    .vgpr_spill_count: 0
    .wavefront_size: 32
    .workgroup_processor_mode: 1
  - .args:
      - .offset:         0
        .size:           40
        .value_kind:     by_value
    .group_segment_fixed_size: 0
    .kernarg_segment_align: 8
    .kernarg_segment_size: 40
    .language:       OpenCL C
    .language_version:
      - 2
      - 0
    .max_flat_workgroup_size: 128
    .name:           _ZN7rocprim17ROCPRIM_400000_NS6detail17trampoline_kernelINS0_14default_configENS1_38merge_sort_block_merge_config_selectorIiiEEZZNS1_27merge_sort_block_merge_implIS3_N6thrust23THRUST_200600_302600_NS6detail15normal_iteratorINS8_10device_ptrIiEEEESD_jNS1_19radix_merge_compareILb1ELb0EiNS0_19identity_decomposerEEEEE10hipError_tT0_T1_T2_jT3_P12ihipStream_tbPNSt15iterator_traitsISI_E10value_typeEPNSO_ISJ_E10value_typeEPSK_NS1_7vsmem_tEENKUlT_SI_SJ_SK_E_clIPiSD_S10_SD_EESH_SX_SI_SJ_SK_EUlSX_E_NS1_11comp_targetILNS1_3genE5ELNS1_11target_archE942ELNS1_3gpuE9ELNS1_3repE0EEENS1_48merge_mergepath_partition_config_static_selectorELNS0_4arch9wavefront6targetE0EEEvSJ_
    .private_segment_fixed_size: 0
    .sgpr_count:     0
    .sgpr_spill_count: 0
    .symbol:         _ZN7rocprim17ROCPRIM_400000_NS6detail17trampoline_kernelINS0_14default_configENS1_38merge_sort_block_merge_config_selectorIiiEEZZNS1_27merge_sort_block_merge_implIS3_N6thrust23THRUST_200600_302600_NS6detail15normal_iteratorINS8_10device_ptrIiEEEESD_jNS1_19radix_merge_compareILb1ELb0EiNS0_19identity_decomposerEEEEE10hipError_tT0_T1_T2_jT3_P12ihipStream_tbPNSt15iterator_traitsISI_E10value_typeEPNSO_ISJ_E10value_typeEPSK_NS1_7vsmem_tEENKUlT_SI_SJ_SK_E_clIPiSD_S10_SD_EESH_SX_SI_SJ_SK_EUlSX_E_NS1_11comp_targetILNS1_3genE5ELNS1_11target_archE942ELNS1_3gpuE9ELNS1_3repE0EEENS1_48merge_mergepath_partition_config_static_selectorELNS0_4arch9wavefront6targetE0EEEvSJ_.kd
    .uniform_work_group_size: 1
    .uses_dynamic_stack: false
    .vgpr_count:     0
    .vgpr_spill_count: 0
    .wavefront_size: 32
    .workgroup_processor_mode: 1
  - .args:
      - .offset:         0
        .size:           40
        .value_kind:     by_value
    .group_segment_fixed_size: 0
    .kernarg_segment_align: 8
    .kernarg_segment_size: 40
    .language:       OpenCL C
    .language_version:
      - 2
      - 0
    .max_flat_workgroup_size: 128
    .name:           _ZN7rocprim17ROCPRIM_400000_NS6detail17trampoline_kernelINS0_14default_configENS1_38merge_sort_block_merge_config_selectorIiiEEZZNS1_27merge_sort_block_merge_implIS3_N6thrust23THRUST_200600_302600_NS6detail15normal_iteratorINS8_10device_ptrIiEEEESD_jNS1_19radix_merge_compareILb1ELb0EiNS0_19identity_decomposerEEEEE10hipError_tT0_T1_T2_jT3_P12ihipStream_tbPNSt15iterator_traitsISI_E10value_typeEPNSO_ISJ_E10value_typeEPSK_NS1_7vsmem_tEENKUlT_SI_SJ_SK_E_clIPiSD_S10_SD_EESH_SX_SI_SJ_SK_EUlSX_E_NS1_11comp_targetILNS1_3genE4ELNS1_11target_archE910ELNS1_3gpuE8ELNS1_3repE0EEENS1_48merge_mergepath_partition_config_static_selectorELNS0_4arch9wavefront6targetE0EEEvSJ_
    .private_segment_fixed_size: 0
    .sgpr_count:     0
    .sgpr_spill_count: 0
    .symbol:         _ZN7rocprim17ROCPRIM_400000_NS6detail17trampoline_kernelINS0_14default_configENS1_38merge_sort_block_merge_config_selectorIiiEEZZNS1_27merge_sort_block_merge_implIS3_N6thrust23THRUST_200600_302600_NS6detail15normal_iteratorINS8_10device_ptrIiEEEESD_jNS1_19radix_merge_compareILb1ELb0EiNS0_19identity_decomposerEEEEE10hipError_tT0_T1_T2_jT3_P12ihipStream_tbPNSt15iterator_traitsISI_E10value_typeEPNSO_ISJ_E10value_typeEPSK_NS1_7vsmem_tEENKUlT_SI_SJ_SK_E_clIPiSD_S10_SD_EESH_SX_SI_SJ_SK_EUlSX_E_NS1_11comp_targetILNS1_3genE4ELNS1_11target_archE910ELNS1_3gpuE8ELNS1_3repE0EEENS1_48merge_mergepath_partition_config_static_selectorELNS0_4arch9wavefront6targetE0EEEvSJ_.kd
    .uniform_work_group_size: 1
    .uses_dynamic_stack: false
    .vgpr_count:     0
    .vgpr_spill_count: 0
    .wavefront_size: 32
    .workgroup_processor_mode: 1
  - .args:
      - .offset:         0
        .size:           40
        .value_kind:     by_value
    .group_segment_fixed_size: 0
    .kernarg_segment_align: 8
    .kernarg_segment_size: 40
    .language:       OpenCL C
    .language_version:
      - 2
      - 0
    .max_flat_workgroup_size: 128
    .name:           _ZN7rocprim17ROCPRIM_400000_NS6detail17trampoline_kernelINS0_14default_configENS1_38merge_sort_block_merge_config_selectorIiiEEZZNS1_27merge_sort_block_merge_implIS3_N6thrust23THRUST_200600_302600_NS6detail15normal_iteratorINS8_10device_ptrIiEEEESD_jNS1_19radix_merge_compareILb1ELb0EiNS0_19identity_decomposerEEEEE10hipError_tT0_T1_T2_jT3_P12ihipStream_tbPNSt15iterator_traitsISI_E10value_typeEPNSO_ISJ_E10value_typeEPSK_NS1_7vsmem_tEENKUlT_SI_SJ_SK_E_clIPiSD_S10_SD_EESH_SX_SI_SJ_SK_EUlSX_E_NS1_11comp_targetILNS1_3genE3ELNS1_11target_archE908ELNS1_3gpuE7ELNS1_3repE0EEENS1_48merge_mergepath_partition_config_static_selectorELNS0_4arch9wavefront6targetE0EEEvSJ_
    .private_segment_fixed_size: 0
    .sgpr_count:     0
    .sgpr_spill_count: 0
    .symbol:         _ZN7rocprim17ROCPRIM_400000_NS6detail17trampoline_kernelINS0_14default_configENS1_38merge_sort_block_merge_config_selectorIiiEEZZNS1_27merge_sort_block_merge_implIS3_N6thrust23THRUST_200600_302600_NS6detail15normal_iteratorINS8_10device_ptrIiEEEESD_jNS1_19radix_merge_compareILb1ELb0EiNS0_19identity_decomposerEEEEE10hipError_tT0_T1_T2_jT3_P12ihipStream_tbPNSt15iterator_traitsISI_E10value_typeEPNSO_ISJ_E10value_typeEPSK_NS1_7vsmem_tEENKUlT_SI_SJ_SK_E_clIPiSD_S10_SD_EESH_SX_SI_SJ_SK_EUlSX_E_NS1_11comp_targetILNS1_3genE3ELNS1_11target_archE908ELNS1_3gpuE7ELNS1_3repE0EEENS1_48merge_mergepath_partition_config_static_selectorELNS0_4arch9wavefront6targetE0EEEvSJ_.kd
    .uniform_work_group_size: 1
    .uses_dynamic_stack: false
    .vgpr_count:     0
    .vgpr_spill_count: 0
    .wavefront_size: 32
    .workgroup_processor_mode: 1
  - .args:
      - .offset:         0
        .size:           40
        .value_kind:     by_value
    .group_segment_fixed_size: 0
    .kernarg_segment_align: 8
    .kernarg_segment_size: 40
    .language:       OpenCL C
    .language_version:
      - 2
      - 0
    .max_flat_workgroup_size: 128
    .name:           _ZN7rocprim17ROCPRIM_400000_NS6detail17trampoline_kernelINS0_14default_configENS1_38merge_sort_block_merge_config_selectorIiiEEZZNS1_27merge_sort_block_merge_implIS3_N6thrust23THRUST_200600_302600_NS6detail15normal_iteratorINS8_10device_ptrIiEEEESD_jNS1_19radix_merge_compareILb1ELb0EiNS0_19identity_decomposerEEEEE10hipError_tT0_T1_T2_jT3_P12ihipStream_tbPNSt15iterator_traitsISI_E10value_typeEPNSO_ISJ_E10value_typeEPSK_NS1_7vsmem_tEENKUlT_SI_SJ_SK_E_clIPiSD_S10_SD_EESH_SX_SI_SJ_SK_EUlSX_E_NS1_11comp_targetILNS1_3genE2ELNS1_11target_archE906ELNS1_3gpuE6ELNS1_3repE0EEENS1_48merge_mergepath_partition_config_static_selectorELNS0_4arch9wavefront6targetE0EEEvSJ_
    .private_segment_fixed_size: 0
    .sgpr_count:     0
    .sgpr_spill_count: 0
    .symbol:         _ZN7rocprim17ROCPRIM_400000_NS6detail17trampoline_kernelINS0_14default_configENS1_38merge_sort_block_merge_config_selectorIiiEEZZNS1_27merge_sort_block_merge_implIS3_N6thrust23THRUST_200600_302600_NS6detail15normal_iteratorINS8_10device_ptrIiEEEESD_jNS1_19radix_merge_compareILb1ELb0EiNS0_19identity_decomposerEEEEE10hipError_tT0_T1_T2_jT3_P12ihipStream_tbPNSt15iterator_traitsISI_E10value_typeEPNSO_ISJ_E10value_typeEPSK_NS1_7vsmem_tEENKUlT_SI_SJ_SK_E_clIPiSD_S10_SD_EESH_SX_SI_SJ_SK_EUlSX_E_NS1_11comp_targetILNS1_3genE2ELNS1_11target_archE906ELNS1_3gpuE6ELNS1_3repE0EEENS1_48merge_mergepath_partition_config_static_selectorELNS0_4arch9wavefront6targetE0EEEvSJ_.kd
    .uniform_work_group_size: 1
    .uses_dynamic_stack: false
    .vgpr_count:     0
    .vgpr_spill_count: 0
    .wavefront_size: 32
    .workgroup_processor_mode: 1
  - .args:
      - .offset:         0
        .size:           40
        .value_kind:     by_value
    .group_segment_fixed_size: 0
    .kernarg_segment_align: 8
    .kernarg_segment_size: 40
    .language:       OpenCL C
    .language_version:
      - 2
      - 0
    .max_flat_workgroup_size: 128
    .name:           _ZN7rocprim17ROCPRIM_400000_NS6detail17trampoline_kernelINS0_14default_configENS1_38merge_sort_block_merge_config_selectorIiiEEZZNS1_27merge_sort_block_merge_implIS3_N6thrust23THRUST_200600_302600_NS6detail15normal_iteratorINS8_10device_ptrIiEEEESD_jNS1_19radix_merge_compareILb1ELb0EiNS0_19identity_decomposerEEEEE10hipError_tT0_T1_T2_jT3_P12ihipStream_tbPNSt15iterator_traitsISI_E10value_typeEPNSO_ISJ_E10value_typeEPSK_NS1_7vsmem_tEENKUlT_SI_SJ_SK_E_clIPiSD_S10_SD_EESH_SX_SI_SJ_SK_EUlSX_E_NS1_11comp_targetILNS1_3genE9ELNS1_11target_archE1100ELNS1_3gpuE3ELNS1_3repE0EEENS1_48merge_mergepath_partition_config_static_selectorELNS0_4arch9wavefront6targetE0EEEvSJ_
    .private_segment_fixed_size: 0
    .sgpr_count:     0
    .sgpr_spill_count: 0
    .symbol:         _ZN7rocprim17ROCPRIM_400000_NS6detail17trampoline_kernelINS0_14default_configENS1_38merge_sort_block_merge_config_selectorIiiEEZZNS1_27merge_sort_block_merge_implIS3_N6thrust23THRUST_200600_302600_NS6detail15normal_iteratorINS8_10device_ptrIiEEEESD_jNS1_19radix_merge_compareILb1ELb0EiNS0_19identity_decomposerEEEEE10hipError_tT0_T1_T2_jT3_P12ihipStream_tbPNSt15iterator_traitsISI_E10value_typeEPNSO_ISJ_E10value_typeEPSK_NS1_7vsmem_tEENKUlT_SI_SJ_SK_E_clIPiSD_S10_SD_EESH_SX_SI_SJ_SK_EUlSX_E_NS1_11comp_targetILNS1_3genE9ELNS1_11target_archE1100ELNS1_3gpuE3ELNS1_3repE0EEENS1_48merge_mergepath_partition_config_static_selectorELNS0_4arch9wavefront6targetE0EEEvSJ_.kd
    .uniform_work_group_size: 1
    .uses_dynamic_stack: false
    .vgpr_count:     0
    .vgpr_spill_count: 0
    .wavefront_size: 32
    .workgroup_processor_mode: 1
  - .args:
      - .offset:         0
        .size:           40
        .value_kind:     by_value
    .group_segment_fixed_size: 0
    .kernarg_segment_align: 8
    .kernarg_segment_size: 40
    .language:       OpenCL C
    .language_version:
      - 2
      - 0
    .max_flat_workgroup_size: 128
    .name:           _ZN7rocprim17ROCPRIM_400000_NS6detail17trampoline_kernelINS0_14default_configENS1_38merge_sort_block_merge_config_selectorIiiEEZZNS1_27merge_sort_block_merge_implIS3_N6thrust23THRUST_200600_302600_NS6detail15normal_iteratorINS8_10device_ptrIiEEEESD_jNS1_19radix_merge_compareILb1ELb0EiNS0_19identity_decomposerEEEEE10hipError_tT0_T1_T2_jT3_P12ihipStream_tbPNSt15iterator_traitsISI_E10value_typeEPNSO_ISJ_E10value_typeEPSK_NS1_7vsmem_tEENKUlT_SI_SJ_SK_E_clIPiSD_S10_SD_EESH_SX_SI_SJ_SK_EUlSX_E_NS1_11comp_targetILNS1_3genE8ELNS1_11target_archE1030ELNS1_3gpuE2ELNS1_3repE0EEENS1_48merge_mergepath_partition_config_static_selectorELNS0_4arch9wavefront6targetE0EEEvSJ_
    .private_segment_fixed_size: 0
    .sgpr_count:     9
    .sgpr_spill_count: 0
    .symbol:         _ZN7rocprim17ROCPRIM_400000_NS6detail17trampoline_kernelINS0_14default_configENS1_38merge_sort_block_merge_config_selectorIiiEEZZNS1_27merge_sort_block_merge_implIS3_N6thrust23THRUST_200600_302600_NS6detail15normal_iteratorINS8_10device_ptrIiEEEESD_jNS1_19radix_merge_compareILb1ELb0EiNS0_19identity_decomposerEEEEE10hipError_tT0_T1_T2_jT3_P12ihipStream_tbPNSt15iterator_traitsISI_E10value_typeEPNSO_ISJ_E10value_typeEPSK_NS1_7vsmem_tEENKUlT_SI_SJ_SK_E_clIPiSD_S10_SD_EESH_SX_SI_SJ_SK_EUlSX_E_NS1_11comp_targetILNS1_3genE8ELNS1_11target_archE1030ELNS1_3gpuE2ELNS1_3repE0EEENS1_48merge_mergepath_partition_config_static_selectorELNS0_4arch9wavefront6targetE0EEEvSJ_.kd
    .uniform_work_group_size: 1
    .uses_dynamic_stack: false
    .vgpr_count:     15
    .vgpr_spill_count: 0
    .wavefront_size: 32
    .workgroup_processor_mode: 1
  - .args:
      - .offset:         0
        .size:           64
        .value_kind:     by_value
    .group_segment_fixed_size: 0
    .kernarg_segment_align: 8
    .kernarg_segment_size: 64
    .language:       OpenCL C
    .language_version:
      - 2
      - 0
    .max_flat_workgroup_size: 256
    .name:           _ZN7rocprim17ROCPRIM_400000_NS6detail17trampoline_kernelINS0_14default_configENS1_38merge_sort_block_merge_config_selectorIiiEEZZNS1_27merge_sort_block_merge_implIS3_N6thrust23THRUST_200600_302600_NS6detail15normal_iteratorINS8_10device_ptrIiEEEESD_jNS1_19radix_merge_compareILb1ELb0EiNS0_19identity_decomposerEEEEE10hipError_tT0_T1_T2_jT3_P12ihipStream_tbPNSt15iterator_traitsISI_E10value_typeEPNSO_ISJ_E10value_typeEPSK_NS1_7vsmem_tEENKUlT_SI_SJ_SK_E_clIPiSD_S10_SD_EESH_SX_SI_SJ_SK_EUlSX_E0_NS1_11comp_targetILNS1_3genE0ELNS1_11target_archE4294967295ELNS1_3gpuE0ELNS1_3repE0EEENS1_38merge_mergepath_config_static_selectorELNS0_4arch9wavefront6targetE0EEEvSJ_
    .private_segment_fixed_size: 0
    .sgpr_count:     0
    .sgpr_spill_count: 0
    .symbol:         _ZN7rocprim17ROCPRIM_400000_NS6detail17trampoline_kernelINS0_14default_configENS1_38merge_sort_block_merge_config_selectorIiiEEZZNS1_27merge_sort_block_merge_implIS3_N6thrust23THRUST_200600_302600_NS6detail15normal_iteratorINS8_10device_ptrIiEEEESD_jNS1_19radix_merge_compareILb1ELb0EiNS0_19identity_decomposerEEEEE10hipError_tT0_T1_T2_jT3_P12ihipStream_tbPNSt15iterator_traitsISI_E10value_typeEPNSO_ISJ_E10value_typeEPSK_NS1_7vsmem_tEENKUlT_SI_SJ_SK_E_clIPiSD_S10_SD_EESH_SX_SI_SJ_SK_EUlSX_E0_NS1_11comp_targetILNS1_3genE0ELNS1_11target_archE4294967295ELNS1_3gpuE0ELNS1_3repE0EEENS1_38merge_mergepath_config_static_selectorELNS0_4arch9wavefront6targetE0EEEvSJ_.kd
    .uniform_work_group_size: 1
    .uses_dynamic_stack: false
    .vgpr_count:     0
    .vgpr_spill_count: 0
    .wavefront_size: 32
    .workgroup_processor_mode: 1
  - .args:
      - .offset:         0
        .size:           64
        .value_kind:     by_value
    .group_segment_fixed_size: 0
    .kernarg_segment_align: 8
    .kernarg_segment_size: 64
    .language:       OpenCL C
    .language_version:
      - 2
      - 0
    .max_flat_workgroup_size: 256
    .name:           _ZN7rocprim17ROCPRIM_400000_NS6detail17trampoline_kernelINS0_14default_configENS1_38merge_sort_block_merge_config_selectorIiiEEZZNS1_27merge_sort_block_merge_implIS3_N6thrust23THRUST_200600_302600_NS6detail15normal_iteratorINS8_10device_ptrIiEEEESD_jNS1_19radix_merge_compareILb1ELb0EiNS0_19identity_decomposerEEEEE10hipError_tT0_T1_T2_jT3_P12ihipStream_tbPNSt15iterator_traitsISI_E10value_typeEPNSO_ISJ_E10value_typeEPSK_NS1_7vsmem_tEENKUlT_SI_SJ_SK_E_clIPiSD_S10_SD_EESH_SX_SI_SJ_SK_EUlSX_E0_NS1_11comp_targetILNS1_3genE10ELNS1_11target_archE1201ELNS1_3gpuE5ELNS1_3repE0EEENS1_38merge_mergepath_config_static_selectorELNS0_4arch9wavefront6targetE0EEEvSJ_
    .private_segment_fixed_size: 0
    .sgpr_count:     0
    .sgpr_spill_count: 0
    .symbol:         _ZN7rocprim17ROCPRIM_400000_NS6detail17trampoline_kernelINS0_14default_configENS1_38merge_sort_block_merge_config_selectorIiiEEZZNS1_27merge_sort_block_merge_implIS3_N6thrust23THRUST_200600_302600_NS6detail15normal_iteratorINS8_10device_ptrIiEEEESD_jNS1_19radix_merge_compareILb1ELb0EiNS0_19identity_decomposerEEEEE10hipError_tT0_T1_T2_jT3_P12ihipStream_tbPNSt15iterator_traitsISI_E10value_typeEPNSO_ISJ_E10value_typeEPSK_NS1_7vsmem_tEENKUlT_SI_SJ_SK_E_clIPiSD_S10_SD_EESH_SX_SI_SJ_SK_EUlSX_E0_NS1_11comp_targetILNS1_3genE10ELNS1_11target_archE1201ELNS1_3gpuE5ELNS1_3repE0EEENS1_38merge_mergepath_config_static_selectorELNS0_4arch9wavefront6targetE0EEEvSJ_.kd
    .uniform_work_group_size: 1
    .uses_dynamic_stack: false
    .vgpr_count:     0
    .vgpr_spill_count: 0
    .wavefront_size: 32
    .workgroup_processor_mode: 1
  - .args:
      - .offset:         0
        .size:           64
        .value_kind:     by_value
    .group_segment_fixed_size: 0
    .kernarg_segment_align: 8
    .kernarg_segment_size: 64
    .language:       OpenCL C
    .language_version:
      - 2
      - 0
    .max_flat_workgroup_size: 128
    .name:           _ZN7rocprim17ROCPRIM_400000_NS6detail17trampoline_kernelINS0_14default_configENS1_38merge_sort_block_merge_config_selectorIiiEEZZNS1_27merge_sort_block_merge_implIS3_N6thrust23THRUST_200600_302600_NS6detail15normal_iteratorINS8_10device_ptrIiEEEESD_jNS1_19radix_merge_compareILb1ELb0EiNS0_19identity_decomposerEEEEE10hipError_tT0_T1_T2_jT3_P12ihipStream_tbPNSt15iterator_traitsISI_E10value_typeEPNSO_ISJ_E10value_typeEPSK_NS1_7vsmem_tEENKUlT_SI_SJ_SK_E_clIPiSD_S10_SD_EESH_SX_SI_SJ_SK_EUlSX_E0_NS1_11comp_targetILNS1_3genE5ELNS1_11target_archE942ELNS1_3gpuE9ELNS1_3repE0EEENS1_38merge_mergepath_config_static_selectorELNS0_4arch9wavefront6targetE0EEEvSJ_
    .private_segment_fixed_size: 0
    .sgpr_count:     0
    .sgpr_spill_count: 0
    .symbol:         _ZN7rocprim17ROCPRIM_400000_NS6detail17trampoline_kernelINS0_14default_configENS1_38merge_sort_block_merge_config_selectorIiiEEZZNS1_27merge_sort_block_merge_implIS3_N6thrust23THRUST_200600_302600_NS6detail15normal_iteratorINS8_10device_ptrIiEEEESD_jNS1_19radix_merge_compareILb1ELb0EiNS0_19identity_decomposerEEEEE10hipError_tT0_T1_T2_jT3_P12ihipStream_tbPNSt15iterator_traitsISI_E10value_typeEPNSO_ISJ_E10value_typeEPSK_NS1_7vsmem_tEENKUlT_SI_SJ_SK_E_clIPiSD_S10_SD_EESH_SX_SI_SJ_SK_EUlSX_E0_NS1_11comp_targetILNS1_3genE5ELNS1_11target_archE942ELNS1_3gpuE9ELNS1_3repE0EEENS1_38merge_mergepath_config_static_selectorELNS0_4arch9wavefront6targetE0EEEvSJ_.kd
    .uniform_work_group_size: 1
    .uses_dynamic_stack: false
    .vgpr_count:     0
    .vgpr_spill_count: 0
    .wavefront_size: 32
    .workgroup_processor_mode: 1
  - .args:
      - .offset:         0
        .size:           64
        .value_kind:     by_value
    .group_segment_fixed_size: 0
    .kernarg_segment_align: 8
    .kernarg_segment_size: 64
    .language:       OpenCL C
    .language_version:
      - 2
      - 0
    .max_flat_workgroup_size: 256
    .name:           _ZN7rocprim17ROCPRIM_400000_NS6detail17trampoline_kernelINS0_14default_configENS1_38merge_sort_block_merge_config_selectorIiiEEZZNS1_27merge_sort_block_merge_implIS3_N6thrust23THRUST_200600_302600_NS6detail15normal_iteratorINS8_10device_ptrIiEEEESD_jNS1_19radix_merge_compareILb1ELb0EiNS0_19identity_decomposerEEEEE10hipError_tT0_T1_T2_jT3_P12ihipStream_tbPNSt15iterator_traitsISI_E10value_typeEPNSO_ISJ_E10value_typeEPSK_NS1_7vsmem_tEENKUlT_SI_SJ_SK_E_clIPiSD_S10_SD_EESH_SX_SI_SJ_SK_EUlSX_E0_NS1_11comp_targetILNS1_3genE4ELNS1_11target_archE910ELNS1_3gpuE8ELNS1_3repE0EEENS1_38merge_mergepath_config_static_selectorELNS0_4arch9wavefront6targetE0EEEvSJ_
    .private_segment_fixed_size: 0
    .sgpr_count:     0
    .sgpr_spill_count: 0
    .symbol:         _ZN7rocprim17ROCPRIM_400000_NS6detail17trampoline_kernelINS0_14default_configENS1_38merge_sort_block_merge_config_selectorIiiEEZZNS1_27merge_sort_block_merge_implIS3_N6thrust23THRUST_200600_302600_NS6detail15normal_iteratorINS8_10device_ptrIiEEEESD_jNS1_19radix_merge_compareILb1ELb0EiNS0_19identity_decomposerEEEEE10hipError_tT0_T1_T2_jT3_P12ihipStream_tbPNSt15iterator_traitsISI_E10value_typeEPNSO_ISJ_E10value_typeEPSK_NS1_7vsmem_tEENKUlT_SI_SJ_SK_E_clIPiSD_S10_SD_EESH_SX_SI_SJ_SK_EUlSX_E0_NS1_11comp_targetILNS1_3genE4ELNS1_11target_archE910ELNS1_3gpuE8ELNS1_3repE0EEENS1_38merge_mergepath_config_static_selectorELNS0_4arch9wavefront6targetE0EEEvSJ_.kd
    .uniform_work_group_size: 1
    .uses_dynamic_stack: false
    .vgpr_count:     0
    .vgpr_spill_count: 0
    .wavefront_size: 32
    .workgroup_processor_mode: 1
  - .args:
      - .offset:         0
        .size:           64
        .value_kind:     by_value
    .group_segment_fixed_size: 0
    .kernarg_segment_align: 8
    .kernarg_segment_size: 64
    .language:       OpenCL C
    .language_version:
      - 2
      - 0
    .max_flat_workgroup_size: 256
    .name:           _ZN7rocprim17ROCPRIM_400000_NS6detail17trampoline_kernelINS0_14default_configENS1_38merge_sort_block_merge_config_selectorIiiEEZZNS1_27merge_sort_block_merge_implIS3_N6thrust23THRUST_200600_302600_NS6detail15normal_iteratorINS8_10device_ptrIiEEEESD_jNS1_19radix_merge_compareILb1ELb0EiNS0_19identity_decomposerEEEEE10hipError_tT0_T1_T2_jT3_P12ihipStream_tbPNSt15iterator_traitsISI_E10value_typeEPNSO_ISJ_E10value_typeEPSK_NS1_7vsmem_tEENKUlT_SI_SJ_SK_E_clIPiSD_S10_SD_EESH_SX_SI_SJ_SK_EUlSX_E0_NS1_11comp_targetILNS1_3genE3ELNS1_11target_archE908ELNS1_3gpuE7ELNS1_3repE0EEENS1_38merge_mergepath_config_static_selectorELNS0_4arch9wavefront6targetE0EEEvSJ_
    .private_segment_fixed_size: 0
    .sgpr_count:     0
    .sgpr_spill_count: 0
    .symbol:         _ZN7rocprim17ROCPRIM_400000_NS6detail17trampoline_kernelINS0_14default_configENS1_38merge_sort_block_merge_config_selectorIiiEEZZNS1_27merge_sort_block_merge_implIS3_N6thrust23THRUST_200600_302600_NS6detail15normal_iteratorINS8_10device_ptrIiEEEESD_jNS1_19radix_merge_compareILb1ELb0EiNS0_19identity_decomposerEEEEE10hipError_tT0_T1_T2_jT3_P12ihipStream_tbPNSt15iterator_traitsISI_E10value_typeEPNSO_ISJ_E10value_typeEPSK_NS1_7vsmem_tEENKUlT_SI_SJ_SK_E_clIPiSD_S10_SD_EESH_SX_SI_SJ_SK_EUlSX_E0_NS1_11comp_targetILNS1_3genE3ELNS1_11target_archE908ELNS1_3gpuE7ELNS1_3repE0EEENS1_38merge_mergepath_config_static_selectorELNS0_4arch9wavefront6targetE0EEEvSJ_.kd
    .uniform_work_group_size: 1
    .uses_dynamic_stack: false
    .vgpr_count:     0
    .vgpr_spill_count: 0
    .wavefront_size: 32
    .workgroup_processor_mode: 1
  - .args:
      - .offset:         0
        .size:           64
        .value_kind:     by_value
    .group_segment_fixed_size: 0
    .kernarg_segment_align: 8
    .kernarg_segment_size: 64
    .language:       OpenCL C
    .language_version:
      - 2
      - 0
    .max_flat_workgroup_size: 256
    .name:           _ZN7rocprim17ROCPRIM_400000_NS6detail17trampoline_kernelINS0_14default_configENS1_38merge_sort_block_merge_config_selectorIiiEEZZNS1_27merge_sort_block_merge_implIS3_N6thrust23THRUST_200600_302600_NS6detail15normal_iteratorINS8_10device_ptrIiEEEESD_jNS1_19radix_merge_compareILb1ELb0EiNS0_19identity_decomposerEEEEE10hipError_tT0_T1_T2_jT3_P12ihipStream_tbPNSt15iterator_traitsISI_E10value_typeEPNSO_ISJ_E10value_typeEPSK_NS1_7vsmem_tEENKUlT_SI_SJ_SK_E_clIPiSD_S10_SD_EESH_SX_SI_SJ_SK_EUlSX_E0_NS1_11comp_targetILNS1_3genE2ELNS1_11target_archE906ELNS1_3gpuE6ELNS1_3repE0EEENS1_38merge_mergepath_config_static_selectorELNS0_4arch9wavefront6targetE0EEEvSJ_
    .private_segment_fixed_size: 0
    .sgpr_count:     0
    .sgpr_spill_count: 0
    .symbol:         _ZN7rocprim17ROCPRIM_400000_NS6detail17trampoline_kernelINS0_14default_configENS1_38merge_sort_block_merge_config_selectorIiiEEZZNS1_27merge_sort_block_merge_implIS3_N6thrust23THRUST_200600_302600_NS6detail15normal_iteratorINS8_10device_ptrIiEEEESD_jNS1_19radix_merge_compareILb1ELb0EiNS0_19identity_decomposerEEEEE10hipError_tT0_T1_T2_jT3_P12ihipStream_tbPNSt15iterator_traitsISI_E10value_typeEPNSO_ISJ_E10value_typeEPSK_NS1_7vsmem_tEENKUlT_SI_SJ_SK_E_clIPiSD_S10_SD_EESH_SX_SI_SJ_SK_EUlSX_E0_NS1_11comp_targetILNS1_3genE2ELNS1_11target_archE906ELNS1_3gpuE6ELNS1_3repE0EEENS1_38merge_mergepath_config_static_selectorELNS0_4arch9wavefront6targetE0EEEvSJ_.kd
    .uniform_work_group_size: 1
    .uses_dynamic_stack: false
    .vgpr_count:     0
    .vgpr_spill_count: 0
    .wavefront_size: 32
    .workgroup_processor_mode: 1
  - .args:
      - .offset:         0
        .size:           64
        .value_kind:     by_value
    .group_segment_fixed_size: 0
    .kernarg_segment_align: 8
    .kernarg_segment_size: 64
    .language:       OpenCL C
    .language_version:
      - 2
      - 0
    .max_flat_workgroup_size: 512
    .name:           _ZN7rocprim17ROCPRIM_400000_NS6detail17trampoline_kernelINS0_14default_configENS1_38merge_sort_block_merge_config_selectorIiiEEZZNS1_27merge_sort_block_merge_implIS3_N6thrust23THRUST_200600_302600_NS6detail15normal_iteratorINS8_10device_ptrIiEEEESD_jNS1_19radix_merge_compareILb1ELb0EiNS0_19identity_decomposerEEEEE10hipError_tT0_T1_T2_jT3_P12ihipStream_tbPNSt15iterator_traitsISI_E10value_typeEPNSO_ISJ_E10value_typeEPSK_NS1_7vsmem_tEENKUlT_SI_SJ_SK_E_clIPiSD_S10_SD_EESH_SX_SI_SJ_SK_EUlSX_E0_NS1_11comp_targetILNS1_3genE9ELNS1_11target_archE1100ELNS1_3gpuE3ELNS1_3repE0EEENS1_38merge_mergepath_config_static_selectorELNS0_4arch9wavefront6targetE0EEEvSJ_
    .private_segment_fixed_size: 0
    .sgpr_count:     0
    .sgpr_spill_count: 0
    .symbol:         _ZN7rocprim17ROCPRIM_400000_NS6detail17trampoline_kernelINS0_14default_configENS1_38merge_sort_block_merge_config_selectorIiiEEZZNS1_27merge_sort_block_merge_implIS3_N6thrust23THRUST_200600_302600_NS6detail15normal_iteratorINS8_10device_ptrIiEEEESD_jNS1_19radix_merge_compareILb1ELb0EiNS0_19identity_decomposerEEEEE10hipError_tT0_T1_T2_jT3_P12ihipStream_tbPNSt15iterator_traitsISI_E10value_typeEPNSO_ISJ_E10value_typeEPSK_NS1_7vsmem_tEENKUlT_SI_SJ_SK_E_clIPiSD_S10_SD_EESH_SX_SI_SJ_SK_EUlSX_E0_NS1_11comp_targetILNS1_3genE9ELNS1_11target_archE1100ELNS1_3gpuE3ELNS1_3repE0EEENS1_38merge_mergepath_config_static_selectorELNS0_4arch9wavefront6targetE0EEEvSJ_.kd
    .uniform_work_group_size: 1
    .uses_dynamic_stack: false
    .vgpr_count:     0
    .vgpr_spill_count: 0
    .wavefront_size: 32
    .workgroup_processor_mode: 1
  - .args:
      - .offset:         0
        .size:           64
        .value_kind:     by_value
      - .offset:         64
        .size:           4
        .value_kind:     hidden_block_count_x
      - .offset:         68
        .size:           4
        .value_kind:     hidden_block_count_y
      - .offset:         72
        .size:           4
        .value_kind:     hidden_block_count_z
      - .offset:         76
        .size:           2
        .value_kind:     hidden_group_size_x
      - .offset:         78
        .size:           2
        .value_kind:     hidden_group_size_y
      - .offset:         80
        .size:           2
        .value_kind:     hidden_group_size_z
      - .offset:         82
        .size:           2
        .value_kind:     hidden_remainder_x
      - .offset:         84
        .size:           2
        .value_kind:     hidden_remainder_y
      - .offset:         86
        .size:           2
        .value_kind:     hidden_remainder_z
      - .offset:         104
        .size:           8
        .value_kind:     hidden_global_offset_x
      - .offset:         112
        .size:           8
        .value_kind:     hidden_global_offset_y
      - .offset:         120
        .size:           8
        .value_kind:     hidden_global_offset_z
      - .offset:         128
        .size:           2
        .value_kind:     hidden_grid_dims
    .group_segment_fixed_size: 4112
    .kernarg_segment_align: 8
    .kernarg_segment_size: 320
    .language:       OpenCL C
    .language_version:
      - 2
      - 0
    .max_flat_workgroup_size: 1024
    .name:           _ZN7rocprim17ROCPRIM_400000_NS6detail17trampoline_kernelINS0_14default_configENS1_38merge_sort_block_merge_config_selectorIiiEEZZNS1_27merge_sort_block_merge_implIS3_N6thrust23THRUST_200600_302600_NS6detail15normal_iteratorINS8_10device_ptrIiEEEESD_jNS1_19radix_merge_compareILb1ELb0EiNS0_19identity_decomposerEEEEE10hipError_tT0_T1_T2_jT3_P12ihipStream_tbPNSt15iterator_traitsISI_E10value_typeEPNSO_ISJ_E10value_typeEPSK_NS1_7vsmem_tEENKUlT_SI_SJ_SK_E_clIPiSD_S10_SD_EESH_SX_SI_SJ_SK_EUlSX_E0_NS1_11comp_targetILNS1_3genE8ELNS1_11target_archE1030ELNS1_3gpuE2ELNS1_3repE0EEENS1_38merge_mergepath_config_static_selectorELNS0_4arch9wavefront6targetE0EEEvSJ_
    .private_segment_fixed_size: 0
    .sgpr_count:     24
    .sgpr_spill_count: 0
    .symbol:         _ZN7rocprim17ROCPRIM_400000_NS6detail17trampoline_kernelINS0_14default_configENS1_38merge_sort_block_merge_config_selectorIiiEEZZNS1_27merge_sort_block_merge_implIS3_N6thrust23THRUST_200600_302600_NS6detail15normal_iteratorINS8_10device_ptrIiEEEESD_jNS1_19radix_merge_compareILb1ELb0EiNS0_19identity_decomposerEEEEE10hipError_tT0_T1_T2_jT3_P12ihipStream_tbPNSt15iterator_traitsISI_E10value_typeEPNSO_ISJ_E10value_typeEPSK_NS1_7vsmem_tEENKUlT_SI_SJ_SK_E_clIPiSD_S10_SD_EESH_SX_SI_SJ_SK_EUlSX_E0_NS1_11comp_targetILNS1_3genE8ELNS1_11target_archE1030ELNS1_3gpuE2ELNS1_3repE0EEENS1_38merge_mergepath_config_static_selectorELNS0_4arch9wavefront6targetE0EEEvSJ_.kd
    .uniform_work_group_size: 1
    .uses_dynamic_stack: false
    .vgpr_count:     12
    .vgpr_spill_count: 0
    .wavefront_size: 32
    .workgroup_processor_mode: 1
  - .args:
      - .offset:         0
        .size:           48
        .value_kind:     by_value
    .group_segment_fixed_size: 0
    .kernarg_segment_align: 8
    .kernarg_segment_size: 48
    .language:       OpenCL C
    .language_version:
      - 2
      - 0
    .max_flat_workgroup_size: 256
    .name:           _ZN7rocprim17ROCPRIM_400000_NS6detail17trampoline_kernelINS0_14default_configENS1_38merge_sort_block_merge_config_selectorIiiEEZZNS1_27merge_sort_block_merge_implIS3_N6thrust23THRUST_200600_302600_NS6detail15normal_iteratorINS8_10device_ptrIiEEEESD_jNS1_19radix_merge_compareILb1ELb0EiNS0_19identity_decomposerEEEEE10hipError_tT0_T1_T2_jT3_P12ihipStream_tbPNSt15iterator_traitsISI_E10value_typeEPNSO_ISJ_E10value_typeEPSK_NS1_7vsmem_tEENKUlT_SI_SJ_SK_E_clIPiSD_S10_SD_EESH_SX_SI_SJ_SK_EUlSX_E1_NS1_11comp_targetILNS1_3genE0ELNS1_11target_archE4294967295ELNS1_3gpuE0ELNS1_3repE0EEENS1_36merge_oddeven_config_static_selectorELNS0_4arch9wavefront6targetE0EEEvSJ_
    .private_segment_fixed_size: 0
    .sgpr_count:     0
    .sgpr_spill_count: 0
    .symbol:         _ZN7rocprim17ROCPRIM_400000_NS6detail17trampoline_kernelINS0_14default_configENS1_38merge_sort_block_merge_config_selectorIiiEEZZNS1_27merge_sort_block_merge_implIS3_N6thrust23THRUST_200600_302600_NS6detail15normal_iteratorINS8_10device_ptrIiEEEESD_jNS1_19radix_merge_compareILb1ELb0EiNS0_19identity_decomposerEEEEE10hipError_tT0_T1_T2_jT3_P12ihipStream_tbPNSt15iterator_traitsISI_E10value_typeEPNSO_ISJ_E10value_typeEPSK_NS1_7vsmem_tEENKUlT_SI_SJ_SK_E_clIPiSD_S10_SD_EESH_SX_SI_SJ_SK_EUlSX_E1_NS1_11comp_targetILNS1_3genE0ELNS1_11target_archE4294967295ELNS1_3gpuE0ELNS1_3repE0EEENS1_36merge_oddeven_config_static_selectorELNS0_4arch9wavefront6targetE0EEEvSJ_.kd
    .uniform_work_group_size: 1
    .uses_dynamic_stack: false
    .vgpr_count:     0
    .vgpr_spill_count: 0
    .wavefront_size: 32
    .workgroup_processor_mode: 1
  - .args:
      - .offset:         0
        .size:           48
        .value_kind:     by_value
    .group_segment_fixed_size: 0
    .kernarg_segment_align: 8
    .kernarg_segment_size: 48
    .language:       OpenCL C
    .language_version:
      - 2
      - 0
    .max_flat_workgroup_size: 256
    .name:           _ZN7rocprim17ROCPRIM_400000_NS6detail17trampoline_kernelINS0_14default_configENS1_38merge_sort_block_merge_config_selectorIiiEEZZNS1_27merge_sort_block_merge_implIS3_N6thrust23THRUST_200600_302600_NS6detail15normal_iteratorINS8_10device_ptrIiEEEESD_jNS1_19radix_merge_compareILb1ELb0EiNS0_19identity_decomposerEEEEE10hipError_tT0_T1_T2_jT3_P12ihipStream_tbPNSt15iterator_traitsISI_E10value_typeEPNSO_ISJ_E10value_typeEPSK_NS1_7vsmem_tEENKUlT_SI_SJ_SK_E_clIPiSD_S10_SD_EESH_SX_SI_SJ_SK_EUlSX_E1_NS1_11comp_targetILNS1_3genE10ELNS1_11target_archE1201ELNS1_3gpuE5ELNS1_3repE0EEENS1_36merge_oddeven_config_static_selectorELNS0_4arch9wavefront6targetE0EEEvSJ_
    .private_segment_fixed_size: 0
    .sgpr_count:     0
    .sgpr_spill_count: 0
    .symbol:         _ZN7rocprim17ROCPRIM_400000_NS6detail17trampoline_kernelINS0_14default_configENS1_38merge_sort_block_merge_config_selectorIiiEEZZNS1_27merge_sort_block_merge_implIS3_N6thrust23THRUST_200600_302600_NS6detail15normal_iteratorINS8_10device_ptrIiEEEESD_jNS1_19radix_merge_compareILb1ELb0EiNS0_19identity_decomposerEEEEE10hipError_tT0_T1_T2_jT3_P12ihipStream_tbPNSt15iterator_traitsISI_E10value_typeEPNSO_ISJ_E10value_typeEPSK_NS1_7vsmem_tEENKUlT_SI_SJ_SK_E_clIPiSD_S10_SD_EESH_SX_SI_SJ_SK_EUlSX_E1_NS1_11comp_targetILNS1_3genE10ELNS1_11target_archE1201ELNS1_3gpuE5ELNS1_3repE0EEENS1_36merge_oddeven_config_static_selectorELNS0_4arch9wavefront6targetE0EEEvSJ_.kd
    .uniform_work_group_size: 1
    .uses_dynamic_stack: false
    .vgpr_count:     0
    .vgpr_spill_count: 0
    .wavefront_size: 32
    .workgroup_processor_mode: 1
  - .args:
      - .offset:         0
        .size:           48
        .value_kind:     by_value
    .group_segment_fixed_size: 0
    .kernarg_segment_align: 8
    .kernarg_segment_size: 48
    .language:       OpenCL C
    .language_version:
      - 2
      - 0
    .max_flat_workgroup_size: 256
    .name:           _ZN7rocprim17ROCPRIM_400000_NS6detail17trampoline_kernelINS0_14default_configENS1_38merge_sort_block_merge_config_selectorIiiEEZZNS1_27merge_sort_block_merge_implIS3_N6thrust23THRUST_200600_302600_NS6detail15normal_iteratorINS8_10device_ptrIiEEEESD_jNS1_19radix_merge_compareILb1ELb0EiNS0_19identity_decomposerEEEEE10hipError_tT0_T1_T2_jT3_P12ihipStream_tbPNSt15iterator_traitsISI_E10value_typeEPNSO_ISJ_E10value_typeEPSK_NS1_7vsmem_tEENKUlT_SI_SJ_SK_E_clIPiSD_S10_SD_EESH_SX_SI_SJ_SK_EUlSX_E1_NS1_11comp_targetILNS1_3genE5ELNS1_11target_archE942ELNS1_3gpuE9ELNS1_3repE0EEENS1_36merge_oddeven_config_static_selectorELNS0_4arch9wavefront6targetE0EEEvSJ_
    .private_segment_fixed_size: 0
    .sgpr_count:     0
    .sgpr_spill_count: 0
    .symbol:         _ZN7rocprim17ROCPRIM_400000_NS6detail17trampoline_kernelINS0_14default_configENS1_38merge_sort_block_merge_config_selectorIiiEEZZNS1_27merge_sort_block_merge_implIS3_N6thrust23THRUST_200600_302600_NS6detail15normal_iteratorINS8_10device_ptrIiEEEESD_jNS1_19radix_merge_compareILb1ELb0EiNS0_19identity_decomposerEEEEE10hipError_tT0_T1_T2_jT3_P12ihipStream_tbPNSt15iterator_traitsISI_E10value_typeEPNSO_ISJ_E10value_typeEPSK_NS1_7vsmem_tEENKUlT_SI_SJ_SK_E_clIPiSD_S10_SD_EESH_SX_SI_SJ_SK_EUlSX_E1_NS1_11comp_targetILNS1_3genE5ELNS1_11target_archE942ELNS1_3gpuE9ELNS1_3repE0EEENS1_36merge_oddeven_config_static_selectorELNS0_4arch9wavefront6targetE0EEEvSJ_.kd
    .uniform_work_group_size: 1
    .uses_dynamic_stack: false
    .vgpr_count:     0
    .vgpr_spill_count: 0
    .wavefront_size: 32
    .workgroup_processor_mode: 1
  - .args:
      - .offset:         0
        .size:           48
        .value_kind:     by_value
    .group_segment_fixed_size: 0
    .kernarg_segment_align: 8
    .kernarg_segment_size: 48
    .language:       OpenCL C
    .language_version:
      - 2
      - 0
    .max_flat_workgroup_size: 256
    .name:           _ZN7rocprim17ROCPRIM_400000_NS6detail17trampoline_kernelINS0_14default_configENS1_38merge_sort_block_merge_config_selectorIiiEEZZNS1_27merge_sort_block_merge_implIS3_N6thrust23THRUST_200600_302600_NS6detail15normal_iteratorINS8_10device_ptrIiEEEESD_jNS1_19radix_merge_compareILb1ELb0EiNS0_19identity_decomposerEEEEE10hipError_tT0_T1_T2_jT3_P12ihipStream_tbPNSt15iterator_traitsISI_E10value_typeEPNSO_ISJ_E10value_typeEPSK_NS1_7vsmem_tEENKUlT_SI_SJ_SK_E_clIPiSD_S10_SD_EESH_SX_SI_SJ_SK_EUlSX_E1_NS1_11comp_targetILNS1_3genE4ELNS1_11target_archE910ELNS1_3gpuE8ELNS1_3repE0EEENS1_36merge_oddeven_config_static_selectorELNS0_4arch9wavefront6targetE0EEEvSJ_
    .private_segment_fixed_size: 0
    .sgpr_count:     0
    .sgpr_spill_count: 0
    .symbol:         _ZN7rocprim17ROCPRIM_400000_NS6detail17trampoline_kernelINS0_14default_configENS1_38merge_sort_block_merge_config_selectorIiiEEZZNS1_27merge_sort_block_merge_implIS3_N6thrust23THRUST_200600_302600_NS6detail15normal_iteratorINS8_10device_ptrIiEEEESD_jNS1_19radix_merge_compareILb1ELb0EiNS0_19identity_decomposerEEEEE10hipError_tT0_T1_T2_jT3_P12ihipStream_tbPNSt15iterator_traitsISI_E10value_typeEPNSO_ISJ_E10value_typeEPSK_NS1_7vsmem_tEENKUlT_SI_SJ_SK_E_clIPiSD_S10_SD_EESH_SX_SI_SJ_SK_EUlSX_E1_NS1_11comp_targetILNS1_3genE4ELNS1_11target_archE910ELNS1_3gpuE8ELNS1_3repE0EEENS1_36merge_oddeven_config_static_selectorELNS0_4arch9wavefront6targetE0EEEvSJ_.kd
    .uniform_work_group_size: 1
    .uses_dynamic_stack: false
    .vgpr_count:     0
    .vgpr_spill_count: 0
    .wavefront_size: 32
    .workgroup_processor_mode: 1
  - .args:
      - .offset:         0
        .size:           48
        .value_kind:     by_value
    .group_segment_fixed_size: 0
    .kernarg_segment_align: 8
    .kernarg_segment_size: 48
    .language:       OpenCL C
    .language_version:
      - 2
      - 0
    .max_flat_workgroup_size: 256
    .name:           _ZN7rocprim17ROCPRIM_400000_NS6detail17trampoline_kernelINS0_14default_configENS1_38merge_sort_block_merge_config_selectorIiiEEZZNS1_27merge_sort_block_merge_implIS3_N6thrust23THRUST_200600_302600_NS6detail15normal_iteratorINS8_10device_ptrIiEEEESD_jNS1_19radix_merge_compareILb1ELb0EiNS0_19identity_decomposerEEEEE10hipError_tT0_T1_T2_jT3_P12ihipStream_tbPNSt15iterator_traitsISI_E10value_typeEPNSO_ISJ_E10value_typeEPSK_NS1_7vsmem_tEENKUlT_SI_SJ_SK_E_clIPiSD_S10_SD_EESH_SX_SI_SJ_SK_EUlSX_E1_NS1_11comp_targetILNS1_3genE3ELNS1_11target_archE908ELNS1_3gpuE7ELNS1_3repE0EEENS1_36merge_oddeven_config_static_selectorELNS0_4arch9wavefront6targetE0EEEvSJ_
    .private_segment_fixed_size: 0
    .sgpr_count:     0
    .sgpr_spill_count: 0
    .symbol:         _ZN7rocprim17ROCPRIM_400000_NS6detail17trampoline_kernelINS0_14default_configENS1_38merge_sort_block_merge_config_selectorIiiEEZZNS1_27merge_sort_block_merge_implIS3_N6thrust23THRUST_200600_302600_NS6detail15normal_iteratorINS8_10device_ptrIiEEEESD_jNS1_19radix_merge_compareILb1ELb0EiNS0_19identity_decomposerEEEEE10hipError_tT0_T1_T2_jT3_P12ihipStream_tbPNSt15iterator_traitsISI_E10value_typeEPNSO_ISJ_E10value_typeEPSK_NS1_7vsmem_tEENKUlT_SI_SJ_SK_E_clIPiSD_S10_SD_EESH_SX_SI_SJ_SK_EUlSX_E1_NS1_11comp_targetILNS1_3genE3ELNS1_11target_archE908ELNS1_3gpuE7ELNS1_3repE0EEENS1_36merge_oddeven_config_static_selectorELNS0_4arch9wavefront6targetE0EEEvSJ_.kd
    .uniform_work_group_size: 1
    .uses_dynamic_stack: false
    .vgpr_count:     0
    .vgpr_spill_count: 0
    .wavefront_size: 32
    .workgroup_processor_mode: 1
  - .args:
      - .offset:         0
        .size:           48
        .value_kind:     by_value
    .group_segment_fixed_size: 0
    .kernarg_segment_align: 8
    .kernarg_segment_size: 48
    .language:       OpenCL C
    .language_version:
      - 2
      - 0
    .max_flat_workgroup_size: 256
    .name:           _ZN7rocprim17ROCPRIM_400000_NS6detail17trampoline_kernelINS0_14default_configENS1_38merge_sort_block_merge_config_selectorIiiEEZZNS1_27merge_sort_block_merge_implIS3_N6thrust23THRUST_200600_302600_NS6detail15normal_iteratorINS8_10device_ptrIiEEEESD_jNS1_19radix_merge_compareILb1ELb0EiNS0_19identity_decomposerEEEEE10hipError_tT0_T1_T2_jT3_P12ihipStream_tbPNSt15iterator_traitsISI_E10value_typeEPNSO_ISJ_E10value_typeEPSK_NS1_7vsmem_tEENKUlT_SI_SJ_SK_E_clIPiSD_S10_SD_EESH_SX_SI_SJ_SK_EUlSX_E1_NS1_11comp_targetILNS1_3genE2ELNS1_11target_archE906ELNS1_3gpuE6ELNS1_3repE0EEENS1_36merge_oddeven_config_static_selectorELNS0_4arch9wavefront6targetE0EEEvSJ_
    .private_segment_fixed_size: 0
    .sgpr_count:     0
    .sgpr_spill_count: 0
    .symbol:         _ZN7rocprim17ROCPRIM_400000_NS6detail17trampoline_kernelINS0_14default_configENS1_38merge_sort_block_merge_config_selectorIiiEEZZNS1_27merge_sort_block_merge_implIS3_N6thrust23THRUST_200600_302600_NS6detail15normal_iteratorINS8_10device_ptrIiEEEESD_jNS1_19radix_merge_compareILb1ELb0EiNS0_19identity_decomposerEEEEE10hipError_tT0_T1_T2_jT3_P12ihipStream_tbPNSt15iterator_traitsISI_E10value_typeEPNSO_ISJ_E10value_typeEPSK_NS1_7vsmem_tEENKUlT_SI_SJ_SK_E_clIPiSD_S10_SD_EESH_SX_SI_SJ_SK_EUlSX_E1_NS1_11comp_targetILNS1_3genE2ELNS1_11target_archE906ELNS1_3gpuE6ELNS1_3repE0EEENS1_36merge_oddeven_config_static_selectorELNS0_4arch9wavefront6targetE0EEEvSJ_.kd
    .uniform_work_group_size: 1
    .uses_dynamic_stack: false
    .vgpr_count:     0
    .vgpr_spill_count: 0
    .wavefront_size: 32
    .workgroup_processor_mode: 1
  - .args:
      - .offset:         0
        .size:           48
        .value_kind:     by_value
    .group_segment_fixed_size: 0
    .kernarg_segment_align: 8
    .kernarg_segment_size: 48
    .language:       OpenCL C
    .language_version:
      - 2
      - 0
    .max_flat_workgroup_size: 256
    .name:           _ZN7rocprim17ROCPRIM_400000_NS6detail17trampoline_kernelINS0_14default_configENS1_38merge_sort_block_merge_config_selectorIiiEEZZNS1_27merge_sort_block_merge_implIS3_N6thrust23THRUST_200600_302600_NS6detail15normal_iteratorINS8_10device_ptrIiEEEESD_jNS1_19radix_merge_compareILb1ELb0EiNS0_19identity_decomposerEEEEE10hipError_tT0_T1_T2_jT3_P12ihipStream_tbPNSt15iterator_traitsISI_E10value_typeEPNSO_ISJ_E10value_typeEPSK_NS1_7vsmem_tEENKUlT_SI_SJ_SK_E_clIPiSD_S10_SD_EESH_SX_SI_SJ_SK_EUlSX_E1_NS1_11comp_targetILNS1_3genE9ELNS1_11target_archE1100ELNS1_3gpuE3ELNS1_3repE0EEENS1_36merge_oddeven_config_static_selectorELNS0_4arch9wavefront6targetE0EEEvSJ_
    .private_segment_fixed_size: 0
    .sgpr_count:     0
    .sgpr_spill_count: 0
    .symbol:         _ZN7rocprim17ROCPRIM_400000_NS6detail17trampoline_kernelINS0_14default_configENS1_38merge_sort_block_merge_config_selectorIiiEEZZNS1_27merge_sort_block_merge_implIS3_N6thrust23THRUST_200600_302600_NS6detail15normal_iteratorINS8_10device_ptrIiEEEESD_jNS1_19radix_merge_compareILb1ELb0EiNS0_19identity_decomposerEEEEE10hipError_tT0_T1_T2_jT3_P12ihipStream_tbPNSt15iterator_traitsISI_E10value_typeEPNSO_ISJ_E10value_typeEPSK_NS1_7vsmem_tEENKUlT_SI_SJ_SK_E_clIPiSD_S10_SD_EESH_SX_SI_SJ_SK_EUlSX_E1_NS1_11comp_targetILNS1_3genE9ELNS1_11target_archE1100ELNS1_3gpuE3ELNS1_3repE0EEENS1_36merge_oddeven_config_static_selectorELNS0_4arch9wavefront6targetE0EEEvSJ_.kd
    .uniform_work_group_size: 1
    .uses_dynamic_stack: false
    .vgpr_count:     0
    .vgpr_spill_count: 0
    .wavefront_size: 32
    .workgroup_processor_mode: 1
  - .args:
      - .offset:         0
        .size:           48
        .value_kind:     by_value
    .group_segment_fixed_size: 0
    .kernarg_segment_align: 8
    .kernarg_segment_size: 48
    .language:       OpenCL C
    .language_version:
      - 2
      - 0
    .max_flat_workgroup_size: 256
    .name:           _ZN7rocprim17ROCPRIM_400000_NS6detail17trampoline_kernelINS0_14default_configENS1_38merge_sort_block_merge_config_selectorIiiEEZZNS1_27merge_sort_block_merge_implIS3_N6thrust23THRUST_200600_302600_NS6detail15normal_iteratorINS8_10device_ptrIiEEEESD_jNS1_19radix_merge_compareILb1ELb0EiNS0_19identity_decomposerEEEEE10hipError_tT0_T1_T2_jT3_P12ihipStream_tbPNSt15iterator_traitsISI_E10value_typeEPNSO_ISJ_E10value_typeEPSK_NS1_7vsmem_tEENKUlT_SI_SJ_SK_E_clIPiSD_S10_SD_EESH_SX_SI_SJ_SK_EUlSX_E1_NS1_11comp_targetILNS1_3genE8ELNS1_11target_archE1030ELNS1_3gpuE2ELNS1_3repE0EEENS1_36merge_oddeven_config_static_selectorELNS0_4arch9wavefront6targetE0EEEvSJ_
    .private_segment_fixed_size: 0
    .sgpr_count:     24
    .sgpr_spill_count: 0
    .symbol:         _ZN7rocprim17ROCPRIM_400000_NS6detail17trampoline_kernelINS0_14default_configENS1_38merge_sort_block_merge_config_selectorIiiEEZZNS1_27merge_sort_block_merge_implIS3_N6thrust23THRUST_200600_302600_NS6detail15normal_iteratorINS8_10device_ptrIiEEEESD_jNS1_19radix_merge_compareILb1ELb0EiNS0_19identity_decomposerEEEEE10hipError_tT0_T1_T2_jT3_P12ihipStream_tbPNSt15iterator_traitsISI_E10value_typeEPNSO_ISJ_E10value_typeEPSK_NS1_7vsmem_tEENKUlT_SI_SJ_SK_E_clIPiSD_S10_SD_EESH_SX_SI_SJ_SK_EUlSX_E1_NS1_11comp_targetILNS1_3genE8ELNS1_11target_archE1030ELNS1_3gpuE2ELNS1_3repE0EEENS1_36merge_oddeven_config_static_selectorELNS0_4arch9wavefront6targetE0EEEvSJ_.kd
    .uniform_work_group_size: 1
    .uses_dynamic_stack: false
    .vgpr_count:     9
    .vgpr_spill_count: 0
    .wavefront_size: 32
    .workgroup_processor_mode: 1
  - .args:
      - .offset:         0
        .size:           40
        .value_kind:     by_value
    .group_segment_fixed_size: 0
    .kernarg_segment_align: 8
    .kernarg_segment_size: 40
    .language:       OpenCL C
    .language_version:
      - 2
      - 0
    .max_flat_workgroup_size: 128
    .name:           _ZN7rocprim17ROCPRIM_400000_NS6detail17trampoline_kernelINS0_14default_configENS1_38merge_sort_block_merge_config_selectorIiiEEZZNS1_27merge_sort_block_merge_implIS3_N6thrust23THRUST_200600_302600_NS6detail15normal_iteratorINS8_10device_ptrIiEEEESD_jNS1_19radix_merge_compareILb1ELb0EiNS0_19identity_decomposerEEEEE10hipError_tT0_T1_T2_jT3_P12ihipStream_tbPNSt15iterator_traitsISI_E10value_typeEPNSO_ISJ_E10value_typeEPSK_NS1_7vsmem_tEENKUlT_SI_SJ_SK_E_clISD_PiSD_S10_EESH_SX_SI_SJ_SK_EUlSX_E_NS1_11comp_targetILNS1_3genE0ELNS1_11target_archE4294967295ELNS1_3gpuE0ELNS1_3repE0EEENS1_48merge_mergepath_partition_config_static_selectorELNS0_4arch9wavefront6targetE0EEEvSJ_
    .private_segment_fixed_size: 0
    .sgpr_count:     0
    .sgpr_spill_count: 0
    .symbol:         _ZN7rocprim17ROCPRIM_400000_NS6detail17trampoline_kernelINS0_14default_configENS1_38merge_sort_block_merge_config_selectorIiiEEZZNS1_27merge_sort_block_merge_implIS3_N6thrust23THRUST_200600_302600_NS6detail15normal_iteratorINS8_10device_ptrIiEEEESD_jNS1_19radix_merge_compareILb1ELb0EiNS0_19identity_decomposerEEEEE10hipError_tT0_T1_T2_jT3_P12ihipStream_tbPNSt15iterator_traitsISI_E10value_typeEPNSO_ISJ_E10value_typeEPSK_NS1_7vsmem_tEENKUlT_SI_SJ_SK_E_clISD_PiSD_S10_EESH_SX_SI_SJ_SK_EUlSX_E_NS1_11comp_targetILNS1_3genE0ELNS1_11target_archE4294967295ELNS1_3gpuE0ELNS1_3repE0EEENS1_48merge_mergepath_partition_config_static_selectorELNS0_4arch9wavefront6targetE0EEEvSJ_.kd
    .uniform_work_group_size: 1
    .uses_dynamic_stack: false
    .vgpr_count:     0
    .vgpr_spill_count: 0
    .wavefront_size: 32
    .workgroup_processor_mode: 1
  - .args:
      - .offset:         0
        .size:           40
        .value_kind:     by_value
    .group_segment_fixed_size: 0
    .kernarg_segment_align: 8
    .kernarg_segment_size: 40
    .language:       OpenCL C
    .language_version:
      - 2
      - 0
    .max_flat_workgroup_size: 128
    .name:           _ZN7rocprim17ROCPRIM_400000_NS6detail17trampoline_kernelINS0_14default_configENS1_38merge_sort_block_merge_config_selectorIiiEEZZNS1_27merge_sort_block_merge_implIS3_N6thrust23THRUST_200600_302600_NS6detail15normal_iteratorINS8_10device_ptrIiEEEESD_jNS1_19radix_merge_compareILb1ELb0EiNS0_19identity_decomposerEEEEE10hipError_tT0_T1_T2_jT3_P12ihipStream_tbPNSt15iterator_traitsISI_E10value_typeEPNSO_ISJ_E10value_typeEPSK_NS1_7vsmem_tEENKUlT_SI_SJ_SK_E_clISD_PiSD_S10_EESH_SX_SI_SJ_SK_EUlSX_E_NS1_11comp_targetILNS1_3genE10ELNS1_11target_archE1201ELNS1_3gpuE5ELNS1_3repE0EEENS1_48merge_mergepath_partition_config_static_selectorELNS0_4arch9wavefront6targetE0EEEvSJ_
    .private_segment_fixed_size: 0
    .sgpr_count:     0
    .sgpr_spill_count: 0
    .symbol:         _ZN7rocprim17ROCPRIM_400000_NS6detail17trampoline_kernelINS0_14default_configENS1_38merge_sort_block_merge_config_selectorIiiEEZZNS1_27merge_sort_block_merge_implIS3_N6thrust23THRUST_200600_302600_NS6detail15normal_iteratorINS8_10device_ptrIiEEEESD_jNS1_19radix_merge_compareILb1ELb0EiNS0_19identity_decomposerEEEEE10hipError_tT0_T1_T2_jT3_P12ihipStream_tbPNSt15iterator_traitsISI_E10value_typeEPNSO_ISJ_E10value_typeEPSK_NS1_7vsmem_tEENKUlT_SI_SJ_SK_E_clISD_PiSD_S10_EESH_SX_SI_SJ_SK_EUlSX_E_NS1_11comp_targetILNS1_3genE10ELNS1_11target_archE1201ELNS1_3gpuE5ELNS1_3repE0EEENS1_48merge_mergepath_partition_config_static_selectorELNS0_4arch9wavefront6targetE0EEEvSJ_.kd
    .uniform_work_group_size: 1
    .uses_dynamic_stack: false
    .vgpr_count:     0
    .vgpr_spill_count: 0
    .wavefront_size: 32
    .workgroup_processor_mode: 1
  - .args:
      - .offset:         0
        .size:           40
        .value_kind:     by_value
    .group_segment_fixed_size: 0
    .kernarg_segment_align: 8
    .kernarg_segment_size: 40
    .language:       OpenCL C
    .language_version:
      - 2
      - 0
    .max_flat_workgroup_size: 128
    .name:           _ZN7rocprim17ROCPRIM_400000_NS6detail17trampoline_kernelINS0_14default_configENS1_38merge_sort_block_merge_config_selectorIiiEEZZNS1_27merge_sort_block_merge_implIS3_N6thrust23THRUST_200600_302600_NS6detail15normal_iteratorINS8_10device_ptrIiEEEESD_jNS1_19radix_merge_compareILb1ELb0EiNS0_19identity_decomposerEEEEE10hipError_tT0_T1_T2_jT3_P12ihipStream_tbPNSt15iterator_traitsISI_E10value_typeEPNSO_ISJ_E10value_typeEPSK_NS1_7vsmem_tEENKUlT_SI_SJ_SK_E_clISD_PiSD_S10_EESH_SX_SI_SJ_SK_EUlSX_E_NS1_11comp_targetILNS1_3genE5ELNS1_11target_archE942ELNS1_3gpuE9ELNS1_3repE0EEENS1_48merge_mergepath_partition_config_static_selectorELNS0_4arch9wavefront6targetE0EEEvSJ_
    .private_segment_fixed_size: 0
    .sgpr_count:     0
    .sgpr_spill_count: 0
    .symbol:         _ZN7rocprim17ROCPRIM_400000_NS6detail17trampoline_kernelINS0_14default_configENS1_38merge_sort_block_merge_config_selectorIiiEEZZNS1_27merge_sort_block_merge_implIS3_N6thrust23THRUST_200600_302600_NS6detail15normal_iteratorINS8_10device_ptrIiEEEESD_jNS1_19radix_merge_compareILb1ELb0EiNS0_19identity_decomposerEEEEE10hipError_tT0_T1_T2_jT3_P12ihipStream_tbPNSt15iterator_traitsISI_E10value_typeEPNSO_ISJ_E10value_typeEPSK_NS1_7vsmem_tEENKUlT_SI_SJ_SK_E_clISD_PiSD_S10_EESH_SX_SI_SJ_SK_EUlSX_E_NS1_11comp_targetILNS1_3genE5ELNS1_11target_archE942ELNS1_3gpuE9ELNS1_3repE0EEENS1_48merge_mergepath_partition_config_static_selectorELNS0_4arch9wavefront6targetE0EEEvSJ_.kd
    .uniform_work_group_size: 1
    .uses_dynamic_stack: false
    .vgpr_count:     0
    .vgpr_spill_count: 0
    .wavefront_size: 32
    .workgroup_processor_mode: 1
  - .args:
      - .offset:         0
        .size:           40
        .value_kind:     by_value
    .group_segment_fixed_size: 0
    .kernarg_segment_align: 8
    .kernarg_segment_size: 40
    .language:       OpenCL C
    .language_version:
      - 2
      - 0
    .max_flat_workgroup_size: 128
    .name:           _ZN7rocprim17ROCPRIM_400000_NS6detail17trampoline_kernelINS0_14default_configENS1_38merge_sort_block_merge_config_selectorIiiEEZZNS1_27merge_sort_block_merge_implIS3_N6thrust23THRUST_200600_302600_NS6detail15normal_iteratorINS8_10device_ptrIiEEEESD_jNS1_19radix_merge_compareILb1ELb0EiNS0_19identity_decomposerEEEEE10hipError_tT0_T1_T2_jT3_P12ihipStream_tbPNSt15iterator_traitsISI_E10value_typeEPNSO_ISJ_E10value_typeEPSK_NS1_7vsmem_tEENKUlT_SI_SJ_SK_E_clISD_PiSD_S10_EESH_SX_SI_SJ_SK_EUlSX_E_NS1_11comp_targetILNS1_3genE4ELNS1_11target_archE910ELNS1_3gpuE8ELNS1_3repE0EEENS1_48merge_mergepath_partition_config_static_selectorELNS0_4arch9wavefront6targetE0EEEvSJ_
    .private_segment_fixed_size: 0
    .sgpr_count:     0
    .sgpr_spill_count: 0
    .symbol:         _ZN7rocprim17ROCPRIM_400000_NS6detail17trampoline_kernelINS0_14default_configENS1_38merge_sort_block_merge_config_selectorIiiEEZZNS1_27merge_sort_block_merge_implIS3_N6thrust23THRUST_200600_302600_NS6detail15normal_iteratorINS8_10device_ptrIiEEEESD_jNS1_19radix_merge_compareILb1ELb0EiNS0_19identity_decomposerEEEEE10hipError_tT0_T1_T2_jT3_P12ihipStream_tbPNSt15iterator_traitsISI_E10value_typeEPNSO_ISJ_E10value_typeEPSK_NS1_7vsmem_tEENKUlT_SI_SJ_SK_E_clISD_PiSD_S10_EESH_SX_SI_SJ_SK_EUlSX_E_NS1_11comp_targetILNS1_3genE4ELNS1_11target_archE910ELNS1_3gpuE8ELNS1_3repE0EEENS1_48merge_mergepath_partition_config_static_selectorELNS0_4arch9wavefront6targetE0EEEvSJ_.kd
    .uniform_work_group_size: 1
    .uses_dynamic_stack: false
    .vgpr_count:     0
    .vgpr_spill_count: 0
    .wavefront_size: 32
    .workgroup_processor_mode: 1
  - .args:
      - .offset:         0
        .size:           40
        .value_kind:     by_value
    .group_segment_fixed_size: 0
    .kernarg_segment_align: 8
    .kernarg_segment_size: 40
    .language:       OpenCL C
    .language_version:
      - 2
      - 0
    .max_flat_workgroup_size: 128
    .name:           _ZN7rocprim17ROCPRIM_400000_NS6detail17trampoline_kernelINS0_14default_configENS1_38merge_sort_block_merge_config_selectorIiiEEZZNS1_27merge_sort_block_merge_implIS3_N6thrust23THRUST_200600_302600_NS6detail15normal_iteratorINS8_10device_ptrIiEEEESD_jNS1_19radix_merge_compareILb1ELb0EiNS0_19identity_decomposerEEEEE10hipError_tT0_T1_T2_jT3_P12ihipStream_tbPNSt15iterator_traitsISI_E10value_typeEPNSO_ISJ_E10value_typeEPSK_NS1_7vsmem_tEENKUlT_SI_SJ_SK_E_clISD_PiSD_S10_EESH_SX_SI_SJ_SK_EUlSX_E_NS1_11comp_targetILNS1_3genE3ELNS1_11target_archE908ELNS1_3gpuE7ELNS1_3repE0EEENS1_48merge_mergepath_partition_config_static_selectorELNS0_4arch9wavefront6targetE0EEEvSJ_
    .private_segment_fixed_size: 0
    .sgpr_count:     0
    .sgpr_spill_count: 0
    .symbol:         _ZN7rocprim17ROCPRIM_400000_NS6detail17trampoline_kernelINS0_14default_configENS1_38merge_sort_block_merge_config_selectorIiiEEZZNS1_27merge_sort_block_merge_implIS3_N6thrust23THRUST_200600_302600_NS6detail15normal_iteratorINS8_10device_ptrIiEEEESD_jNS1_19radix_merge_compareILb1ELb0EiNS0_19identity_decomposerEEEEE10hipError_tT0_T1_T2_jT3_P12ihipStream_tbPNSt15iterator_traitsISI_E10value_typeEPNSO_ISJ_E10value_typeEPSK_NS1_7vsmem_tEENKUlT_SI_SJ_SK_E_clISD_PiSD_S10_EESH_SX_SI_SJ_SK_EUlSX_E_NS1_11comp_targetILNS1_3genE3ELNS1_11target_archE908ELNS1_3gpuE7ELNS1_3repE0EEENS1_48merge_mergepath_partition_config_static_selectorELNS0_4arch9wavefront6targetE0EEEvSJ_.kd
    .uniform_work_group_size: 1
    .uses_dynamic_stack: false
    .vgpr_count:     0
    .vgpr_spill_count: 0
    .wavefront_size: 32
    .workgroup_processor_mode: 1
  - .args:
      - .offset:         0
        .size:           40
        .value_kind:     by_value
    .group_segment_fixed_size: 0
    .kernarg_segment_align: 8
    .kernarg_segment_size: 40
    .language:       OpenCL C
    .language_version:
      - 2
      - 0
    .max_flat_workgroup_size: 128
    .name:           _ZN7rocprim17ROCPRIM_400000_NS6detail17trampoline_kernelINS0_14default_configENS1_38merge_sort_block_merge_config_selectorIiiEEZZNS1_27merge_sort_block_merge_implIS3_N6thrust23THRUST_200600_302600_NS6detail15normal_iteratorINS8_10device_ptrIiEEEESD_jNS1_19radix_merge_compareILb1ELb0EiNS0_19identity_decomposerEEEEE10hipError_tT0_T1_T2_jT3_P12ihipStream_tbPNSt15iterator_traitsISI_E10value_typeEPNSO_ISJ_E10value_typeEPSK_NS1_7vsmem_tEENKUlT_SI_SJ_SK_E_clISD_PiSD_S10_EESH_SX_SI_SJ_SK_EUlSX_E_NS1_11comp_targetILNS1_3genE2ELNS1_11target_archE906ELNS1_3gpuE6ELNS1_3repE0EEENS1_48merge_mergepath_partition_config_static_selectorELNS0_4arch9wavefront6targetE0EEEvSJ_
    .private_segment_fixed_size: 0
    .sgpr_count:     0
    .sgpr_spill_count: 0
    .symbol:         _ZN7rocprim17ROCPRIM_400000_NS6detail17trampoline_kernelINS0_14default_configENS1_38merge_sort_block_merge_config_selectorIiiEEZZNS1_27merge_sort_block_merge_implIS3_N6thrust23THRUST_200600_302600_NS6detail15normal_iteratorINS8_10device_ptrIiEEEESD_jNS1_19radix_merge_compareILb1ELb0EiNS0_19identity_decomposerEEEEE10hipError_tT0_T1_T2_jT3_P12ihipStream_tbPNSt15iterator_traitsISI_E10value_typeEPNSO_ISJ_E10value_typeEPSK_NS1_7vsmem_tEENKUlT_SI_SJ_SK_E_clISD_PiSD_S10_EESH_SX_SI_SJ_SK_EUlSX_E_NS1_11comp_targetILNS1_3genE2ELNS1_11target_archE906ELNS1_3gpuE6ELNS1_3repE0EEENS1_48merge_mergepath_partition_config_static_selectorELNS0_4arch9wavefront6targetE0EEEvSJ_.kd
    .uniform_work_group_size: 1
    .uses_dynamic_stack: false
    .vgpr_count:     0
    .vgpr_spill_count: 0
    .wavefront_size: 32
    .workgroup_processor_mode: 1
  - .args:
      - .offset:         0
        .size:           40
        .value_kind:     by_value
    .group_segment_fixed_size: 0
    .kernarg_segment_align: 8
    .kernarg_segment_size: 40
    .language:       OpenCL C
    .language_version:
      - 2
      - 0
    .max_flat_workgroup_size: 128
    .name:           _ZN7rocprim17ROCPRIM_400000_NS6detail17trampoline_kernelINS0_14default_configENS1_38merge_sort_block_merge_config_selectorIiiEEZZNS1_27merge_sort_block_merge_implIS3_N6thrust23THRUST_200600_302600_NS6detail15normal_iteratorINS8_10device_ptrIiEEEESD_jNS1_19radix_merge_compareILb1ELb0EiNS0_19identity_decomposerEEEEE10hipError_tT0_T1_T2_jT3_P12ihipStream_tbPNSt15iterator_traitsISI_E10value_typeEPNSO_ISJ_E10value_typeEPSK_NS1_7vsmem_tEENKUlT_SI_SJ_SK_E_clISD_PiSD_S10_EESH_SX_SI_SJ_SK_EUlSX_E_NS1_11comp_targetILNS1_3genE9ELNS1_11target_archE1100ELNS1_3gpuE3ELNS1_3repE0EEENS1_48merge_mergepath_partition_config_static_selectorELNS0_4arch9wavefront6targetE0EEEvSJ_
    .private_segment_fixed_size: 0
    .sgpr_count:     0
    .sgpr_spill_count: 0
    .symbol:         _ZN7rocprim17ROCPRIM_400000_NS6detail17trampoline_kernelINS0_14default_configENS1_38merge_sort_block_merge_config_selectorIiiEEZZNS1_27merge_sort_block_merge_implIS3_N6thrust23THRUST_200600_302600_NS6detail15normal_iteratorINS8_10device_ptrIiEEEESD_jNS1_19radix_merge_compareILb1ELb0EiNS0_19identity_decomposerEEEEE10hipError_tT0_T1_T2_jT3_P12ihipStream_tbPNSt15iterator_traitsISI_E10value_typeEPNSO_ISJ_E10value_typeEPSK_NS1_7vsmem_tEENKUlT_SI_SJ_SK_E_clISD_PiSD_S10_EESH_SX_SI_SJ_SK_EUlSX_E_NS1_11comp_targetILNS1_3genE9ELNS1_11target_archE1100ELNS1_3gpuE3ELNS1_3repE0EEENS1_48merge_mergepath_partition_config_static_selectorELNS0_4arch9wavefront6targetE0EEEvSJ_.kd
    .uniform_work_group_size: 1
    .uses_dynamic_stack: false
    .vgpr_count:     0
    .vgpr_spill_count: 0
    .wavefront_size: 32
    .workgroup_processor_mode: 1
  - .args:
      - .offset:         0
        .size:           40
        .value_kind:     by_value
    .group_segment_fixed_size: 0
    .kernarg_segment_align: 8
    .kernarg_segment_size: 40
    .language:       OpenCL C
    .language_version:
      - 2
      - 0
    .max_flat_workgroup_size: 128
    .name:           _ZN7rocprim17ROCPRIM_400000_NS6detail17trampoline_kernelINS0_14default_configENS1_38merge_sort_block_merge_config_selectorIiiEEZZNS1_27merge_sort_block_merge_implIS3_N6thrust23THRUST_200600_302600_NS6detail15normal_iteratorINS8_10device_ptrIiEEEESD_jNS1_19radix_merge_compareILb1ELb0EiNS0_19identity_decomposerEEEEE10hipError_tT0_T1_T2_jT3_P12ihipStream_tbPNSt15iterator_traitsISI_E10value_typeEPNSO_ISJ_E10value_typeEPSK_NS1_7vsmem_tEENKUlT_SI_SJ_SK_E_clISD_PiSD_S10_EESH_SX_SI_SJ_SK_EUlSX_E_NS1_11comp_targetILNS1_3genE8ELNS1_11target_archE1030ELNS1_3gpuE2ELNS1_3repE0EEENS1_48merge_mergepath_partition_config_static_selectorELNS0_4arch9wavefront6targetE0EEEvSJ_
    .private_segment_fixed_size: 0
    .sgpr_count:     9
    .sgpr_spill_count: 0
    .symbol:         _ZN7rocprim17ROCPRIM_400000_NS6detail17trampoline_kernelINS0_14default_configENS1_38merge_sort_block_merge_config_selectorIiiEEZZNS1_27merge_sort_block_merge_implIS3_N6thrust23THRUST_200600_302600_NS6detail15normal_iteratorINS8_10device_ptrIiEEEESD_jNS1_19radix_merge_compareILb1ELb0EiNS0_19identity_decomposerEEEEE10hipError_tT0_T1_T2_jT3_P12ihipStream_tbPNSt15iterator_traitsISI_E10value_typeEPNSO_ISJ_E10value_typeEPSK_NS1_7vsmem_tEENKUlT_SI_SJ_SK_E_clISD_PiSD_S10_EESH_SX_SI_SJ_SK_EUlSX_E_NS1_11comp_targetILNS1_3genE8ELNS1_11target_archE1030ELNS1_3gpuE2ELNS1_3repE0EEENS1_48merge_mergepath_partition_config_static_selectorELNS0_4arch9wavefront6targetE0EEEvSJ_.kd
    .uniform_work_group_size: 1
    .uses_dynamic_stack: false
    .vgpr_count:     15
    .vgpr_spill_count: 0
    .wavefront_size: 32
    .workgroup_processor_mode: 1
  - .args:
      - .offset:         0
        .size:           64
        .value_kind:     by_value
    .group_segment_fixed_size: 0
    .kernarg_segment_align: 8
    .kernarg_segment_size: 64
    .language:       OpenCL C
    .language_version:
      - 2
      - 0
    .max_flat_workgroup_size: 256
    .name:           _ZN7rocprim17ROCPRIM_400000_NS6detail17trampoline_kernelINS0_14default_configENS1_38merge_sort_block_merge_config_selectorIiiEEZZNS1_27merge_sort_block_merge_implIS3_N6thrust23THRUST_200600_302600_NS6detail15normal_iteratorINS8_10device_ptrIiEEEESD_jNS1_19radix_merge_compareILb1ELb0EiNS0_19identity_decomposerEEEEE10hipError_tT0_T1_T2_jT3_P12ihipStream_tbPNSt15iterator_traitsISI_E10value_typeEPNSO_ISJ_E10value_typeEPSK_NS1_7vsmem_tEENKUlT_SI_SJ_SK_E_clISD_PiSD_S10_EESH_SX_SI_SJ_SK_EUlSX_E0_NS1_11comp_targetILNS1_3genE0ELNS1_11target_archE4294967295ELNS1_3gpuE0ELNS1_3repE0EEENS1_38merge_mergepath_config_static_selectorELNS0_4arch9wavefront6targetE0EEEvSJ_
    .private_segment_fixed_size: 0
    .sgpr_count:     0
    .sgpr_spill_count: 0
    .symbol:         _ZN7rocprim17ROCPRIM_400000_NS6detail17trampoline_kernelINS0_14default_configENS1_38merge_sort_block_merge_config_selectorIiiEEZZNS1_27merge_sort_block_merge_implIS3_N6thrust23THRUST_200600_302600_NS6detail15normal_iteratorINS8_10device_ptrIiEEEESD_jNS1_19radix_merge_compareILb1ELb0EiNS0_19identity_decomposerEEEEE10hipError_tT0_T1_T2_jT3_P12ihipStream_tbPNSt15iterator_traitsISI_E10value_typeEPNSO_ISJ_E10value_typeEPSK_NS1_7vsmem_tEENKUlT_SI_SJ_SK_E_clISD_PiSD_S10_EESH_SX_SI_SJ_SK_EUlSX_E0_NS1_11comp_targetILNS1_3genE0ELNS1_11target_archE4294967295ELNS1_3gpuE0ELNS1_3repE0EEENS1_38merge_mergepath_config_static_selectorELNS0_4arch9wavefront6targetE0EEEvSJ_.kd
    .uniform_work_group_size: 1
    .uses_dynamic_stack: false
    .vgpr_count:     0
    .vgpr_spill_count: 0
    .wavefront_size: 32
    .workgroup_processor_mode: 1
  - .args:
      - .offset:         0
        .size:           64
        .value_kind:     by_value
    .group_segment_fixed_size: 0
    .kernarg_segment_align: 8
    .kernarg_segment_size: 64
    .language:       OpenCL C
    .language_version:
      - 2
      - 0
    .max_flat_workgroup_size: 256
    .name:           _ZN7rocprim17ROCPRIM_400000_NS6detail17trampoline_kernelINS0_14default_configENS1_38merge_sort_block_merge_config_selectorIiiEEZZNS1_27merge_sort_block_merge_implIS3_N6thrust23THRUST_200600_302600_NS6detail15normal_iteratorINS8_10device_ptrIiEEEESD_jNS1_19radix_merge_compareILb1ELb0EiNS0_19identity_decomposerEEEEE10hipError_tT0_T1_T2_jT3_P12ihipStream_tbPNSt15iterator_traitsISI_E10value_typeEPNSO_ISJ_E10value_typeEPSK_NS1_7vsmem_tEENKUlT_SI_SJ_SK_E_clISD_PiSD_S10_EESH_SX_SI_SJ_SK_EUlSX_E0_NS1_11comp_targetILNS1_3genE10ELNS1_11target_archE1201ELNS1_3gpuE5ELNS1_3repE0EEENS1_38merge_mergepath_config_static_selectorELNS0_4arch9wavefront6targetE0EEEvSJ_
    .private_segment_fixed_size: 0
    .sgpr_count:     0
    .sgpr_spill_count: 0
    .symbol:         _ZN7rocprim17ROCPRIM_400000_NS6detail17trampoline_kernelINS0_14default_configENS1_38merge_sort_block_merge_config_selectorIiiEEZZNS1_27merge_sort_block_merge_implIS3_N6thrust23THRUST_200600_302600_NS6detail15normal_iteratorINS8_10device_ptrIiEEEESD_jNS1_19radix_merge_compareILb1ELb0EiNS0_19identity_decomposerEEEEE10hipError_tT0_T1_T2_jT3_P12ihipStream_tbPNSt15iterator_traitsISI_E10value_typeEPNSO_ISJ_E10value_typeEPSK_NS1_7vsmem_tEENKUlT_SI_SJ_SK_E_clISD_PiSD_S10_EESH_SX_SI_SJ_SK_EUlSX_E0_NS1_11comp_targetILNS1_3genE10ELNS1_11target_archE1201ELNS1_3gpuE5ELNS1_3repE0EEENS1_38merge_mergepath_config_static_selectorELNS0_4arch9wavefront6targetE0EEEvSJ_.kd
    .uniform_work_group_size: 1
    .uses_dynamic_stack: false
    .vgpr_count:     0
    .vgpr_spill_count: 0
    .wavefront_size: 32
    .workgroup_processor_mode: 1
  - .args:
      - .offset:         0
        .size:           64
        .value_kind:     by_value
    .group_segment_fixed_size: 0
    .kernarg_segment_align: 8
    .kernarg_segment_size: 64
    .language:       OpenCL C
    .language_version:
      - 2
      - 0
    .max_flat_workgroup_size: 128
    .name:           _ZN7rocprim17ROCPRIM_400000_NS6detail17trampoline_kernelINS0_14default_configENS1_38merge_sort_block_merge_config_selectorIiiEEZZNS1_27merge_sort_block_merge_implIS3_N6thrust23THRUST_200600_302600_NS6detail15normal_iteratorINS8_10device_ptrIiEEEESD_jNS1_19radix_merge_compareILb1ELb0EiNS0_19identity_decomposerEEEEE10hipError_tT0_T1_T2_jT3_P12ihipStream_tbPNSt15iterator_traitsISI_E10value_typeEPNSO_ISJ_E10value_typeEPSK_NS1_7vsmem_tEENKUlT_SI_SJ_SK_E_clISD_PiSD_S10_EESH_SX_SI_SJ_SK_EUlSX_E0_NS1_11comp_targetILNS1_3genE5ELNS1_11target_archE942ELNS1_3gpuE9ELNS1_3repE0EEENS1_38merge_mergepath_config_static_selectorELNS0_4arch9wavefront6targetE0EEEvSJ_
    .private_segment_fixed_size: 0
    .sgpr_count:     0
    .sgpr_spill_count: 0
    .symbol:         _ZN7rocprim17ROCPRIM_400000_NS6detail17trampoline_kernelINS0_14default_configENS1_38merge_sort_block_merge_config_selectorIiiEEZZNS1_27merge_sort_block_merge_implIS3_N6thrust23THRUST_200600_302600_NS6detail15normal_iteratorINS8_10device_ptrIiEEEESD_jNS1_19radix_merge_compareILb1ELb0EiNS0_19identity_decomposerEEEEE10hipError_tT0_T1_T2_jT3_P12ihipStream_tbPNSt15iterator_traitsISI_E10value_typeEPNSO_ISJ_E10value_typeEPSK_NS1_7vsmem_tEENKUlT_SI_SJ_SK_E_clISD_PiSD_S10_EESH_SX_SI_SJ_SK_EUlSX_E0_NS1_11comp_targetILNS1_3genE5ELNS1_11target_archE942ELNS1_3gpuE9ELNS1_3repE0EEENS1_38merge_mergepath_config_static_selectorELNS0_4arch9wavefront6targetE0EEEvSJ_.kd
    .uniform_work_group_size: 1
    .uses_dynamic_stack: false
    .vgpr_count:     0
    .vgpr_spill_count: 0
    .wavefront_size: 32
    .workgroup_processor_mode: 1
  - .args:
      - .offset:         0
        .size:           64
        .value_kind:     by_value
    .group_segment_fixed_size: 0
    .kernarg_segment_align: 8
    .kernarg_segment_size: 64
    .language:       OpenCL C
    .language_version:
      - 2
      - 0
    .max_flat_workgroup_size: 256
    .name:           _ZN7rocprim17ROCPRIM_400000_NS6detail17trampoline_kernelINS0_14default_configENS1_38merge_sort_block_merge_config_selectorIiiEEZZNS1_27merge_sort_block_merge_implIS3_N6thrust23THRUST_200600_302600_NS6detail15normal_iteratorINS8_10device_ptrIiEEEESD_jNS1_19radix_merge_compareILb1ELb0EiNS0_19identity_decomposerEEEEE10hipError_tT0_T1_T2_jT3_P12ihipStream_tbPNSt15iterator_traitsISI_E10value_typeEPNSO_ISJ_E10value_typeEPSK_NS1_7vsmem_tEENKUlT_SI_SJ_SK_E_clISD_PiSD_S10_EESH_SX_SI_SJ_SK_EUlSX_E0_NS1_11comp_targetILNS1_3genE4ELNS1_11target_archE910ELNS1_3gpuE8ELNS1_3repE0EEENS1_38merge_mergepath_config_static_selectorELNS0_4arch9wavefront6targetE0EEEvSJ_
    .private_segment_fixed_size: 0
    .sgpr_count:     0
    .sgpr_spill_count: 0
    .symbol:         _ZN7rocprim17ROCPRIM_400000_NS6detail17trampoline_kernelINS0_14default_configENS1_38merge_sort_block_merge_config_selectorIiiEEZZNS1_27merge_sort_block_merge_implIS3_N6thrust23THRUST_200600_302600_NS6detail15normal_iteratorINS8_10device_ptrIiEEEESD_jNS1_19radix_merge_compareILb1ELb0EiNS0_19identity_decomposerEEEEE10hipError_tT0_T1_T2_jT3_P12ihipStream_tbPNSt15iterator_traitsISI_E10value_typeEPNSO_ISJ_E10value_typeEPSK_NS1_7vsmem_tEENKUlT_SI_SJ_SK_E_clISD_PiSD_S10_EESH_SX_SI_SJ_SK_EUlSX_E0_NS1_11comp_targetILNS1_3genE4ELNS1_11target_archE910ELNS1_3gpuE8ELNS1_3repE0EEENS1_38merge_mergepath_config_static_selectorELNS0_4arch9wavefront6targetE0EEEvSJ_.kd
    .uniform_work_group_size: 1
    .uses_dynamic_stack: false
    .vgpr_count:     0
    .vgpr_spill_count: 0
    .wavefront_size: 32
    .workgroup_processor_mode: 1
  - .args:
      - .offset:         0
        .size:           64
        .value_kind:     by_value
    .group_segment_fixed_size: 0
    .kernarg_segment_align: 8
    .kernarg_segment_size: 64
    .language:       OpenCL C
    .language_version:
      - 2
      - 0
    .max_flat_workgroup_size: 256
    .name:           _ZN7rocprim17ROCPRIM_400000_NS6detail17trampoline_kernelINS0_14default_configENS1_38merge_sort_block_merge_config_selectorIiiEEZZNS1_27merge_sort_block_merge_implIS3_N6thrust23THRUST_200600_302600_NS6detail15normal_iteratorINS8_10device_ptrIiEEEESD_jNS1_19radix_merge_compareILb1ELb0EiNS0_19identity_decomposerEEEEE10hipError_tT0_T1_T2_jT3_P12ihipStream_tbPNSt15iterator_traitsISI_E10value_typeEPNSO_ISJ_E10value_typeEPSK_NS1_7vsmem_tEENKUlT_SI_SJ_SK_E_clISD_PiSD_S10_EESH_SX_SI_SJ_SK_EUlSX_E0_NS1_11comp_targetILNS1_3genE3ELNS1_11target_archE908ELNS1_3gpuE7ELNS1_3repE0EEENS1_38merge_mergepath_config_static_selectorELNS0_4arch9wavefront6targetE0EEEvSJ_
    .private_segment_fixed_size: 0
    .sgpr_count:     0
    .sgpr_spill_count: 0
    .symbol:         _ZN7rocprim17ROCPRIM_400000_NS6detail17trampoline_kernelINS0_14default_configENS1_38merge_sort_block_merge_config_selectorIiiEEZZNS1_27merge_sort_block_merge_implIS3_N6thrust23THRUST_200600_302600_NS6detail15normal_iteratorINS8_10device_ptrIiEEEESD_jNS1_19radix_merge_compareILb1ELb0EiNS0_19identity_decomposerEEEEE10hipError_tT0_T1_T2_jT3_P12ihipStream_tbPNSt15iterator_traitsISI_E10value_typeEPNSO_ISJ_E10value_typeEPSK_NS1_7vsmem_tEENKUlT_SI_SJ_SK_E_clISD_PiSD_S10_EESH_SX_SI_SJ_SK_EUlSX_E0_NS1_11comp_targetILNS1_3genE3ELNS1_11target_archE908ELNS1_3gpuE7ELNS1_3repE0EEENS1_38merge_mergepath_config_static_selectorELNS0_4arch9wavefront6targetE0EEEvSJ_.kd
    .uniform_work_group_size: 1
    .uses_dynamic_stack: false
    .vgpr_count:     0
    .vgpr_spill_count: 0
    .wavefront_size: 32
    .workgroup_processor_mode: 1
  - .args:
      - .offset:         0
        .size:           64
        .value_kind:     by_value
    .group_segment_fixed_size: 0
    .kernarg_segment_align: 8
    .kernarg_segment_size: 64
    .language:       OpenCL C
    .language_version:
      - 2
      - 0
    .max_flat_workgroup_size: 256
    .name:           _ZN7rocprim17ROCPRIM_400000_NS6detail17trampoline_kernelINS0_14default_configENS1_38merge_sort_block_merge_config_selectorIiiEEZZNS1_27merge_sort_block_merge_implIS3_N6thrust23THRUST_200600_302600_NS6detail15normal_iteratorINS8_10device_ptrIiEEEESD_jNS1_19radix_merge_compareILb1ELb0EiNS0_19identity_decomposerEEEEE10hipError_tT0_T1_T2_jT3_P12ihipStream_tbPNSt15iterator_traitsISI_E10value_typeEPNSO_ISJ_E10value_typeEPSK_NS1_7vsmem_tEENKUlT_SI_SJ_SK_E_clISD_PiSD_S10_EESH_SX_SI_SJ_SK_EUlSX_E0_NS1_11comp_targetILNS1_3genE2ELNS1_11target_archE906ELNS1_3gpuE6ELNS1_3repE0EEENS1_38merge_mergepath_config_static_selectorELNS0_4arch9wavefront6targetE0EEEvSJ_
    .private_segment_fixed_size: 0
    .sgpr_count:     0
    .sgpr_spill_count: 0
    .symbol:         _ZN7rocprim17ROCPRIM_400000_NS6detail17trampoline_kernelINS0_14default_configENS1_38merge_sort_block_merge_config_selectorIiiEEZZNS1_27merge_sort_block_merge_implIS3_N6thrust23THRUST_200600_302600_NS6detail15normal_iteratorINS8_10device_ptrIiEEEESD_jNS1_19radix_merge_compareILb1ELb0EiNS0_19identity_decomposerEEEEE10hipError_tT0_T1_T2_jT3_P12ihipStream_tbPNSt15iterator_traitsISI_E10value_typeEPNSO_ISJ_E10value_typeEPSK_NS1_7vsmem_tEENKUlT_SI_SJ_SK_E_clISD_PiSD_S10_EESH_SX_SI_SJ_SK_EUlSX_E0_NS1_11comp_targetILNS1_3genE2ELNS1_11target_archE906ELNS1_3gpuE6ELNS1_3repE0EEENS1_38merge_mergepath_config_static_selectorELNS0_4arch9wavefront6targetE0EEEvSJ_.kd
    .uniform_work_group_size: 1
    .uses_dynamic_stack: false
    .vgpr_count:     0
    .vgpr_spill_count: 0
    .wavefront_size: 32
    .workgroup_processor_mode: 1
  - .args:
      - .offset:         0
        .size:           64
        .value_kind:     by_value
    .group_segment_fixed_size: 0
    .kernarg_segment_align: 8
    .kernarg_segment_size: 64
    .language:       OpenCL C
    .language_version:
      - 2
      - 0
    .max_flat_workgroup_size: 512
    .name:           _ZN7rocprim17ROCPRIM_400000_NS6detail17trampoline_kernelINS0_14default_configENS1_38merge_sort_block_merge_config_selectorIiiEEZZNS1_27merge_sort_block_merge_implIS3_N6thrust23THRUST_200600_302600_NS6detail15normal_iteratorINS8_10device_ptrIiEEEESD_jNS1_19radix_merge_compareILb1ELb0EiNS0_19identity_decomposerEEEEE10hipError_tT0_T1_T2_jT3_P12ihipStream_tbPNSt15iterator_traitsISI_E10value_typeEPNSO_ISJ_E10value_typeEPSK_NS1_7vsmem_tEENKUlT_SI_SJ_SK_E_clISD_PiSD_S10_EESH_SX_SI_SJ_SK_EUlSX_E0_NS1_11comp_targetILNS1_3genE9ELNS1_11target_archE1100ELNS1_3gpuE3ELNS1_3repE0EEENS1_38merge_mergepath_config_static_selectorELNS0_4arch9wavefront6targetE0EEEvSJ_
    .private_segment_fixed_size: 0
    .sgpr_count:     0
    .sgpr_spill_count: 0
    .symbol:         _ZN7rocprim17ROCPRIM_400000_NS6detail17trampoline_kernelINS0_14default_configENS1_38merge_sort_block_merge_config_selectorIiiEEZZNS1_27merge_sort_block_merge_implIS3_N6thrust23THRUST_200600_302600_NS6detail15normal_iteratorINS8_10device_ptrIiEEEESD_jNS1_19radix_merge_compareILb1ELb0EiNS0_19identity_decomposerEEEEE10hipError_tT0_T1_T2_jT3_P12ihipStream_tbPNSt15iterator_traitsISI_E10value_typeEPNSO_ISJ_E10value_typeEPSK_NS1_7vsmem_tEENKUlT_SI_SJ_SK_E_clISD_PiSD_S10_EESH_SX_SI_SJ_SK_EUlSX_E0_NS1_11comp_targetILNS1_3genE9ELNS1_11target_archE1100ELNS1_3gpuE3ELNS1_3repE0EEENS1_38merge_mergepath_config_static_selectorELNS0_4arch9wavefront6targetE0EEEvSJ_.kd
    .uniform_work_group_size: 1
    .uses_dynamic_stack: false
    .vgpr_count:     0
    .vgpr_spill_count: 0
    .wavefront_size: 32
    .workgroup_processor_mode: 1
  - .args:
      - .offset:         0
        .size:           64
        .value_kind:     by_value
      - .offset:         64
        .size:           4
        .value_kind:     hidden_block_count_x
      - .offset:         68
        .size:           4
        .value_kind:     hidden_block_count_y
      - .offset:         72
        .size:           4
        .value_kind:     hidden_block_count_z
      - .offset:         76
        .size:           2
        .value_kind:     hidden_group_size_x
      - .offset:         78
        .size:           2
        .value_kind:     hidden_group_size_y
      - .offset:         80
        .size:           2
        .value_kind:     hidden_group_size_z
      - .offset:         82
        .size:           2
        .value_kind:     hidden_remainder_x
      - .offset:         84
        .size:           2
        .value_kind:     hidden_remainder_y
      - .offset:         86
        .size:           2
        .value_kind:     hidden_remainder_z
      - .offset:         104
        .size:           8
        .value_kind:     hidden_global_offset_x
      - .offset:         112
        .size:           8
        .value_kind:     hidden_global_offset_y
      - .offset:         120
        .size:           8
        .value_kind:     hidden_global_offset_z
      - .offset:         128
        .size:           2
        .value_kind:     hidden_grid_dims
    .group_segment_fixed_size: 4112
    .kernarg_segment_align: 8
    .kernarg_segment_size: 320
    .language:       OpenCL C
    .language_version:
      - 2
      - 0
    .max_flat_workgroup_size: 1024
    .name:           _ZN7rocprim17ROCPRIM_400000_NS6detail17trampoline_kernelINS0_14default_configENS1_38merge_sort_block_merge_config_selectorIiiEEZZNS1_27merge_sort_block_merge_implIS3_N6thrust23THRUST_200600_302600_NS6detail15normal_iteratorINS8_10device_ptrIiEEEESD_jNS1_19radix_merge_compareILb1ELb0EiNS0_19identity_decomposerEEEEE10hipError_tT0_T1_T2_jT3_P12ihipStream_tbPNSt15iterator_traitsISI_E10value_typeEPNSO_ISJ_E10value_typeEPSK_NS1_7vsmem_tEENKUlT_SI_SJ_SK_E_clISD_PiSD_S10_EESH_SX_SI_SJ_SK_EUlSX_E0_NS1_11comp_targetILNS1_3genE8ELNS1_11target_archE1030ELNS1_3gpuE2ELNS1_3repE0EEENS1_38merge_mergepath_config_static_selectorELNS0_4arch9wavefront6targetE0EEEvSJ_
    .private_segment_fixed_size: 0
    .sgpr_count:     27
    .sgpr_spill_count: 0
    .symbol:         _ZN7rocprim17ROCPRIM_400000_NS6detail17trampoline_kernelINS0_14default_configENS1_38merge_sort_block_merge_config_selectorIiiEEZZNS1_27merge_sort_block_merge_implIS3_N6thrust23THRUST_200600_302600_NS6detail15normal_iteratorINS8_10device_ptrIiEEEESD_jNS1_19radix_merge_compareILb1ELb0EiNS0_19identity_decomposerEEEEE10hipError_tT0_T1_T2_jT3_P12ihipStream_tbPNSt15iterator_traitsISI_E10value_typeEPNSO_ISJ_E10value_typeEPSK_NS1_7vsmem_tEENKUlT_SI_SJ_SK_E_clISD_PiSD_S10_EESH_SX_SI_SJ_SK_EUlSX_E0_NS1_11comp_targetILNS1_3genE8ELNS1_11target_archE1030ELNS1_3gpuE2ELNS1_3repE0EEENS1_38merge_mergepath_config_static_selectorELNS0_4arch9wavefront6targetE0EEEvSJ_.kd
    .uniform_work_group_size: 1
    .uses_dynamic_stack: false
    .vgpr_count:     13
    .vgpr_spill_count: 0
    .wavefront_size: 32
    .workgroup_processor_mode: 1
  - .args:
      - .offset:         0
        .size:           48
        .value_kind:     by_value
    .group_segment_fixed_size: 0
    .kernarg_segment_align: 8
    .kernarg_segment_size: 48
    .language:       OpenCL C
    .language_version:
      - 2
      - 0
    .max_flat_workgroup_size: 256
    .name:           _ZN7rocprim17ROCPRIM_400000_NS6detail17trampoline_kernelINS0_14default_configENS1_38merge_sort_block_merge_config_selectorIiiEEZZNS1_27merge_sort_block_merge_implIS3_N6thrust23THRUST_200600_302600_NS6detail15normal_iteratorINS8_10device_ptrIiEEEESD_jNS1_19radix_merge_compareILb1ELb0EiNS0_19identity_decomposerEEEEE10hipError_tT0_T1_T2_jT3_P12ihipStream_tbPNSt15iterator_traitsISI_E10value_typeEPNSO_ISJ_E10value_typeEPSK_NS1_7vsmem_tEENKUlT_SI_SJ_SK_E_clISD_PiSD_S10_EESH_SX_SI_SJ_SK_EUlSX_E1_NS1_11comp_targetILNS1_3genE0ELNS1_11target_archE4294967295ELNS1_3gpuE0ELNS1_3repE0EEENS1_36merge_oddeven_config_static_selectorELNS0_4arch9wavefront6targetE0EEEvSJ_
    .private_segment_fixed_size: 0
    .sgpr_count:     0
    .sgpr_spill_count: 0
    .symbol:         _ZN7rocprim17ROCPRIM_400000_NS6detail17trampoline_kernelINS0_14default_configENS1_38merge_sort_block_merge_config_selectorIiiEEZZNS1_27merge_sort_block_merge_implIS3_N6thrust23THRUST_200600_302600_NS6detail15normal_iteratorINS8_10device_ptrIiEEEESD_jNS1_19radix_merge_compareILb1ELb0EiNS0_19identity_decomposerEEEEE10hipError_tT0_T1_T2_jT3_P12ihipStream_tbPNSt15iterator_traitsISI_E10value_typeEPNSO_ISJ_E10value_typeEPSK_NS1_7vsmem_tEENKUlT_SI_SJ_SK_E_clISD_PiSD_S10_EESH_SX_SI_SJ_SK_EUlSX_E1_NS1_11comp_targetILNS1_3genE0ELNS1_11target_archE4294967295ELNS1_3gpuE0ELNS1_3repE0EEENS1_36merge_oddeven_config_static_selectorELNS0_4arch9wavefront6targetE0EEEvSJ_.kd
    .uniform_work_group_size: 1
    .uses_dynamic_stack: false
    .vgpr_count:     0
    .vgpr_spill_count: 0
    .wavefront_size: 32
    .workgroup_processor_mode: 1
  - .args:
      - .offset:         0
        .size:           48
        .value_kind:     by_value
    .group_segment_fixed_size: 0
    .kernarg_segment_align: 8
    .kernarg_segment_size: 48
    .language:       OpenCL C
    .language_version:
      - 2
      - 0
    .max_flat_workgroup_size: 256
    .name:           _ZN7rocprim17ROCPRIM_400000_NS6detail17trampoline_kernelINS0_14default_configENS1_38merge_sort_block_merge_config_selectorIiiEEZZNS1_27merge_sort_block_merge_implIS3_N6thrust23THRUST_200600_302600_NS6detail15normal_iteratorINS8_10device_ptrIiEEEESD_jNS1_19radix_merge_compareILb1ELb0EiNS0_19identity_decomposerEEEEE10hipError_tT0_T1_T2_jT3_P12ihipStream_tbPNSt15iterator_traitsISI_E10value_typeEPNSO_ISJ_E10value_typeEPSK_NS1_7vsmem_tEENKUlT_SI_SJ_SK_E_clISD_PiSD_S10_EESH_SX_SI_SJ_SK_EUlSX_E1_NS1_11comp_targetILNS1_3genE10ELNS1_11target_archE1201ELNS1_3gpuE5ELNS1_3repE0EEENS1_36merge_oddeven_config_static_selectorELNS0_4arch9wavefront6targetE0EEEvSJ_
    .private_segment_fixed_size: 0
    .sgpr_count:     0
    .sgpr_spill_count: 0
    .symbol:         _ZN7rocprim17ROCPRIM_400000_NS6detail17trampoline_kernelINS0_14default_configENS1_38merge_sort_block_merge_config_selectorIiiEEZZNS1_27merge_sort_block_merge_implIS3_N6thrust23THRUST_200600_302600_NS6detail15normal_iteratorINS8_10device_ptrIiEEEESD_jNS1_19radix_merge_compareILb1ELb0EiNS0_19identity_decomposerEEEEE10hipError_tT0_T1_T2_jT3_P12ihipStream_tbPNSt15iterator_traitsISI_E10value_typeEPNSO_ISJ_E10value_typeEPSK_NS1_7vsmem_tEENKUlT_SI_SJ_SK_E_clISD_PiSD_S10_EESH_SX_SI_SJ_SK_EUlSX_E1_NS1_11comp_targetILNS1_3genE10ELNS1_11target_archE1201ELNS1_3gpuE5ELNS1_3repE0EEENS1_36merge_oddeven_config_static_selectorELNS0_4arch9wavefront6targetE0EEEvSJ_.kd
    .uniform_work_group_size: 1
    .uses_dynamic_stack: false
    .vgpr_count:     0
    .vgpr_spill_count: 0
    .wavefront_size: 32
    .workgroup_processor_mode: 1
  - .args:
      - .offset:         0
        .size:           48
        .value_kind:     by_value
    .group_segment_fixed_size: 0
    .kernarg_segment_align: 8
    .kernarg_segment_size: 48
    .language:       OpenCL C
    .language_version:
      - 2
      - 0
    .max_flat_workgroup_size: 256
    .name:           _ZN7rocprim17ROCPRIM_400000_NS6detail17trampoline_kernelINS0_14default_configENS1_38merge_sort_block_merge_config_selectorIiiEEZZNS1_27merge_sort_block_merge_implIS3_N6thrust23THRUST_200600_302600_NS6detail15normal_iteratorINS8_10device_ptrIiEEEESD_jNS1_19radix_merge_compareILb1ELb0EiNS0_19identity_decomposerEEEEE10hipError_tT0_T1_T2_jT3_P12ihipStream_tbPNSt15iterator_traitsISI_E10value_typeEPNSO_ISJ_E10value_typeEPSK_NS1_7vsmem_tEENKUlT_SI_SJ_SK_E_clISD_PiSD_S10_EESH_SX_SI_SJ_SK_EUlSX_E1_NS1_11comp_targetILNS1_3genE5ELNS1_11target_archE942ELNS1_3gpuE9ELNS1_3repE0EEENS1_36merge_oddeven_config_static_selectorELNS0_4arch9wavefront6targetE0EEEvSJ_
    .private_segment_fixed_size: 0
    .sgpr_count:     0
    .sgpr_spill_count: 0
    .symbol:         _ZN7rocprim17ROCPRIM_400000_NS6detail17trampoline_kernelINS0_14default_configENS1_38merge_sort_block_merge_config_selectorIiiEEZZNS1_27merge_sort_block_merge_implIS3_N6thrust23THRUST_200600_302600_NS6detail15normal_iteratorINS8_10device_ptrIiEEEESD_jNS1_19radix_merge_compareILb1ELb0EiNS0_19identity_decomposerEEEEE10hipError_tT0_T1_T2_jT3_P12ihipStream_tbPNSt15iterator_traitsISI_E10value_typeEPNSO_ISJ_E10value_typeEPSK_NS1_7vsmem_tEENKUlT_SI_SJ_SK_E_clISD_PiSD_S10_EESH_SX_SI_SJ_SK_EUlSX_E1_NS1_11comp_targetILNS1_3genE5ELNS1_11target_archE942ELNS1_3gpuE9ELNS1_3repE0EEENS1_36merge_oddeven_config_static_selectorELNS0_4arch9wavefront6targetE0EEEvSJ_.kd
    .uniform_work_group_size: 1
    .uses_dynamic_stack: false
    .vgpr_count:     0
    .vgpr_spill_count: 0
    .wavefront_size: 32
    .workgroup_processor_mode: 1
  - .args:
      - .offset:         0
        .size:           48
        .value_kind:     by_value
    .group_segment_fixed_size: 0
    .kernarg_segment_align: 8
    .kernarg_segment_size: 48
    .language:       OpenCL C
    .language_version:
      - 2
      - 0
    .max_flat_workgroup_size: 256
    .name:           _ZN7rocprim17ROCPRIM_400000_NS6detail17trampoline_kernelINS0_14default_configENS1_38merge_sort_block_merge_config_selectorIiiEEZZNS1_27merge_sort_block_merge_implIS3_N6thrust23THRUST_200600_302600_NS6detail15normal_iteratorINS8_10device_ptrIiEEEESD_jNS1_19radix_merge_compareILb1ELb0EiNS0_19identity_decomposerEEEEE10hipError_tT0_T1_T2_jT3_P12ihipStream_tbPNSt15iterator_traitsISI_E10value_typeEPNSO_ISJ_E10value_typeEPSK_NS1_7vsmem_tEENKUlT_SI_SJ_SK_E_clISD_PiSD_S10_EESH_SX_SI_SJ_SK_EUlSX_E1_NS1_11comp_targetILNS1_3genE4ELNS1_11target_archE910ELNS1_3gpuE8ELNS1_3repE0EEENS1_36merge_oddeven_config_static_selectorELNS0_4arch9wavefront6targetE0EEEvSJ_
    .private_segment_fixed_size: 0
    .sgpr_count:     0
    .sgpr_spill_count: 0
    .symbol:         _ZN7rocprim17ROCPRIM_400000_NS6detail17trampoline_kernelINS0_14default_configENS1_38merge_sort_block_merge_config_selectorIiiEEZZNS1_27merge_sort_block_merge_implIS3_N6thrust23THRUST_200600_302600_NS6detail15normal_iteratorINS8_10device_ptrIiEEEESD_jNS1_19radix_merge_compareILb1ELb0EiNS0_19identity_decomposerEEEEE10hipError_tT0_T1_T2_jT3_P12ihipStream_tbPNSt15iterator_traitsISI_E10value_typeEPNSO_ISJ_E10value_typeEPSK_NS1_7vsmem_tEENKUlT_SI_SJ_SK_E_clISD_PiSD_S10_EESH_SX_SI_SJ_SK_EUlSX_E1_NS1_11comp_targetILNS1_3genE4ELNS1_11target_archE910ELNS1_3gpuE8ELNS1_3repE0EEENS1_36merge_oddeven_config_static_selectorELNS0_4arch9wavefront6targetE0EEEvSJ_.kd
    .uniform_work_group_size: 1
    .uses_dynamic_stack: false
    .vgpr_count:     0
    .vgpr_spill_count: 0
    .wavefront_size: 32
    .workgroup_processor_mode: 1
  - .args:
      - .offset:         0
        .size:           48
        .value_kind:     by_value
    .group_segment_fixed_size: 0
    .kernarg_segment_align: 8
    .kernarg_segment_size: 48
    .language:       OpenCL C
    .language_version:
      - 2
      - 0
    .max_flat_workgroup_size: 256
    .name:           _ZN7rocprim17ROCPRIM_400000_NS6detail17trampoline_kernelINS0_14default_configENS1_38merge_sort_block_merge_config_selectorIiiEEZZNS1_27merge_sort_block_merge_implIS3_N6thrust23THRUST_200600_302600_NS6detail15normal_iteratorINS8_10device_ptrIiEEEESD_jNS1_19radix_merge_compareILb1ELb0EiNS0_19identity_decomposerEEEEE10hipError_tT0_T1_T2_jT3_P12ihipStream_tbPNSt15iterator_traitsISI_E10value_typeEPNSO_ISJ_E10value_typeEPSK_NS1_7vsmem_tEENKUlT_SI_SJ_SK_E_clISD_PiSD_S10_EESH_SX_SI_SJ_SK_EUlSX_E1_NS1_11comp_targetILNS1_3genE3ELNS1_11target_archE908ELNS1_3gpuE7ELNS1_3repE0EEENS1_36merge_oddeven_config_static_selectorELNS0_4arch9wavefront6targetE0EEEvSJ_
    .private_segment_fixed_size: 0
    .sgpr_count:     0
    .sgpr_spill_count: 0
    .symbol:         _ZN7rocprim17ROCPRIM_400000_NS6detail17trampoline_kernelINS0_14default_configENS1_38merge_sort_block_merge_config_selectorIiiEEZZNS1_27merge_sort_block_merge_implIS3_N6thrust23THRUST_200600_302600_NS6detail15normal_iteratorINS8_10device_ptrIiEEEESD_jNS1_19radix_merge_compareILb1ELb0EiNS0_19identity_decomposerEEEEE10hipError_tT0_T1_T2_jT3_P12ihipStream_tbPNSt15iterator_traitsISI_E10value_typeEPNSO_ISJ_E10value_typeEPSK_NS1_7vsmem_tEENKUlT_SI_SJ_SK_E_clISD_PiSD_S10_EESH_SX_SI_SJ_SK_EUlSX_E1_NS1_11comp_targetILNS1_3genE3ELNS1_11target_archE908ELNS1_3gpuE7ELNS1_3repE0EEENS1_36merge_oddeven_config_static_selectorELNS0_4arch9wavefront6targetE0EEEvSJ_.kd
    .uniform_work_group_size: 1
    .uses_dynamic_stack: false
    .vgpr_count:     0
    .vgpr_spill_count: 0
    .wavefront_size: 32
    .workgroup_processor_mode: 1
  - .args:
      - .offset:         0
        .size:           48
        .value_kind:     by_value
    .group_segment_fixed_size: 0
    .kernarg_segment_align: 8
    .kernarg_segment_size: 48
    .language:       OpenCL C
    .language_version:
      - 2
      - 0
    .max_flat_workgroup_size: 256
    .name:           _ZN7rocprim17ROCPRIM_400000_NS6detail17trampoline_kernelINS0_14default_configENS1_38merge_sort_block_merge_config_selectorIiiEEZZNS1_27merge_sort_block_merge_implIS3_N6thrust23THRUST_200600_302600_NS6detail15normal_iteratorINS8_10device_ptrIiEEEESD_jNS1_19radix_merge_compareILb1ELb0EiNS0_19identity_decomposerEEEEE10hipError_tT0_T1_T2_jT3_P12ihipStream_tbPNSt15iterator_traitsISI_E10value_typeEPNSO_ISJ_E10value_typeEPSK_NS1_7vsmem_tEENKUlT_SI_SJ_SK_E_clISD_PiSD_S10_EESH_SX_SI_SJ_SK_EUlSX_E1_NS1_11comp_targetILNS1_3genE2ELNS1_11target_archE906ELNS1_3gpuE6ELNS1_3repE0EEENS1_36merge_oddeven_config_static_selectorELNS0_4arch9wavefront6targetE0EEEvSJ_
    .private_segment_fixed_size: 0
    .sgpr_count:     0
    .sgpr_spill_count: 0
    .symbol:         _ZN7rocprim17ROCPRIM_400000_NS6detail17trampoline_kernelINS0_14default_configENS1_38merge_sort_block_merge_config_selectorIiiEEZZNS1_27merge_sort_block_merge_implIS3_N6thrust23THRUST_200600_302600_NS6detail15normal_iteratorINS8_10device_ptrIiEEEESD_jNS1_19radix_merge_compareILb1ELb0EiNS0_19identity_decomposerEEEEE10hipError_tT0_T1_T2_jT3_P12ihipStream_tbPNSt15iterator_traitsISI_E10value_typeEPNSO_ISJ_E10value_typeEPSK_NS1_7vsmem_tEENKUlT_SI_SJ_SK_E_clISD_PiSD_S10_EESH_SX_SI_SJ_SK_EUlSX_E1_NS1_11comp_targetILNS1_3genE2ELNS1_11target_archE906ELNS1_3gpuE6ELNS1_3repE0EEENS1_36merge_oddeven_config_static_selectorELNS0_4arch9wavefront6targetE0EEEvSJ_.kd
    .uniform_work_group_size: 1
    .uses_dynamic_stack: false
    .vgpr_count:     0
    .vgpr_spill_count: 0
    .wavefront_size: 32
    .workgroup_processor_mode: 1
  - .args:
      - .offset:         0
        .size:           48
        .value_kind:     by_value
    .group_segment_fixed_size: 0
    .kernarg_segment_align: 8
    .kernarg_segment_size: 48
    .language:       OpenCL C
    .language_version:
      - 2
      - 0
    .max_flat_workgroup_size: 256
    .name:           _ZN7rocprim17ROCPRIM_400000_NS6detail17trampoline_kernelINS0_14default_configENS1_38merge_sort_block_merge_config_selectorIiiEEZZNS1_27merge_sort_block_merge_implIS3_N6thrust23THRUST_200600_302600_NS6detail15normal_iteratorINS8_10device_ptrIiEEEESD_jNS1_19radix_merge_compareILb1ELb0EiNS0_19identity_decomposerEEEEE10hipError_tT0_T1_T2_jT3_P12ihipStream_tbPNSt15iterator_traitsISI_E10value_typeEPNSO_ISJ_E10value_typeEPSK_NS1_7vsmem_tEENKUlT_SI_SJ_SK_E_clISD_PiSD_S10_EESH_SX_SI_SJ_SK_EUlSX_E1_NS1_11comp_targetILNS1_3genE9ELNS1_11target_archE1100ELNS1_3gpuE3ELNS1_3repE0EEENS1_36merge_oddeven_config_static_selectorELNS0_4arch9wavefront6targetE0EEEvSJ_
    .private_segment_fixed_size: 0
    .sgpr_count:     0
    .sgpr_spill_count: 0
    .symbol:         _ZN7rocprim17ROCPRIM_400000_NS6detail17trampoline_kernelINS0_14default_configENS1_38merge_sort_block_merge_config_selectorIiiEEZZNS1_27merge_sort_block_merge_implIS3_N6thrust23THRUST_200600_302600_NS6detail15normal_iteratorINS8_10device_ptrIiEEEESD_jNS1_19radix_merge_compareILb1ELb0EiNS0_19identity_decomposerEEEEE10hipError_tT0_T1_T2_jT3_P12ihipStream_tbPNSt15iterator_traitsISI_E10value_typeEPNSO_ISJ_E10value_typeEPSK_NS1_7vsmem_tEENKUlT_SI_SJ_SK_E_clISD_PiSD_S10_EESH_SX_SI_SJ_SK_EUlSX_E1_NS1_11comp_targetILNS1_3genE9ELNS1_11target_archE1100ELNS1_3gpuE3ELNS1_3repE0EEENS1_36merge_oddeven_config_static_selectorELNS0_4arch9wavefront6targetE0EEEvSJ_.kd
    .uniform_work_group_size: 1
    .uses_dynamic_stack: false
    .vgpr_count:     0
    .vgpr_spill_count: 0
    .wavefront_size: 32
    .workgroup_processor_mode: 1
  - .args:
      - .offset:         0
        .size:           48
        .value_kind:     by_value
    .group_segment_fixed_size: 0
    .kernarg_segment_align: 8
    .kernarg_segment_size: 48
    .language:       OpenCL C
    .language_version:
      - 2
      - 0
    .max_flat_workgroup_size: 256
    .name:           _ZN7rocprim17ROCPRIM_400000_NS6detail17trampoline_kernelINS0_14default_configENS1_38merge_sort_block_merge_config_selectorIiiEEZZNS1_27merge_sort_block_merge_implIS3_N6thrust23THRUST_200600_302600_NS6detail15normal_iteratorINS8_10device_ptrIiEEEESD_jNS1_19radix_merge_compareILb1ELb0EiNS0_19identity_decomposerEEEEE10hipError_tT0_T1_T2_jT3_P12ihipStream_tbPNSt15iterator_traitsISI_E10value_typeEPNSO_ISJ_E10value_typeEPSK_NS1_7vsmem_tEENKUlT_SI_SJ_SK_E_clISD_PiSD_S10_EESH_SX_SI_SJ_SK_EUlSX_E1_NS1_11comp_targetILNS1_3genE8ELNS1_11target_archE1030ELNS1_3gpuE2ELNS1_3repE0EEENS1_36merge_oddeven_config_static_selectorELNS0_4arch9wavefront6targetE0EEEvSJ_
    .private_segment_fixed_size: 0
    .sgpr_count:     24
    .sgpr_spill_count: 0
    .symbol:         _ZN7rocprim17ROCPRIM_400000_NS6detail17trampoline_kernelINS0_14default_configENS1_38merge_sort_block_merge_config_selectorIiiEEZZNS1_27merge_sort_block_merge_implIS3_N6thrust23THRUST_200600_302600_NS6detail15normal_iteratorINS8_10device_ptrIiEEEESD_jNS1_19radix_merge_compareILb1ELb0EiNS0_19identity_decomposerEEEEE10hipError_tT0_T1_T2_jT3_P12ihipStream_tbPNSt15iterator_traitsISI_E10value_typeEPNSO_ISJ_E10value_typeEPSK_NS1_7vsmem_tEENKUlT_SI_SJ_SK_E_clISD_PiSD_S10_EESH_SX_SI_SJ_SK_EUlSX_E1_NS1_11comp_targetILNS1_3genE8ELNS1_11target_archE1030ELNS1_3gpuE2ELNS1_3repE0EEENS1_36merge_oddeven_config_static_selectorELNS0_4arch9wavefront6targetE0EEEvSJ_.kd
    .uniform_work_group_size: 1
    .uses_dynamic_stack: false
    .vgpr_count:     9
    .vgpr_spill_count: 0
    .wavefront_size: 32
    .workgroup_processor_mode: 1
  - .args:
      - .offset:         0
        .size:           40
        .value_kind:     by_value
    .group_segment_fixed_size: 0
    .kernarg_segment_align: 8
    .kernarg_segment_size: 40
    .language:       OpenCL C
    .language_version:
      - 2
      - 0
    .max_flat_workgroup_size: 128
    .name:           _ZN7rocprim17ROCPRIM_400000_NS6detail17trampoline_kernelINS0_14default_configENS1_38merge_sort_block_merge_config_selectorIiiEEZZNS1_27merge_sort_block_merge_implIS3_N6thrust23THRUST_200600_302600_NS6detail15normal_iteratorINS8_10device_ptrIiEEEESD_jNS1_19radix_merge_compareILb1ELb1EiNS0_19identity_decomposerEEEEE10hipError_tT0_T1_T2_jT3_P12ihipStream_tbPNSt15iterator_traitsISI_E10value_typeEPNSO_ISJ_E10value_typeEPSK_NS1_7vsmem_tEENKUlT_SI_SJ_SK_E_clIPiSD_S10_SD_EESH_SX_SI_SJ_SK_EUlSX_E_NS1_11comp_targetILNS1_3genE0ELNS1_11target_archE4294967295ELNS1_3gpuE0ELNS1_3repE0EEENS1_48merge_mergepath_partition_config_static_selectorELNS0_4arch9wavefront6targetE0EEEvSJ_
    .private_segment_fixed_size: 0
    .sgpr_count:     0
    .sgpr_spill_count: 0
    .symbol:         _ZN7rocprim17ROCPRIM_400000_NS6detail17trampoline_kernelINS0_14default_configENS1_38merge_sort_block_merge_config_selectorIiiEEZZNS1_27merge_sort_block_merge_implIS3_N6thrust23THRUST_200600_302600_NS6detail15normal_iteratorINS8_10device_ptrIiEEEESD_jNS1_19radix_merge_compareILb1ELb1EiNS0_19identity_decomposerEEEEE10hipError_tT0_T1_T2_jT3_P12ihipStream_tbPNSt15iterator_traitsISI_E10value_typeEPNSO_ISJ_E10value_typeEPSK_NS1_7vsmem_tEENKUlT_SI_SJ_SK_E_clIPiSD_S10_SD_EESH_SX_SI_SJ_SK_EUlSX_E_NS1_11comp_targetILNS1_3genE0ELNS1_11target_archE4294967295ELNS1_3gpuE0ELNS1_3repE0EEENS1_48merge_mergepath_partition_config_static_selectorELNS0_4arch9wavefront6targetE0EEEvSJ_.kd
    .uniform_work_group_size: 1
    .uses_dynamic_stack: false
    .vgpr_count:     0
    .vgpr_spill_count: 0
    .wavefront_size: 32
    .workgroup_processor_mode: 1
  - .args:
      - .offset:         0
        .size:           40
        .value_kind:     by_value
    .group_segment_fixed_size: 0
    .kernarg_segment_align: 8
    .kernarg_segment_size: 40
    .language:       OpenCL C
    .language_version:
      - 2
      - 0
    .max_flat_workgroup_size: 128
    .name:           _ZN7rocprim17ROCPRIM_400000_NS6detail17trampoline_kernelINS0_14default_configENS1_38merge_sort_block_merge_config_selectorIiiEEZZNS1_27merge_sort_block_merge_implIS3_N6thrust23THRUST_200600_302600_NS6detail15normal_iteratorINS8_10device_ptrIiEEEESD_jNS1_19radix_merge_compareILb1ELb1EiNS0_19identity_decomposerEEEEE10hipError_tT0_T1_T2_jT3_P12ihipStream_tbPNSt15iterator_traitsISI_E10value_typeEPNSO_ISJ_E10value_typeEPSK_NS1_7vsmem_tEENKUlT_SI_SJ_SK_E_clIPiSD_S10_SD_EESH_SX_SI_SJ_SK_EUlSX_E_NS1_11comp_targetILNS1_3genE10ELNS1_11target_archE1201ELNS1_3gpuE5ELNS1_3repE0EEENS1_48merge_mergepath_partition_config_static_selectorELNS0_4arch9wavefront6targetE0EEEvSJ_
    .private_segment_fixed_size: 0
    .sgpr_count:     0
    .sgpr_spill_count: 0
    .symbol:         _ZN7rocprim17ROCPRIM_400000_NS6detail17trampoline_kernelINS0_14default_configENS1_38merge_sort_block_merge_config_selectorIiiEEZZNS1_27merge_sort_block_merge_implIS3_N6thrust23THRUST_200600_302600_NS6detail15normal_iteratorINS8_10device_ptrIiEEEESD_jNS1_19radix_merge_compareILb1ELb1EiNS0_19identity_decomposerEEEEE10hipError_tT0_T1_T2_jT3_P12ihipStream_tbPNSt15iterator_traitsISI_E10value_typeEPNSO_ISJ_E10value_typeEPSK_NS1_7vsmem_tEENKUlT_SI_SJ_SK_E_clIPiSD_S10_SD_EESH_SX_SI_SJ_SK_EUlSX_E_NS1_11comp_targetILNS1_3genE10ELNS1_11target_archE1201ELNS1_3gpuE5ELNS1_3repE0EEENS1_48merge_mergepath_partition_config_static_selectorELNS0_4arch9wavefront6targetE0EEEvSJ_.kd
    .uniform_work_group_size: 1
    .uses_dynamic_stack: false
    .vgpr_count:     0
    .vgpr_spill_count: 0
    .wavefront_size: 32
    .workgroup_processor_mode: 1
  - .args:
      - .offset:         0
        .size:           40
        .value_kind:     by_value
    .group_segment_fixed_size: 0
    .kernarg_segment_align: 8
    .kernarg_segment_size: 40
    .language:       OpenCL C
    .language_version:
      - 2
      - 0
    .max_flat_workgroup_size: 128
    .name:           _ZN7rocprim17ROCPRIM_400000_NS6detail17trampoline_kernelINS0_14default_configENS1_38merge_sort_block_merge_config_selectorIiiEEZZNS1_27merge_sort_block_merge_implIS3_N6thrust23THRUST_200600_302600_NS6detail15normal_iteratorINS8_10device_ptrIiEEEESD_jNS1_19radix_merge_compareILb1ELb1EiNS0_19identity_decomposerEEEEE10hipError_tT0_T1_T2_jT3_P12ihipStream_tbPNSt15iterator_traitsISI_E10value_typeEPNSO_ISJ_E10value_typeEPSK_NS1_7vsmem_tEENKUlT_SI_SJ_SK_E_clIPiSD_S10_SD_EESH_SX_SI_SJ_SK_EUlSX_E_NS1_11comp_targetILNS1_3genE5ELNS1_11target_archE942ELNS1_3gpuE9ELNS1_3repE0EEENS1_48merge_mergepath_partition_config_static_selectorELNS0_4arch9wavefront6targetE0EEEvSJ_
    .private_segment_fixed_size: 0
    .sgpr_count:     0
    .sgpr_spill_count: 0
    .symbol:         _ZN7rocprim17ROCPRIM_400000_NS6detail17trampoline_kernelINS0_14default_configENS1_38merge_sort_block_merge_config_selectorIiiEEZZNS1_27merge_sort_block_merge_implIS3_N6thrust23THRUST_200600_302600_NS6detail15normal_iteratorINS8_10device_ptrIiEEEESD_jNS1_19radix_merge_compareILb1ELb1EiNS0_19identity_decomposerEEEEE10hipError_tT0_T1_T2_jT3_P12ihipStream_tbPNSt15iterator_traitsISI_E10value_typeEPNSO_ISJ_E10value_typeEPSK_NS1_7vsmem_tEENKUlT_SI_SJ_SK_E_clIPiSD_S10_SD_EESH_SX_SI_SJ_SK_EUlSX_E_NS1_11comp_targetILNS1_3genE5ELNS1_11target_archE942ELNS1_3gpuE9ELNS1_3repE0EEENS1_48merge_mergepath_partition_config_static_selectorELNS0_4arch9wavefront6targetE0EEEvSJ_.kd
    .uniform_work_group_size: 1
    .uses_dynamic_stack: false
    .vgpr_count:     0
    .vgpr_spill_count: 0
    .wavefront_size: 32
    .workgroup_processor_mode: 1
  - .args:
      - .offset:         0
        .size:           40
        .value_kind:     by_value
    .group_segment_fixed_size: 0
    .kernarg_segment_align: 8
    .kernarg_segment_size: 40
    .language:       OpenCL C
    .language_version:
      - 2
      - 0
    .max_flat_workgroup_size: 128
    .name:           _ZN7rocprim17ROCPRIM_400000_NS6detail17trampoline_kernelINS0_14default_configENS1_38merge_sort_block_merge_config_selectorIiiEEZZNS1_27merge_sort_block_merge_implIS3_N6thrust23THRUST_200600_302600_NS6detail15normal_iteratorINS8_10device_ptrIiEEEESD_jNS1_19radix_merge_compareILb1ELb1EiNS0_19identity_decomposerEEEEE10hipError_tT0_T1_T2_jT3_P12ihipStream_tbPNSt15iterator_traitsISI_E10value_typeEPNSO_ISJ_E10value_typeEPSK_NS1_7vsmem_tEENKUlT_SI_SJ_SK_E_clIPiSD_S10_SD_EESH_SX_SI_SJ_SK_EUlSX_E_NS1_11comp_targetILNS1_3genE4ELNS1_11target_archE910ELNS1_3gpuE8ELNS1_3repE0EEENS1_48merge_mergepath_partition_config_static_selectorELNS0_4arch9wavefront6targetE0EEEvSJ_
    .private_segment_fixed_size: 0
    .sgpr_count:     0
    .sgpr_spill_count: 0
    .symbol:         _ZN7rocprim17ROCPRIM_400000_NS6detail17trampoline_kernelINS0_14default_configENS1_38merge_sort_block_merge_config_selectorIiiEEZZNS1_27merge_sort_block_merge_implIS3_N6thrust23THRUST_200600_302600_NS6detail15normal_iteratorINS8_10device_ptrIiEEEESD_jNS1_19radix_merge_compareILb1ELb1EiNS0_19identity_decomposerEEEEE10hipError_tT0_T1_T2_jT3_P12ihipStream_tbPNSt15iterator_traitsISI_E10value_typeEPNSO_ISJ_E10value_typeEPSK_NS1_7vsmem_tEENKUlT_SI_SJ_SK_E_clIPiSD_S10_SD_EESH_SX_SI_SJ_SK_EUlSX_E_NS1_11comp_targetILNS1_3genE4ELNS1_11target_archE910ELNS1_3gpuE8ELNS1_3repE0EEENS1_48merge_mergepath_partition_config_static_selectorELNS0_4arch9wavefront6targetE0EEEvSJ_.kd
    .uniform_work_group_size: 1
    .uses_dynamic_stack: false
    .vgpr_count:     0
    .vgpr_spill_count: 0
    .wavefront_size: 32
    .workgroup_processor_mode: 1
  - .args:
      - .offset:         0
        .size:           40
        .value_kind:     by_value
    .group_segment_fixed_size: 0
    .kernarg_segment_align: 8
    .kernarg_segment_size: 40
    .language:       OpenCL C
    .language_version:
      - 2
      - 0
    .max_flat_workgroup_size: 128
    .name:           _ZN7rocprim17ROCPRIM_400000_NS6detail17trampoline_kernelINS0_14default_configENS1_38merge_sort_block_merge_config_selectorIiiEEZZNS1_27merge_sort_block_merge_implIS3_N6thrust23THRUST_200600_302600_NS6detail15normal_iteratorINS8_10device_ptrIiEEEESD_jNS1_19radix_merge_compareILb1ELb1EiNS0_19identity_decomposerEEEEE10hipError_tT0_T1_T2_jT3_P12ihipStream_tbPNSt15iterator_traitsISI_E10value_typeEPNSO_ISJ_E10value_typeEPSK_NS1_7vsmem_tEENKUlT_SI_SJ_SK_E_clIPiSD_S10_SD_EESH_SX_SI_SJ_SK_EUlSX_E_NS1_11comp_targetILNS1_3genE3ELNS1_11target_archE908ELNS1_3gpuE7ELNS1_3repE0EEENS1_48merge_mergepath_partition_config_static_selectorELNS0_4arch9wavefront6targetE0EEEvSJ_
    .private_segment_fixed_size: 0
    .sgpr_count:     0
    .sgpr_spill_count: 0
    .symbol:         _ZN7rocprim17ROCPRIM_400000_NS6detail17trampoline_kernelINS0_14default_configENS1_38merge_sort_block_merge_config_selectorIiiEEZZNS1_27merge_sort_block_merge_implIS3_N6thrust23THRUST_200600_302600_NS6detail15normal_iteratorINS8_10device_ptrIiEEEESD_jNS1_19radix_merge_compareILb1ELb1EiNS0_19identity_decomposerEEEEE10hipError_tT0_T1_T2_jT3_P12ihipStream_tbPNSt15iterator_traitsISI_E10value_typeEPNSO_ISJ_E10value_typeEPSK_NS1_7vsmem_tEENKUlT_SI_SJ_SK_E_clIPiSD_S10_SD_EESH_SX_SI_SJ_SK_EUlSX_E_NS1_11comp_targetILNS1_3genE3ELNS1_11target_archE908ELNS1_3gpuE7ELNS1_3repE0EEENS1_48merge_mergepath_partition_config_static_selectorELNS0_4arch9wavefront6targetE0EEEvSJ_.kd
    .uniform_work_group_size: 1
    .uses_dynamic_stack: false
    .vgpr_count:     0
    .vgpr_spill_count: 0
    .wavefront_size: 32
    .workgroup_processor_mode: 1
  - .args:
      - .offset:         0
        .size:           40
        .value_kind:     by_value
    .group_segment_fixed_size: 0
    .kernarg_segment_align: 8
    .kernarg_segment_size: 40
    .language:       OpenCL C
    .language_version:
      - 2
      - 0
    .max_flat_workgroup_size: 128
    .name:           _ZN7rocprim17ROCPRIM_400000_NS6detail17trampoline_kernelINS0_14default_configENS1_38merge_sort_block_merge_config_selectorIiiEEZZNS1_27merge_sort_block_merge_implIS3_N6thrust23THRUST_200600_302600_NS6detail15normal_iteratorINS8_10device_ptrIiEEEESD_jNS1_19radix_merge_compareILb1ELb1EiNS0_19identity_decomposerEEEEE10hipError_tT0_T1_T2_jT3_P12ihipStream_tbPNSt15iterator_traitsISI_E10value_typeEPNSO_ISJ_E10value_typeEPSK_NS1_7vsmem_tEENKUlT_SI_SJ_SK_E_clIPiSD_S10_SD_EESH_SX_SI_SJ_SK_EUlSX_E_NS1_11comp_targetILNS1_3genE2ELNS1_11target_archE906ELNS1_3gpuE6ELNS1_3repE0EEENS1_48merge_mergepath_partition_config_static_selectorELNS0_4arch9wavefront6targetE0EEEvSJ_
    .private_segment_fixed_size: 0
    .sgpr_count:     0
    .sgpr_spill_count: 0
    .symbol:         _ZN7rocprim17ROCPRIM_400000_NS6detail17trampoline_kernelINS0_14default_configENS1_38merge_sort_block_merge_config_selectorIiiEEZZNS1_27merge_sort_block_merge_implIS3_N6thrust23THRUST_200600_302600_NS6detail15normal_iteratorINS8_10device_ptrIiEEEESD_jNS1_19radix_merge_compareILb1ELb1EiNS0_19identity_decomposerEEEEE10hipError_tT0_T1_T2_jT3_P12ihipStream_tbPNSt15iterator_traitsISI_E10value_typeEPNSO_ISJ_E10value_typeEPSK_NS1_7vsmem_tEENKUlT_SI_SJ_SK_E_clIPiSD_S10_SD_EESH_SX_SI_SJ_SK_EUlSX_E_NS1_11comp_targetILNS1_3genE2ELNS1_11target_archE906ELNS1_3gpuE6ELNS1_3repE0EEENS1_48merge_mergepath_partition_config_static_selectorELNS0_4arch9wavefront6targetE0EEEvSJ_.kd
    .uniform_work_group_size: 1
    .uses_dynamic_stack: false
    .vgpr_count:     0
    .vgpr_spill_count: 0
    .wavefront_size: 32
    .workgroup_processor_mode: 1
  - .args:
      - .offset:         0
        .size:           40
        .value_kind:     by_value
    .group_segment_fixed_size: 0
    .kernarg_segment_align: 8
    .kernarg_segment_size: 40
    .language:       OpenCL C
    .language_version:
      - 2
      - 0
    .max_flat_workgroup_size: 128
    .name:           _ZN7rocprim17ROCPRIM_400000_NS6detail17trampoline_kernelINS0_14default_configENS1_38merge_sort_block_merge_config_selectorIiiEEZZNS1_27merge_sort_block_merge_implIS3_N6thrust23THRUST_200600_302600_NS6detail15normal_iteratorINS8_10device_ptrIiEEEESD_jNS1_19radix_merge_compareILb1ELb1EiNS0_19identity_decomposerEEEEE10hipError_tT0_T1_T2_jT3_P12ihipStream_tbPNSt15iterator_traitsISI_E10value_typeEPNSO_ISJ_E10value_typeEPSK_NS1_7vsmem_tEENKUlT_SI_SJ_SK_E_clIPiSD_S10_SD_EESH_SX_SI_SJ_SK_EUlSX_E_NS1_11comp_targetILNS1_3genE9ELNS1_11target_archE1100ELNS1_3gpuE3ELNS1_3repE0EEENS1_48merge_mergepath_partition_config_static_selectorELNS0_4arch9wavefront6targetE0EEEvSJ_
    .private_segment_fixed_size: 0
    .sgpr_count:     0
    .sgpr_spill_count: 0
    .symbol:         _ZN7rocprim17ROCPRIM_400000_NS6detail17trampoline_kernelINS0_14default_configENS1_38merge_sort_block_merge_config_selectorIiiEEZZNS1_27merge_sort_block_merge_implIS3_N6thrust23THRUST_200600_302600_NS6detail15normal_iteratorINS8_10device_ptrIiEEEESD_jNS1_19radix_merge_compareILb1ELb1EiNS0_19identity_decomposerEEEEE10hipError_tT0_T1_T2_jT3_P12ihipStream_tbPNSt15iterator_traitsISI_E10value_typeEPNSO_ISJ_E10value_typeEPSK_NS1_7vsmem_tEENKUlT_SI_SJ_SK_E_clIPiSD_S10_SD_EESH_SX_SI_SJ_SK_EUlSX_E_NS1_11comp_targetILNS1_3genE9ELNS1_11target_archE1100ELNS1_3gpuE3ELNS1_3repE0EEENS1_48merge_mergepath_partition_config_static_selectorELNS0_4arch9wavefront6targetE0EEEvSJ_.kd
    .uniform_work_group_size: 1
    .uses_dynamic_stack: false
    .vgpr_count:     0
    .vgpr_spill_count: 0
    .wavefront_size: 32
    .workgroup_processor_mode: 1
  - .args:
      - .offset:         0
        .size:           40
        .value_kind:     by_value
    .group_segment_fixed_size: 0
    .kernarg_segment_align: 8
    .kernarg_segment_size: 40
    .language:       OpenCL C
    .language_version:
      - 2
      - 0
    .max_flat_workgroup_size: 128
    .name:           _ZN7rocprim17ROCPRIM_400000_NS6detail17trampoline_kernelINS0_14default_configENS1_38merge_sort_block_merge_config_selectorIiiEEZZNS1_27merge_sort_block_merge_implIS3_N6thrust23THRUST_200600_302600_NS6detail15normal_iteratorINS8_10device_ptrIiEEEESD_jNS1_19radix_merge_compareILb1ELb1EiNS0_19identity_decomposerEEEEE10hipError_tT0_T1_T2_jT3_P12ihipStream_tbPNSt15iterator_traitsISI_E10value_typeEPNSO_ISJ_E10value_typeEPSK_NS1_7vsmem_tEENKUlT_SI_SJ_SK_E_clIPiSD_S10_SD_EESH_SX_SI_SJ_SK_EUlSX_E_NS1_11comp_targetILNS1_3genE8ELNS1_11target_archE1030ELNS1_3gpuE2ELNS1_3repE0EEENS1_48merge_mergepath_partition_config_static_selectorELNS0_4arch9wavefront6targetE0EEEvSJ_
    .private_segment_fixed_size: 0
    .sgpr_count:     10
    .sgpr_spill_count: 0
    .symbol:         _ZN7rocprim17ROCPRIM_400000_NS6detail17trampoline_kernelINS0_14default_configENS1_38merge_sort_block_merge_config_selectorIiiEEZZNS1_27merge_sort_block_merge_implIS3_N6thrust23THRUST_200600_302600_NS6detail15normal_iteratorINS8_10device_ptrIiEEEESD_jNS1_19radix_merge_compareILb1ELb1EiNS0_19identity_decomposerEEEEE10hipError_tT0_T1_T2_jT3_P12ihipStream_tbPNSt15iterator_traitsISI_E10value_typeEPNSO_ISJ_E10value_typeEPSK_NS1_7vsmem_tEENKUlT_SI_SJ_SK_E_clIPiSD_S10_SD_EESH_SX_SI_SJ_SK_EUlSX_E_NS1_11comp_targetILNS1_3genE8ELNS1_11target_archE1030ELNS1_3gpuE2ELNS1_3repE0EEENS1_48merge_mergepath_partition_config_static_selectorELNS0_4arch9wavefront6targetE0EEEvSJ_.kd
    .uniform_work_group_size: 1
    .uses_dynamic_stack: false
    .vgpr_count:     15
    .vgpr_spill_count: 0
    .wavefront_size: 32
    .workgroup_processor_mode: 1
  - .args:
      - .offset:         0
        .size:           64
        .value_kind:     by_value
    .group_segment_fixed_size: 0
    .kernarg_segment_align: 8
    .kernarg_segment_size: 64
    .language:       OpenCL C
    .language_version:
      - 2
      - 0
    .max_flat_workgroup_size: 256
    .name:           _ZN7rocprim17ROCPRIM_400000_NS6detail17trampoline_kernelINS0_14default_configENS1_38merge_sort_block_merge_config_selectorIiiEEZZNS1_27merge_sort_block_merge_implIS3_N6thrust23THRUST_200600_302600_NS6detail15normal_iteratorINS8_10device_ptrIiEEEESD_jNS1_19radix_merge_compareILb1ELb1EiNS0_19identity_decomposerEEEEE10hipError_tT0_T1_T2_jT3_P12ihipStream_tbPNSt15iterator_traitsISI_E10value_typeEPNSO_ISJ_E10value_typeEPSK_NS1_7vsmem_tEENKUlT_SI_SJ_SK_E_clIPiSD_S10_SD_EESH_SX_SI_SJ_SK_EUlSX_E0_NS1_11comp_targetILNS1_3genE0ELNS1_11target_archE4294967295ELNS1_3gpuE0ELNS1_3repE0EEENS1_38merge_mergepath_config_static_selectorELNS0_4arch9wavefront6targetE0EEEvSJ_
    .private_segment_fixed_size: 0
    .sgpr_count:     0
    .sgpr_spill_count: 0
    .symbol:         _ZN7rocprim17ROCPRIM_400000_NS6detail17trampoline_kernelINS0_14default_configENS1_38merge_sort_block_merge_config_selectorIiiEEZZNS1_27merge_sort_block_merge_implIS3_N6thrust23THRUST_200600_302600_NS6detail15normal_iteratorINS8_10device_ptrIiEEEESD_jNS1_19radix_merge_compareILb1ELb1EiNS0_19identity_decomposerEEEEE10hipError_tT0_T1_T2_jT3_P12ihipStream_tbPNSt15iterator_traitsISI_E10value_typeEPNSO_ISJ_E10value_typeEPSK_NS1_7vsmem_tEENKUlT_SI_SJ_SK_E_clIPiSD_S10_SD_EESH_SX_SI_SJ_SK_EUlSX_E0_NS1_11comp_targetILNS1_3genE0ELNS1_11target_archE4294967295ELNS1_3gpuE0ELNS1_3repE0EEENS1_38merge_mergepath_config_static_selectorELNS0_4arch9wavefront6targetE0EEEvSJ_.kd
    .uniform_work_group_size: 1
    .uses_dynamic_stack: false
    .vgpr_count:     0
    .vgpr_spill_count: 0
    .wavefront_size: 32
    .workgroup_processor_mode: 1
  - .args:
      - .offset:         0
        .size:           64
        .value_kind:     by_value
    .group_segment_fixed_size: 0
    .kernarg_segment_align: 8
    .kernarg_segment_size: 64
    .language:       OpenCL C
    .language_version:
      - 2
      - 0
    .max_flat_workgroup_size: 256
    .name:           _ZN7rocprim17ROCPRIM_400000_NS6detail17trampoline_kernelINS0_14default_configENS1_38merge_sort_block_merge_config_selectorIiiEEZZNS1_27merge_sort_block_merge_implIS3_N6thrust23THRUST_200600_302600_NS6detail15normal_iteratorINS8_10device_ptrIiEEEESD_jNS1_19radix_merge_compareILb1ELb1EiNS0_19identity_decomposerEEEEE10hipError_tT0_T1_T2_jT3_P12ihipStream_tbPNSt15iterator_traitsISI_E10value_typeEPNSO_ISJ_E10value_typeEPSK_NS1_7vsmem_tEENKUlT_SI_SJ_SK_E_clIPiSD_S10_SD_EESH_SX_SI_SJ_SK_EUlSX_E0_NS1_11comp_targetILNS1_3genE10ELNS1_11target_archE1201ELNS1_3gpuE5ELNS1_3repE0EEENS1_38merge_mergepath_config_static_selectorELNS0_4arch9wavefront6targetE0EEEvSJ_
    .private_segment_fixed_size: 0
    .sgpr_count:     0
    .sgpr_spill_count: 0
    .symbol:         _ZN7rocprim17ROCPRIM_400000_NS6detail17trampoline_kernelINS0_14default_configENS1_38merge_sort_block_merge_config_selectorIiiEEZZNS1_27merge_sort_block_merge_implIS3_N6thrust23THRUST_200600_302600_NS6detail15normal_iteratorINS8_10device_ptrIiEEEESD_jNS1_19radix_merge_compareILb1ELb1EiNS0_19identity_decomposerEEEEE10hipError_tT0_T1_T2_jT3_P12ihipStream_tbPNSt15iterator_traitsISI_E10value_typeEPNSO_ISJ_E10value_typeEPSK_NS1_7vsmem_tEENKUlT_SI_SJ_SK_E_clIPiSD_S10_SD_EESH_SX_SI_SJ_SK_EUlSX_E0_NS1_11comp_targetILNS1_3genE10ELNS1_11target_archE1201ELNS1_3gpuE5ELNS1_3repE0EEENS1_38merge_mergepath_config_static_selectorELNS0_4arch9wavefront6targetE0EEEvSJ_.kd
    .uniform_work_group_size: 1
    .uses_dynamic_stack: false
    .vgpr_count:     0
    .vgpr_spill_count: 0
    .wavefront_size: 32
    .workgroup_processor_mode: 1
  - .args:
      - .offset:         0
        .size:           64
        .value_kind:     by_value
    .group_segment_fixed_size: 0
    .kernarg_segment_align: 8
    .kernarg_segment_size: 64
    .language:       OpenCL C
    .language_version:
      - 2
      - 0
    .max_flat_workgroup_size: 128
    .name:           _ZN7rocprim17ROCPRIM_400000_NS6detail17trampoline_kernelINS0_14default_configENS1_38merge_sort_block_merge_config_selectorIiiEEZZNS1_27merge_sort_block_merge_implIS3_N6thrust23THRUST_200600_302600_NS6detail15normal_iteratorINS8_10device_ptrIiEEEESD_jNS1_19radix_merge_compareILb1ELb1EiNS0_19identity_decomposerEEEEE10hipError_tT0_T1_T2_jT3_P12ihipStream_tbPNSt15iterator_traitsISI_E10value_typeEPNSO_ISJ_E10value_typeEPSK_NS1_7vsmem_tEENKUlT_SI_SJ_SK_E_clIPiSD_S10_SD_EESH_SX_SI_SJ_SK_EUlSX_E0_NS1_11comp_targetILNS1_3genE5ELNS1_11target_archE942ELNS1_3gpuE9ELNS1_3repE0EEENS1_38merge_mergepath_config_static_selectorELNS0_4arch9wavefront6targetE0EEEvSJ_
    .private_segment_fixed_size: 0
    .sgpr_count:     0
    .sgpr_spill_count: 0
    .symbol:         _ZN7rocprim17ROCPRIM_400000_NS6detail17trampoline_kernelINS0_14default_configENS1_38merge_sort_block_merge_config_selectorIiiEEZZNS1_27merge_sort_block_merge_implIS3_N6thrust23THRUST_200600_302600_NS6detail15normal_iteratorINS8_10device_ptrIiEEEESD_jNS1_19radix_merge_compareILb1ELb1EiNS0_19identity_decomposerEEEEE10hipError_tT0_T1_T2_jT3_P12ihipStream_tbPNSt15iterator_traitsISI_E10value_typeEPNSO_ISJ_E10value_typeEPSK_NS1_7vsmem_tEENKUlT_SI_SJ_SK_E_clIPiSD_S10_SD_EESH_SX_SI_SJ_SK_EUlSX_E0_NS1_11comp_targetILNS1_3genE5ELNS1_11target_archE942ELNS1_3gpuE9ELNS1_3repE0EEENS1_38merge_mergepath_config_static_selectorELNS0_4arch9wavefront6targetE0EEEvSJ_.kd
    .uniform_work_group_size: 1
    .uses_dynamic_stack: false
    .vgpr_count:     0
    .vgpr_spill_count: 0
    .wavefront_size: 32
    .workgroup_processor_mode: 1
  - .args:
      - .offset:         0
        .size:           64
        .value_kind:     by_value
    .group_segment_fixed_size: 0
    .kernarg_segment_align: 8
    .kernarg_segment_size: 64
    .language:       OpenCL C
    .language_version:
      - 2
      - 0
    .max_flat_workgroup_size: 256
    .name:           _ZN7rocprim17ROCPRIM_400000_NS6detail17trampoline_kernelINS0_14default_configENS1_38merge_sort_block_merge_config_selectorIiiEEZZNS1_27merge_sort_block_merge_implIS3_N6thrust23THRUST_200600_302600_NS6detail15normal_iteratorINS8_10device_ptrIiEEEESD_jNS1_19radix_merge_compareILb1ELb1EiNS0_19identity_decomposerEEEEE10hipError_tT0_T1_T2_jT3_P12ihipStream_tbPNSt15iterator_traitsISI_E10value_typeEPNSO_ISJ_E10value_typeEPSK_NS1_7vsmem_tEENKUlT_SI_SJ_SK_E_clIPiSD_S10_SD_EESH_SX_SI_SJ_SK_EUlSX_E0_NS1_11comp_targetILNS1_3genE4ELNS1_11target_archE910ELNS1_3gpuE8ELNS1_3repE0EEENS1_38merge_mergepath_config_static_selectorELNS0_4arch9wavefront6targetE0EEEvSJ_
    .private_segment_fixed_size: 0
    .sgpr_count:     0
    .sgpr_spill_count: 0
    .symbol:         _ZN7rocprim17ROCPRIM_400000_NS6detail17trampoline_kernelINS0_14default_configENS1_38merge_sort_block_merge_config_selectorIiiEEZZNS1_27merge_sort_block_merge_implIS3_N6thrust23THRUST_200600_302600_NS6detail15normal_iteratorINS8_10device_ptrIiEEEESD_jNS1_19radix_merge_compareILb1ELb1EiNS0_19identity_decomposerEEEEE10hipError_tT0_T1_T2_jT3_P12ihipStream_tbPNSt15iterator_traitsISI_E10value_typeEPNSO_ISJ_E10value_typeEPSK_NS1_7vsmem_tEENKUlT_SI_SJ_SK_E_clIPiSD_S10_SD_EESH_SX_SI_SJ_SK_EUlSX_E0_NS1_11comp_targetILNS1_3genE4ELNS1_11target_archE910ELNS1_3gpuE8ELNS1_3repE0EEENS1_38merge_mergepath_config_static_selectorELNS0_4arch9wavefront6targetE0EEEvSJ_.kd
    .uniform_work_group_size: 1
    .uses_dynamic_stack: false
    .vgpr_count:     0
    .vgpr_spill_count: 0
    .wavefront_size: 32
    .workgroup_processor_mode: 1
  - .args:
      - .offset:         0
        .size:           64
        .value_kind:     by_value
    .group_segment_fixed_size: 0
    .kernarg_segment_align: 8
    .kernarg_segment_size: 64
    .language:       OpenCL C
    .language_version:
      - 2
      - 0
    .max_flat_workgroup_size: 256
    .name:           _ZN7rocprim17ROCPRIM_400000_NS6detail17trampoline_kernelINS0_14default_configENS1_38merge_sort_block_merge_config_selectorIiiEEZZNS1_27merge_sort_block_merge_implIS3_N6thrust23THRUST_200600_302600_NS6detail15normal_iteratorINS8_10device_ptrIiEEEESD_jNS1_19radix_merge_compareILb1ELb1EiNS0_19identity_decomposerEEEEE10hipError_tT0_T1_T2_jT3_P12ihipStream_tbPNSt15iterator_traitsISI_E10value_typeEPNSO_ISJ_E10value_typeEPSK_NS1_7vsmem_tEENKUlT_SI_SJ_SK_E_clIPiSD_S10_SD_EESH_SX_SI_SJ_SK_EUlSX_E0_NS1_11comp_targetILNS1_3genE3ELNS1_11target_archE908ELNS1_3gpuE7ELNS1_3repE0EEENS1_38merge_mergepath_config_static_selectorELNS0_4arch9wavefront6targetE0EEEvSJ_
    .private_segment_fixed_size: 0
    .sgpr_count:     0
    .sgpr_spill_count: 0
    .symbol:         _ZN7rocprim17ROCPRIM_400000_NS6detail17trampoline_kernelINS0_14default_configENS1_38merge_sort_block_merge_config_selectorIiiEEZZNS1_27merge_sort_block_merge_implIS3_N6thrust23THRUST_200600_302600_NS6detail15normal_iteratorINS8_10device_ptrIiEEEESD_jNS1_19radix_merge_compareILb1ELb1EiNS0_19identity_decomposerEEEEE10hipError_tT0_T1_T2_jT3_P12ihipStream_tbPNSt15iterator_traitsISI_E10value_typeEPNSO_ISJ_E10value_typeEPSK_NS1_7vsmem_tEENKUlT_SI_SJ_SK_E_clIPiSD_S10_SD_EESH_SX_SI_SJ_SK_EUlSX_E0_NS1_11comp_targetILNS1_3genE3ELNS1_11target_archE908ELNS1_3gpuE7ELNS1_3repE0EEENS1_38merge_mergepath_config_static_selectorELNS0_4arch9wavefront6targetE0EEEvSJ_.kd
    .uniform_work_group_size: 1
    .uses_dynamic_stack: false
    .vgpr_count:     0
    .vgpr_spill_count: 0
    .wavefront_size: 32
    .workgroup_processor_mode: 1
  - .args:
      - .offset:         0
        .size:           64
        .value_kind:     by_value
    .group_segment_fixed_size: 0
    .kernarg_segment_align: 8
    .kernarg_segment_size: 64
    .language:       OpenCL C
    .language_version:
      - 2
      - 0
    .max_flat_workgroup_size: 256
    .name:           _ZN7rocprim17ROCPRIM_400000_NS6detail17trampoline_kernelINS0_14default_configENS1_38merge_sort_block_merge_config_selectorIiiEEZZNS1_27merge_sort_block_merge_implIS3_N6thrust23THRUST_200600_302600_NS6detail15normal_iteratorINS8_10device_ptrIiEEEESD_jNS1_19radix_merge_compareILb1ELb1EiNS0_19identity_decomposerEEEEE10hipError_tT0_T1_T2_jT3_P12ihipStream_tbPNSt15iterator_traitsISI_E10value_typeEPNSO_ISJ_E10value_typeEPSK_NS1_7vsmem_tEENKUlT_SI_SJ_SK_E_clIPiSD_S10_SD_EESH_SX_SI_SJ_SK_EUlSX_E0_NS1_11comp_targetILNS1_3genE2ELNS1_11target_archE906ELNS1_3gpuE6ELNS1_3repE0EEENS1_38merge_mergepath_config_static_selectorELNS0_4arch9wavefront6targetE0EEEvSJ_
    .private_segment_fixed_size: 0
    .sgpr_count:     0
    .sgpr_spill_count: 0
    .symbol:         _ZN7rocprim17ROCPRIM_400000_NS6detail17trampoline_kernelINS0_14default_configENS1_38merge_sort_block_merge_config_selectorIiiEEZZNS1_27merge_sort_block_merge_implIS3_N6thrust23THRUST_200600_302600_NS6detail15normal_iteratorINS8_10device_ptrIiEEEESD_jNS1_19radix_merge_compareILb1ELb1EiNS0_19identity_decomposerEEEEE10hipError_tT0_T1_T2_jT3_P12ihipStream_tbPNSt15iterator_traitsISI_E10value_typeEPNSO_ISJ_E10value_typeEPSK_NS1_7vsmem_tEENKUlT_SI_SJ_SK_E_clIPiSD_S10_SD_EESH_SX_SI_SJ_SK_EUlSX_E0_NS1_11comp_targetILNS1_3genE2ELNS1_11target_archE906ELNS1_3gpuE6ELNS1_3repE0EEENS1_38merge_mergepath_config_static_selectorELNS0_4arch9wavefront6targetE0EEEvSJ_.kd
    .uniform_work_group_size: 1
    .uses_dynamic_stack: false
    .vgpr_count:     0
    .vgpr_spill_count: 0
    .wavefront_size: 32
    .workgroup_processor_mode: 1
  - .args:
      - .offset:         0
        .size:           64
        .value_kind:     by_value
    .group_segment_fixed_size: 0
    .kernarg_segment_align: 8
    .kernarg_segment_size: 64
    .language:       OpenCL C
    .language_version:
      - 2
      - 0
    .max_flat_workgroup_size: 512
    .name:           _ZN7rocprim17ROCPRIM_400000_NS6detail17trampoline_kernelINS0_14default_configENS1_38merge_sort_block_merge_config_selectorIiiEEZZNS1_27merge_sort_block_merge_implIS3_N6thrust23THRUST_200600_302600_NS6detail15normal_iteratorINS8_10device_ptrIiEEEESD_jNS1_19radix_merge_compareILb1ELb1EiNS0_19identity_decomposerEEEEE10hipError_tT0_T1_T2_jT3_P12ihipStream_tbPNSt15iterator_traitsISI_E10value_typeEPNSO_ISJ_E10value_typeEPSK_NS1_7vsmem_tEENKUlT_SI_SJ_SK_E_clIPiSD_S10_SD_EESH_SX_SI_SJ_SK_EUlSX_E0_NS1_11comp_targetILNS1_3genE9ELNS1_11target_archE1100ELNS1_3gpuE3ELNS1_3repE0EEENS1_38merge_mergepath_config_static_selectorELNS0_4arch9wavefront6targetE0EEEvSJ_
    .private_segment_fixed_size: 0
    .sgpr_count:     0
    .sgpr_spill_count: 0
    .symbol:         _ZN7rocprim17ROCPRIM_400000_NS6detail17trampoline_kernelINS0_14default_configENS1_38merge_sort_block_merge_config_selectorIiiEEZZNS1_27merge_sort_block_merge_implIS3_N6thrust23THRUST_200600_302600_NS6detail15normal_iteratorINS8_10device_ptrIiEEEESD_jNS1_19radix_merge_compareILb1ELb1EiNS0_19identity_decomposerEEEEE10hipError_tT0_T1_T2_jT3_P12ihipStream_tbPNSt15iterator_traitsISI_E10value_typeEPNSO_ISJ_E10value_typeEPSK_NS1_7vsmem_tEENKUlT_SI_SJ_SK_E_clIPiSD_S10_SD_EESH_SX_SI_SJ_SK_EUlSX_E0_NS1_11comp_targetILNS1_3genE9ELNS1_11target_archE1100ELNS1_3gpuE3ELNS1_3repE0EEENS1_38merge_mergepath_config_static_selectorELNS0_4arch9wavefront6targetE0EEEvSJ_.kd
    .uniform_work_group_size: 1
    .uses_dynamic_stack: false
    .vgpr_count:     0
    .vgpr_spill_count: 0
    .wavefront_size: 32
    .workgroup_processor_mode: 1
  - .args:
      - .offset:         0
        .size:           64
        .value_kind:     by_value
      - .offset:         64
        .size:           4
        .value_kind:     hidden_block_count_x
      - .offset:         68
        .size:           4
        .value_kind:     hidden_block_count_y
      - .offset:         72
        .size:           4
        .value_kind:     hidden_block_count_z
      - .offset:         76
        .size:           2
        .value_kind:     hidden_group_size_x
      - .offset:         78
        .size:           2
        .value_kind:     hidden_group_size_y
      - .offset:         80
        .size:           2
        .value_kind:     hidden_group_size_z
      - .offset:         82
        .size:           2
        .value_kind:     hidden_remainder_x
      - .offset:         84
        .size:           2
        .value_kind:     hidden_remainder_y
      - .offset:         86
        .size:           2
        .value_kind:     hidden_remainder_z
      - .offset:         104
        .size:           8
        .value_kind:     hidden_global_offset_x
      - .offset:         112
        .size:           8
        .value_kind:     hidden_global_offset_y
      - .offset:         120
        .size:           8
        .value_kind:     hidden_global_offset_z
      - .offset:         128
        .size:           2
        .value_kind:     hidden_grid_dims
    .group_segment_fixed_size: 4112
    .kernarg_segment_align: 8
    .kernarg_segment_size: 320
    .language:       OpenCL C
    .language_version:
      - 2
      - 0
    .max_flat_workgroup_size: 1024
    .name:           _ZN7rocprim17ROCPRIM_400000_NS6detail17trampoline_kernelINS0_14default_configENS1_38merge_sort_block_merge_config_selectorIiiEEZZNS1_27merge_sort_block_merge_implIS3_N6thrust23THRUST_200600_302600_NS6detail15normal_iteratorINS8_10device_ptrIiEEEESD_jNS1_19radix_merge_compareILb1ELb1EiNS0_19identity_decomposerEEEEE10hipError_tT0_T1_T2_jT3_P12ihipStream_tbPNSt15iterator_traitsISI_E10value_typeEPNSO_ISJ_E10value_typeEPSK_NS1_7vsmem_tEENKUlT_SI_SJ_SK_E_clIPiSD_S10_SD_EESH_SX_SI_SJ_SK_EUlSX_E0_NS1_11comp_targetILNS1_3genE8ELNS1_11target_archE1030ELNS1_3gpuE2ELNS1_3repE0EEENS1_38merge_mergepath_config_static_selectorELNS0_4arch9wavefront6targetE0EEEvSJ_
    .private_segment_fixed_size: 0
    .sgpr_count:     26
    .sgpr_spill_count: 0
    .symbol:         _ZN7rocprim17ROCPRIM_400000_NS6detail17trampoline_kernelINS0_14default_configENS1_38merge_sort_block_merge_config_selectorIiiEEZZNS1_27merge_sort_block_merge_implIS3_N6thrust23THRUST_200600_302600_NS6detail15normal_iteratorINS8_10device_ptrIiEEEESD_jNS1_19radix_merge_compareILb1ELb1EiNS0_19identity_decomposerEEEEE10hipError_tT0_T1_T2_jT3_P12ihipStream_tbPNSt15iterator_traitsISI_E10value_typeEPNSO_ISJ_E10value_typeEPSK_NS1_7vsmem_tEENKUlT_SI_SJ_SK_E_clIPiSD_S10_SD_EESH_SX_SI_SJ_SK_EUlSX_E0_NS1_11comp_targetILNS1_3genE8ELNS1_11target_archE1030ELNS1_3gpuE2ELNS1_3repE0EEENS1_38merge_mergepath_config_static_selectorELNS0_4arch9wavefront6targetE0EEEvSJ_.kd
    .uniform_work_group_size: 1
    .uses_dynamic_stack: false
    .vgpr_count:     12
    .vgpr_spill_count: 0
    .wavefront_size: 32
    .workgroup_processor_mode: 1
  - .args:
      - .offset:         0
        .size:           48
        .value_kind:     by_value
    .group_segment_fixed_size: 0
    .kernarg_segment_align: 8
    .kernarg_segment_size: 48
    .language:       OpenCL C
    .language_version:
      - 2
      - 0
    .max_flat_workgroup_size: 256
    .name:           _ZN7rocprim17ROCPRIM_400000_NS6detail17trampoline_kernelINS0_14default_configENS1_38merge_sort_block_merge_config_selectorIiiEEZZNS1_27merge_sort_block_merge_implIS3_N6thrust23THRUST_200600_302600_NS6detail15normal_iteratorINS8_10device_ptrIiEEEESD_jNS1_19radix_merge_compareILb1ELb1EiNS0_19identity_decomposerEEEEE10hipError_tT0_T1_T2_jT3_P12ihipStream_tbPNSt15iterator_traitsISI_E10value_typeEPNSO_ISJ_E10value_typeEPSK_NS1_7vsmem_tEENKUlT_SI_SJ_SK_E_clIPiSD_S10_SD_EESH_SX_SI_SJ_SK_EUlSX_E1_NS1_11comp_targetILNS1_3genE0ELNS1_11target_archE4294967295ELNS1_3gpuE0ELNS1_3repE0EEENS1_36merge_oddeven_config_static_selectorELNS0_4arch9wavefront6targetE0EEEvSJ_
    .private_segment_fixed_size: 0
    .sgpr_count:     0
    .sgpr_spill_count: 0
    .symbol:         _ZN7rocprim17ROCPRIM_400000_NS6detail17trampoline_kernelINS0_14default_configENS1_38merge_sort_block_merge_config_selectorIiiEEZZNS1_27merge_sort_block_merge_implIS3_N6thrust23THRUST_200600_302600_NS6detail15normal_iteratorINS8_10device_ptrIiEEEESD_jNS1_19radix_merge_compareILb1ELb1EiNS0_19identity_decomposerEEEEE10hipError_tT0_T1_T2_jT3_P12ihipStream_tbPNSt15iterator_traitsISI_E10value_typeEPNSO_ISJ_E10value_typeEPSK_NS1_7vsmem_tEENKUlT_SI_SJ_SK_E_clIPiSD_S10_SD_EESH_SX_SI_SJ_SK_EUlSX_E1_NS1_11comp_targetILNS1_3genE0ELNS1_11target_archE4294967295ELNS1_3gpuE0ELNS1_3repE0EEENS1_36merge_oddeven_config_static_selectorELNS0_4arch9wavefront6targetE0EEEvSJ_.kd
    .uniform_work_group_size: 1
    .uses_dynamic_stack: false
    .vgpr_count:     0
    .vgpr_spill_count: 0
    .wavefront_size: 32
    .workgroup_processor_mode: 1
  - .args:
      - .offset:         0
        .size:           48
        .value_kind:     by_value
    .group_segment_fixed_size: 0
    .kernarg_segment_align: 8
    .kernarg_segment_size: 48
    .language:       OpenCL C
    .language_version:
      - 2
      - 0
    .max_flat_workgroup_size: 256
    .name:           _ZN7rocprim17ROCPRIM_400000_NS6detail17trampoline_kernelINS0_14default_configENS1_38merge_sort_block_merge_config_selectorIiiEEZZNS1_27merge_sort_block_merge_implIS3_N6thrust23THRUST_200600_302600_NS6detail15normal_iteratorINS8_10device_ptrIiEEEESD_jNS1_19radix_merge_compareILb1ELb1EiNS0_19identity_decomposerEEEEE10hipError_tT0_T1_T2_jT3_P12ihipStream_tbPNSt15iterator_traitsISI_E10value_typeEPNSO_ISJ_E10value_typeEPSK_NS1_7vsmem_tEENKUlT_SI_SJ_SK_E_clIPiSD_S10_SD_EESH_SX_SI_SJ_SK_EUlSX_E1_NS1_11comp_targetILNS1_3genE10ELNS1_11target_archE1201ELNS1_3gpuE5ELNS1_3repE0EEENS1_36merge_oddeven_config_static_selectorELNS0_4arch9wavefront6targetE0EEEvSJ_
    .private_segment_fixed_size: 0
    .sgpr_count:     0
    .sgpr_spill_count: 0
    .symbol:         _ZN7rocprim17ROCPRIM_400000_NS6detail17trampoline_kernelINS0_14default_configENS1_38merge_sort_block_merge_config_selectorIiiEEZZNS1_27merge_sort_block_merge_implIS3_N6thrust23THRUST_200600_302600_NS6detail15normal_iteratorINS8_10device_ptrIiEEEESD_jNS1_19radix_merge_compareILb1ELb1EiNS0_19identity_decomposerEEEEE10hipError_tT0_T1_T2_jT3_P12ihipStream_tbPNSt15iterator_traitsISI_E10value_typeEPNSO_ISJ_E10value_typeEPSK_NS1_7vsmem_tEENKUlT_SI_SJ_SK_E_clIPiSD_S10_SD_EESH_SX_SI_SJ_SK_EUlSX_E1_NS1_11comp_targetILNS1_3genE10ELNS1_11target_archE1201ELNS1_3gpuE5ELNS1_3repE0EEENS1_36merge_oddeven_config_static_selectorELNS0_4arch9wavefront6targetE0EEEvSJ_.kd
    .uniform_work_group_size: 1
    .uses_dynamic_stack: false
    .vgpr_count:     0
    .vgpr_spill_count: 0
    .wavefront_size: 32
    .workgroup_processor_mode: 1
  - .args:
      - .offset:         0
        .size:           48
        .value_kind:     by_value
    .group_segment_fixed_size: 0
    .kernarg_segment_align: 8
    .kernarg_segment_size: 48
    .language:       OpenCL C
    .language_version:
      - 2
      - 0
    .max_flat_workgroup_size: 256
    .name:           _ZN7rocprim17ROCPRIM_400000_NS6detail17trampoline_kernelINS0_14default_configENS1_38merge_sort_block_merge_config_selectorIiiEEZZNS1_27merge_sort_block_merge_implIS3_N6thrust23THRUST_200600_302600_NS6detail15normal_iteratorINS8_10device_ptrIiEEEESD_jNS1_19radix_merge_compareILb1ELb1EiNS0_19identity_decomposerEEEEE10hipError_tT0_T1_T2_jT3_P12ihipStream_tbPNSt15iterator_traitsISI_E10value_typeEPNSO_ISJ_E10value_typeEPSK_NS1_7vsmem_tEENKUlT_SI_SJ_SK_E_clIPiSD_S10_SD_EESH_SX_SI_SJ_SK_EUlSX_E1_NS1_11comp_targetILNS1_3genE5ELNS1_11target_archE942ELNS1_3gpuE9ELNS1_3repE0EEENS1_36merge_oddeven_config_static_selectorELNS0_4arch9wavefront6targetE0EEEvSJ_
    .private_segment_fixed_size: 0
    .sgpr_count:     0
    .sgpr_spill_count: 0
    .symbol:         _ZN7rocprim17ROCPRIM_400000_NS6detail17trampoline_kernelINS0_14default_configENS1_38merge_sort_block_merge_config_selectorIiiEEZZNS1_27merge_sort_block_merge_implIS3_N6thrust23THRUST_200600_302600_NS6detail15normal_iteratorINS8_10device_ptrIiEEEESD_jNS1_19radix_merge_compareILb1ELb1EiNS0_19identity_decomposerEEEEE10hipError_tT0_T1_T2_jT3_P12ihipStream_tbPNSt15iterator_traitsISI_E10value_typeEPNSO_ISJ_E10value_typeEPSK_NS1_7vsmem_tEENKUlT_SI_SJ_SK_E_clIPiSD_S10_SD_EESH_SX_SI_SJ_SK_EUlSX_E1_NS1_11comp_targetILNS1_3genE5ELNS1_11target_archE942ELNS1_3gpuE9ELNS1_3repE0EEENS1_36merge_oddeven_config_static_selectorELNS0_4arch9wavefront6targetE0EEEvSJ_.kd
    .uniform_work_group_size: 1
    .uses_dynamic_stack: false
    .vgpr_count:     0
    .vgpr_spill_count: 0
    .wavefront_size: 32
    .workgroup_processor_mode: 1
  - .args:
      - .offset:         0
        .size:           48
        .value_kind:     by_value
    .group_segment_fixed_size: 0
    .kernarg_segment_align: 8
    .kernarg_segment_size: 48
    .language:       OpenCL C
    .language_version:
      - 2
      - 0
    .max_flat_workgroup_size: 256
    .name:           _ZN7rocprim17ROCPRIM_400000_NS6detail17trampoline_kernelINS0_14default_configENS1_38merge_sort_block_merge_config_selectorIiiEEZZNS1_27merge_sort_block_merge_implIS3_N6thrust23THRUST_200600_302600_NS6detail15normal_iteratorINS8_10device_ptrIiEEEESD_jNS1_19radix_merge_compareILb1ELb1EiNS0_19identity_decomposerEEEEE10hipError_tT0_T1_T2_jT3_P12ihipStream_tbPNSt15iterator_traitsISI_E10value_typeEPNSO_ISJ_E10value_typeEPSK_NS1_7vsmem_tEENKUlT_SI_SJ_SK_E_clIPiSD_S10_SD_EESH_SX_SI_SJ_SK_EUlSX_E1_NS1_11comp_targetILNS1_3genE4ELNS1_11target_archE910ELNS1_3gpuE8ELNS1_3repE0EEENS1_36merge_oddeven_config_static_selectorELNS0_4arch9wavefront6targetE0EEEvSJ_
    .private_segment_fixed_size: 0
    .sgpr_count:     0
    .sgpr_spill_count: 0
    .symbol:         _ZN7rocprim17ROCPRIM_400000_NS6detail17trampoline_kernelINS0_14default_configENS1_38merge_sort_block_merge_config_selectorIiiEEZZNS1_27merge_sort_block_merge_implIS3_N6thrust23THRUST_200600_302600_NS6detail15normal_iteratorINS8_10device_ptrIiEEEESD_jNS1_19radix_merge_compareILb1ELb1EiNS0_19identity_decomposerEEEEE10hipError_tT0_T1_T2_jT3_P12ihipStream_tbPNSt15iterator_traitsISI_E10value_typeEPNSO_ISJ_E10value_typeEPSK_NS1_7vsmem_tEENKUlT_SI_SJ_SK_E_clIPiSD_S10_SD_EESH_SX_SI_SJ_SK_EUlSX_E1_NS1_11comp_targetILNS1_3genE4ELNS1_11target_archE910ELNS1_3gpuE8ELNS1_3repE0EEENS1_36merge_oddeven_config_static_selectorELNS0_4arch9wavefront6targetE0EEEvSJ_.kd
    .uniform_work_group_size: 1
    .uses_dynamic_stack: false
    .vgpr_count:     0
    .vgpr_spill_count: 0
    .wavefront_size: 32
    .workgroup_processor_mode: 1
  - .args:
      - .offset:         0
        .size:           48
        .value_kind:     by_value
    .group_segment_fixed_size: 0
    .kernarg_segment_align: 8
    .kernarg_segment_size: 48
    .language:       OpenCL C
    .language_version:
      - 2
      - 0
    .max_flat_workgroup_size: 256
    .name:           _ZN7rocprim17ROCPRIM_400000_NS6detail17trampoline_kernelINS0_14default_configENS1_38merge_sort_block_merge_config_selectorIiiEEZZNS1_27merge_sort_block_merge_implIS3_N6thrust23THRUST_200600_302600_NS6detail15normal_iteratorINS8_10device_ptrIiEEEESD_jNS1_19radix_merge_compareILb1ELb1EiNS0_19identity_decomposerEEEEE10hipError_tT0_T1_T2_jT3_P12ihipStream_tbPNSt15iterator_traitsISI_E10value_typeEPNSO_ISJ_E10value_typeEPSK_NS1_7vsmem_tEENKUlT_SI_SJ_SK_E_clIPiSD_S10_SD_EESH_SX_SI_SJ_SK_EUlSX_E1_NS1_11comp_targetILNS1_3genE3ELNS1_11target_archE908ELNS1_3gpuE7ELNS1_3repE0EEENS1_36merge_oddeven_config_static_selectorELNS0_4arch9wavefront6targetE0EEEvSJ_
    .private_segment_fixed_size: 0
    .sgpr_count:     0
    .sgpr_spill_count: 0
    .symbol:         _ZN7rocprim17ROCPRIM_400000_NS6detail17trampoline_kernelINS0_14default_configENS1_38merge_sort_block_merge_config_selectorIiiEEZZNS1_27merge_sort_block_merge_implIS3_N6thrust23THRUST_200600_302600_NS6detail15normal_iteratorINS8_10device_ptrIiEEEESD_jNS1_19radix_merge_compareILb1ELb1EiNS0_19identity_decomposerEEEEE10hipError_tT0_T1_T2_jT3_P12ihipStream_tbPNSt15iterator_traitsISI_E10value_typeEPNSO_ISJ_E10value_typeEPSK_NS1_7vsmem_tEENKUlT_SI_SJ_SK_E_clIPiSD_S10_SD_EESH_SX_SI_SJ_SK_EUlSX_E1_NS1_11comp_targetILNS1_3genE3ELNS1_11target_archE908ELNS1_3gpuE7ELNS1_3repE0EEENS1_36merge_oddeven_config_static_selectorELNS0_4arch9wavefront6targetE0EEEvSJ_.kd
    .uniform_work_group_size: 1
    .uses_dynamic_stack: false
    .vgpr_count:     0
    .vgpr_spill_count: 0
    .wavefront_size: 32
    .workgroup_processor_mode: 1
  - .args:
      - .offset:         0
        .size:           48
        .value_kind:     by_value
    .group_segment_fixed_size: 0
    .kernarg_segment_align: 8
    .kernarg_segment_size: 48
    .language:       OpenCL C
    .language_version:
      - 2
      - 0
    .max_flat_workgroup_size: 256
    .name:           _ZN7rocprim17ROCPRIM_400000_NS6detail17trampoline_kernelINS0_14default_configENS1_38merge_sort_block_merge_config_selectorIiiEEZZNS1_27merge_sort_block_merge_implIS3_N6thrust23THRUST_200600_302600_NS6detail15normal_iteratorINS8_10device_ptrIiEEEESD_jNS1_19radix_merge_compareILb1ELb1EiNS0_19identity_decomposerEEEEE10hipError_tT0_T1_T2_jT3_P12ihipStream_tbPNSt15iterator_traitsISI_E10value_typeEPNSO_ISJ_E10value_typeEPSK_NS1_7vsmem_tEENKUlT_SI_SJ_SK_E_clIPiSD_S10_SD_EESH_SX_SI_SJ_SK_EUlSX_E1_NS1_11comp_targetILNS1_3genE2ELNS1_11target_archE906ELNS1_3gpuE6ELNS1_3repE0EEENS1_36merge_oddeven_config_static_selectorELNS0_4arch9wavefront6targetE0EEEvSJ_
    .private_segment_fixed_size: 0
    .sgpr_count:     0
    .sgpr_spill_count: 0
    .symbol:         _ZN7rocprim17ROCPRIM_400000_NS6detail17trampoline_kernelINS0_14default_configENS1_38merge_sort_block_merge_config_selectorIiiEEZZNS1_27merge_sort_block_merge_implIS3_N6thrust23THRUST_200600_302600_NS6detail15normal_iteratorINS8_10device_ptrIiEEEESD_jNS1_19radix_merge_compareILb1ELb1EiNS0_19identity_decomposerEEEEE10hipError_tT0_T1_T2_jT3_P12ihipStream_tbPNSt15iterator_traitsISI_E10value_typeEPNSO_ISJ_E10value_typeEPSK_NS1_7vsmem_tEENKUlT_SI_SJ_SK_E_clIPiSD_S10_SD_EESH_SX_SI_SJ_SK_EUlSX_E1_NS1_11comp_targetILNS1_3genE2ELNS1_11target_archE906ELNS1_3gpuE6ELNS1_3repE0EEENS1_36merge_oddeven_config_static_selectorELNS0_4arch9wavefront6targetE0EEEvSJ_.kd
    .uniform_work_group_size: 1
    .uses_dynamic_stack: false
    .vgpr_count:     0
    .vgpr_spill_count: 0
    .wavefront_size: 32
    .workgroup_processor_mode: 1
  - .args:
      - .offset:         0
        .size:           48
        .value_kind:     by_value
    .group_segment_fixed_size: 0
    .kernarg_segment_align: 8
    .kernarg_segment_size: 48
    .language:       OpenCL C
    .language_version:
      - 2
      - 0
    .max_flat_workgroup_size: 256
    .name:           _ZN7rocprim17ROCPRIM_400000_NS6detail17trampoline_kernelINS0_14default_configENS1_38merge_sort_block_merge_config_selectorIiiEEZZNS1_27merge_sort_block_merge_implIS3_N6thrust23THRUST_200600_302600_NS6detail15normal_iteratorINS8_10device_ptrIiEEEESD_jNS1_19radix_merge_compareILb1ELb1EiNS0_19identity_decomposerEEEEE10hipError_tT0_T1_T2_jT3_P12ihipStream_tbPNSt15iterator_traitsISI_E10value_typeEPNSO_ISJ_E10value_typeEPSK_NS1_7vsmem_tEENKUlT_SI_SJ_SK_E_clIPiSD_S10_SD_EESH_SX_SI_SJ_SK_EUlSX_E1_NS1_11comp_targetILNS1_3genE9ELNS1_11target_archE1100ELNS1_3gpuE3ELNS1_3repE0EEENS1_36merge_oddeven_config_static_selectorELNS0_4arch9wavefront6targetE0EEEvSJ_
    .private_segment_fixed_size: 0
    .sgpr_count:     0
    .sgpr_spill_count: 0
    .symbol:         _ZN7rocprim17ROCPRIM_400000_NS6detail17trampoline_kernelINS0_14default_configENS1_38merge_sort_block_merge_config_selectorIiiEEZZNS1_27merge_sort_block_merge_implIS3_N6thrust23THRUST_200600_302600_NS6detail15normal_iteratorINS8_10device_ptrIiEEEESD_jNS1_19radix_merge_compareILb1ELb1EiNS0_19identity_decomposerEEEEE10hipError_tT0_T1_T2_jT3_P12ihipStream_tbPNSt15iterator_traitsISI_E10value_typeEPNSO_ISJ_E10value_typeEPSK_NS1_7vsmem_tEENKUlT_SI_SJ_SK_E_clIPiSD_S10_SD_EESH_SX_SI_SJ_SK_EUlSX_E1_NS1_11comp_targetILNS1_3genE9ELNS1_11target_archE1100ELNS1_3gpuE3ELNS1_3repE0EEENS1_36merge_oddeven_config_static_selectorELNS0_4arch9wavefront6targetE0EEEvSJ_.kd
    .uniform_work_group_size: 1
    .uses_dynamic_stack: false
    .vgpr_count:     0
    .vgpr_spill_count: 0
    .wavefront_size: 32
    .workgroup_processor_mode: 1
  - .args:
      - .offset:         0
        .size:           48
        .value_kind:     by_value
    .group_segment_fixed_size: 0
    .kernarg_segment_align: 8
    .kernarg_segment_size: 48
    .language:       OpenCL C
    .language_version:
      - 2
      - 0
    .max_flat_workgroup_size: 256
    .name:           _ZN7rocprim17ROCPRIM_400000_NS6detail17trampoline_kernelINS0_14default_configENS1_38merge_sort_block_merge_config_selectorIiiEEZZNS1_27merge_sort_block_merge_implIS3_N6thrust23THRUST_200600_302600_NS6detail15normal_iteratorINS8_10device_ptrIiEEEESD_jNS1_19radix_merge_compareILb1ELb1EiNS0_19identity_decomposerEEEEE10hipError_tT0_T1_T2_jT3_P12ihipStream_tbPNSt15iterator_traitsISI_E10value_typeEPNSO_ISJ_E10value_typeEPSK_NS1_7vsmem_tEENKUlT_SI_SJ_SK_E_clIPiSD_S10_SD_EESH_SX_SI_SJ_SK_EUlSX_E1_NS1_11comp_targetILNS1_3genE8ELNS1_11target_archE1030ELNS1_3gpuE2ELNS1_3repE0EEENS1_36merge_oddeven_config_static_selectorELNS0_4arch9wavefront6targetE0EEEvSJ_
    .private_segment_fixed_size: 0
    .sgpr_count:     24
    .sgpr_spill_count: 0
    .symbol:         _ZN7rocprim17ROCPRIM_400000_NS6detail17trampoline_kernelINS0_14default_configENS1_38merge_sort_block_merge_config_selectorIiiEEZZNS1_27merge_sort_block_merge_implIS3_N6thrust23THRUST_200600_302600_NS6detail15normal_iteratorINS8_10device_ptrIiEEEESD_jNS1_19radix_merge_compareILb1ELb1EiNS0_19identity_decomposerEEEEE10hipError_tT0_T1_T2_jT3_P12ihipStream_tbPNSt15iterator_traitsISI_E10value_typeEPNSO_ISJ_E10value_typeEPSK_NS1_7vsmem_tEENKUlT_SI_SJ_SK_E_clIPiSD_S10_SD_EESH_SX_SI_SJ_SK_EUlSX_E1_NS1_11comp_targetILNS1_3genE8ELNS1_11target_archE1030ELNS1_3gpuE2ELNS1_3repE0EEENS1_36merge_oddeven_config_static_selectorELNS0_4arch9wavefront6targetE0EEEvSJ_.kd
    .uniform_work_group_size: 1
    .uses_dynamic_stack: false
    .vgpr_count:     10
    .vgpr_spill_count: 0
    .wavefront_size: 32
    .workgroup_processor_mode: 1
  - .args:
      - .offset:         0
        .size:           40
        .value_kind:     by_value
    .group_segment_fixed_size: 0
    .kernarg_segment_align: 8
    .kernarg_segment_size: 40
    .language:       OpenCL C
    .language_version:
      - 2
      - 0
    .max_flat_workgroup_size: 128
    .name:           _ZN7rocprim17ROCPRIM_400000_NS6detail17trampoline_kernelINS0_14default_configENS1_38merge_sort_block_merge_config_selectorIiiEEZZNS1_27merge_sort_block_merge_implIS3_N6thrust23THRUST_200600_302600_NS6detail15normal_iteratorINS8_10device_ptrIiEEEESD_jNS1_19radix_merge_compareILb1ELb1EiNS0_19identity_decomposerEEEEE10hipError_tT0_T1_T2_jT3_P12ihipStream_tbPNSt15iterator_traitsISI_E10value_typeEPNSO_ISJ_E10value_typeEPSK_NS1_7vsmem_tEENKUlT_SI_SJ_SK_E_clISD_PiSD_S10_EESH_SX_SI_SJ_SK_EUlSX_E_NS1_11comp_targetILNS1_3genE0ELNS1_11target_archE4294967295ELNS1_3gpuE0ELNS1_3repE0EEENS1_48merge_mergepath_partition_config_static_selectorELNS0_4arch9wavefront6targetE0EEEvSJ_
    .private_segment_fixed_size: 0
    .sgpr_count:     0
    .sgpr_spill_count: 0
    .symbol:         _ZN7rocprim17ROCPRIM_400000_NS6detail17trampoline_kernelINS0_14default_configENS1_38merge_sort_block_merge_config_selectorIiiEEZZNS1_27merge_sort_block_merge_implIS3_N6thrust23THRUST_200600_302600_NS6detail15normal_iteratorINS8_10device_ptrIiEEEESD_jNS1_19radix_merge_compareILb1ELb1EiNS0_19identity_decomposerEEEEE10hipError_tT0_T1_T2_jT3_P12ihipStream_tbPNSt15iterator_traitsISI_E10value_typeEPNSO_ISJ_E10value_typeEPSK_NS1_7vsmem_tEENKUlT_SI_SJ_SK_E_clISD_PiSD_S10_EESH_SX_SI_SJ_SK_EUlSX_E_NS1_11comp_targetILNS1_3genE0ELNS1_11target_archE4294967295ELNS1_3gpuE0ELNS1_3repE0EEENS1_48merge_mergepath_partition_config_static_selectorELNS0_4arch9wavefront6targetE0EEEvSJ_.kd
    .uniform_work_group_size: 1
    .uses_dynamic_stack: false
    .vgpr_count:     0
    .vgpr_spill_count: 0
    .wavefront_size: 32
    .workgroup_processor_mode: 1
  - .args:
      - .offset:         0
        .size:           40
        .value_kind:     by_value
    .group_segment_fixed_size: 0
    .kernarg_segment_align: 8
    .kernarg_segment_size: 40
    .language:       OpenCL C
    .language_version:
      - 2
      - 0
    .max_flat_workgroup_size: 128
    .name:           _ZN7rocprim17ROCPRIM_400000_NS6detail17trampoline_kernelINS0_14default_configENS1_38merge_sort_block_merge_config_selectorIiiEEZZNS1_27merge_sort_block_merge_implIS3_N6thrust23THRUST_200600_302600_NS6detail15normal_iteratorINS8_10device_ptrIiEEEESD_jNS1_19radix_merge_compareILb1ELb1EiNS0_19identity_decomposerEEEEE10hipError_tT0_T1_T2_jT3_P12ihipStream_tbPNSt15iterator_traitsISI_E10value_typeEPNSO_ISJ_E10value_typeEPSK_NS1_7vsmem_tEENKUlT_SI_SJ_SK_E_clISD_PiSD_S10_EESH_SX_SI_SJ_SK_EUlSX_E_NS1_11comp_targetILNS1_3genE10ELNS1_11target_archE1201ELNS1_3gpuE5ELNS1_3repE0EEENS1_48merge_mergepath_partition_config_static_selectorELNS0_4arch9wavefront6targetE0EEEvSJ_
    .private_segment_fixed_size: 0
    .sgpr_count:     0
    .sgpr_spill_count: 0
    .symbol:         _ZN7rocprim17ROCPRIM_400000_NS6detail17trampoline_kernelINS0_14default_configENS1_38merge_sort_block_merge_config_selectorIiiEEZZNS1_27merge_sort_block_merge_implIS3_N6thrust23THRUST_200600_302600_NS6detail15normal_iteratorINS8_10device_ptrIiEEEESD_jNS1_19radix_merge_compareILb1ELb1EiNS0_19identity_decomposerEEEEE10hipError_tT0_T1_T2_jT3_P12ihipStream_tbPNSt15iterator_traitsISI_E10value_typeEPNSO_ISJ_E10value_typeEPSK_NS1_7vsmem_tEENKUlT_SI_SJ_SK_E_clISD_PiSD_S10_EESH_SX_SI_SJ_SK_EUlSX_E_NS1_11comp_targetILNS1_3genE10ELNS1_11target_archE1201ELNS1_3gpuE5ELNS1_3repE0EEENS1_48merge_mergepath_partition_config_static_selectorELNS0_4arch9wavefront6targetE0EEEvSJ_.kd
    .uniform_work_group_size: 1
    .uses_dynamic_stack: false
    .vgpr_count:     0
    .vgpr_spill_count: 0
    .wavefront_size: 32
    .workgroup_processor_mode: 1
  - .args:
      - .offset:         0
        .size:           40
        .value_kind:     by_value
    .group_segment_fixed_size: 0
    .kernarg_segment_align: 8
    .kernarg_segment_size: 40
    .language:       OpenCL C
    .language_version:
      - 2
      - 0
    .max_flat_workgroup_size: 128
    .name:           _ZN7rocprim17ROCPRIM_400000_NS6detail17trampoline_kernelINS0_14default_configENS1_38merge_sort_block_merge_config_selectorIiiEEZZNS1_27merge_sort_block_merge_implIS3_N6thrust23THRUST_200600_302600_NS6detail15normal_iteratorINS8_10device_ptrIiEEEESD_jNS1_19radix_merge_compareILb1ELb1EiNS0_19identity_decomposerEEEEE10hipError_tT0_T1_T2_jT3_P12ihipStream_tbPNSt15iterator_traitsISI_E10value_typeEPNSO_ISJ_E10value_typeEPSK_NS1_7vsmem_tEENKUlT_SI_SJ_SK_E_clISD_PiSD_S10_EESH_SX_SI_SJ_SK_EUlSX_E_NS1_11comp_targetILNS1_3genE5ELNS1_11target_archE942ELNS1_3gpuE9ELNS1_3repE0EEENS1_48merge_mergepath_partition_config_static_selectorELNS0_4arch9wavefront6targetE0EEEvSJ_
    .private_segment_fixed_size: 0
    .sgpr_count:     0
    .sgpr_spill_count: 0
    .symbol:         _ZN7rocprim17ROCPRIM_400000_NS6detail17trampoline_kernelINS0_14default_configENS1_38merge_sort_block_merge_config_selectorIiiEEZZNS1_27merge_sort_block_merge_implIS3_N6thrust23THRUST_200600_302600_NS6detail15normal_iteratorINS8_10device_ptrIiEEEESD_jNS1_19radix_merge_compareILb1ELb1EiNS0_19identity_decomposerEEEEE10hipError_tT0_T1_T2_jT3_P12ihipStream_tbPNSt15iterator_traitsISI_E10value_typeEPNSO_ISJ_E10value_typeEPSK_NS1_7vsmem_tEENKUlT_SI_SJ_SK_E_clISD_PiSD_S10_EESH_SX_SI_SJ_SK_EUlSX_E_NS1_11comp_targetILNS1_3genE5ELNS1_11target_archE942ELNS1_3gpuE9ELNS1_3repE0EEENS1_48merge_mergepath_partition_config_static_selectorELNS0_4arch9wavefront6targetE0EEEvSJ_.kd
    .uniform_work_group_size: 1
    .uses_dynamic_stack: false
    .vgpr_count:     0
    .vgpr_spill_count: 0
    .wavefront_size: 32
    .workgroup_processor_mode: 1
  - .args:
      - .offset:         0
        .size:           40
        .value_kind:     by_value
    .group_segment_fixed_size: 0
    .kernarg_segment_align: 8
    .kernarg_segment_size: 40
    .language:       OpenCL C
    .language_version:
      - 2
      - 0
    .max_flat_workgroup_size: 128
    .name:           _ZN7rocprim17ROCPRIM_400000_NS6detail17trampoline_kernelINS0_14default_configENS1_38merge_sort_block_merge_config_selectorIiiEEZZNS1_27merge_sort_block_merge_implIS3_N6thrust23THRUST_200600_302600_NS6detail15normal_iteratorINS8_10device_ptrIiEEEESD_jNS1_19radix_merge_compareILb1ELb1EiNS0_19identity_decomposerEEEEE10hipError_tT0_T1_T2_jT3_P12ihipStream_tbPNSt15iterator_traitsISI_E10value_typeEPNSO_ISJ_E10value_typeEPSK_NS1_7vsmem_tEENKUlT_SI_SJ_SK_E_clISD_PiSD_S10_EESH_SX_SI_SJ_SK_EUlSX_E_NS1_11comp_targetILNS1_3genE4ELNS1_11target_archE910ELNS1_3gpuE8ELNS1_3repE0EEENS1_48merge_mergepath_partition_config_static_selectorELNS0_4arch9wavefront6targetE0EEEvSJ_
    .private_segment_fixed_size: 0
    .sgpr_count:     0
    .sgpr_spill_count: 0
    .symbol:         _ZN7rocprim17ROCPRIM_400000_NS6detail17trampoline_kernelINS0_14default_configENS1_38merge_sort_block_merge_config_selectorIiiEEZZNS1_27merge_sort_block_merge_implIS3_N6thrust23THRUST_200600_302600_NS6detail15normal_iteratorINS8_10device_ptrIiEEEESD_jNS1_19radix_merge_compareILb1ELb1EiNS0_19identity_decomposerEEEEE10hipError_tT0_T1_T2_jT3_P12ihipStream_tbPNSt15iterator_traitsISI_E10value_typeEPNSO_ISJ_E10value_typeEPSK_NS1_7vsmem_tEENKUlT_SI_SJ_SK_E_clISD_PiSD_S10_EESH_SX_SI_SJ_SK_EUlSX_E_NS1_11comp_targetILNS1_3genE4ELNS1_11target_archE910ELNS1_3gpuE8ELNS1_3repE0EEENS1_48merge_mergepath_partition_config_static_selectorELNS0_4arch9wavefront6targetE0EEEvSJ_.kd
    .uniform_work_group_size: 1
    .uses_dynamic_stack: false
    .vgpr_count:     0
    .vgpr_spill_count: 0
    .wavefront_size: 32
    .workgroup_processor_mode: 1
  - .args:
      - .offset:         0
        .size:           40
        .value_kind:     by_value
    .group_segment_fixed_size: 0
    .kernarg_segment_align: 8
    .kernarg_segment_size: 40
    .language:       OpenCL C
    .language_version:
      - 2
      - 0
    .max_flat_workgroup_size: 128
    .name:           _ZN7rocprim17ROCPRIM_400000_NS6detail17trampoline_kernelINS0_14default_configENS1_38merge_sort_block_merge_config_selectorIiiEEZZNS1_27merge_sort_block_merge_implIS3_N6thrust23THRUST_200600_302600_NS6detail15normal_iteratorINS8_10device_ptrIiEEEESD_jNS1_19radix_merge_compareILb1ELb1EiNS0_19identity_decomposerEEEEE10hipError_tT0_T1_T2_jT3_P12ihipStream_tbPNSt15iterator_traitsISI_E10value_typeEPNSO_ISJ_E10value_typeEPSK_NS1_7vsmem_tEENKUlT_SI_SJ_SK_E_clISD_PiSD_S10_EESH_SX_SI_SJ_SK_EUlSX_E_NS1_11comp_targetILNS1_3genE3ELNS1_11target_archE908ELNS1_3gpuE7ELNS1_3repE0EEENS1_48merge_mergepath_partition_config_static_selectorELNS0_4arch9wavefront6targetE0EEEvSJ_
    .private_segment_fixed_size: 0
    .sgpr_count:     0
    .sgpr_spill_count: 0
    .symbol:         _ZN7rocprim17ROCPRIM_400000_NS6detail17trampoline_kernelINS0_14default_configENS1_38merge_sort_block_merge_config_selectorIiiEEZZNS1_27merge_sort_block_merge_implIS3_N6thrust23THRUST_200600_302600_NS6detail15normal_iteratorINS8_10device_ptrIiEEEESD_jNS1_19radix_merge_compareILb1ELb1EiNS0_19identity_decomposerEEEEE10hipError_tT0_T1_T2_jT3_P12ihipStream_tbPNSt15iterator_traitsISI_E10value_typeEPNSO_ISJ_E10value_typeEPSK_NS1_7vsmem_tEENKUlT_SI_SJ_SK_E_clISD_PiSD_S10_EESH_SX_SI_SJ_SK_EUlSX_E_NS1_11comp_targetILNS1_3genE3ELNS1_11target_archE908ELNS1_3gpuE7ELNS1_3repE0EEENS1_48merge_mergepath_partition_config_static_selectorELNS0_4arch9wavefront6targetE0EEEvSJ_.kd
    .uniform_work_group_size: 1
    .uses_dynamic_stack: false
    .vgpr_count:     0
    .vgpr_spill_count: 0
    .wavefront_size: 32
    .workgroup_processor_mode: 1
  - .args:
      - .offset:         0
        .size:           40
        .value_kind:     by_value
    .group_segment_fixed_size: 0
    .kernarg_segment_align: 8
    .kernarg_segment_size: 40
    .language:       OpenCL C
    .language_version:
      - 2
      - 0
    .max_flat_workgroup_size: 128
    .name:           _ZN7rocprim17ROCPRIM_400000_NS6detail17trampoline_kernelINS0_14default_configENS1_38merge_sort_block_merge_config_selectorIiiEEZZNS1_27merge_sort_block_merge_implIS3_N6thrust23THRUST_200600_302600_NS6detail15normal_iteratorINS8_10device_ptrIiEEEESD_jNS1_19radix_merge_compareILb1ELb1EiNS0_19identity_decomposerEEEEE10hipError_tT0_T1_T2_jT3_P12ihipStream_tbPNSt15iterator_traitsISI_E10value_typeEPNSO_ISJ_E10value_typeEPSK_NS1_7vsmem_tEENKUlT_SI_SJ_SK_E_clISD_PiSD_S10_EESH_SX_SI_SJ_SK_EUlSX_E_NS1_11comp_targetILNS1_3genE2ELNS1_11target_archE906ELNS1_3gpuE6ELNS1_3repE0EEENS1_48merge_mergepath_partition_config_static_selectorELNS0_4arch9wavefront6targetE0EEEvSJ_
    .private_segment_fixed_size: 0
    .sgpr_count:     0
    .sgpr_spill_count: 0
    .symbol:         _ZN7rocprim17ROCPRIM_400000_NS6detail17trampoline_kernelINS0_14default_configENS1_38merge_sort_block_merge_config_selectorIiiEEZZNS1_27merge_sort_block_merge_implIS3_N6thrust23THRUST_200600_302600_NS6detail15normal_iteratorINS8_10device_ptrIiEEEESD_jNS1_19radix_merge_compareILb1ELb1EiNS0_19identity_decomposerEEEEE10hipError_tT0_T1_T2_jT3_P12ihipStream_tbPNSt15iterator_traitsISI_E10value_typeEPNSO_ISJ_E10value_typeEPSK_NS1_7vsmem_tEENKUlT_SI_SJ_SK_E_clISD_PiSD_S10_EESH_SX_SI_SJ_SK_EUlSX_E_NS1_11comp_targetILNS1_3genE2ELNS1_11target_archE906ELNS1_3gpuE6ELNS1_3repE0EEENS1_48merge_mergepath_partition_config_static_selectorELNS0_4arch9wavefront6targetE0EEEvSJ_.kd
    .uniform_work_group_size: 1
    .uses_dynamic_stack: false
    .vgpr_count:     0
    .vgpr_spill_count: 0
    .wavefront_size: 32
    .workgroup_processor_mode: 1
  - .args:
      - .offset:         0
        .size:           40
        .value_kind:     by_value
    .group_segment_fixed_size: 0
    .kernarg_segment_align: 8
    .kernarg_segment_size: 40
    .language:       OpenCL C
    .language_version:
      - 2
      - 0
    .max_flat_workgroup_size: 128
    .name:           _ZN7rocprim17ROCPRIM_400000_NS6detail17trampoline_kernelINS0_14default_configENS1_38merge_sort_block_merge_config_selectorIiiEEZZNS1_27merge_sort_block_merge_implIS3_N6thrust23THRUST_200600_302600_NS6detail15normal_iteratorINS8_10device_ptrIiEEEESD_jNS1_19radix_merge_compareILb1ELb1EiNS0_19identity_decomposerEEEEE10hipError_tT0_T1_T2_jT3_P12ihipStream_tbPNSt15iterator_traitsISI_E10value_typeEPNSO_ISJ_E10value_typeEPSK_NS1_7vsmem_tEENKUlT_SI_SJ_SK_E_clISD_PiSD_S10_EESH_SX_SI_SJ_SK_EUlSX_E_NS1_11comp_targetILNS1_3genE9ELNS1_11target_archE1100ELNS1_3gpuE3ELNS1_3repE0EEENS1_48merge_mergepath_partition_config_static_selectorELNS0_4arch9wavefront6targetE0EEEvSJ_
    .private_segment_fixed_size: 0
    .sgpr_count:     0
    .sgpr_spill_count: 0
    .symbol:         _ZN7rocprim17ROCPRIM_400000_NS6detail17trampoline_kernelINS0_14default_configENS1_38merge_sort_block_merge_config_selectorIiiEEZZNS1_27merge_sort_block_merge_implIS3_N6thrust23THRUST_200600_302600_NS6detail15normal_iteratorINS8_10device_ptrIiEEEESD_jNS1_19radix_merge_compareILb1ELb1EiNS0_19identity_decomposerEEEEE10hipError_tT0_T1_T2_jT3_P12ihipStream_tbPNSt15iterator_traitsISI_E10value_typeEPNSO_ISJ_E10value_typeEPSK_NS1_7vsmem_tEENKUlT_SI_SJ_SK_E_clISD_PiSD_S10_EESH_SX_SI_SJ_SK_EUlSX_E_NS1_11comp_targetILNS1_3genE9ELNS1_11target_archE1100ELNS1_3gpuE3ELNS1_3repE0EEENS1_48merge_mergepath_partition_config_static_selectorELNS0_4arch9wavefront6targetE0EEEvSJ_.kd
    .uniform_work_group_size: 1
    .uses_dynamic_stack: false
    .vgpr_count:     0
    .vgpr_spill_count: 0
    .wavefront_size: 32
    .workgroup_processor_mode: 1
  - .args:
      - .offset:         0
        .size:           40
        .value_kind:     by_value
    .group_segment_fixed_size: 0
    .kernarg_segment_align: 8
    .kernarg_segment_size: 40
    .language:       OpenCL C
    .language_version:
      - 2
      - 0
    .max_flat_workgroup_size: 128
    .name:           _ZN7rocprim17ROCPRIM_400000_NS6detail17trampoline_kernelINS0_14default_configENS1_38merge_sort_block_merge_config_selectorIiiEEZZNS1_27merge_sort_block_merge_implIS3_N6thrust23THRUST_200600_302600_NS6detail15normal_iteratorINS8_10device_ptrIiEEEESD_jNS1_19radix_merge_compareILb1ELb1EiNS0_19identity_decomposerEEEEE10hipError_tT0_T1_T2_jT3_P12ihipStream_tbPNSt15iterator_traitsISI_E10value_typeEPNSO_ISJ_E10value_typeEPSK_NS1_7vsmem_tEENKUlT_SI_SJ_SK_E_clISD_PiSD_S10_EESH_SX_SI_SJ_SK_EUlSX_E_NS1_11comp_targetILNS1_3genE8ELNS1_11target_archE1030ELNS1_3gpuE2ELNS1_3repE0EEENS1_48merge_mergepath_partition_config_static_selectorELNS0_4arch9wavefront6targetE0EEEvSJ_
    .private_segment_fixed_size: 0
    .sgpr_count:     10
    .sgpr_spill_count: 0
    .symbol:         _ZN7rocprim17ROCPRIM_400000_NS6detail17trampoline_kernelINS0_14default_configENS1_38merge_sort_block_merge_config_selectorIiiEEZZNS1_27merge_sort_block_merge_implIS3_N6thrust23THRUST_200600_302600_NS6detail15normal_iteratorINS8_10device_ptrIiEEEESD_jNS1_19radix_merge_compareILb1ELb1EiNS0_19identity_decomposerEEEEE10hipError_tT0_T1_T2_jT3_P12ihipStream_tbPNSt15iterator_traitsISI_E10value_typeEPNSO_ISJ_E10value_typeEPSK_NS1_7vsmem_tEENKUlT_SI_SJ_SK_E_clISD_PiSD_S10_EESH_SX_SI_SJ_SK_EUlSX_E_NS1_11comp_targetILNS1_3genE8ELNS1_11target_archE1030ELNS1_3gpuE2ELNS1_3repE0EEENS1_48merge_mergepath_partition_config_static_selectorELNS0_4arch9wavefront6targetE0EEEvSJ_.kd
    .uniform_work_group_size: 1
    .uses_dynamic_stack: false
    .vgpr_count:     15
    .vgpr_spill_count: 0
    .wavefront_size: 32
    .workgroup_processor_mode: 1
  - .args:
      - .offset:         0
        .size:           64
        .value_kind:     by_value
    .group_segment_fixed_size: 0
    .kernarg_segment_align: 8
    .kernarg_segment_size: 64
    .language:       OpenCL C
    .language_version:
      - 2
      - 0
    .max_flat_workgroup_size: 256
    .name:           _ZN7rocprim17ROCPRIM_400000_NS6detail17trampoline_kernelINS0_14default_configENS1_38merge_sort_block_merge_config_selectorIiiEEZZNS1_27merge_sort_block_merge_implIS3_N6thrust23THRUST_200600_302600_NS6detail15normal_iteratorINS8_10device_ptrIiEEEESD_jNS1_19radix_merge_compareILb1ELb1EiNS0_19identity_decomposerEEEEE10hipError_tT0_T1_T2_jT3_P12ihipStream_tbPNSt15iterator_traitsISI_E10value_typeEPNSO_ISJ_E10value_typeEPSK_NS1_7vsmem_tEENKUlT_SI_SJ_SK_E_clISD_PiSD_S10_EESH_SX_SI_SJ_SK_EUlSX_E0_NS1_11comp_targetILNS1_3genE0ELNS1_11target_archE4294967295ELNS1_3gpuE0ELNS1_3repE0EEENS1_38merge_mergepath_config_static_selectorELNS0_4arch9wavefront6targetE0EEEvSJ_
    .private_segment_fixed_size: 0
    .sgpr_count:     0
    .sgpr_spill_count: 0
    .symbol:         _ZN7rocprim17ROCPRIM_400000_NS6detail17trampoline_kernelINS0_14default_configENS1_38merge_sort_block_merge_config_selectorIiiEEZZNS1_27merge_sort_block_merge_implIS3_N6thrust23THRUST_200600_302600_NS6detail15normal_iteratorINS8_10device_ptrIiEEEESD_jNS1_19radix_merge_compareILb1ELb1EiNS0_19identity_decomposerEEEEE10hipError_tT0_T1_T2_jT3_P12ihipStream_tbPNSt15iterator_traitsISI_E10value_typeEPNSO_ISJ_E10value_typeEPSK_NS1_7vsmem_tEENKUlT_SI_SJ_SK_E_clISD_PiSD_S10_EESH_SX_SI_SJ_SK_EUlSX_E0_NS1_11comp_targetILNS1_3genE0ELNS1_11target_archE4294967295ELNS1_3gpuE0ELNS1_3repE0EEENS1_38merge_mergepath_config_static_selectorELNS0_4arch9wavefront6targetE0EEEvSJ_.kd
    .uniform_work_group_size: 1
    .uses_dynamic_stack: false
    .vgpr_count:     0
    .vgpr_spill_count: 0
    .wavefront_size: 32
    .workgroup_processor_mode: 1
  - .args:
      - .offset:         0
        .size:           64
        .value_kind:     by_value
    .group_segment_fixed_size: 0
    .kernarg_segment_align: 8
    .kernarg_segment_size: 64
    .language:       OpenCL C
    .language_version:
      - 2
      - 0
    .max_flat_workgroup_size: 256
    .name:           _ZN7rocprim17ROCPRIM_400000_NS6detail17trampoline_kernelINS0_14default_configENS1_38merge_sort_block_merge_config_selectorIiiEEZZNS1_27merge_sort_block_merge_implIS3_N6thrust23THRUST_200600_302600_NS6detail15normal_iteratorINS8_10device_ptrIiEEEESD_jNS1_19radix_merge_compareILb1ELb1EiNS0_19identity_decomposerEEEEE10hipError_tT0_T1_T2_jT3_P12ihipStream_tbPNSt15iterator_traitsISI_E10value_typeEPNSO_ISJ_E10value_typeEPSK_NS1_7vsmem_tEENKUlT_SI_SJ_SK_E_clISD_PiSD_S10_EESH_SX_SI_SJ_SK_EUlSX_E0_NS1_11comp_targetILNS1_3genE10ELNS1_11target_archE1201ELNS1_3gpuE5ELNS1_3repE0EEENS1_38merge_mergepath_config_static_selectorELNS0_4arch9wavefront6targetE0EEEvSJ_
    .private_segment_fixed_size: 0
    .sgpr_count:     0
    .sgpr_spill_count: 0
    .symbol:         _ZN7rocprim17ROCPRIM_400000_NS6detail17trampoline_kernelINS0_14default_configENS1_38merge_sort_block_merge_config_selectorIiiEEZZNS1_27merge_sort_block_merge_implIS3_N6thrust23THRUST_200600_302600_NS6detail15normal_iteratorINS8_10device_ptrIiEEEESD_jNS1_19radix_merge_compareILb1ELb1EiNS0_19identity_decomposerEEEEE10hipError_tT0_T1_T2_jT3_P12ihipStream_tbPNSt15iterator_traitsISI_E10value_typeEPNSO_ISJ_E10value_typeEPSK_NS1_7vsmem_tEENKUlT_SI_SJ_SK_E_clISD_PiSD_S10_EESH_SX_SI_SJ_SK_EUlSX_E0_NS1_11comp_targetILNS1_3genE10ELNS1_11target_archE1201ELNS1_3gpuE5ELNS1_3repE0EEENS1_38merge_mergepath_config_static_selectorELNS0_4arch9wavefront6targetE0EEEvSJ_.kd
    .uniform_work_group_size: 1
    .uses_dynamic_stack: false
    .vgpr_count:     0
    .vgpr_spill_count: 0
    .wavefront_size: 32
    .workgroup_processor_mode: 1
  - .args:
      - .offset:         0
        .size:           64
        .value_kind:     by_value
    .group_segment_fixed_size: 0
    .kernarg_segment_align: 8
    .kernarg_segment_size: 64
    .language:       OpenCL C
    .language_version:
      - 2
      - 0
    .max_flat_workgroup_size: 128
    .name:           _ZN7rocprim17ROCPRIM_400000_NS6detail17trampoline_kernelINS0_14default_configENS1_38merge_sort_block_merge_config_selectorIiiEEZZNS1_27merge_sort_block_merge_implIS3_N6thrust23THRUST_200600_302600_NS6detail15normal_iteratorINS8_10device_ptrIiEEEESD_jNS1_19radix_merge_compareILb1ELb1EiNS0_19identity_decomposerEEEEE10hipError_tT0_T1_T2_jT3_P12ihipStream_tbPNSt15iterator_traitsISI_E10value_typeEPNSO_ISJ_E10value_typeEPSK_NS1_7vsmem_tEENKUlT_SI_SJ_SK_E_clISD_PiSD_S10_EESH_SX_SI_SJ_SK_EUlSX_E0_NS1_11comp_targetILNS1_3genE5ELNS1_11target_archE942ELNS1_3gpuE9ELNS1_3repE0EEENS1_38merge_mergepath_config_static_selectorELNS0_4arch9wavefront6targetE0EEEvSJ_
    .private_segment_fixed_size: 0
    .sgpr_count:     0
    .sgpr_spill_count: 0
    .symbol:         _ZN7rocprim17ROCPRIM_400000_NS6detail17trampoline_kernelINS0_14default_configENS1_38merge_sort_block_merge_config_selectorIiiEEZZNS1_27merge_sort_block_merge_implIS3_N6thrust23THRUST_200600_302600_NS6detail15normal_iteratorINS8_10device_ptrIiEEEESD_jNS1_19radix_merge_compareILb1ELb1EiNS0_19identity_decomposerEEEEE10hipError_tT0_T1_T2_jT3_P12ihipStream_tbPNSt15iterator_traitsISI_E10value_typeEPNSO_ISJ_E10value_typeEPSK_NS1_7vsmem_tEENKUlT_SI_SJ_SK_E_clISD_PiSD_S10_EESH_SX_SI_SJ_SK_EUlSX_E0_NS1_11comp_targetILNS1_3genE5ELNS1_11target_archE942ELNS1_3gpuE9ELNS1_3repE0EEENS1_38merge_mergepath_config_static_selectorELNS0_4arch9wavefront6targetE0EEEvSJ_.kd
    .uniform_work_group_size: 1
    .uses_dynamic_stack: false
    .vgpr_count:     0
    .vgpr_spill_count: 0
    .wavefront_size: 32
    .workgroup_processor_mode: 1
  - .args:
      - .offset:         0
        .size:           64
        .value_kind:     by_value
    .group_segment_fixed_size: 0
    .kernarg_segment_align: 8
    .kernarg_segment_size: 64
    .language:       OpenCL C
    .language_version:
      - 2
      - 0
    .max_flat_workgroup_size: 256
    .name:           _ZN7rocprim17ROCPRIM_400000_NS6detail17trampoline_kernelINS0_14default_configENS1_38merge_sort_block_merge_config_selectorIiiEEZZNS1_27merge_sort_block_merge_implIS3_N6thrust23THRUST_200600_302600_NS6detail15normal_iteratorINS8_10device_ptrIiEEEESD_jNS1_19radix_merge_compareILb1ELb1EiNS0_19identity_decomposerEEEEE10hipError_tT0_T1_T2_jT3_P12ihipStream_tbPNSt15iterator_traitsISI_E10value_typeEPNSO_ISJ_E10value_typeEPSK_NS1_7vsmem_tEENKUlT_SI_SJ_SK_E_clISD_PiSD_S10_EESH_SX_SI_SJ_SK_EUlSX_E0_NS1_11comp_targetILNS1_3genE4ELNS1_11target_archE910ELNS1_3gpuE8ELNS1_3repE0EEENS1_38merge_mergepath_config_static_selectorELNS0_4arch9wavefront6targetE0EEEvSJ_
    .private_segment_fixed_size: 0
    .sgpr_count:     0
    .sgpr_spill_count: 0
    .symbol:         _ZN7rocprim17ROCPRIM_400000_NS6detail17trampoline_kernelINS0_14default_configENS1_38merge_sort_block_merge_config_selectorIiiEEZZNS1_27merge_sort_block_merge_implIS3_N6thrust23THRUST_200600_302600_NS6detail15normal_iteratorINS8_10device_ptrIiEEEESD_jNS1_19radix_merge_compareILb1ELb1EiNS0_19identity_decomposerEEEEE10hipError_tT0_T1_T2_jT3_P12ihipStream_tbPNSt15iterator_traitsISI_E10value_typeEPNSO_ISJ_E10value_typeEPSK_NS1_7vsmem_tEENKUlT_SI_SJ_SK_E_clISD_PiSD_S10_EESH_SX_SI_SJ_SK_EUlSX_E0_NS1_11comp_targetILNS1_3genE4ELNS1_11target_archE910ELNS1_3gpuE8ELNS1_3repE0EEENS1_38merge_mergepath_config_static_selectorELNS0_4arch9wavefront6targetE0EEEvSJ_.kd
    .uniform_work_group_size: 1
    .uses_dynamic_stack: false
    .vgpr_count:     0
    .vgpr_spill_count: 0
    .wavefront_size: 32
    .workgroup_processor_mode: 1
  - .args:
      - .offset:         0
        .size:           64
        .value_kind:     by_value
    .group_segment_fixed_size: 0
    .kernarg_segment_align: 8
    .kernarg_segment_size: 64
    .language:       OpenCL C
    .language_version:
      - 2
      - 0
    .max_flat_workgroup_size: 256
    .name:           _ZN7rocprim17ROCPRIM_400000_NS6detail17trampoline_kernelINS0_14default_configENS1_38merge_sort_block_merge_config_selectorIiiEEZZNS1_27merge_sort_block_merge_implIS3_N6thrust23THRUST_200600_302600_NS6detail15normal_iteratorINS8_10device_ptrIiEEEESD_jNS1_19radix_merge_compareILb1ELb1EiNS0_19identity_decomposerEEEEE10hipError_tT0_T1_T2_jT3_P12ihipStream_tbPNSt15iterator_traitsISI_E10value_typeEPNSO_ISJ_E10value_typeEPSK_NS1_7vsmem_tEENKUlT_SI_SJ_SK_E_clISD_PiSD_S10_EESH_SX_SI_SJ_SK_EUlSX_E0_NS1_11comp_targetILNS1_3genE3ELNS1_11target_archE908ELNS1_3gpuE7ELNS1_3repE0EEENS1_38merge_mergepath_config_static_selectorELNS0_4arch9wavefront6targetE0EEEvSJ_
    .private_segment_fixed_size: 0
    .sgpr_count:     0
    .sgpr_spill_count: 0
    .symbol:         _ZN7rocprim17ROCPRIM_400000_NS6detail17trampoline_kernelINS0_14default_configENS1_38merge_sort_block_merge_config_selectorIiiEEZZNS1_27merge_sort_block_merge_implIS3_N6thrust23THRUST_200600_302600_NS6detail15normal_iteratorINS8_10device_ptrIiEEEESD_jNS1_19radix_merge_compareILb1ELb1EiNS0_19identity_decomposerEEEEE10hipError_tT0_T1_T2_jT3_P12ihipStream_tbPNSt15iterator_traitsISI_E10value_typeEPNSO_ISJ_E10value_typeEPSK_NS1_7vsmem_tEENKUlT_SI_SJ_SK_E_clISD_PiSD_S10_EESH_SX_SI_SJ_SK_EUlSX_E0_NS1_11comp_targetILNS1_3genE3ELNS1_11target_archE908ELNS1_3gpuE7ELNS1_3repE0EEENS1_38merge_mergepath_config_static_selectorELNS0_4arch9wavefront6targetE0EEEvSJ_.kd
    .uniform_work_group_size: 1
    .uses_dynamic_stack: false
    .vgpr_count:     0
    .vgpr_spill_count: 0
    .wavefront_size: 32
    .workgroup_processor_mode: 1
  - .args:
      - .offset:         0
        .size:           64
        .value_kind:     by_value
    .group_segment_fixed_size: 0
    .kernarg_segment_align: 8
    .kernarg_segment_size: 64
    .language:       OpenCL C
    .language_version:
      - 2
      - 0
    .max_flat_workgroup_size: 256
    .name:           _ZN7rocprim17ROCPRIM_400000_NS6detail17trampoline_kernelINS0_14default_configENS1_38merge_sort_block_merge_config_selectorIiiEEZZNS1_27merge_sort_block_merge_implIS3_N6thrust23THRUST_200600_302600_NS6detail15normal_iteratorINS8_10device_ptrIiEEEESD_jNS1_19radix_merge_compareILb1ELb1EiNS0_19identity_decomposerEEEEE10hipError_tT0_T1_T2_jT3_P12ihipStream_tbPNSt15iterator_traitsISI_E10value_typeEPNSO_ISJ_E10value_typeEPSK_NS1_7vsmem_tEENKUlT_SI_SJ_SK_E_clISD_PiSD_S10_EESH_SX_SI_SJ_SK_EUlSX_E0_NS1_11comp_targetILNS1_3genE2ELNS1_11target_archE906ELNS1_3gpuE6ELNS1_3repE0EEENS1_38merge_mergepath_config_static_selectorELNS0_4arch9wavefront6targetE0EEEvSJ_
    .private_segment_fixed_size: 0
    .sgpr_count:     0
    .sgpr_spill_count: 0
    .symbol:         _ZN7rocprim17ROCPRIM_400000_NS6detail17trampoline_kernelINS0_14default_configENS1_38merge_sort_block_merge_config_selectorIiiEEZZNS1_27merge_sort_block_merge_implIS3_N6thrust23THRUST_200600_302600_NS6detail15normal_iteratorINS8_10device_ptrIiEEEESD_jNS1_19radix_merge_compareILb1ELb1EiNS0_19identity_decomposerEEEEE10hipError_tT0_T1_T2_jT3_P12ihipStream_tbPNSt15iterator_traitsISI_E10value_typeEPNSO_ISJ_E10value_typeEPSK_NS1_7vsmem_tEENKUlT_SI_SJ_SK_E_clISD_PiSD_S10_EESH_SX_SI_SJ_SK_EUlSX_E0_NS1_11comp_targetILNS1_3genE2ELNS1_11target_archE906ELNS1_3gpuE6ELNS1_3repE0EEENS1_38merge_mergepath_config_static_selectorELNS0_4arch9wavefront6targetE0EEEvSJ_.kd
    .uniform_work_group_size: 1
    .uses_dynamic_stack: false
    .vgpr_count:     0
    .vgpr_spill_count: 0
    .wavefront_size: 32
    .workgroup_processor_mode: 1
  - .args:
      - .offset:         0
        .size:           64
        .value_kind:     by_value
    .group_segment_fixed_size: 0
    .kernarg_segment_align: 8
    .kernarg_segment_size: 64
    .language:       OpenCL C
    .language_version:
      - 2
      - 0
    .max_flat_workgroup_size: 512
    .name:           _ZN7rocprim17ROCPRIM_400000_NS6detail17trampoline_kernelINS0_14default_configENS1_38merge_sort_block_merge_config_selectorIiiEEZZNS1_27merge_sort_block_merge_implIS3_N6thrust23THRUST_200600_302600_NS6detail15normal_iteratorINS8_10device_ptrIiEEEESD_jNS1_19radix_merge_compareILb1ELb1EiNS0_19identity_decomposerEEEEE10hipError_tT0_T1_T2_jT3_P12ihipStream_tbPNSt15iterator_traitsISI_E10value_typeEPNSO_ISJ_E10value_typeEPSK_NS1_7vsmem_tEENKUlT_SI_SJ_SK_E_clISD_PiSD_S10_EESH_SX_SI_SJ_SK_EUlSX_E0_NS1_11comp_targetILNS1_3genE9ELNS1_11target_archE1100ELNS1_3gpuE3ELNS1_3repE0EEENS1_38merge_mergepath_config_static_selectorELNS0_4arch9wavefront6targetE0EEEvSJ_
    .private_segment_fixed_size: 0
    .sgpr_count:     0
    .sgpr_spill_count: 0
    .symbol:         _ZN7rocprim17ROCPRIM_400000_NS6detail17trampoline_kernelINS0_14default_configENS1_38merge_sort_block_merge_config_selectorIiiEEZZNS1_27merge_sort_block_merge_implIS3_N6thrust23THRUST_200600_302600_NS6detail15normal_iteratorINS8_10device_ptrIiEEEESD_jNS1_19radix_merge_compareILb1ELb1EiNS0_19identity_decomposerEEEEE10hipError_tT0_T1_T2_jT3_P12ihipStream_tbPNSt15iterator_traitsISI_E10value_typeEPNSO_ISJ_E10value_typeEPSK_NS1_7vsmem_tEENKUlT_SI_SJ_SK_E_clISD_PiSD_S10_EESH_SX_SI_SJ_SK_EUlSX_E0_NS1_11comp_targetILNS1_3genE9ELNS1_11target_archE1100ELNS1_3gpuE3ELNS1_3repE0EEENS1_38merge_mergepath_config_static_selectorELNS0_4arch9wavefront6targetE0EEEvSJ_.kd
    .uniform_work_group_size: 1
    .uses_dynamic_stack: false
    .vgpr_count:     0
    .vgpr_spill_count: 0
    .wavefront_size: 32
    .workgroup_processor_mode: 1
  - .args:
      - .offset:         0
        .size:           64
        .value_kind:     by_value
      - .offset:         64
        .size:           4
        .value_kind:     hidden_block_count_x
      - .offset:         68
        .size:           4
        .value_kind:     hidden_block_count_y
      - .offset:         72
        .size:           4
        .value_kind:     hidden_block_count_z
      - .offset:         76
        .size:           2
        .value_kind:     hidden_group_size_x
      - .offset:         78
        .size:           2
        .value_kind:     hidden_group_size_y
      - .offset:         80
        .size:           2
        .value_kind:     hidden_group_size_z
      - .offset:         82
        .size:           2
        .value_kind:     hidden_remainder_x
      - .offset:         84
        .size:           2
        .value_kind:     hidden_remainder_y
      - .offset:         86
        .size:           2
        .value_kind:     hidden_remainder_z
      - .offset:         104
        .size:           8
        .value_kind:     hidden_global_offset_x
      - .offset:         112
        .size:           8
        .value_kind:     hidden_global_offset_y
      - .offset:         120
        .size:           8
        .value_kind:     hidden_global_offset_z
      - .offset:         128
        .size:           2
        .value_kind:     hidden_grid_dims
    .group_segment_fixed_size: 4112
    .kernarg_segment_align: 8
    .kernarg_segment_size: 320
    .language:       OpenCL C
    .language_version:
      - 2
      - 0
    .max_flat_workgroup_size: 1024
    .name:           _ZN7rocprim17ROCPRIM_400000_NS6detail17trampoline_kernelINS0_14default_configENS1_38merge_sort_block_merge_config_selectorIiiEEZZNS1_27merge_sort_block_merge_implIS3_N6thrust23THRUST_200600_302600_NS6detail15normal_iteratorINS8_10device_ptrIiEEEESD_jNS1_19radix_merge_compareILb1ELb1EiNS0_19identity_decomposerEEEEE10hipError_tT0_T1_T2_jT3_P12ihipStream_tbPNSt15iterator_traitsISI_E10value_typeEPNSO_ISJ_E10value_typeEPSK_NS1_7vsmem_tEENKUlT_SI_SJ_SK_E_clISD_PiSD_S10_EESH_SX_SI_SJ_SK_EUlSX_E0_NS1_11comp_targetILNS1_3genE8ELNS1_11target_archE1030ELNS1_3gpuE2ELNS1_3repE0EEENS1_38merge_mergepath_config_static_selectorELNS0_4arch9wavefront6targetE0EEEvSJ_
    .private_segment_fixed_size: 0
    .sgpr_count:     28
    .sgpr_spill_count: 0
    .symbol:         _ZN7rocprim17ROCPRIM_400000_NS6detail17trampoline_kernelINS0_14default_configENS1_38merge_sort_block_merge_config_selectorIiiEEZZNS1_27merge_sort_block_merge_implIS3_N6thrust23THRUST_200600_302600_NS6detail15normal_iteratorINS8_10device_ptrIiEEEESD_jNS1_19radix_merge_compareILb1ELb1EiNS0_19identity_decomposerEEEEE10hipError_tT0_T1_T2_jT3_P12ihipStream_tbPNSt15iterator_traitsISI_E10value_typeEPNSO_ISJ_E10value_typeEPSK_NS1_7vsmem_tEENKUlT_SI_SJ_SK_E_clISD_PiSD_S10_EESH_SX_SI_SJ_SK_EUlSX_E0_NS1_11comp_targetILNS1_3genE8ELNS1_11target_archE1030ELNS1_3gpuE2ELNS1_3repE0EEENS1_38merge_mergepath_config_static_selectorELNS0_4arch9wavefront6targetE0EEEvSJ_.kd
    .uniform_work_group_size: 1
    .uses_dynamic_stack: false
    .vgpr_count:     13
    .vgpr_spill_count: 0
    .wavefront_size: 32
    .workgroup_processor_mode: 1
  - .args:
      - .offset:         0
        .size:           48
        .value_kind:     by_value
    .group_segment_fixed_size: 0
    .kernarg_segment_align: 8
    .kernarg_segment_size: 48
    .language:       OpenCL C
    .language_version:
      - 2
      - 0
    .max_flat_workgroup_size: 256
    .name:           _ZN7rocprim17ROCPRIM_400000_NS6detail17trampoline_kernelINS0_14default_configENS1_38merge_sort_block_merge_config_selectorIiiEEZZNS1_27merge_sort_block_merge_implIS3_N6thrust23THRUST_200600_302600_NS6detail15normal_iteratorINS8_10device_ptrIiEEEESD_jNS1_19radix_merge_compareILb1ELb1EiNS0_19identity_decomposerEEEEE10hipError_tT0_T1_T2_jT3_P12ihipStream_tbPNSt15iterator_traitsISI_E10value_typeEPNSO_ISJ_E10value_typeEPSK_NS1_7vsmem_tEENKUlT_SI_SJ_SK_E_clISD_PiSD_S10_EESH_SX_SI_SJ_SK_EUlSX_E1_NS1_11comp_targetILNS1_3genE0ELNS1_11target_archE4294967295ELNS1_3gpuE0ELNS1_3repE0EEENS1_36merge_oddeven_config_static_selectorELNS0_4arch9wavefront6targetE0EEEvSJ_
    .private_segment_fixed_size: 0
    .sgpr_count:     0
    .sgpr_spill_count: 0
    .symbol:         _ZN7rocprim17ROCPRIM_400000_NS6detail17trampoline_kernelINS0_14default_configENS1_38merge_sort_block_merge_config_selectorIiiEEZZNS1_27merge_sort_block_merge_implIS3_N6thrust23THRUST_200600_302600_NS6detail15normal_iteratorINS8_10device_ptrIiEEEESD_jNS1_19radix_merge_compareILb1ELb1EiNS0_19identity_decomposerEEEEE10hipError_tT0_T1_T2_jT3_P12ihipStream_tbPNSt15iterator_traitsISI_E10value_typeEPNSO_ISJ_E10value_typeEPSK_NS1_7vsmem_tEENKUlT_SI_SJ_SK_E_clISD_PiSD_S10_EESH_SX_SI_SJ_SK_EUlSX_E1_NS1_11comp_targetILNS1_3genE0ELNS1_11target_archE4294967295ELNS1_3gpuE0ELNS1_3repE0EEENS1_36merge_oddeven_config_static_selectorELNS0_4arch9wavefront6targetE0EEEvSJ_.kd
    .uniform_work_group_size: 1
    .uses_dynamic_stack: false
    .vgpr_count:     0
    .vgpr_spill_count: 0
    .wavefront_size: 32
    .workgroup_processor_mode: 1
  - .args:
      - .offset:         0
        .size:           48
        .value_kind:     by_value
    .group_segment_fixed_size: 0
    .kernarg_segment_align: 8
    .kernarg_segment_size: 48
    .language:       OpenCL C
    .language_version:
      - 2
      - 0
    .max_flat_workgroup_size: 256
    .name:           _ZN7rocprim17ROCPRIM_400000_NS6detail17trampoline_kernelINS0_14default_configENS1_38merge_sort_block_merge_config_selectorIiiEEZZNS1_27merge_sort_block_merge_implIS3_N6thrust23THRUST_200600_302600_NS6detail15normal_iteratorINS8_10device_ptrIiEEEESD_jNS1_19radix_merge_compareILb1ELb1EiNS0_19identity_decomposerEEEEE10hipError_tT0_T1_T2_jT3_P12ihipStream_tbPNSt15iterator_traitsISI_E10value_typeEPNSO_ISJ_E10value_typeEPSK_NS1_7vsmem_tEENKUlT_SI_SJ_SK_E_clISD_PiSD_S10_EESH_SX_SI_SJ_SK_EUlSX_E1_NS1_11comp_targetILNS1_3genE10ELNS1_11target_archE1201ELNS1_3gpuE5ELNS1_3repE0EEENS1_36merge_oddeven_config_static_selectorELNS0_4arch9wavefront6targetE0EEEvSJ_
    .private_segment_fixed_size: 0
    .sgpr_count:     0
    .sgpr_spill_count: 0
    .symbol:         _ZN7rocprim17ROCPRIM_400000_NS6detail17trampoline_kernelINS0_14default_configENS1_38merge_sort_block_merge_config_selectorIiiEEZZNS1_27merge_sort_block_merge_implIS3_N6thrust23THRUST_200600_302600_NS6detail15normal_iteratorINS8_10device_ptrIiEEEESD_jNS1_19radix_merge_compareILb1ELb1EiNS0_19identity_decomposerEEEEE10hipError_tT0_T1_T2_jT3_P12ihipStream_tbPNSt15iterator_traitsISI_E10value_typeEPNSO_ISJ_E10value_typeEPSK_NS1_7vsmem_tEENKUlT_SI_SJ_SK_E_clISD_PiSD_S10_EESH_SX_SI_SJ_SK_EUlSX_E1_NS1_11comp_targetILNS1_3genE10ELNS1_11target_archE1201ELNS1_3gpuE5ELNS1_3repE0EEENS1_36merge_oddeven_config_static_selectorELNS0_4arch9wavefront6targetE0EEEvSJ_.kd
    .uniform_work_group_size: 1
    .uses_dynamic_stack: false
    .vgpr_count:     0
    .vgpr_spill_count: 0
    .wavefront_size: 32
    .workgroup_processor_mode: 1
  - .args:
      - .offset:         0
        .size:           48
        .value_kind:     by_value
    .group_segment_fixed_size: 0
    .kernarg_segment_align: 8
    .kernarg_segment_size: 48
    .language:       OpenCL C
    .language_version:
      - 2
      - 0
    .max_flat_workgroup_size: 256
    .name:           _ZN7rocprim17ROCPRIM_400000_NS6detail17trampoline_kernelINS0_14default_configENS1_38merge_sort_block_merge_config_selectorIiiEEZZNS1_27merge_sort_block_merge_implIS3_N6thrust23THRUST_200600_302600_NS6detail15normal_iteratorINS8_10device_ptrIiEEEESD_jNS1_19radix_merge_compareILb1ELb1EiNS0_19identity_decomposerEEEEE10hipError_tT0_T1_T2_jT3_P12ihipStream_tbPNSt15iterator_traitsISI_E10value_typeEPNSO_ISJ_E10value_typeEPSK_NS1_7vsmem_tEENKUlT_SI_SJ_SK_E_clISD_PiSD_S10_EESH_SX_SI_SJ_SK_EUlSX_E1_NS1_11comp_targetILNS1_3genE5ELNS1_11target_archE942ELNS1_3gpuE9ELNS1_3repE0EEENS1_36merge_oddeven_config_static_selectorELNS0_4arch9wavefront6targetE0EEEvSJ_
    .private_segment_fixed_size: 0
    .sgpr_count:     0
    .sgpr_spill_count: 0
    .symbol:         _ZN7rocprim17ROCPRIM_400000_NS6detail17trampoline_kernelINS0_14default_configENS1_38merge_sort_block_merge_config_selectorIiiEEZZNS1_27merge_sort_block_merge_implIS3_N6thrust23THRUST_200600_302600_NS6detail15normal_iteratorINS8_10device_ptrIiEEEESD_jNS1_19radix_merge_compareILb1ELb1EiNS0_19identity_decomposerEEEEE10hipError_tT0_T1_T2_jT3_P12ihipStream_tbPNSt15iterator_traitsISI_E10value_typeEPNSO_ISJ_E10value_typeEPSK_NS1_7vsmem_tEENKUlT_SI_SJ_SK_E_clISD_PiSD_S10_EESH_SX_SI_SJ_SK_EUlSX_E1_NS1_11comp_targetILNS1_3genE5ELNS1_11target_archE942ELNS1_3gpuE9ELNS1_3repE0EEENS1_36merge_oddeven_config_static_selectorELNS0_4arch9wavefront6targetE0EEEvSJ_.kd
    .uniform_work_group_size: 1
    .uses_dynamic_stack: false
    .vgpr_count:     0
    .vgpr_spill_count: 0
    .wavefront_size: 32
    .workgroup_processor_mode: 1
  - .args:
      - .offset:         0
        .size:           48
        .value_kind:     by_value
    .group_segment_fixed_size: 0
    .kernarg_segment_align: 8
    .kernarg_segment_size: 48
    .language:       OpenCL C
    .language_version:
      - 2
      - 0
    .max_flat_workgroup_size: 256
    .name:           _ZN7rocprim17ROCPRIM_400000_NS6detail17trampoline_kernelINS0_14default_configENS1_38merge_sort_block_merge_config_selectorIiiEEZZNS1_27merge_sort_block_merge_implIS3_N6thrust23THRUST_200600_302600_NS6detail15normal_iteratorINS8_10device_ptrIiEEEESD_jNS1_19radix_merge_compareILb1ELb1EiNS0_19identity_decomposerEEEEE10hipError_tT0_T1_T2_jT3_P12ihipStream_tbPNSt15iterator_traitsISI_E10value_typeEPNSO_ISJ_E10value_typeEPSK_NS1_7vsmem_tEENKUlT_SI_SJ_SK_E_clISD_PiSD_S10_EESH_SX_SI_SJ_SK_EUlSX_E1_NS1_11comp_targetILNS1_3genE4ELNS1_11target_archE910ELNS1_3gpuE8ELNS1_3repE0EEENS1_36merge_oddeven_config_static_selectorELNS0_4arch9wavefront6targetE0EEEvSJ_
    .private_segment_fixed_size: 0
    .sgpr_count:     0
    .sgpr_spill_count: 0
    .symbol:         _ZN7rocprim17ROCPRIM_400000_NS6detail17trampoline_kernelINS0_14default_configENS1_38merge_sort_block_merge_config_selectorIiiEEZZNS1_27merge_sort_block_merge_implIS3_N6thrust23THRUST_200600_302600_NS6detail15normal_iteratorINS8_10device_ptrIiEEEESD_jNS1_19radix_merge_compareILb1ELb1EiNS0_19identity_decomposerEEEEE10hipError_tT0_T1_T2_jT3_P12ihipStream_tbPNSt15iterator_traitsISI_E10value_typeEPNSO_ISJ_E10value_typeEPSK_NS1_7vsmem_tEENKUlT_SI_SJ_SK_E_clISD_PiSD_S10_EESH_SX_SI_SJ_SK_EUlSX_E1_NS1_11comp_targetILNS1_3genE4ELNS1_11target_archE910ELNS1_3gpuE8ELNS1_3repE0EEENS1_36merge_oddeven_config_static_selectorELNS0_4arch9wavefront6targetE0EEEvSJ_.kd
    .uniform_work_group_size: 1
    .uses_dynamic_stack: false
    .vgpr_count:     0
    .vgpr_spill_count: 0
    .wavefront_size: 32
    .workgroup_processor_mode: 1
  - .args:
      - .offset:         0
        .size:           48
        .value_kind:     by_value
    .group_segment_fixed_size: 0
    .kernarg_segment_align: 8
    .kernarg_segment_size: 48
    .language:       OpenCL C
    .language_version:
      - 2
      - 0
    .max_flat_workgroup_size: 256
    .name:           _ZN7rocprim17ROCPRIM_400000_NS6detail17trampoline_kernelINS0_14default_configENS1_38merge_sort_block_merge_config_selectorIiiEEZZNS1_27merge_sort_block_merge_implIS3_N6thrust23THRUST_200600_302600_NS6detail15normal_iteratorINS8_10device_ptrIiEEEESD_jNS1_19radix_merge_compareILb1ELb1EiNS0_19identity_decomposerEEEEE10hipError_tT0_T1_T2_jT3_P12ihipStream_tbPNSt15iterator_traitsISI_E10value_typeEPNSO_ISJ_E10value_typeEPSK_NS1_7vsmem_tEENKUlT_SI_SJ_SK_E_clISD_PiSD_S10_EESH_SX_SI_SJ_SK_EUlSX_E1_NS1_11comp_targetILNS1_3genE3ELNS1_11target_archE908ELNS1_3gpuE7ELNS1_3repE0EEENS1_36merge_oddeven_config_static_selectorELNS0_4arch9wavefront6targetE0EEEvSJ_
    .private_segment_fixed_size: 0
    .sgpr_count:     0
    .sgpr_spill_count: 0
    .symbol:         _ZN7rocprim17ROCPRIM_400000_NS6detail17trampoline_kernelINS0_14default_configENS1_38merge_sort_block_merge_config_selectorIiiEEZZNS1_27merge_sort_block_merge_implIS3_N6thrust23THRUST_200600_302600_NS6detail15normal_iteratorINS8_10device_ptrIiEEEESD_jNS1_19radix_merge_compareILb1ELb1EiNS0_19identity_decomposerEEEEE10hipError_tT0_T1_T2_jT3_P12ihipStream_tbPNSt15iterator_traitsISI_E10value_typeEPNSO_ISJ_E10value_typeEPSK_NS1_7vsmem_tEENKUlT_SI_SJ_SK_E_clISD_PiSD_S10_EESH_SX_SI_SJ_SK_EUlSX_E1_NS1_11comp_targetILNS1_3genE3ELNS1_11target_archE908ELNS1_3gpuE7ELNS1_3repE0EEENS1_36merge_oddeven_config_static_selectorELNS0_4arch9wavefront6targetE0EEEvSJ_.kd
    .uniform_work_group_size: 1
    .uses_dynamic_stack: false
    .vgpr_count:     0
    .vgpr_spill_count: 0
    .wavefront_size: 32
    .workgroup_processor_mode: 1
  - .args:
      - .offset:         0
        .size:           48
        .value_kind:     by_value
    .group_segment_fixed_size: 0
    .kernarg_segment_align: 8
    .kernarg_segment_size: 48
    .language:       OpenCL C
    .language_version:
      - 2
      - 0
    .max_flat_workgroup_size: 256
    .name:           _ZN7rocprim17ROCPRIM_400000_NS6detail17trampoline_kernelINS0_14default_configENS1_38merge_sort_block_merge_config_selectorIiiEEZZNS1_27merge_sort_block_merge_implIS3_N6thrust23THRUST_200600_302600_NS6detail15normal_iteratorINS8_10device_ptrIiEEEESD_jNS1_19radix_merge_compareILb1ELb1EiNS0_19identity_decomposerEEEEE10hipError_tT0_T1_T2_jT3_P12ihipStream_tbPNSt15iterator_traitsISI_E10value_typeEPNSO_ISJ_E10value_typeEPSK_NS1_7vsmem_tEENKUlT_SI_SJ_SK_E_clISD_PiSD_S10_EESH_SX_SI_SJ_SK_EUlSX_E1_NS1_11comp_targetILNS1_3genE2ELNS1_11target_archE906ELNS1_3gpuE6ELNS1_3repE0EEENS1_36merge_oddeven_config_static_selectorELNS0_4arch9wavefront6targetE0EEEvSJ_
    .private_segment_fixed_size: 0
    .sgpr_count:     0
    .sgpr_spill_count: 0
    .symbol:         _ZN7rocprim17ROCPRIM_400000_NS6detail17trampoline_kernelINS0_14default_configENS1_38merge_sort_block_merge_config_selectorIiiEEZZNS1_27merge_sort_block_merge_implIS3_N6thrust23THRUST_200600_302600_NS6detail15normal_iteratorINS8_10device_ptrIiEEEESD_jNS1_19radix_merge_compareILb1ELb1EiNS0_19identity_decomposerEEEEE10hipError_tT0_T1_T2_jT3_P12ihipStream_tbPNSt15iterator_traitsISI_E10value_typeEPNSO_ISJ_E10value_typeEPSK_NS1_7vsmem_tEENKUlT_SI_SJ_SK_E_clISD_PiSD_S10_EESH_SX_SI_SJ_SK_EUlSX_E1_NS1_11comp_targetILNS1_3genE2ELNS1_11target_archE906ELNS1_3gpuE6ELNS1_3repE0EEENS1_36merge_oddeven_config_static_selectorELNS0_4arch9wavefront6targetE0EEEvSJ_.kd
    .uniform_work_group_size: 1
    .uses_dynamic_stack: false
    .vgpr_count:     0
    .vgpr_spill_count: 0
    .wavefront_size: 32
    .workgroup_processor_mode: 1
  - .args:
      - .offset:         0
        .size:           48
        .value_kind:     by_value
    .group_segment_fixed_size: 0
    .kernarg_segment_align: 8
    .kernarg_segment_size: 48
    .language:       OpenCL C
    .language_version:
      - 2
      - 0
    .max_flat_workgroup_size: 256
    .name:           _ZN7rocprim17ROCPRIM_400000_NS6detail17trampoline_kernelINS0_14default_configENS1_38merge_sort_block_merge_config_selectorIiiEEZZNS1_27merge_sort_block_merge_implIS3_N6thrust23THRUST_200600_302600_NS6detail15normal_iteratorINS8_10device_ptrIiEEEESD_jNS1_19radix_merge_compareILb1ELb1EiNS0_19identity_decomposerEEEEE10hipError_tT0_T1_T2_jT3_P12ihipStream_tbPNSt15iterator_traitsISI_E10value_typeEPNSO_ISJ_E10value_typeEPSK_NS1_7vsmem_tEENKUlT_SI_SJ_SK_E_clISD_PiSD_S10_EESH_SX_SI_SJ_SK_EUlSX_E1_NS1_11comp_targetILNS1_3genE9ELNS1_11target_archE1100ELNS1_3gpuE3ELNS1_3repE0EEENS1_36merge_oddeven_config_static_selectorELNS0_4arch9wavefront6targetE0EEEvSJ_
    .private_segment_fixed_size: 0
    .sgpr_count:     0
    .sgpr_spill_count: 0
    .symbol:         _ZN7rocprim17ROCPRIM_400000_NS6detail17trampoline_kernelINS0_14default_configENS1_38merge_sort_block_merge_config_selectorIiiEEZZNS1_27merge_sort_block_merge_implIS3_N6thrust23THRUST_200600_302600_NS6detail15normal_iteratorINS8_10device_ptrIiEEEESD_jNS1_19radix_merge_compareILb1ELb1EiNS0_19identity_decomposerEEEEE10hipError_tT0_T1_T2_jT3_P12ihipStream_tbPNSt15iterator_traitsISI_E10value_typeEPNSO_ISJ_E10value_typeEPSK_NS1_7vsmem_tEENKUlT_SI_SJ_SK_E_clISD_PiSD_S10_EESH_SX_SI_SJ_SK_EUlSX_E1_NS1_11comp_targetILNS1_3genE9ELNS1_11target_archE1100ELNS1_3gpuE3ELNS1_3repE0EEENS1_36merge_oddeven_config_static_selectorELNS0_4arch9wavefront6targetE0EEEvSJ_.kd
    .uniform_work_group_size: 1
    .uses_dynamic_stack: false
    .vgpr_count:     0
    .vgpr_spill_count: 0
    .wavefront_size: 32
    .workgroup_processor_mode: 1
  - .args:
      - .offset:         0
        .size:           48
        .value_kind:     by_value
    .group_segment_fixed_size: 0
    .kernarg_segment_align: 8
    .kernarg_segment_size: 48
    .language:       OpenCL C
    .language_version:
      - 2
      - 0
    .max_flat_workgroup_size: 256
    .name:           _ZN7rocprim17ROCPRIM_400000_NS6detail17trampoline_kernelINS0_14default_configENS1_38merge_sort_block_merge_config_selectorIiiEEZZNS1_27merge_sort_block_merge_implIS3_N6thrust23THRUST_200600_302600_NS6detail15normal_iteratorINS8_10device_ptrIiEEEESD_jNS1_19radix_merge_compareILb1ELb1EiNS0_19identity_decomposerEEEEE10hipError_tT0_T1_T2_jT3_P12ihipStream_tbPNSt15iterator_traitsISI_E10value_typeEPNSO_ISJ_E10value_typeEPSK_NS1_7vsmem_tEENKUlT_SI_SJ_SK_E_clISD_PiSD_S10_EESH_SX_SI_SJ_SK_EUlSX_E1_NS1_11comp_targetILNS1_3genE8ELNS1_11target_archE1030ELNS1_3gpuE2ELNS1_3repE0EEENS1_36merge_oddeven_config_static_selectorELNS0_4arch9wavefront6targetE0EEEvSJ_
    .private_segment_fixed_size: 0
    .sgpr_count:     24
    .sgpr_spill_count: 0
    .symbol:         _ZN7rocprim17ROCPRIM_400000_NS6detail17trampoline_kernelINS0_14default_configENS1_38merge_sort_block_merge_config_selectorIiiEEZZNS1_27merge_sort_block_merge_implIS3_N6thrust23THRUST_200600_302600_NS6detail15normal_iteratorINS8_10device_ptrIiEEEESD_jNS1_19radix_merge_compareILb1ELb1EiNS0_19identity_decomposerEEEEE10hipError_tT0_T1_T2_jT3_P12ihipStream_tbPNSt15iterator_traitsISI_E10value_typeEPNSO_ISJ_E10value_typeEPSK_NS1_7vsmem_tEENKUlT_SI_SJ_SK_E_clISD_PiSD_S10_EESH_SX_SI_SJ_SK_EUlSX_E1_NS1_11comp_targetILNS1_3genE8ELNS1_11target_archE1030ELNS1_3gpuE2ELNS1_3repE0EEENS1_36merge_oddeven_config_static_selectorELNS0_4arch9wavefront6targetE0EEEvSJ_.kd
    .uniform_work_group_size: 1
    .uses_dynamic_stack: false
    .vgpr_count:     10
    .vgpr_spill_count: 0
    .wavefront_size: 32
    .workgroup_processor_mode: 1
  - .args:
      - .offset:         0
        .size:           40
        .value_kind:     by_value
    .group_segment_fixed_size: 0
    .kernarg_segment_align: 8
    .kernarg_segment_size: 40
    .language:       OpenCL C
    .language_version:
      - 2
      - 0
    .max_flat_workgroup_size: 256
    .name:           _ZN7rocprim17ROCPRIM_400000_NS6detail17trampoline_kernelINS0_14default_configENS1_35radix_sort_onesweep_config_selectorIiiEEZNS1_34radix_sort_onesweep_global_offsetsIS3_Lb1EN6thrust23THRUST_200600_302600_NS6detail15normal_iteratorINS8_10device_ptrIiEEEESD_jNS0_19identity_decomposerEEE10hipError_tT1_T2_PT3_SI_jT4_jjP12ihipStream_tbEUlT_E_NS1_11comp_targetILNS1_3genE0ELNS1_11target_archE4294967295ELNS1_3gpuE0ELNS1_3repE0EEENS1_52radix_sort_onesweep_histogram_config_static_selectorELNS0_4arch9wavefront6targetE0EEEvSG_
    .private_segment_fixed_size: 0
    .sgpr_count:     0
    .sgpr_spill_count: 0
    .symbol:         _ZN7rocprim17ROCPRIM_400000_NS6detail17trampoline_kernelINS0_14default_configENS1_35radix_sort_onesweep_config_selectorIiiEEZNS1_34radix_sort_onesweep_global_offsetsIS3_Lb1EN6thrust23THRUST_200600_302600_NS6detail15normal_iteratorINS8_10device_ptrIiEEEESD_jNS0_19identity_decomposerEEE10hipError_tT1_T2_PT3_SI_jT4_jjP12ihipStream_tbEUlT_E_NS1_11comp_targetILNS1_3genE0ELNS1_11target_archE4294967295ELNS1_3gpuE0ELNS1_3repE0EEENS1_52radix_sort_onesweep_histogram_config_static_selectorELNS0_4arch9wavefront6targetE0EEEvSG_.kd
    .uniform_work_group_size: 1
    .uses_dynamic_stack: false
    .vgpr_count:     0
    .vgpr_spill_count: 0
    .wavefront_size: 32
    .workgroup_processor_mode: 1
  - .args:
      - .offset:         0
        .size:           40
        .value_kind:     by_value
    .group_segment_fixed_size: 0
    .kernarg_segment_align: 8
    .kernarg_segment_size: 40
    .language:       OpenCL C
    .language_version:
      - 2
      - 0
    .max_flat_workgroup_size: 1024
    .name:           _ZN7rocprim17ROCPRIM_400000_NS6detail17trampoline_kernelINS0_14default_configENS1_35radix_sort_onesweep_config_selectorIiiEEZNS1_34radix_sort_onesweep_global_offsetsIS3_Lb1EN6thrust23THRUST_200600_302600_NS6detail15normal_iteratorINS8_10device_ptrIiEEEESD_jNS0_19identity_decomposerEEE10hipError_tT1_T2_PT3_SI_jT4_jjP12ihipStream_tbEUlT_E_NS1_11comp_targetILNS1_3genE6ELNS1_11target_archE950ELNS1_3gpuE13ELNS1_3repE0EEENS1_52radix_sort_onesweep_histogram_config_static_selectorELNS0_4arch9wavefront6targetE0EEEvSG_
    .private_segment_fixed_size: 0
    .sgpr_count:     0
    .sgpr_spill_count: 0
    .symbol:         _ZN7rocprim17ROCPRIM_400000_NS6detail17trampoline_kernelINS0_14default_configENS1_35radix_sort_onesweep_config_selectorIiiEEZNS1_34radix_sort_onesweep_global_offsetsIS3_Lb1EN6thrust23THRUST_200600_302600_NS6detail15normal_iteratorINS8_10device_ptrIiEEEESD_jNS0_19identity_decomposerEEE10hipError_tT1_T2_PT3_SI_jT4_jjP12ihipStream_tbEUlT_E_NS1_11comp_targetILNS1_3genE6ELNS1_11target_archE950ELNS1_3gpuE13ELNS1_3repE0EEENS1_52radix_sort_onesweep_histogram_config_static_selectorELNS0_4arch9wavefront6targetE0EEEvSG_.kd
    .uniform_work_group_size: 1
    .uses_dynamic_stack: false
    .vgpr_count:     0
    .vgpr_spill_count: 0
    .wavefront_size: 32
    .workgroup_processor_mode: 1
  - .args:
      - .offset:         0
        .size:           40
        .value_kind:     by_value
    .group_segment_fixed_size: 0
    .kernarg_segment_align: 8
    .kernarg_segment_size: 40
    .language:       OpenCL C
    .language_version:
      - 2
      - 0
    .max_flat_workgroup_size: 1024
    .name:           _ZN7rocprim17ROCPRIM_400000_NS6detail17trampoline_kernelINS0_14default_configENS1_35radix_sort_onesweep_config_selectorIiiEEZNS1_34radix_sort_onesweep_global_offsetsIS3_Lb1EN6thrust23THRUST_200600_302600_NS6detail15normal_iteratorINS8_10device_ptrIiEEEESD_jNS0_19identity_decomposerEEE10hipError_tT1_T2_PT3_SI_jT4_jjP12ihipStream_tbEUlT_E_NS1_11comp_targetILNS1_3genE5ELNS1_11target_archE942ELNS1_3gpuE9ELNS1_3repE0EEENS1_52radix_sort_onesweep_histogram_config_static_selectorELNS0_4arch9wavefront6targetE0EEEvSG_
    .private_segment_fixed_size: 0
    .sgpr_count:     0
    .sgpr_spill_count: 0
    .symbol:         _ZN7rocprim17ROCPRIM_400000_NS6detail17trampoline_kernelINS0_14default_configENS1_35radix_sort_onesweep_config_selectorIiiEEZNS1_34radix_sort_onesweep_global_offsetsIS3_Lb1EN6thrust23THRUST_200600_302600_NS6detail15normal_iteratorINS8_10device_ptrIiEEEESD_jNS0_19identity_decomposerEEE10hipError_tT1_T2_PT3_SI_jT4_jjP12ihipStream_tbEUlT_E_NS1_11comp_targetILNS1_3genE5ELNS1_11target_archE942ELNS1_3gpuE9ELNS1_3repE0EEENS1_52radix_sort_onesweep_histogram_config_static_selectorELNS0_4arch9wavefront6targetE0EEEvSG_.kd
    .uniform_work_group_size: 1
    .uses_dynamic_stack: false
    .vgpr_count:     0
    .vgpr_spill_count: 0
    .wavefront_size: 32
    .workgroup_processor_mode: 1
  - .args:
      - .offset:         0
        .size:           40
        .value_kind:     by_value
    .group_segment_fixed_size: 0
    .kernarg_segment_align: 8
    .kernarg_segment_size: 40
    .language:       OpenCL C
    .language_version:
      - 2
      - 0
    .max_flat_workgroup_size: 512
    .name:           _ZN7rocprim17ROCPRIM_400000_NS6detail17trampoline_kernelINS0_14default_configENS1_35radix_sort_onesweep_config_selectorIiiEEZNS1_34radix_sort_onesweep_global_offsetsIS3_Lb1EN6thrust23THRUST_200600_302600_NS6detail15normal_iteratorINS8_10device_ptrIiEEEESD_jNS0_19identity_decomposerEEE10hipError_tT1_T2_PT3_SI_jT4_jjP12ihipStream_tbEUlT_E_NS1_11comp_targetILNS1_3genE2ELNS1_11target_archE906ELNS1_3gpuE6ELNS1_3repE0EEENS1_52radix_sort_onesweep_histogram_config_static_selectorELNS0_4arch9wavefront6targetE0EEEvSG_
    .private_segment_fixed_size: 0
    .sgpr_count:     0
    .sgpr_spill_count: 0
    .symbol:         _ZN7rocprim17ROCPRIM_400000_NS6detail17trampoline_kernelINS0_14default_configENS1_35radix_sort_onesweep_config_selectorIiiEEZNS1_34radix_sort_onesweep_global_offsetsIS3_Lb1EN6thrust23THRUST_200600_302600_NS6detail15normal_iteratorINS8_10device_ptrIiEEEESD_jNS0_19identity_decomposerEEE10hipError_tT1_T2_PT3_SI_jT4_jjP12ihipStream_tbEUlT_E_NS1_11comp_targetILNS1_3genE2ELNS1_11target_archE906ELNS1_3gpuE6ELNS1_3repE0EEENS1_52radix_sort_onesweep_histogram_config_static_selectorELNS0_4arch9wavefront6targetE0EEEvSG_.kd
    .uniform_work_group_size: 1
    .uses_dynamic_stack: false
    .vgpr_count:     0
    .vgpr_spill_count: 0
    .wavefront_size: 32
    .workgroup_processor_mode: 1
  - .args:
      - .offset:         0
        .size:           40
        .value_kind:     by_value
    .group_segment_fixed_size: 0
    .kernarg_segment_align: 8
    .kernarg_segment_size: 40
    .language:       OpenCL C
    .language_version:
      - 2
      - 0
    .max_flat_workgroup_size: 512
    .name:           _ZN7rocprim17ROCPRIM_400000_NS6detail17trampoline_kernelINS0_14default_configENS1_35radix_sort_onesweep_config_selectorIiiEEZNS1_34radix_sort_onesweep_global_offsetsIS3_Lb1EN6thrust23THRUST_200600_302600_NS6detail15normal_iteratorINS8_10device_ptrIiEEEESD_jNS0_19identity_decomposerEEE10hipError_tT1_T2_PT3_SI_jT4_jjP12ihipStream_tbEUlT_E_NS1_11comp_targetILNS1_3genE4ELNS1_11target_archE910ELNS1_3gpuE8ELNS1_3repE0EEENS1_52radix_sort_onesweep_histogram_config_static_selectorELNS0_4arch9wavefront6targetE0EEEvSG_
    .private_segment_fixed_size: 0
    .sgpr_count:     0
    .sgpr_spill_count: 0
    .symbol:         _ZN7rocprim17ROCPRIM_400000_NS6detail17trampoline_kernelINS0_14default_configENS1_35radix_sort_onesweep_config_selectorIiiEEZNS1_34radix_sort_onesweep_global_offsetsIS3_Lb1EN6thrust23THRUST_200600_302600_NS6detail15normal_iteratorINS8_10device_ptrIiEEEESD_jNS0_19identity_decomposerEEE10hipError_tT1_T2_PT3_SI_jT4_jjP12ihipStream_tbEUlT_E_NS1_11comp_targetILNS1_3genE4ELNS1_11target_archE910ELNS1_3gpuE8ELNS1_3repE0EEENS1_52radix_sort_onesweep_histogram_config_static_selectorELNS0_4arch9wavefront6targetE0EEEvSG_.kd
    .uniform_work_group_size: 1
    .uses_dynamic_stack: false
    .vgpr_count:     0
    .vgpr_spill_count: 0
    .wavefront_size: 32
    .workgroup_processor_mode: 1
  - .args:
      - .offset:         0
        .size:           40
        .value_kind:     by_value
    .group_segment_fixed_size: 0
    .kernarg_segment_align: 8
    .kernarg_segment_size: 40
    .language:       OpenCL C
    .language_version:
      - 2
      - 0
    .max_flat_workgroup_size: 256
    .name:           _ZN7rocprim17ROCPRIM_400000_NS6detail17trampoline_kernelINS0_14default_configENS1_35radix_sort_onesweep_config_selectorIiiEEZNS1_34radix_sort_onesweep_global_offsetsIS3_Lb1EN6thrust23THRUST_200600_302600_NS6detail15normal_iteratorINS8_10device_ptrIiEEEESD_jNS0_19identity_decomposerEEE10hipError_tT1_T2_PT3_SI_jT4_jjP12ihipStream_tbEUlT_E_NS1_11comp_targetILNS1_3genE3ELNS1_11target_archE908ELNS1_3gpuE7ELNS1_3repE0EEENS1_52radix_sort_onesweep_histogram_config_static_selectorELNS0_4arch9wavefront6targetE0EEEvSG_
    .private_segment_fixed_size: 0
    .sgpr_count:     0
    .sgpr_spill_count: 0
    .symbol:         _ZN7rocprim17ROCPRIM_400000_NS6detail17trampoline_kernelINS0_14default_configENS1_35radix_sort_onesweep_config_selectorIiiEEZNS1_34radix_sort_onesweep_global_offsetsIS3_Lb1EN6thrust23THRUST_200600_302600_NS6detail15normal_iteratorINS8_10device_ptrIiEEEESD_jNS0_19identity_decomposerEEE10hipError_tT1_T2_PT3_SI_jT4_jjP12ihipStream_tbEUlT_E_NS1_11comp_targetILNS1_3genE3ELNS1_11target_archE908ELNS1_3gpuE7ELNS1_3repE0EEENS1_52radix_sort_onesweep_histogram_config_static_selectorELNS0_4arch9wavefront6targetE0EEEvSG_.kd
    .uniform_work_group_size: 1
    .uses_dynamic_stack: false
    .vgpr_count:     0
    .vgpr_spill_count: 0
    .wavefront_size: 32
    .workgroup_processor_mode: 1
  - .args:
      - .offset:         0
        .size:           40
        .value_kind:     by_value
    .group_segment_fixed_size: 0
    .kernarg_segment_align: 8
    .kernarg_segment_size: 40
    .language:       OpenCL C
    .language_version:
      - 2
      - 0
    .max_flat_workgroup_size: 1024
    .name:           _ZN7rocprim17ROCPRIM_400000_NS6detail17trampoline_kernelINS0_14default_configENS1_35radix_sort_onesweep_config_selectorIiiEEZNS1_34radix_sort_onesweep_global_offsetsIS3_Lb1EN6thrust23THRUST_200600_302600_NS6detail15normal_iteratorINS8_10device_ptrIiEEEESD_jNS0_19identity_decomposerEEE10hipError_tT1_T2_PT3_SI_jT4_jjP12ihipStream_tbEUlT_E_NS1_11comp_targetILNS1_3genE10ELNS1_11target_archE1201ELNS1_3gpuE5ELNS1_3repE0EEENS1_52radix_sort_onesweep_histogram_config_static_selectorELNS0_4arch9wavefront6targetE0EEEvSG_
    .private_segment_fixed_size: 0
    .sgpr_count:     0
    .sgpr_spill_count: 0
    .symbol:         _ZN7rocprim17ROCPRIM_400000_NS6detail17trampoline_kernelINS0_14default_configENS1_35radix_sort_onesweep_config_selectorIiiEEZNS1_34radix_sort_onesweep_global_offsetsIS3_Lb1EN6thrust23THRUST_200600_302600_NS6detail15normal_iteratorINS8_10device_ptrIiEEEESD_jNS0_19identity_decomposerEEE10hipError_tT1_T2_PT3_SI_jT4_jjP12ihipStream_tbEUlT_E_NS1_11comp_targetILNS1_3genE10ELNS1_11target_archE1201ELNS1_3gpuE5ELNS1_3repE0EEENS1_52radix_sort_onesweep_histogram_config_static_selectorELNS0_4arch9wavefront6targetE0EEEvSG_.kd
    .uniform_work_group_size: 1
    .uses_dynamic_stack: false
    .vgpr_count:     0
    .vgpr_spill_count: 0
    .wavefront_size: 32
    .workgroup_processor_mode: 1
  - .args:
      - .offset:         0
        .size:           40
        .value_kind:     by_value
    .group_segment_fixed_size: 0
    .kernarg_segment_align: 8
    .kernarg_segment_size: 40
    .language:       OpenCL C
    .language_version:
      - 2
      - 0
    .max_flat_workgroup_size: 1024
    .name:           _ZN7rocprim17ROCPRIM_400000_NS6detail17trampoline_kernelINS0_14default_configENS1_35radix_sort_onesweep_config_selectorIiiEEZNS1_34radix_sort_onesweep_global_offsetsIS3_Lb1EN6thrust23THRUST_200600_302600_NS6detail15normal_iteratorINS8_10device_ptrIiEEEESD_jNS0_19identity_decomposerEEE10hipError_tT1_T2_PT3_SI_jT4_jjP12ihipStream_tbEUlT_E_NS1_11comp_targetILNS1_3genE9ELNS1_11target_archE1100ELNS1_3gpuE3ELNS1_3repE0EEENS1_52radix_sort_onesweep_histogram_config_static_selectorELNS0_4arch9wavefront6targetE0EEEvSG_
    .private_segment_fixed_size: 0
    .sgpr_count:     0
    .sgpr_spill_count: 0
    .symbol:         _ZN7rocprim17ROCPRIM_400000_NS6detail17trampoline_kernelINS0_14default_configENS1_35radix_sort_onesweep_config_selectorIiiEEZNS1_34radix_sort_onesweep_global_offsetsIS3_Lb1EN6thrust23THRUST_200600_302600_NS6detail15normal_iteratorINS8_10device_ptrIiEEEESD_jNS0_19identity_decomposerEEE10hipError_tT1_T2_PT3_SI_jT4_jjP12ihipStream_tbEUlT_E_NS1_11comp_targetILNS1_3genE9ELNS1_11target_archE1100ELNS1_3gpuE3ELNS1_3repE0EEENS1_52radix_sort_onesweep_histogram_config_static_selectorELNS0_4arch9wavefront6targetE0EEEvSG_.kd
    .uniform_work_group_size: 1
    .uses_dynamic_stack: false
    .vgpr_count:     0
    .vgpr_spill_count: 0
    .wavefront_size: 32
    .workgroup_processor_mode: 1
  - .args:
      - .offset:         0
        .size:           40
        .value_kind:     by_value
    .group_segment_fixed_size: 16384
    .kernarg_segment_align: 8
    .kernarg_segment_size: 40
    .language:       OpenCL C
    .language_version:
      - 2
      - 0
    .max_flat_workgroup_size: 1024
    .name:           _ZN7rocprim17ROCPRIM_400000_NS6detail17trampoline_kernelINS0_14default_configENS1_35radix_sort_onesweep_config_selectorIiiEEZNS1_34radix_sort_onesweep_global_offsetsIS3_Lb1EN6thrust23THRUST_200600_302600_NS6detail15normal_iteratorINS8_10device_ptrIiEEEESD_jNS0_19identity_decomposerEEE10hipError_tT1_T2_PT3_SI_jT4_jjP12ihipStream_tbEUlT_E_NS1_11comp_targetILNS1_3genE8ELNS1_11target_archE1030ELNS1_3gpuE2ELNS1_3repE0EEENS1_52radix_sort_onesweep_histogram_config_static_selectorELNS0_4arch9wavefront6targetE0EEEvSG_
    .private_segment_fixed_size: 0
    .sgpr_count:     16
    .sgpr_spill_count: 0
    .symbol:         _ZN7rocprim17ROCPRIM_400000_NS6detail17trampoline_kernelINS0_14default_configENS1_35radix_sort_onesweep_config_selectorIiiEEZNS1_34radix_sort_onesweep_global_offsetsIS3_Lb1EN6thrust23THRUST_200600_302600_NS6detail15normal_iteratorINS8_10device_ptrIiEEEESD_jNS0_19identity_decomposerEEE10hipError_tT1_T2_PT3_SI_jT4_jjP12ihipStream_tbEUlT_E_NS1_11comp_targetILNS1_3genE8ELNS1_11target_archE1030ELNS1_3gpuE2ELNS1_3repE0EEENS1_52radix_sort_onesweep_histogram_config_static_selectorELNS0_4arch9wavefront6targetE0EEEvSG_.kd
    .uniform_work_group_size: 1
    .uses_dynamic_stack: false
    .vgpr_count:     28
    .vgpr_spill_count: 0
    .wavefront_size: 32
    .workgroup_processor_mode: 1
  - .args:
      - .address_space:  global
        .offset:         0
        .size:           8
        .value_kind:     global_buffer
    .group_segment_fixed_size: 0
    .kernarg_segment_align: 8
    .kernarg_segment_size: 8
    .language:       OpenCL C
    .language_version:
      - 2
      - 0
    .max_flat_workgroup_size: 256
    .name:           _ZN7rocprim17ROCPRIM_400000_NS6detail17trampoline_kernelINS0_14default_configENS1_35radix_sort_onesweep_config_selectorIiiEEZNS1_34radix_sort_onesweep_global_offsetsIS3_Lb1EN6thrust23THRUST_200600_302600_NS6detail15normal_iteratorINS8_10device_ptrIiEEEESD_jNS0_19identity_decomposerEEE10hipError_tT1_T2_PT3_SI_jT4_jjP12ihipStream_tbEUlT_E0_NS1_11comp_targetILNS1_3genE0ELNS1_11target_archE4294967295ELNS1_3gpuE0ELNS1_3repE0EEENS1_52radix_sort_onesweep_histogram_config_static_selectorELNS0_4arch9wavefront6targetE0EEEvSG_
    .private_segment_fixed_size: 0
    .sgpr_count:     0
    .sgpr_spill_count: 0
    .symbol:         _ZN7rocprim17ROCPRIM_400000_NS6detail17trampoline_kernelINS0_14default_configENS1_35radix_sort_onesweep_config_selectorIiiEEZNS1_34radix_sort_onesweep_global_offsetsIS3_Lb1EN6thrust23THRUST_200600_302600_NS6detail15normal_iteratorINS8_10device_ptrIiEEEESD_jNS0_19identity_decomposerEEE10hipError_tT1_T2_PT3_SI_jT4_jjP12ihipStream_tbEUlT_E0_NS1_11comp_targetILNS1_3genE0ELNS1_11target_archE4294967295ELNS1_3gpuE0ELNS1_3repE0EEENS1_52radix_sort_onesweep_histogram_config_static_selectorELNS0_4arch9wavefront6targetE0EEEvSG_.kd
    .uniform_work_group_size: 1
    .uses_dynamic_stack: false
    .vgpr_count:     0
    .vgpr_spill_count: 0
    .wavefront_size: 32
    .workgroup_processor_mode: 1
  - .args:
      - .address_space:  global
        .offset:         0
        .size:           8
        .value_kind:     global_buffer
    .group_segment_fixed_size: 0
    .kernarg_segment_align: 8
    .kernarg_segment_size: 8
    .language:       OpenCL C
    .language_version:
      - 2
      - 0
    .max_flat_workgroup_size: 1024
    .name:           _ZN7rocprim17ROCPRIM_400000_NS6detail17trampoline_kernelINS0_14default_configENS1_35radix_sort_onesweep_config_selectorIiiEEZNS1_34radix_sort_onesweep_global_offsetsIS3_Lb1EN6thrust23THRUST_200600_302600_NS6detail15normal_iteratorINS8_10device_ptrIiEEEESD_jNS0_19identity_decomposerEEE10hipError_tT1_T2_PT3_SI_jT4_jjP12ihipStream_tbEUlT_E0_NS1_11comp_targetILNS1_3genE6ELNS1_11target_archE950ELNS1_3gpuE13ELNS1_3repE0EEENS1_52radix_sort_onesweep_histogram_config_static_selectorELNS0_4arch9wavefront6targetE0EEEvSG_
    .private_segment_fixed_size: 0
    .sgpr_count:     0
    .sgpr_spill_count: 0
    .symbol:         _ZN7rocprim17ROCPRIM_400000_NS6detail17trampoline_kernelINS0_14default_configENS1_35radix_sort_onesweep_config_selectorIiiEEZNS1_34radix_sort_onesweep_global_offsetsIS3_Lb1EN6thrust23THRUST_200600_302600_NS6detail15normal_iteratorINS8_10device_ptrIiEEEESD_jNS0_19identity_decomposerEEE10hipError_tT1_T2_PT3_SI_jT4_jjP12ihipStream_tbEUlT_E0_NS1_11comp_targetILNS1_3genE6ELNS1_11target_archE950ELNS1_3gpuE13ELNS1_3repE0EEENS1_52radix_sort_onesweep_histogram_config_static_selectorELNS0_4arch9wavefront6targetE0EEEvSG_.kd
    .uniform_work_group_size: 1
    .uses_dynamic_stack: false
    .vgpr_count:     0
    .vgpr_spill_count: 0
    .wavefront_size: 32
    .workgroup_processor_mode: 1
  - .args:
      - .address_space:  global
        .offset:         0
        .size:           8
        .value_kind:     global_buffer
    .group_segment_fixed_size: 0
    .kernarg_segment_align: 8
    .kernarg_segment_size: 8
    .language:       OpenCL C
    .language_version:
      - 2
      - 0
    .max_flat_workgroup_size: 1024
    .name:           _ZN7rocprim17ROCPRIM_400000_NS6detail17trampoline_kernelINS0_14default_configENS1_35radix_sort_onesweep_config_selectorIiiEEZNS1_34radix_sort_onesweep_global_offsetsIS3_Lb1EN6thrust23THRUST_200600_302600_NS6detail15normal_iteratorINS8_10device_ptrIiEEEESD_jNS0_19identity_decomposerEEE10hipError_tT1_T2_PT3_SI_jT4_jjP12ihipStream_tbEUlT_E0_NS1_11comp_targetILNS1_3genE5ELNS1_11target_archE942ELNS1_3gpuE9ELNS1_3repE0EEENS1_52radix_sort_onesweep_histogram_config_static_selectorELNS0_4arch9wavefront6targetE0EEEvSG_
    .private_segment_fixed_size: 0
    .sgpr_count:     0
    .sgpr_spill_count: 0
    .symbol:         _ZN7rocprim17ROCPRIM_400000_NS6detail17trampoline_kernelINS0_14default_configENS1_35radix_sort_onesweep_config_selectorIiiEEZNS1_34radix_sort_onesweep_global_offsetsIS3_Lb1EN6thrust23THRUST_200600_302600_NS6detail15normal_iteratorINS8_10device_ptrIiEEEESD_jNS0_19identity_decomposerEEE10hipError_tT1_T2_PT3_SI_jT4_jjP12ihipStream_tbEUlT_E0_NS1_11comp_targetILNS1_3genE5ELNS1_11target_archE942ELNS1_3gpuE9ELNS1_3repE0EEENS1_52radix_sort_onesweep_histogram_config_static_selectorELNS0_4arch9wavefront6targetE0EEEvSG_.kd
    .uniform_work_group_size: 1
    .uses_dynamic_stack: false
    .vgpr_count:     0
    .vgpr_spill_count: 0
    .wavefront_size: 32
    .workgroup_processor_mode: 1
  - .args:
      - .address_space:  global
        .offset:         0
        .size:           8
        .value_kind:     global_buffer
    .group_segment_fixed_size: 0
    .kernarg_segment_align: 8
    .kernarg_segment_size: 8
    .language:       OpenCL C
    .language_version:
      - 2
      - 0
    .max_flat_workgroup_size: 512
    .name:           _ZN7rocprim17ROCPRIM_400000_NS6detail17trampoline_kernelINS0_14default_configENS1_35radix_sort_onesweep_config_selectorIiiEEZNS1_34radix_sort_onesweep_global_offsetsIS3_Lb1EN6thrust23THRUST_200600_302600_NS6detail15normal_iteratorINS8_10device_ptrIiEEEESD_jNS0_19identity_decomposerEEE10hipError_tT1_T2_PT3_SI_jT4_jjP12ihipStream_tbEUlT_E0_NS1_11comp_targetILNS1_3genE2ELNS1_11target_archE906ELNS1_3gpuE6ELNS1_3repE0EEENS1_52radix_sort_onesweep_histogram_config_static_selectorELNS0_4arch9wavefront6targetE0EEEvSG_
    .private_segment_fixed_size: 0
    .sgpr_count:     0
    .sgpr_spill_count: 0
    .symbol:         _ZN7rocprim17ROCPRIM_400000_NS6detail17trampoline_kernelINS0_14default_configENS1_35radix_sort_onesweep_config_selectorIiiEEZNS1_34radix_sort_onesweep_global_offsetsIS3_Lb1EN6thrust23THRUST_200600_302600_NS6detail15normal_iteratorINS8_10device_ptrIiEEEESD_jNS0_19identity_decomposerEEE10hipError_tT1_T2_PT3_SI_jT4_jjP12ihipStream_tbEUlT_E0_NS1_11comp_targetILNS1_3genE2ELNS1_11target_archE906ELNS1_3gpuE6ELNS1_3repE0EEENS1_52radix_sort_onesweep_histogram_config_static_selectorELNS0_4arch9wavefront6targetE0EEEvSG_.kd
    .uniform_work_group_size: 1
    .uses_dynamic_stack: false
    .vgpr_count:     0
    .vgpr_spill_count: 0
    .wavefront_size: 32
    .workgroup_processor_mode: 1
  - .args:
      - .address_space:  global
        .offset:         0
        .size:           8
        .value_kind:     global_buffer
    .group_segment_fixed_size: 0
    .kernarg_segment_align: 8
    .kernarg_segment_size: 8
    .language:       OpenCL C
    .language_version:
      - 2
      - 0
    .max_flat_workgroup_size: 512
    .name:           _ZN7rocprim17ROCPRIM_400000_NS6detail17trampoline_kernelINS0_14default_configENS1_35radix_sort_onesweep_config_selectorIiiEEZNS1_34radix_sort_onesweep_global_offsetsIS3_Lb1EN6thrust23THRUST_200600_302600_NS6detail15normal_iteratorINS8_10device_ptrIiEEEESD_jNS0_19identity_decomposerEEE10hipError_tT1_T2_PT3_SI_jT4_jjP12ihipStream_tbEUlT_E0_NS1_11comp_targetILNS1_3genE4ELNS1_11target_archE910ELNS1_3gpuE8ELNS1_3repE0EEENS1_52radix_sort_onesweep_histogram_config_static_selectorELNS0_4arch9wavefront6targetE0EEEvSG_
    .private_segment_fixed_size: 0
    .sgpr_count:     0
    .sgpr_spill_count: 0
    .symbol:         _ZN7rocprim17ROCPRIM_400000_NS6detail17trampoline_kernelINS0_14default_configENS1_35radix_sort_onesweep_config_selectorIiiEEZNS1_34radix_sort_onesweep_global_offsetsIS3_Lb1EN6thrust23THRUST_200600_302600_NS6detail15normal_iteratorINS8_10device_ptrIiEEEESD_jNS0_19identity_decomposerEEE10hipError_tT1_T2_PT3_SI_jT4_jjP12ihipStream_tbEUlT_E0_NS1_11comp_targetILNS1_3genE4ELNS1_11target_archE910ELNS1_3gpuE8ELNS1_3repE0EEENS1_52radix_sort_onesweep_histogram_config_static_selectorELNS0_4arch9wavefront6targetE0EEEvSG_.kd
    .uniform_work_group_size: 1
    .uses_dynamic_stack: false
    .vgpr_count:     0
    .vgpr_spill_count: 0
    .wavefront_size: 32
    .workgroup_processor_mode: 1
  - .args:
      - .address_space:  global
        .offset:         0
        .size:           8
        .value_kind:     global_buffer
    .group_segment_fixed_size: 0
    .kernarg_segment_align: 8
    .kernarg_segment_size: 8
    .language:       OpenCL C
    .language_version:
      - 2
      - 0
    .max_flat_workgroup_size: 256
    .name:           _ZN7rocprim17ROCPRIM_400000_NS6detail17trampoline_kernelINS0_14default_configENS1_35radix_sort_onesweep_config_selectorIiiEEZNS1_34radix_sort_onesweep_global_offsetsIS3_Lb1EN6thrust23THRUST_200600_302600_NS6detail15normal_iteratorINS8_10device_ptrIiEEEESD_jNS0_19identity_decomposerEEE10hipError_tT1_T2_PT3_SI_jT4_jjP12ihipStream_tbEUlT_E0_NS1_11comp_targetILNS1_3genE3ELNS1_11target_archE908ELNS1_3gpuE7ELNS1_3repE0EEENS1_52radix_sort_onesweep_histogram_config_static_selectorELNS0_4arch9wavefront6targetE0EEEvSG_
    .private_segment_fixed_size: 0
    .sgpr_count:     0
    .sgpr_spill_count: 0
    .symbol:         _ZN7rocprim17ROCPRIM_400000_NS6detail17trampoline_kernelINS0_14default_configENS1_35radix_sort_onesweep_config_selectorIiiEEZNS1_34radix_sort_onesweep_global_offsetsIS3_Lb1EN6thrust23THRUST_200600_302600_NS6detail15normal_iteratorINS8_10device_ptrIiEEEESD_jNS0_19identity_decomposerEEE10hipError_tT1_T2_PT3_SI_jT4_jjP12ihipStream_tbEUlT_E0_NS1_11comp_targetILNS1_3genE3ELNS1_11target_archE908ELNS1_3gpuE7ELNS1_3repE0EEENS1_52radix_sort_onesweep_histogram_config_static_selectorELNS0_4arch9wavefront6targetE0EEEvSG_.kd
    .uniform_work_group_size: 1
    .uses_dynamic_stack: false
    .vgpr_count:     0
    .vgpr_spill_count: 0
    .wavefront_size: 32
    .workgroup_processor_mode: 1
  - .args:
      - .address_space:  global
        .offset:         0
        .size:           8
        .value_kind:     global_buffer
    .group_segment_fixed_size: 0
    .kernarg_segment_align: 8
    .kernarg_segment_size: 8
    .language:       OpenCL C
    .language_version:
      - 2
      - 0
    .max_flat_workgroup_size: 1024
    .name:           _ZN7rocprim17ROCPRIM_400000_NS6detail17trampoline_kernelINS0_14default_configENS1_35radix_sort_onesweep_config_selectorIiiEEZNS1_34radix_sort_onesweep_global_offsetsIS3_Lb1EN6thrust23THRUST_200600_302600_NS6detail15normal_iteratorINS8_10device_ptrIiEEEESD_jNS0_19identity_decomposerEEE10hipError_tT1_T2_PT3_SI_jT4_jjP12ihipStream_tbEUlT_E0_NS1_11comp_targetILNS1_3genE10ELNS1_11target_archE1201ELNS1_3gpuE5ELNS1_3repE0EEENS1_52radix_sort_onesweep_histogram_config_static_selectorELNS0_4arch9wavefront6targetE0EEEvSG_
    .private_segment_fixed_size: 0
    .sgpr_count:     0
    .sgpr_spill_count: 0
    .symbol:         _ZN7rocprim17ROCPRIM_400000_NS6detail17trampoline_kernelINS0_14default_configENS1_35radix_sort_onesweep_config_selectorIiiEEZNS1_34radix_sort_onesweep_global_offsetsIS3_Lb1EN6thrust23THRUST_200600_302600_NS6detail15normal_iteratorINS8_10device_ptrIiEEEESD_jNS0_19identity_decomposerEEE10hipError_tT1_T2_PT3_SI_jT4_jjP12ihipStream_tbEUlT_E0_NS1_11comp_targetILNS1_3genE10ELNS1_11target_archE1201ELNS1_3gpuE5ELNS1_3repE0EEENS1_52radix_sort_onesweep_histogram_config_static_selectorELNS0_4arch9wavefront6targetE0EEEvSG_.kd
    .uniform_work_group_size: 1
    .uses_dynamic_stack: false
    .vgpr_count:     0
    .vgpr_spill_count: 0
    .wavefront_size: 32
    .workgroup_processor_mode: 1
  - .args:
      - .address_space:  global
        .offset:         0
        .size:           8
        .value_kind:     global_buffer
    .group_segment_fixed_size: 0
    .kernarg_segment_align: 8
    .kernarg_segment_size: 8
    .language:       OpenCL C
    .language_version:
      - 2
      - 0
    .max_flat_workgroup_size: 1024
    .name:           _ZN7rocprim17ROCPRIM_400000_NS6detail17trampoline_kernelINS0_14default_configENS1_35radix_sort_onesweep_config_selectorIiiEEZNS1_34radix_sort_onesweep_global_offsetsIS3_Lb1EN6thrust23THRUST_200600_302600_NS6detail15normal_iteratorINS8_10device_ptrIiEEEESD_jNS0_19identity_decomposerEEE10hipError_tT1_T2_PT3_SI_jT4_jjP12ihipStream_tbEUlT_E0_NS1_11comp_targetILNS1_3genE9ELNS1_11target_archE1100ELNS1_3gpuE3ELNS1_3repE0EEENS1_52radix_sort_onesweep_histogram_config_static_selectorELNS0_4arch9wavefront6targetE0EEEvSG_
    .private_segment_fixed_size: 0
    .sgpr_count:     0
    .sgpr_spill_count: 0
    .symbol:         _ZN7rocprim17ROCPRIM_400000_NS6detail17trampoline_kernelINS0_14default_configENS1_35radix_sort_onesweep_config_selectorIiiEEZNS1_34radix_sort_onesweep_global_offsetsIS3_Lb1EN6thrust23THRUST_200600_302600_NS6detail15normal_iteratorINS8_10device_ptrIiEEEESD_jNS0_19identity_decomposerEEE10hipError_tT1_T2_PT3_SI_jT4_jjP12ihipStream_tbEUlT_E0_NS1_11comp_targetILNS1_3genE9ELNS1_11target_archE1100ELNS1_3gpuE3ELNS1_3repE0EEENS1_52radix_sort_onesweep_histogram_config_static_selectorELNS0_4arch9wavefront6targetE0EEEvSG_.kd
    .uniform_work_group_size: 1
    .uses_dynamic_stack: false
    .vgpr_count:     0
    .vgpr_spill_count: 0
    .wavefront_size: 32
    .workgroup_processor_mode: 1
  - .args:
      - .address_space:  global
        .offset:         0
        .size:           8
        .value_kind:     global_buffer
    .group_segment_fixed_size: 128
    .kernarg_segment_align: 8
    .kernarg_segment_size: 8
    .language:       OpenCL C
    .language_version:
      - 2
      - 0
    .max_flat_workgroup_size: 1024
    .name:           _ZN7rocprim17ROCPRIM_400000_NS6detail17trampoline_kernelINS0_14default_configENS1_35radix_sort_onesweep_config_selectorIiiEEZNS1_34radix_sort_onesweep_global_offsetsIS3_Lb1EN6thrust23THRUST_200600_302600_NS6detail15normal_iteratorINS8_10device_ptrIiEEEESD_jNS0_19identity_decomposerEEE10hipError_tT1_T2_PT3_SI_jT4_jjP12ihipStream_tbEUlT_E0_NS1_11comp_targetILNS1_3genE8ELNS1_11target_archE1030ELNS1_3gpuE2ELNS1_3repE0EEENS1_52radix_sort_onesweep_histogram_config_static_selectorELNS0_4arch9wavefront6targetE0EEEvSG_
    .private_segment_fixed_size: 0
    .sgpr_count:     12
    .sgpr_spill_count: 0
    .symbol:         _ZN7rocprim17ROCPRIM_400000_NS6detail17trampoline_kernelINS0_14default_configENS1_35radix_sort_onesweep_config_selectorIiiEEZNS1_34radix_sort_onesweep_global_offsetsIS3_Lb1EN6thrust23THRUST_200600_302600_NS6detail15normal_iteratorINS8_10device_ptrIiEEEESD_jNS0_19identity_decomposerEEE10hipError_tT1_T2_PT3_SI_jT4_jjP12ihipStream_tbEUlT_E0_NS1_11comp_targetILNS1_3genE8ELNS1_11target_archE1030ELNS1_3gpuE2ELNS1_3repE0EEENS1_52radix_sort_onesweep_histogram_config_static_selectorELNS0_4arch9wavefront6targetE0EEEvSG_.kd
    .uniform_work_group_size: 1
    .uses_dynamic_stack: false
    .vgpr_count:     8
    .vgpr_spill_count: 0
    .wavefront_size: 32
    .workgroup_processor_mode: 1
  - .args:
      - .offset:         0
        .size:           88
        .value_kind:     by_value
    .group_segment_fixed_size: 0
    .kernarg_segment_align: 8
    .kernarg_segment_size: 88
    .language:       OpenCL C
    .language_version:
      - 2
      - 0
    .max_flat_workgroup_size: 256
    .name:           _ZN7rocprim17ROCPRIM_400000_NS6detail17trampoline_kernelINS0_14default_configENS1_35radix_sort_onesweep_config_selectorIiiEEZZNS1_29radix_sort_onesweep_iterationIS3_Lb1EN6thrust23THRUST_200600_302600_NS6detail15normal_iteratorINS8_10device_ptrIiEEEESD_SD_SD_jNS0_19identity_decomposerENS1_16block_id_wrapperIjLb1EEEEE10hipError_tT1_PNSt15iterator_traitsISI_E10value_typeET2_T3_PNSJ_ISO_E10value_typeET4_T5_PST_SU_PNS1_23onesweep_lookback_stateEbbT6_jjT7_P12ihipStream_tbENKUlT_T0_SI_SN_E_clISD_SD_SD_SD_EEDaS11_S12_SI_SN_EUlS11_E_NS1_11comp_targetILNS1_3genE0ELNS1_11target_archE4294967295ELNS1_3gpuE0ELNS1_3repE0EEENS1_47radix_sort_onesweep_sort_config_static_selectorELNS0_4arch9wavefront6targetE0EEEvSI_
    .private_segment_fixed_size: 0
    .sgpr_count:     0
    .sgpr_spill_count: 0
    .symbol:         _ZN7rocprim17ROCPRIM_400000_NS6detail17trampoline_kernelINS0_14default_configENS1_35radix_sort_onesweep_config_selectorIiiEEZZNS1_29radix_sort_onesweep_iterationIS3_Lb1EN6thrust23THRUST_200600_302600_NS6detail15normal_iteratorINS8_10device_ptrIiEEEESD_SD_SD_jNS0_19identity_decomposerENS1_16block_id_wrapperIjLb1EEEEE10hipError_tT1_PNSt15iterator_traitsISI_E10value_typeET2_T3_PNSJ_ISO_E10value_typeET4_T5_PST_SU_PNS1_23onesweep_lookback_stateEbbT6_jjT7_P12ihipStream_tbENKUlT_T0_SI_SN_E_clISD_SD_SD_SD_EEDaS11_S12_SI_SN_EUlS11_E_NS1_11comp_targetILNS1_3genE0ELNS1_11target_archE4294967295ELNS1_3gpuE0ELNS1_3repE0EEENS1_47radix_sort_onesweep_sort_config_static_selectorELNS0_4arch9wavefront6targetE0EEEvSI_.kd
    .uniform_work_group_size: 1
    .uses_dynamic_stack: false
    .vgpr_count:     0
    .vgpr_spill_count: 0
    .wavefront_size: 32
    .workgroup_processor_mode: 1
  - .args:
      - .offset:         0
        .size:           88
        .value_kind:     by_value
    .group_segment_fixed_size: 0
    .kernarg_segment_align: 8
    .kernarg_segment_size: 88
    .language:       OpenCL C
    .language_version:
      - 2
      - 0
    .max_flat_workgroup_size: 1024
    .name:           _ZN7rocprim17ROCPRIM_400000_NS6detail17trampoline_kernelINS0_14default_configENS1_35radix_sort_onesweep_config_selectorIiiEEZZNS1_29radix_sort_onesweep_iterationIS3_Lb1EN6thrust23THRUST_200600_302600_NS6detail15normal_iteratorINS8_10device_ptrIiEEEESD_SD_SD_jNS0_19identity_decomposerENS1_16block_id_wrapperIjLb1EEEEE10hipError_tT1_PNSt15iterator_traitsISI_E10value_typeET2_T3_PNSJ_ISO_E10value_typeET4_T5_PST_SU_PNS1_23onesweep_lookback_stateEbbT6_jjT7_P12ihipStream_tbENKUlT_T0_SI_SN_E_clISD_SD_SD_SD_EEDaS11_S12_SI_SN_EUlS11_E_NS1_11comp_targetILNS1_3genE6ELNS1_11target_archE950ELNS1_3gpuE13ELNS1_3repE0EEENS1_47radix_sort_onesweep_sort_config_static_selectorELNS0_4arch9wavefront6targetE0EEEvSI_
    .private_segment_fixed_size: 0
    .sgpr_count:     0
    .sgpr_spill_count: 0
    .symbol:         _ZN7rocprim17ROCPRIM_400000_NS6detail17trampoline_kernelINS0_14default_configENS1_35radix_sort_onesweep_config_selectorIiiEEZZNS1_29radix_sort_onesweep_iterationIS3_Lb1EN6thrust23THRUST_200600_302600_NS6detail15normal_iteratorINS8_10device_ptrIiEEEESD_SD_SD_jNS0_19identity_decomposerENS1_16block_id_wrapperIjLb1EEEEE10hipError_tT1_PNSt15iterator_traitsISI_E10value_typeET2_T3_PNSJ_ISO_E10value_typeET4_T5_PST_SU_PNS1_23onesweep_lookback_stateEbbT6_jjT7_P12ihipStream_tbENKUlT_T0_SI_SN_E_clISD_SD_SD_SD_EEDaS11_S12_SI_SN_EUlS11_E_NS1_11comp_targetILNS1_3genE6ELNS1_11target_archE950ELNS1_3gpuE13ELNS1_3repE0EEENS1_47radix_sort_onesweep_sort_config_static_selectorELNS0_4arch9wavefront6targetE0EEEvSI_.kd
    .uniform_work_group_size: 1
    .uses_dynamic_stack: false
    .vgpr_count:     0
    .vgpr_spill_count: 0
    .wavefront_size: 32
    .workgroup_processor_mode: 1
  - .args:
      - .offset:         0
        .size:           88
        .value_kind:     by_value
    .group_segment_fixed_size: 0
    .kernarg_segment_align: 8
    .kernarg_segment_size: 88
    .language:       OpenCL C
    .language_version:
      - 2
      - 0
    .max_flat_workgroup_size: 1024
    .name:           _ZN7rocprim17ROCPRIM_400000_NS6detail17trampoline_kernelINS0_14default_configENS1_35radix_sort_onesweep_config_selectorIiiEEZZNS1_29radix_sort_onesweep_iterationIS3_Lb1EN6thrust23THRUST_200600_302600_NS6detail15normal_iteratorINS8_10device_ptrIiEEEESD_SD_SD_jNS0_19identity_decomposerENS1_16block_id_wrapperIjLb1EEEEE10hipError_tT1_PNSt15iterator_traitsISI_E10value_typeET2_T3_PNSJ_ISO_E10value_typeET4_T5_PST_SU_PNS1_23onesweep_lookback_stateEbbT6_jjT7_P12ihipStream_tbENKUlT_T0_SI_SN_E_clISD_SD_SD_SD_EEDaS11_S12_SI_SN_EUlS11_E_NS1_11comp_targetILNS1_3genE5ELNS1_11target_archE942ELNS1_3gpuE9ELNS1_3repE0EEENS1_47radix_sort_onesweep_sort_config_static_selectorELNS0_4arch9wavefront6targetE0EEEvSI_
    .private_segment_fixed_size: 0
    .sgpr_count:     0
    .sgpr_spill_count: 0
    .symbol:         _ZN7rocprim17ROCPRIM_400000_NS6detail17trampoline_kernelINS0_14default_configENS1_35radix_sort_onesweep_config_selectorIiiEEZZNS1_29radix_sort_onesweep_iterationIS3_Lb1EN6thrust23THRUST_200600_302600_NS6detail15normal_iteratorINS8_10device_ptrIiEEEESD_SD_SD_jNS0_19identity_decomposerENS1_16block_id_wrapperIjLb1EEEEE10hipError_tT1_PNSt15iterator_traitsISI_E10value_typeET2_T3_PNSJ_ISO_E10value_typeET4_T5_PST_SU_PNS1_23onesweep_lookback_stateEbbT6_jjT7_P12ihipStream_tbENKUlT_T0_SI_SN_E_clISD_SD_SD_SD_EEDaS11_S12_SI_SN_EUlS11_E_NS1_11comp_targetILNS1_3genE5ELNS1_11target_archE942ELNS1_3gpuE9ELNS1_3repE0EEENS1_47radix_sort_onesweep_sort_config_static_selectorELNS0_4arch9wavefront6targetE0EEEvSI_.kd
    .uniform_work_group_size: 1
    .uses_dynamic_stack: false
    .vgpr_count:     0
    .vgpr_spill_count: 0
    .wavefront_size: 32
    .workgroup_processor_mode: 1
  - .args:
      - .offset:         0
        .size:           88
        .value_kind:     by_value
    .group_segment_fixed_size: 0
    .kernarg_segment_align: 8
    .kernarg_segment_size: 88
    .language:       OpenCL C
    .language_version:
      - 2
      - 0
    .max_flat_workgroup_size: 512
    .name:           _ZN7rocprim17ROCPRIM_400000_NS6detail17trampoline_kernelINS0_14default_configENS1_35radix_sort_onesweep_config_selectorIiiEEZZNS1_29radix_sort_onesweep_iterationIS3_Lb1EN6thrust23THRUST_200600_302600_NS6detail15normal_iteratorINS8_10device_ptrIiEEEESD_SD_SD_jNS0_19identity_decomposerENS1_16block_id_wrapperIjLb1EEEEE10hipError_tT1_PNSt15iterator_traitsISI_E10value_typeET2_T3_PNSJ_ISO_E10value_typeET4_T5_PST_SU_PNS1_23onesweep_lookback_stateEbbT6_jjT7_P12ihipStream_tbENKUlT_T0_SI_SN_E_clISD_SD_SD_SD_EEDaS11_S12_SI_SN_EUlS11_E_NS1_11comp_targetILNS1_3genE2ELNS1_11target_archE906ELNS1_3gpuE6ELNS1_3repE0EEENS1_47radix_sort_onesweep_sort_config_static_selectorELNS0_4arch9wavefront6targetE0EEEvSI_
    .private_segment_fixed_size: 0
    .sgpr_count:     0
    .sgpr_spill_count: 0
    .symbol:         _ZN7rocprim17ROCPRIM_400000_NS6detail17trampoline_kernelINS0_14default_configENS1_35radix_sort_onesweep_config_selectorIiiEEZZNS1_29radix_sort_onesweep_iterationIS3_Lb1EN6thrust23THRUST_200600_302600_NS6detail15normal_iteratorINS8_10device_ptrIiEEEESD_SD_SD_jNS0_19identity_decomposerENS1_16block_id_wrapperIjLb1EEEEE10hipError_tT1_PNSt15iterator_traitsISI_E10value_typeET2_T3_PNSJ_ISO_E10value_typeET4_T5_PST_SU_PNS1_23onesweep_lookback_stateEbbT6_jjT7_P12ihipStream_tbENKUlT_T0_SI_SN_E_clISD_SD_SD_SD_EEDaS11_S12_SI_SN_EUlS11_E_NS1_11comp_targetILNS1_3genE2ELNS1_11target_archE906ELNS1_3gpuE6ELNS1_3repE0EEENS1_47radix_sort_onesweep_sort_config_static_selectorELNS0_4arch9wavefront6targetE0EEEvSI_.kd
    .uniform_work_group_size: 1
    .uses_dynamic_stack: false
    .vgpr_count:     0
    .vgpr_spill_count: 0
    .wavefront_size: 32
    .workgroup_processor_mode: 1
  - .args:
      - .offset:         0
        .size:           88
        .value_kind:     by_value
    .group_segment_fixed_size: 0
    .kernarg_segment_align: 8
    .kernarg_segment_size: 88
    .language:       OpenCL C
    .language_version:
      - 2
      - 0
    .max_flat_workgroup_size: 512
    .name:           _ZN7rocprim17ROCPRIM_400000_NS6detail17trampoline_kernelINS0_14default_configENS1_35radix_sort_onesweep_config_selectorIiiEEZZNS1_29radix_sort_onesweep_iterationIS3_Lb1EN6thrust23THRUST_200600_302600_NS6detail15normal_iteratorINS8_10device_ptrIiEEEESD_SD_SD_jNS0_19identity_decomposerENS1_16block_id_wrapperIjLb1EEEEE10hipError_tT1_PNSt15iterator_traitsISI_E10value_typeET2_T3_PNSJ_ISO_E10value_typeET4_T5_PST_SU_PNS1_23onesweep_lookback_stateEbbT6_jjT7_P12ihipStream_tbENKUlT_T0_SI_SN_E_clISD_SD_SD_SD_EEDaS11_S12_SI_SN_EUlS11_E_NS1_11comp_targetILNS1_3genE4ELNS1_11target_archE910ELNS1_3gpuE8ELNS1_3repE0EEENS1_47radix_sort_onesweep_sort_config_static_selectorELNS0_4arch9wavefront6targetE0EEEvSI_
    .private_segment_fixed_size: 0
    .sgpr_count:     0
    .sgpr_spill_count: 0
    .symbol:         _ZN7rocprim17ROCPRIM_400000_NS6detail17trampoline_kernelINS0_14default_configENS1_35radix_sort_onesweep_config_selectorIiiEEZZNS1_29radix_sort_onesweep_iterationIS3_Lb1EN6thrust23THRUST_200600_302600_NS6detail15normal_iteratorINS8_10device_ptrIiEEEESD_SD_SD_jNS0_19identity_decomposerENS1_16block_id_wrapperIjLb1EEEEE10hipError_tT1_PNSt15iterator_traitsISI_E10value_typeET2_T3_PNSJ_ISO_E10value_typeET4_T5_PST_SU_PNS1_23onesweep_lookback_stateEbbT6_jjT7_P12ihipStream_tbENKUlT_T0_SI_SN_E_clISD_SD_SD_SD_EEDaS11_S12_SI_SN_EUlS11_E_NS1_11comp_targetILNS1_3genE4ELNS1_11target_archE910ELNS1_3gpuE8ELNS1_3repE0EEENS1_47radix_sort_onesweep_sort_config_static_selectorELNS0_4arch9wavefront6targetE0EEEvSI_.kd
    .uniform_work_group_size: 1
    .uses_dynamic_stack: false
    .vgpr_count:     0
    .vgpr_spill_count: 0
    .wavefront_size: 32
    .workgroup_processor_mode: 1
  - .args:
      - .offset:         0
        .size:           88
        .value_kind:     by_value
    .group_segment_fixed_size: 0
    .kernarg_segment_align: 8
    .kernarg_segment_size: 88
    .language:       OpenCL C
    .language_version:
      - 2
      - 0
    .max_flat_workgroup_size: 256
    .name:           _ZN7rocprim17ROCPRIM_400000_NS6detail17trampoline_kernelINS0_14default_configENS1_35radix_sort_onesweep_config_selectorIiiEEZZNS1_29radix_sort_onesweep_iterationIS3_Lb1EN6thrust23THRUST_200600_302600_NS6detail15normal_iteratorINS8_10device_ptrIiEEEESD_SD_SD_jNS0_19identity_decomposerENS1_16block_id_wrapperIjLb1EEEEE10hipError_tT1_PNSt15iterator_traitsISI_E10value_typeET2_T3_PNSJ_ISO_E10value_typeET4_T5_PST_SU_PNS1_23onesweep_lookback_stateEbbT6_jjT7_P12ihipStream_tbENKUlT_T0_SI_SN_E_clISD_SD_SD_SD_EEDaS11_S12_SI_SN_EUlS11_E_NS1_11comp_targetILNS1_3genE3ELNS1_11target_archE908ELNS1_3gpuE7ELNS1_3repE0EEENS1_47radix_sort_onesweep_sort_config_static_selectorELNS0_4arch9wavefront6targetE0EEEvSI_
    .private_segment_fixed_size: 0
    .sgpr_count:     0
    .sgpr_spill_count: 0
    .symbol:         _ZN7rocprim17ROCPRIM_400000_NS6detail17trampoline_kernelINS0_14default_configENS1_35radix_sort_onesweep_config_selectorIiiEEZZNS1_29radix_sort_onesweep_iterationIS3_Lb1EN6thrust23THRUST_200600_302600_NS6detail15normal_iteratorINS8_10device_ptrIiEEEESD_SD_SD_jNS0_19identity_decomposerENS1_16block_id_wrapperIjLb1EEEEE10hipError_tT1_PNSt15iterator_traitsISI_E10value_typeET2_T3_PNSJ_ISO_E10value_typeET4_T5_PST_SU_PNS1_23onesweep_lookback_stateEbbT6_jjT7_P12ihipStream_tbENKUlT_T0_SI_SN_E_clISD_SD_SD_SD_EEDaS11_S12_SI_SN_EUlS11_E_NS1_11comp_targetILNS1_3genE3ELNS1_11target_archE908ELNS1_3gpuE7ELNS1_3repE0EEENS1_47radix_sort_onesweep_sort_config_static_selectorELNS0_4arch9wavefront6targetE0EEEvSI_.kd
    .uniform_work_group_size: 1
    .uses_dynamic_stack: false
    .vgpr_count:     0
    .vgpr_spill_count: 0
    .wavefront_size: 32
    .workgroup_processor_mode: 1
  - .args:
      - .offset:         0
        .size:           88
        .value_kind:     by_value
    .group_segment_fixed_size: 0
    .kernarg_segment_align: 8
    .kernarg_segment_size: 88
    .language:       OpenCL C
    .language_version:
      - 2
      - 0
    .max_flat_workgroup_size: 1024
    .name:           _ZN7rocprim17ROCPRIM_400000_NS6detail17trampoline_kernelINS0_14default_configENS1_35radix_sort_onesweep_config_selectorIiiEEZZNS1_29radix_sort_onesweep_iterationIS3_Lb1EN6thrust23THRUST_200600_302600_NS6detail15normal_iteratorINS8_10device_ptrIiEEEESD_SD_SD_jNS0_19identity_decomposerENS1_16block_id_wrapperIjLb1EEEEE10hipError_tT1_PNSt15iterator_traitsISI_E10value_typeET2_T3_PNSJ_ISO_E10value_typeET4_T5_PST_SU_PNS1_23onesweep_lookback_stateEbbT6_jjT7_P12ihipStream_tbENKUlT_T0_SI_SN_E_clISD_SD_SD_SD_EEDaS11_S12_SI_SN_EUlS11_E_NS1_11comp_targetILNS1_3genE10ELNS1_11target_archE1201ELNS1_3gpuE5ELNS1_3repE0EEENS1_47radix_sort_onesweep_sort_config_static_selectorELNS0_4arch9wavefront6targetE0EEEvSI_
    .private_segment_fixed_size: 0
    .sgpr_count:     0
    .sgpr_spill_count: 0
    .symbol:         _ZN7rocprim17ROCPRIM_400000_NS6detail17trampoline_kernelINS0_14default_configENS1_35radix_sort_onesweep_config_selectorIiiEEZZNS1_29radix_sort_onesweep_iterationIS3_Lb1EN6thrust23THRUST_200600_302600_NS6detail15normal_iteratorINS8_10device_ptrIiEEEESD_SD_SD_jNS0_19identity_decomposerENS1_16block_id_wrapperIjLb1EEEEE10hipError_tT1_PNSt15iterator_traitsISI_E10value_typeET2_T3_PNSJ_ISO_E10value_typeET4_T5_PST_SU_PNS1_23onesweep_lookback_stateEbbT6_jjT7_P12ihipStream_tbENKUlT_T0_SI_SN_E_clISD_SD_SD_SD_EEDaS11_S12_SI_SN_EUlS11_E_NS1_11comp_targetILNS1_3genE10ELNS1_11target_archE1201ELNS1_3gpuE5ELNS1_3repE0EEENS1_47radix_sort_onesweep_sort_config_static_selectorELNS0_4arch9wavefront6targetE0EEEvSI_.kd
    .uniform_work_group_size: 1
    .uses_dynamic_stack: false
    .vgpr_count:     0
    .vgpr_spill_count: 0
    .wavefront_size: 32
    .workgroup_processor_mode: 1
  - .args:
      - .offset:         0
        .size:           88
        .value_kind:     by_value
    .group_segment_fixed_size: 0
    .kernarg_segment_align: 8
    .kernarg_segment_size: 88
    .language:       OpenCL C
    .language_version:
      - 2
      - 0
    .max_flat_workgroup_size: 1024
    .name:           _ZN7rocprim17ROCPRIM_400000_NS6detail17trampoline_kernelINS0_14default_configENS1_35radix_sort_onesweep_config_selectorIiiEEZZNS1_29radix_sort_onesweep_iterationIS3_Lb1EN6thrust23THRUST_200600_302600_NS6detail15normal_iteratorINS8_10device_ptrIiEEEESD_SD_SD_jNS0_19identity_decomposerENS1_16block_id_wrapperIjLb1EEEEE10hipError_tT1_PNSt15iterator_traitsISI_E10value_typeET2_T3_PNSJ_ISO_E10value_typeET4_T5_PST_SU_PNS1_23onesweep_lookback_stateEbbT6_jjT7_P12ihipStream_tbENKUlT_T0_SI_SN_E_clISD_SD_SD_SD_EEDaS11_S12_SI_SN_EUlS11_E_NS1_11comp_targetILNS1_3genE9ELNS1_11target_archE1100ELNS1_3gpuE3ELNS1_3repE0EEENS1_47radix_sort_onesweep_sort_config_static_selectorELNS0_4arch9wavefront6targetE0EEEvSI_
    .private_segment_fixed_size: 0
    .sgpr_count:     0
    .sgpr_spill_count: 0
    .symbol:         _ZN7rocprim17ROCPRIM_400000_NS6detail17trampoline_kernelINS0_14default_configENS1_35radix_sort_onesweep_config_selectorIiiEEZZNS1_29radix_sort_onesweep_iterationIS3_Lb1EN6thrust23THRUST_200600_302600_NS6detail15normal_iteratorINS8_10device_ptrIiEEEESD_SD_SD_jNS0_19identity_decomposerENS1_16block_id_wrapperIjLb1EEEEE10hipError_tT1_PNSt15iterator_traitsISI_E10value_typeET2_T3_PNSJ_ISO_E10value_typeET4_T5_PST_SU_PNS1_23onesweep_lookback_stateEbbT6_jjT7_P12ihipStream_tbENKUlT_T0_SI_SN_E_clISD_SD_SD_SD_EEDaS11_S12_SI_SN_EUlS11_E_NS1_11comp_targetILNS1_3genE9ELNS1_11target_archE1100ELNS1_3gpuE3ELNS1_3repE0EEENS1_47radix_sort_onesweep_sort_config_static_selectorELNS0_4arch9wavefront6targetE0EEEvSI_.kd
    .uniform_work_group_size: 1
    .uses_dynamic_stack: false
    .vgpr_count:     0
    .vgpr_spill_count: 0
    .wavefront_size: 32
    .workgroup_processor_mode: 1
  - .args:
      - .offset:         0
        .size:           88
        .value_kind:     by_value
      - .offset:         88
        .size:           4
        .value_kind:     hidden_block_count_x
      - .offset:         92
        .size:           4
        .value_kind:     hidden_block_count_y
      - .offset:         96
        .size:           4
        .value_kind:     hidden_block_count_z
      - .offset:         100
        .size:           2
        .value_kind:     hidden_group_size_x
      - .offset:         102
        .size:           2
        .value_kind:     hidden_group_size_y
      - .offset:         104
        .size:           2
        .value_kind:     hidden_group_size_z
      - .offset:         106
        .size:           2
        .value_kind:     hidden_remainder_x
      - .offset:         108
        .size:           2
        .value_kind:     hidden_remainder_y
      - .offset:         110
        .size:           2
        .value_kind:     hidden_remainder_z
      - .offset:         128
        .size:           8
        .value_kind:     hidden_global_offset_x
      - .offset:         136
        .size:           8
        .value_kind:     hidden_global_offset_y
      - .offset:         144
        .size:           8
        .value_kind:     hidden_global_offset_z
      - .offset:         152
        .size:           2
        .value_kind:     hidden_grid_dims
    .group_segment_fixed_size: 37000
    .kernarg_segment_align: 8
    .kernarg_segment_size: 344
    .language:       OpenCL C
    .language_version:
      - 2
      - 0
    .max_flat_workgroup_size: 1024
    .name:           _ZN7rocprim17ROCPRIM_400000_NS6detail17trampoline_kernelINS0_14default_configENS1_35radix_sort_onesweep_config_selectorIiiEEZZNS1_29radix_sort_onesweep_iterationIS3_Lb1EN6thrust23THRUST_200600_302600_NS6detail15normal_iteratorINS8_10device_ptrIiEEEESD_SD_SD_jNS0_19identity_decomposerENS1_16block_id_wrapperIjLb1EEEEE10hipError_tT1_PNSt15iterator_traitsISI_E10value_typeET2_T3_PNSJ_ISO_E10value_typeET4_T5_PST_SU_PNS1_23onesweep_lookback_stateEbbT6_jjT7_P12ihipStream_tbENKUlT_T0_SI_SN_E_clISD_SD_SD_SD_EEDaS11_S12_SI_SN_EUlS11_E_NS1_11comp_targetILNS1_3genE8ELNS1_11target_archE1030ELNS1_3gpuE2ELNS1_3repE0EEENS1_47radix_sort_onesweep_sort_config_static_selectorELNS0_4arch9wavefront6targetE0EEEvSI_
    .private_segment_fixed_size: 64
    .sgpr_count:     53
    .sgpr_spill_count: 0
    .symbol:         _ZN7rocprim17ROCPRIM_400000_NS6detail17trampoline_kernelINS0_14default_configENS1_35radix_sort_onesweep_config_selectorIiiEEZZNS1_29radix_sort_onesweep_iterationIS3_Lb1EN6thrust23THRUST_200600_302600_NS6detail15normal_iteratorINS8_10device_ptrIiEEEESD_SD_SD_jNS0_19identity_decomposerENS1_16block_id_wrapperIjLb1EEEEE10hipError_tT1_PNSt15iterator_traitsISI_E10value_typeET2_T3_PNSJ_ISO_E10value_typeET4_T5_PST_SU_PNS1_23onesweep_lookback_stateEbbT6_jjT7_P12ihipStream_tbENKUlT_T0_SI_SN_E_clISD_SD_SD_SD_EEDaS11_S12_SI_SN_EUlS11_E_NS1_11comp_targetILNS1_3genE8ELNS1_11target_archE1030ELNS1_3gpuE2ELNS1_3repE0EEENS1_47radix_sort_onesweep_sort_config_static_selectorELNS0_4arch9wavefront6targetE0EEEvSI_.kd
    .uniform_work_group_size: 1
    .uses_dynamic_stack: false
    .vgpr_count:     68
    .vgpr_spill_count: 0
    .wavefront_size: 32
    .workgroup_processor_mode: 1
  - .args:
      - .offset:         0
        .size:           88
        .value_kind:     by_value
    .group_segment_fixed_size: 0
    .kernarg_segment_align: 8
    .kernarg_segment_size: 88
    .language:       OpenCL C
    .language_version:
      - 2
      - 0
    .max_flat_workgroup_size: 256
    .name:           _ZN7rocprim17ROCPRIM_400000_NS6detail17trampoline_kernelINS0_14default_configENS1_35radix_sort_onesweep_config_selectorIiiEEZZNS1_29radix_sort_onesweep_iterationIS3_Lb1EN6thrust23THRUST_200600_302600_NS6detail15normal_iteratorINS8_10device_ptrIiEEEESD_SD_SD_jNS0_19identity_decomposerENS1_16block_id_wrapperIjLb1EEEEE10hipError_tT1_PNSt15iterator_traitsISI_E10value_typeET2_T3_PNSJ_ISO_E10value_typeET4_T5_PST_SU_PNS1_23onesweep_lookback_stateEbbT6_jjT7_P12ihipStream_tbENKUlT_T0_SI_SN_E_clISD_PiSD_S15_EEDaS11_S12_SI_SN_EUlS11_E_NS1_11comp_targetILNS1_3genE0ELNS1_11target_archE4294967295ELNS1_3gpuE0ELNS1_3repE0EEENS1_47radix_sort_onesweep_sort_config_static_selectorELNS0_4arch9wavefront6targetE0EEEvSI_
    .private_segment_fixed_size: 0
    .sgpr_count:     0
    .sgpr_spill_count: 0
    .symbol:         _ZN7rocprim17ROCPRIM_400000_NS6detail17trampoline_kernelINS0_14default_configENS1_35radix_sort_onesweep_config_selectorIiiEEZZNS1_29radix_sort_onesweep_iterationIS3_Lb1EN6thrust23THRUST_200600_302600_NS6detail15normal_iteratorINS8_10device_ptrIiEEEESD_SD_SD_jNS0_19identity_decomposerENS1_16block_id_wrapperIjLb1EEEEE10hipError_tT1_PNSt15iterator_traitsISI_E10value_typeET2_T3_PNSJ_ISO_E10value_typeET4_T5_PST_SU_PNS1_23onesweep_lookback_stateEbbT6_jjT7_P12ihipStream_tbENKUlT_T0_SI_SN_E_clISD_PiSD_S15_EEDaS11_S12_SI_SN_EUlS11_E_NS1_11comp_targetILNS1_3genE0ELNS1_11target_archE4294967295ELNS1_3gpuE0ELNS1_3repE0EEENS1_47radix_sort_onesweep_sort_config_static_selectorELNS0_4arch9wavefront6targetE0EEEvSI_.kd
    .uniform_work_group_size: 1
    .uses_dynamic_stack: false
    .vgpr_count:     0
    .vgpr_spill_count: 0
    .wavefront_size: 32
    .workgroup_processor_mode: 1
  - .args:
      - .offset:         0
        .size:           88
        .value_kind:     by_value
    .group_segment_fixed_size: 0
    .kernarg_segment_align: 8
    .kernarg_segment_size: 88
    .language:       OpenCL C
    .language_version:
      - 2
      - 0
    .max_flat_workgroup_size: 1024
    .name:           _ZN7rocprim17ROCPRIM_400000_NS6detail17trampoline_kernelINS0_14default_configENS1_35radix_sort_onesweep_config_selectorIiiEEZZNS1_29radix_sort_onesweep_iterationIS3_Lb1EN6thrust23THRUST_200600_302600_NS6detail15normal_iteratorINS8_10device_ptrIiEEEESD_SD_SD_jNS0_19identity_decomposerENS1_16block_id_wrapperIjLb1EEEEE10hipError_tT1_PNSt15iterator_traitsISI_E10value_typeET2_T3_PNSJ_ISO_E10value_typeET4_T5_PST_SU_PNS1_23onesweep_lookback_stateEbbT6_jjT7_P12ihipStream_tbENKUlT_T0_SI_SN_E_clISD_PiSD_S15_EEDaS11_S12_SI_SN_EUlS11_E_NS1_11comp_targetILNS1_3genE6ELNS1_11target_archE950ELNS1_3gpuE13ELNS1_3repE0EEENS1_47radix_sort_onesweep_sort_config_static_selectorELNS0_4arch9wavefront6targetE0EEEvSI_
    .private_segment_fixed_size: 0
    .sgpr_count:     0
    .sgpr_spill_count: 0
    .symbol:         _ZN7rocprim17ROCPRIM_400000_NS6detail17trampoline_kernelINS0_14default_configENS1_35radix_sort_onesweep_config_selectorIiiEEZZNS1_29radix_sort_onesweep_iterationIS3_Lb1EN6thrust23THRUST_200600_302600_NS6detail15normal_iteratorINS8_10device_ptrIiEEEESD_SD_SD_jNS0_19identity_decomposerENS1_16block_id_wrapperIjLb1EEEEE10hipError_tT1_PNSt15iterator_traitsISI_E10value_typeET2_T3_PNSJ_ISO_E10value_typeET4_T5_PST_SU_PNS1_23onesweep_lookback_stateEbbT6_jjT7_P12ihipStream_tbENKUlT_T0_SI_SN_E_clISD_PiSD_S15_EEDaS11_S12_SI_SN_EUlS11_E_NS1_11comp_targetILNS1_3genE6ELNS1_11target_archE950ELNS1_3gpuE13ELNS1_3repE0EEENS1_47radix_sort_onesweep_sort_config_static_selectorELNS0_4arch9wavefront6targetE0EEEvSI_.kd
    .uniform_work_group_size: 1
    .uses_dynamic_stack: false
    .vgpr_count:     0
    .vgpr_spill_count: 0
    .wavefront_size: 32
    .workgroup_processor_mode: 1
  - .args:
      - .offset:         0
        .size:           88
        .value_kind:     by_value
    .group_segment_fixed_size: 0
    .kernarg_segment_align: 8
    .kernarg_segment_size: 88
    .language:       OpenCL C
    .language_version:
      - 2
      - 0
    .max_flat_workgroup_size: 1024
    .name:           _ZN7rocprim17ROCPRIM_400000_NS6detail17trampoline_kernelINS0_14default_configENS1_35radix_sort_onesweep_config_selectorIiiEEZZNS1_29radix_sort_onesweep_iterationIS3_Lb1EN6thrust23THRUST_200600_302600_NS6detail15normal_iteratorINS8_10device_ptrIiEEEESD_SD_SD_jNS0_19identity_decomposerENS1_16block_id_wrapperIjLb1EEEEE10hipError_tT1_PNSt15iterator_traitsISI_E10value_typeET2_T3_PNSJ_ISO_E10value_typeET4_T5_PST_SU_PNS1_23onesweep_lookback_stateEbbT6_jjT7_P12ihipStream_tbENKUlT_T0_SI_SN_E_clISD_PiSD_S15_EEDaS11_S12_SI_SN_EUlS11_E_NS1_11comp_targetILNS1_3genE5ELNS1_11target_archE942ELNS1_3gpuE9ELNS1_3repE0EEENS1_47radix_sort_onesweep_sort_config_static_selectorELNS0_4arch9wavefront6targetE0EEEvSI_
    .private_segment_fixed_size: 0
    .sgpr_count:     0
    .sgpr_spill_count: 0
    .symbol:         _ZN7rocprim17ROCPRIM_400000_NS6detail17trampoline_kernelINS0_14default_configENS1_35radix_sort_onesweep_config_selectorIiiEEZZNS1_29radix_sort_onesweep_iterationIS3_Lb1EN6thrust23THRUST_200600_302600_NS6detail15normal_iteratorINS8_10device_ptrIiEEEESD_SD_SD_jNS0_19identity_decomposerENS1_16block_id_wrapperIjLb1EEEEE10hipError_tT1_PNSt15iterator_traitsISI_E10value_typeET2_T3_PNSJ_ISO_E10value_typeET4_T5_PST_SU_PNS1_23onesweep_lookback_stateEbbT6_jjT7_P12ihipStream_tbENKUlT_T0_SI_SN_E_clISD_PiSD_S15_EEDaS11_S12_SI_SN_EUlS11_E_NS1_11comp_targetILNS1_3genE5ELNS1_11target_archE942ELNS1_3gpuE9ELNS1_3repE0EEENS1_47radix_sort_onesweep_sort_config_static_selectorELNS0_4arch9wavefront6targetE0EEEvSI_.kd
    .uniform_work_group_size: 1
    .uses_dynamic_stack: false
    .vgpr_count:     0
    .vgpr_spill_count: 0
    .wavefront_size: 32
    .workgroup_processor_mode: 1
  - .args:
      - .offset:         0
        .size:           88
        .value_kind:     by_value
    .group_segment_fixed_size: 0
    .kernarg_segment_align: 8
    .kernarg_segment_size: 88
    .language:       OpenCL C
    .language_version:
      - 2
      - 0
    .max_flat_workgroup_size: 512
    .name:           _ZN7rocprim17ROCPRIM_400000_NS6detail17trampoline_kernelINS0_14default_configENS1_35radix_sort_onesweep_config_selectorIiiEEZZNS1_29radix_sort_onesweep_iterationIS3_Lb1EN6thrust23THRUST_200600_302600_NS6detail15normal_iteratorINS8_10device_ptrIiEEEESD_SD_SD_jNS0_19identity_decomposerENS1_16block_id_wrapperIjLb1EEEEE10hipError_tT1_PNSt15iterator_traitsISI_E10value_typeET2_T3_PNSJ_ISO_E10value_typeET4_T5_PST_SU_PNS1_23onesweep_lookback_stateEbbT6_jjT7_P12ihipStream_tbENKUlT_T0_SI_SN_E_clISD_PiSD_S15_EEDaS11_S12_SI_SN_EUlS11_E_NS1_11comp_targetILNS1_3genE2ELNS1_11target_archE906ELNS1_3gpuE6ELNS1_3repE0EEENS1_47radix_sort_onesweep_sort_config_static_selectorELNS0_4arch9wavefront6targetE0EEEvSI_
    .private_segment_fixed_size: 0
    .sgpr_count:     0
    .sgpr_spill_count: 0
    .symbol:         _ZN7rocprim17ROCPRIM_400000_NS6detail17trampoline_kernelINS0_14default_configENS1_35radix_sort_onesweep_config_selectorIiiEEZZNS1_29radix_sort_onesweep_iterationIS3_Lb1EN6thrust23THRUST_200600_302600_NS6detail15normal_iteratorINS8_10device_ptrIiEEEESD_SD_SD_jNS0_19identity_decomposerENS1_16block_id_wrapperIjLb1EEEEE10hipError_tT1_PNSt15iterator_traitsISI_E10value_typeET2_T3_PNSJ_ISO_E10value_typeET4_T5_PST_SU_PNS1_23onesweep_lookback_stateEbbT6_jjT7_P12ihipStream_tbENKUlT_T0_SI_SN_E_clISD_PiSD_S15_EEDaS11_S12_SI_SN_EUlS11_E_NS1_11comp_targetILNS1_3genE2ELNS1_11target_archE906ELNS1_3gpuE6ELNS1_3repE0EEENS1_47radix_sort_onesweep_sort_config_static_selectorELNS0_4arch9wavefront6targetE0EEEvSI_.kd
    .uniform_work_group_size: 1
    .uses_dynamic_stack: false
    .vgpr_count:     0
    .vgpr_spill_count: 0
    .wavefront_size: 32
    .workgroup_processor_mode: 1
  - .args:
      - .offset:         0
        .size:           88
        .value_kind:     by_value
    .group_segment_fixed_size: 0
    .kernarg_segment_align: 8
    .kernarg_segment_size: 88
    .language:       OpenCL C
    .language_version:
      - 2
      - 0
    .max_flat_workgroup_size: 512
    .name:           _ZN7rocprim17ROCPRIM_400000_NS6detail17trampoline_kernelINS0_14default_configENS1_35radix_sort_onesweep_config_selectorIiiEEZZNS1_29radix_sort_onesweep_iterationIS3_Lb1EN6thrust23THRUST_200600_302600_NS6detail15normal_iteratorINS8_10device_ptrIiEEEESD_SD_SD_jNS0_19identity_decomposerENS1_16block_id_wrapperIjLb1EEEEE10hipError_tT1_PNSt15iterator_traitsISI_E10value_typeET2_T3_PNSJ_ISO_E10value_typeET4_T5_PST_SU_PNS1_23onesweep_lookback_stateEbbT6_jjT7_P12ihipStream_tbENKUlT_T0_SI_SN_E_clISD_PiSD_S15_EEDaS11_S12_SI_SN_EUlS11_E_NS1_11comp_targetILNS1_3genE4ELNS1_11target_archE910ELNS1_3gpuE8ELNS1_3repE0EEENS1_47radix_sort_onesweep_sort_config_static_selectorELNS0_4arch9wavefront6targetE0EEEvSI_
    .private_segment_fixed_size: 0
    .sgpr_count:     0
    .sgpr_spill_count: 0
    .symbol:         _ZN7rocprim17ROCPRIM_400000_NS6detail17trampoline_kernelINS0_14default_configENS1_35radix_sort_onesweep_config_selectorIiiEEZZNS1_29radix_sort_onesweep_iterationIS3_Lb1EN6thrust23THRUST_200600_302600_NS6detail15normal_iteratorINS8_10device_ptrIiEEEESD_SD_SD_jNS0_19identity_decomposerENS1_16block_id_wrapperIjLb1EEEEE10hipError_tT1_PNSt15iterator_traitsISI_E10value_typeET2_T3_PNSJ_ISO_E10value_typeET4_T5_PST_SU_PNS1_23onesweep_lookback_stateEbbT6_jjT7_P12ihipStream_tbENKUlT_T0_SI_SN_E_clISD_PiSD_S15_EEDaS11_S12_SI_SN_EUlS11_E_NS1_11comp_targetILNS1_3genE4ELNS1_11target_archE910ELNS1_3gpuE8ELNS1_3repE0EEENS1_47radix_sort_onesweep_sort_config_static_selectorELNS0_4arch9wavefront6targetE0EEEvSI_.kd
    .uniform_work_group_size: 1
    .uses_dynamic_stack: false
    .vgpr_count:     0
    .vgpr_spill_count: 0
    .wavefront_size: 32
    .workgroup_processor_mode: 1
  - .args:
      - .offset:         0
        .size:           88
        .value_kind:     by_value
    .group_segment_fixed_size: 0
    .kernarg_segment_align: 8
    .kernarg_segment_size: 88
    .language:       OpenCL C
    .language_version:
      - 2
      - 0
    .max_flat_workgroup_size: 256
    .name:           _ZN7rocprim17ROCPRIM_400000_NS6detail17trampoline_kernelINS0_14default_configENS1_35radix_sort_onesweep_config_selectorIiiEEZZNS1_29radix_sort_onesweep_iterationIS3_Lb1EN6thrust23THRUST_200600_302600_NS6detail15normal_iteratorINS8_10device_ptrIiEEEESD_SD_SD_jNS0_19identity_decomposerENS1_16block_id_wrapperIjLb1EEEEE10hipError_tT1_PNSt15iterator_traitsISI_E10value_typeET2_T3_PNSJ_ISO_E10value_typeET4_T5_PST_SU_PNS1_23onesweep_lookback_stateEbbT6_jjT7_P12ihipStream_tbENKUlT_T0_SI_SN_E_clISD_PiSD_S15_EEDaS11_S12_SI_SN_EUlS11_E_NS1_11comp_targetILNS1_3genE3ELNS1_11target_archE908ELNS1_3gpuE7ELNS1_3repE0EEENS1_47radix_sort_onesweep_sort_config_static_selectorELNS0_4arch9wavefront6targetE0EEEvSI_
    .private_segment_fixed_size: 0
    .sgpr_count:     0
    .sgpr_spill_count: 0
    .symbol:         _ZN7rocprim17ROCPRIM_400000_NS6detail17trampoline_kernelINS0_14default_configENS1_35radix_sort_onesweep_config_selectorIiiEEZZNS1_29radix_sort_onesweep_iterationIS3_Lb1EN6thrust23THRUST_200600_302600_NS6detail15normal_iteratorINS8_10device_ptrIiEEEESD_SD_SD_jNS0_19identity_decomposerENS1_16block_id_wrapperIjLb1EEEEE10hipError_tT1_PNSt15iterator_traitsISI_E10value_typeET2_T3_PNSJ_ISO_E10value_typeET4_T5_PST_SU_PNS1_23onesweep_lookback_stateEbbT6_jjT7_P12ihipStream_tbENKUlT_T0_SI_SN_E_clISD_PiSD_S15_EEDaS11_S12_SI_SN_EUlS11_E_NS1_11comp_targetILNS1_3genE3ELNS1_11target_archE908ELNS1_3gpuE7ELNS1_3repE0EEENS1_47radix_sort_onesweep_sort_config_static_selectorELNS0_4arch9wavefront6targetE0EEEvSI_.kd
    .uniform_work_group_size: 1
    .uses_dynamic_stack: false
    .vgpr_count:     0
    .vgpr_spill_count: 0
    .wavefront_size: 32
    .workgroup_processor_mode: 1
  - .args:
      - .offset:         0
        .size:           88
        .value_kind:     by_value
    .group_segment_fixed_size: 0
    .kernarg_segment_align: 8
    .kernarg_segment_size: 88
    .language:       OpenCL C
    .language_version:
      - 2
      - 0
    .max_flat_workgroup_size: 1024
    .name:           _ZN7rocprim17ROCPRIM_400000_NS6detail17trampoline_kernelINS0_14default_configENS1_35radix_sort_onesweep_config_selectorIiiEEZZNS1_29radix_sort_onesweep_iterationIS3_Lb1EN6thrust23THRUST_200600_302600_NS6detail15normal_iteratorINS8_10device_ptrIiEEEESD_SD_SD_jNS0_19identity_decomposerENS1_16block_id_wrapperIjLb1EEEEE10hipError_tT1_PNSt15iterator_traitsISI_E10value_typeET2_T3_PNSJ_ISO_E10value_typeET4_T5_PST_SU_PNS1_23onesweep_lookback_stateEbbT6_jjT7_P12ihipStream_tbENKUlT_T0_SI_SN_E_clISD_PiSD_S15_EEDaS11_S12_SI_SN_EUlS11_E_NS1_11comp_targetILNS1_3genE10ELNS1_11target_archE1201ELNS1_3gpuE5ELNS1_3repE0EEENS1_47radix_sort_onesweep_sort_config_static_selectorELNS0_4arch9wavefront6targetE0EEEvSI_
    .private_segment_fixed_size: 0
    .sgpr_count:     0
    .sgpr_spill_count: 0
    .symbol:         _ZN7rocprim17ROCPRIM_400000_NS6detail17trampoline_kernelINS0_14default_configENS1_35radix_sort_onesweep_config_selectorIiiEEZZNS1_29radix_sort_onesweep_iterationIS3_Lb1EN6thrust23THRUST_200600_302600_NS6detail15normal_iteratorINS8_10device_ptrIiEEEESD_SD_SD_jNS0_19identity_decomposerENS1_16block_id_wrapperIjLb1EEEEE10hipError_tT1_PNSt15iterator_traitsISI_E10value_typeET2_T3_PNSJ_ISO_E10value_typeET4_T5_PST_SU_PNS1_23onesweep_lookback_stateEbbT6_jjT7_P12ihipStream_tbENKUlT_T0_SI_SN_E_clISD_PiSD_S15_EEDaS11_S12_SI_SN_EUlS11_E_NS1_11comp_targetILNS1_3genE10ELNS1_11target_archE1201ELNS1_3gpuE5ELNS1_3repE0EEENS1_47radix_sort_onesweep_sort_config_static_selectorELNS0_4arch9wavefront6targetE0EEEvSI_.kd
    .uniform_work_group_size: 1
    .uses_dynamic_stack: false
    .vgpr_count:     0
    .vgpr_spill_count: 0
    .wavefront_size: 32
    .workgroup_processor_mode: 1
  - .args:
      - .offset:         0
        .size:           88
        .value_kind:     by_value
    .group_segment_fixed_size: 0
    .kernarg_segment_align: 8
    .kernarg_segment_size: 88
    .language:       OpenCL C
    .language_version:
      - 2
      - 0
    .max_flat_workgroup_size: 1024
    .name:           _ZN7rocprim17ROCPRIM_400000_NS6detail17trampoline_kernelINS0_14default_configENS1_35radix_sort_onesweep_config_selectorIiiEEZZNS1_29radix_sort_onesweep_iterationIS3_Lb1EN6thrust23THRUST_200600_302600_NS6detail15normal_iteratorINS8_10device_ptrIiEEEESD_SD_SD_jNS0_19identity_decomposerENS1_16block_id_wrapperIjLb1EEEEE10hipError_tT1_PNSt15iterator_traitsISI_E10value_typeET2_T3_PNSJ_ISO_E10value_typeET4_T5_PST_SU_PNS1_23onesweep_lookback_stateEbbT6_jjT7_P12ihipStream_tbENKUlT_T0_SI_SN_E_clISD_PiSD_S15_EEDaS11_S12_SI_SN_EUlS11_E_NS1_11comp_targetILNS1_3genE9ELNS1_11target_archE1100ELNS1_3gpuE3ELNS1_3repE0EEENS1_47radix_sort_onesweep_sort_config_static_selectorELNS0_4arch9wavefront6targetE0EEEvSI_
    .private_segment_fixed_size: 0
    .sgpr_count:     0
    .sgpr_spill_count: 0
    .symbol:         _ZN7rocprim17ROCPRIM_400000_NS6detail17trampoline_kernelINS0_14default_configENS1_35radix_sort_onesweep_config_selectorIiiEEZZNS1_29radix_sort_onesweep_iterationIS3_Lb1EN6thrust23THRUST_200600_302600_NS6detail15normal_iteratorINS8_10device_ptrIiEEEESD_SD_SD_jNS0_19identity_decomposerENS1_16block_id_wrapperIjLb1EEEEE10hipError_tT1_PNSt15iterator_traitsISI_E10value_typeET2_T3_PNSJ_ISO_E10value_typeET4_T5_PST_SU_PNS1_23onesweep_lookback_stateEbbT6_jjT7_P12ihipStream_tbENKUlT_T0_SI_SN_E_clISD_PiSD_S15_EEDaS11_S12_SI_SN_EUlS11_E_NS1_11comp_targetILNS1_3genE9ELNS1_11target_archE1100ELNS1_3gpuE3ELNS1_3repE0EEENS1_47radix_sort_onesweep_sort_config_static_selectorELNS0_4arch9wavefront6targetE0EEEvSI_.kd
    .uniform_work_group_size: 1
    .uses_dynamic_stack: false
    .vgpr_count:     0
    .vgpr_spill_count: 0
    .wavefront_size: 32
    .workgroup_processor_mode: 1
  - .args:
      - .offset:         0
        .size:           88
        .value_kind:     by_value
      - .offset:         88
        .size:           4
        .value_kind:     hidden_block_count_x
      - .offset:         92
        .size:           4
        .value_kind:     hidden_block_count_y
      - .offset:         96
        .size:           4
        .value_kind:     hidden_block_count_z
      - .offset:         100
        .size:           2
        .value_kind:     hidden_group_size_x
      - .offset:         102
        .size:           2
        .value_kind:     hidden_group_size_y
      - .offset:         104
        .size:           2
        .value_kind:     hidden_group_size_z
      - .offset:         106
        .size:           2
        .value_kind:     hidden_remainder_x
      - .offset:         108
        .size:           2
        .value_kind:     hidden_remainder_y
      - .offset:         110
        .size:           2
        .value_kind:     hidden_remainder_z
      - .offset:         128
        .size:           8
        .value_kind:     hidden_global_offset_x
      - .offset:         136
        .size:           8
        .value_kind:     hidden_global_offset_y
      - .offset:         144
        .size:           8
        .value_kind:     hidden_global_offset_z
      - .offset:         152
        .size:           2
        .value_kind:     hidden_grid_dims
    .group_segment_fixed_size: 37000
    .kernarg_segment_align: 8
    .kernarg_segment_size: 344
    .language:       OpenCL C
    .language_version:
      - 2
      - 0
    .max_flat_workgroup_size: 1024
    .name:           _ZN7rocprim17ROCPRIM_400000_NS6detail17trampoline_kernelINS0_14default_configENS1_35radix_sort_onesweep_config_selectorIiiEEZZNS1_29radix_sort_onesweep_iterationIS3_Lb1EN6thrust23THRUST_200600_302600_NS6detail15normal_iteratorINS8_10device_ptrIiEEEESD_SD_SD_jNS0_19identity_decomposerENS1_16block_id_wrapperIjLb1EEEEE10hipError_tT1_PNSt15iterator_traitsISI_E10value_typeET2_T3_PNSJ_ISO_E10value_typeET4_T5_PST_SU_PNS1_23onesweep_lookback_stateEbbT6_jjT7_P12ihipStream_tbENKUlT_T0_SI_SN_E_clISD_PiSD_S15_EEDaS11_S12_SI_SN_EUlS11_E_NS1_11comp_targetILNS1_3genE8ELNS1_11target_archE1030ELNS1_3gpuE2ELNS1_3repE0EEENS1_47radix_sort_onesweep_sort_config_static_selectorELNS0_4arch9wavefront6targetE0EEEvSI_
    .private_segment_fixed_size: 64
    .sgpr_count:     53
    .sgpr_spill_count: 0
    .symbol:         _ZN7rocprim17ROCPRIM_400000_NS6detail17trampoline_kernelINS0_14default_configENS1_35radix_sort_onesweep_config_selectorIiiEEZZNS1_29radix_sort_onesweep_iterationIS3_Lb1EN6thrust23THRUST_200600_302600_NS6detail15normal_iteratorINS8_10device_ptrIiEEEESD_SD_SD_jNS0_19identity_decomposerENS1_16block_id_wrapperIjLb1EEEEE10hipError_tT1_PNSt15iterator_traitsISI_E10value_typeET2_T3_PNSJ_ISO_E10value_typeET4_T5_PST_SU_PNS1_23onesweep_lookback_stateEbbT6_jjT7_P12ihipStream_tbENKUlT_T0_SI_SN_E_clISD_PiSD_S15_EEDaS11_S12_SI_SN_EUlS11_E_NS1_11comp_targetILNS1_3genE8ELNS1_11target_archE1030ELNS1_3gpuE2ELNS1_3repE0EEENS1_47radix_sort_onesweep_sort_config_static_selectorELNS0_4arch9wavefront6targetE0EEEvSI_.kd
    .uniform_work_group_size: 1
    .uses_dynamic_stack: false
    .vgpr_count:     68
    .vgpr_spill_count: 0
    .wavefront_size: 32
    .workgroup_processor_mode: 1
  - .args:
      - .offset:         0
        .size:           88
        .value_kind:     by_value
    .group_segment_fixed_size: 0
    .kernarg_segment_align: 8
    .kernarg_segment_size: 88
    .language:       OpenCL C
    .language_version:
      - 2
      - 0
    .max_flat_workgroup_size: 256
    .name:           _ZN7rocprim17ROCPRIM_400000_NS6detail17trampoline_kernelINS0_14default_configENS1_35radix_sort_onesweep_config_selectorIiiEEZZNS1_29radix_sort_onesweep_iterationIS3_Lb1EN6thrust23THRUST_200600_302600_NS6detail15normal_iteratorINS8_10device_ptrIiEEEESD_SD_SD_jNS0_19identity_decomposerENS1_16block_id_wrapperIjLb1EEEEE10hipError_tT1_PNSt15iterator_traitsISI_E10value_typeET2_T3_PNSJ_ISO_E10value_typeET4_T5_PST_SU_PNS1_23onesweep_lookback_stateEbbT6_jjT7_P12ihipStream_tbENKUlT_T0_SI_SN_E_clIPiSD_S15_SD_EEDaS11_S12_SI_SN_EUlS11_E_NS1_11comp_targetILNS1_3genE0ELNS1_11target_archE4294967295ELNS1_3gpuE0ELNS1_3repE0EEENS1_47radix_sort_onesweep_sort_config_static_selectorELNS0_4arch9wavefront6targetE0EEEvSI_
    .private_segment_fixed_size: 0
    .sgpr_count:     0
    .sgpr_spill_count: 0
    .symbol:         _ZN7rocprim17ROCPRIM_400000_NS6detail17trampoline_kernelINS0_14default_configENS1_35radix_sort_onesweep_config_selectorIiiEEZZNS1_29radix_sort_onesweep_iterationIS3_Lb1EN6thrust23THRUST_200600_302600_NS6detail15normal_iteratorINS8_10device_ptrIiEEEESD_SD_SD_jNS0_19identity_decomposerENS1_16block_id_wrapperIjLb1EEEEE10hipError_tT1_PNSt15iterator_traitsISI_E10value_typeET2_T3_PNSJ_ISO_E10value_typeET4_T5_PST_SU_PNS1_23onesweep_lookback_stateEbbT6_jjT7_P12ihipStream_tbENKUlT_T0_SI_SN_E_clIPiSD_S15_SD_EEDaS11_S12_SI_SN_EUlS11_E_NS1_11comp_targetILNS1_3genE0ELNS1_11target_archE4294967295ELNS1_3gpuE0ELNS1_3repE0EEENS1_47radix_sort_onesweep_sort_config_static_selectorELNS0_4arch9wavefront6targetE0EEEvSI_.kd
    .uniform_work_group_size: 1
    .uses_dynamic_stack: false
    .vgpr_count:     0
    .vgpr_spill_count: 0
    .wavefront_size: 32
    .workgroup_processor_mode: 1
  - .args:
      - .offset:         0
        .size:           88
        .value_kind:     by_value
    .group_segment_fixed_size: 0
    .kernarg_segment_align: 8
    .kernarg_segment_size: 88
    .language:       OpenCL C
    .language_version:
      - 2
      - 0
    .max_flat_workgroup_size: 1024
    .name:           _ZN7rocprim17ROCPRIM_400000_NS6detail17trampoline_kernelINS0_14default_configENS1_35radix_sort_onesweep_config_selectorIiiEEZZNS1_29radix_sort_onesweep_iterationIS3_Lb1EN6thrust23THRUST_200600_302600_NS6detail15normal_iteratorINS8_10device_ptrIiEEEESD_SD_SD_jNS0_19identity_decomposerENS1_16block_id_wrapperIjLb1EEEEE10hipError_tT1_PNSt15iterator_traitsISI_E10value_typeET2_T3_PNSJ_ISO_E10value_typeET4_T5_PST_SU_PNS1_23onesweep_lookback_stateEbbT6_jjT7_P12ihipStream_tbENKUlT_T0_SI_SN_E_clIPiSD_S15_SD_EEDaS11_S12_SI_SN_EUlS11_E_NS1_11comp_targetILNS1_3genE6ELNS1_11target_archE950ELNS1_3gpuE13ELNS1_3repE0EEENS1_47radix_sort_onesweep_sort_config_static_selectorELNS0_4arch9wavefront6targetE0EEEvSI_
    .private_segment_fixed_size: 0
    .sgpr_count:     0
    .sgpr_spill_count: 0
    .symbol:         _ZN7rocprim17ROCPRIM_400000_NS6detail17trampoline_kernelINS0_14default_configENS1_35radix_sort_onesweep_config_selectorIiiEEZZNS1_29radix_sort_onesweep_iterationIS3_Lb1EN6thrust23THRUST_200600_302600_NS6detail15normal_iteratorINS8_10device_ptrIiEEEESD_SD_SD_jNS0_19identity_decomposerENS1_16block_id_wrapperIjLb1EEEEE10hipError_tT1_PNSt15iterator_traitsISI_E10value_typeET2_T3_PNSJ_ISO_E10value_typeET4_T5_PST_SU_PNS1_23onesweep_lookback_stateEbbT6_jjT7_P12ihipStream_tbENKUlT_T0_SI_SN_E_clIPiSD_S15_SD_EEDaS11_S12_SI_SN_EUlS11_E_NS1_11comp_targetILNS1_3genE6ELNS1_11target_archE950ELNS1_3gpuE13ELNS1_3repE0EEENS1_47radix_sort_onesweep_sort_config_static_selectorELNS0_4arch9wavefront6targetE0EEEvSI_.kd
    .uniform_work_group_size: 1
    .uses_dynamic_stack: false
    .vgpr_count:     0
    .vgpr_spill_count: 0
    .wavefront_size: 32
    .workgroup_processor_mode: 1
  - .args:
      - .offset:         0
        .size:           88
        .value_kind:     by_value
    .group_segment_fixed_size: 0
    .kernarg_segment_align: 8
    .kernarg_segment_size: 88
    .language:       OpenCL C
    .language_version:
      - 2
      - 0
    .max_flat_workgroup_size: 1024
    .name:           _ZN7rocprim17ROCPRIM_400000_NS6detail17trampoline_kernelINS0_14default_configENS1_35radix_sort_onesweep_config_selectorIiiEEZZNS1_29radix_sort_onesweep_iterationIS3_Lb1EN6thrust23THRUST_200600_302600_NS6detail15normal_iteratorINS8_10device_ptrIiEEEESD_SD_SD_jNS0_19identity_decomposerENS1_16block_id_wrapperIjLb1EEEEE10hipError_tT1_PNSt15iterator_traitsISI_E10value_typeET2_T3_PNSJ_ISO_E10value_typeET4_T5_PST_SU_PNS1_23onesweep_lookback_stateEbbT6_jjT7_P12ihipStream_tbENKUlT_T0_SI_SN_E_clIPiSD_S15_SD_EEDaS11_S12_SI_SN_EUlS11_E_NS1_11comp_targetILNS1_3genE5ELNS1_11target_archE942ELNS1_3gpuE9ELNS1_3repE0EEENS1_47radix_sort_onesweep_sort_config_static_selectorELNS0_4arch9wavefront6targetE0EEEvSI_
    .private_segment_fixed_size: 0
    .sgpr_count:     0
    .sgpr_spill_count: 0
    .symbol:         _ZN7rocprim17ROCPRIM_400000_NS6detail17trampoline_kernelINS0_14default_configENS1_35radix_sort_onesweep_config_selectorIiiEEZZNS1_29radix_sort_onesweep_iterationIS3_Lb1EN6thrust23THRUST_200600_302600_NS6detail15normal_iteratorINS8_10device_ptrIiEEEESD_SD_SD_jNS0_19identity_decomposerENS1_16block_id_wrapperIjLb1EEEEE10hipError_tT1_PNSt15iterator_traitsISI_E10value_typeET2_T3_PNSJ_ISO_E10value_typeET4_T5_PST_SU_PNS1_23onesweep_lookback_stateEbbT6_jjT7_P12ihipStream_tbENKUlT_T0_SI_SN_E_clIPiSD_S15_SD_EEDaS11_S12_SI_SN_EUlS11_E_NS1_11comp_targetILNS1_3genE5ELNS1_11target_archE942ELNS1_3gpuE9ELNS1_3repE0EEENS1_47radix_sort_onesweep_sort_config_static_selectorELNS0_4arch9wavefront6targetE0EEEvSI_.kd
    .uniform_work_group_size: 1
    .uses_dynamic_stack: false
    .vgpr_count:     0
    .vgpr_spill_count: 0
    .wavefront_size: 32
    .workgroup_processor_mode: 1
  - .args:
      - .offset:         0
        .size:           88
        .value_kind:     by_value
    .group_segment_fixed_size: 0
    .kernarg_segment_align: 8
    .kernarg_segment_size: 88
    .language:       OpenCL C
    .language_version:
      - 2
      - 0
    .max_flat_workgroup_size: 512
    .name:           _ZN7rocprim17ROCPRIM_400000_NS6detail17trampoline_kernelINS0_14default_configENS1_35radix_sort_onesweep_config_selectorIiiEEZZNS1_29radix_sort_onesweep_iterationIS3_Lb1EN6thrust23THRUST_200600_302600_NS6detail15normal_iteratorINS8_10device_ptrIiEEEESD_SD_SD_jNS0_19identity_decomposerENS1_16block_id_wrapperIjLb1EEEEE10hipError_tT1_PNSt15iterator_traitsISI_E10value_typeET2_T3_PNSJ_ISO_E10value_typeET4_T5_PST_SU_PNS1_23onesweep_lookback_stateEbbT6_jjT7_P12ihipStream_tbENKUlT_T0_SI_SN_E_clIPiSD_S15_SD_EEDaS11_S12_SI_SN_EUlS11_E_NS1_11comp_targetILNS1_3genE2ELNS1_11target_archE906ELNS1_3gpuE6ELNS1_3repE0EEENS1_47radix_sort_onesweep_sort_config_static_selectorELNS0_4arch9wavefront6targetE0EEEvSI_
    .private_segment_fixed_size: 0
    .sgpr_count:     0
    .sgpr_spill_count: 0
    .symbol:         _ZN7rocprim17ROCPRIM_400000_NS6detail17trampoline_kernelINS0_14default_configENS1_35radix_sort_onesweep_config_selectorIiiEEZZNS1_29radix_sort_onesweep_iterationIS3_Lb1EN6thrust23THRUST_200600_302600_NS6detail15normal_iteratorINS8_10device_ptrIiEEEESD_SD_SD_jNS0_19identity_decomposerENS1_16block_id_wrapperIjLb1EEEEE10hipError_tT1_PNSt15iterator_traitsISI_E10value_typeET2_T3_PNSJ_ISO_E10value_typeET4_T5_PST_SU_PNS1_23onesweep_lookback_stateEbbT6_jjT7_P12ihipStream_tbENKUlT_T0_SI_SN_E_clIPiSD_S15_SD_EEDaS11_S12_SI_SN_EUlS11_E_NS1_11comp_targetILNS1_3genE2ELNS1_11target_archE906ELNS1_3gpuE6ELNS1_3repE0EEENS1_47radix_sort_onesweep_sort_config_static_selectorELNS0_4arch9wavefront6targetE0EEEvSI_.kd
    .uniform_work_group_size: 1
    .uses_dynamic_stack: false
    .vgpr_count:     0
    .vgpr_spill_count: 0
    .wavefront_size: 32
    .workgroup_processor_mode: 1
  - .args:
      - .offset:         0
        .size:           88
        .value_kind:     by_value
    .group_segment_fixed_size: 0
    .kernarg_segment_align: 8
    .kernarg_segment_size: 88
    .language:       OpenCL C
    .language_version:
      - 2
      - 0
    .max_flat_workgroup_size: 512
    .name:           _ZN7rocprim17ROCPRIM_400000_NS6detail17trampoline_kernelINS0_14default_configENS1_35radix_sort_onesweep_config_selectorIiiEEZZNS1_29radix_sort_onesweep_iterationIS3_Lb1EN6thrust23THRUST_200600_302600_NS6detail15normal_iteratorINS8_10device_ptrIiEEEESD_SD_SD_jNS0_19identity_decomposerENS1_16block_id_wrapperIjLb1EEEEE10hipError_tT1_PNSt15iterator_traitsISI_E10value_typeET2_T3_PNSJ_ISO_E10value_typeET4_T5_PST_SU_PNS1_23onesweep_lookback_stateEbbT6_jjT7_P12ihipStream_tbENKUlT_T0_SI_SN_E_clIPiSD_S15_SD_EEDaS11_S12_SI_SN_EUlS11_E_NS1_11comp_targetILNS1_3genE4ELNS1_11target_archE910ELNS1_3gpuE8ELNS1_3repE0EEENS1_47radix_sort_onesweep_sort_config_static_selectorELNS0_4arch9wavefront6targetE0EEEvSI_
    .private_segment_fixed_size: 0
    .sgpr_count:     0
    .sgpr_spill_count: 0
    .symbol:         _ZN7rocprim17ROCPRIM_400000_NS6detail17trampoline_kernelINS0_14default_configENS1_35radix_sort_onesweep_config_selectorIiiEEZZNS1_29radix_sort_onesweep_iterationIS3_Lb1EN6thrust23THRUST_200600_302600_NS6detail15normal_iteratorINS8_10device_ptrIiEEEESD_SD_SD_jNS0_19identity_decomposerENS1_16block_id_wrapperIjLb1EEEEE10hipError_tT1_PNSt15iterator_traitsISI_E10value_typeET2_T3_PNSJ_ISO_E10value_typeET4_T5_PST_SU_PNS1_23onesweep_lookback_stateEbbT6_jjT7_P12ihipStream_tbENKUlT_T0_SI_SN_E_clIPiSD_S15_SD_EEDaS11_S12_SI_SN_EUlS11_E_NS1_11comp_targetILNS1_3genE4ELNS1_11target_archE910ELNS1_3gpuE8ELNS1_3repE0EEENS1_47radix_sort_onesweep_sort_config_static_selectorELNS0_4arch9wavefront6targetE0EEEvSI_.kd
    .uniform_work_group_size: 1
    .uses_dynamic_stack: false
    .vgpr_count:     0
    .vgpr_spill_count: 0
    .wavefront_size: 32
    .workgroup_processor_mode: 1
  - .args:
      - .offset:         0
        .size:           88
        .value_kind:     by_value
    .group_segment_fixed_size: 0
    .kernarg_segment_align: 8
    .kernarg_segment_size: 88
    .language:       OpenCL C
    .language_version:
      - 2
      - 0
    .max_flat_workgroup_size: 256
    .name:           _ZN7rocprim17ROCPRIM_400000_NS6detail17trampoline_kernelINS0_14default_configENS1_35radix_sort_onesweep_config_selectorIiiEEZZNS1_29radix_sort_onesweep_iterationIS3_Lb1EN6thrust23THRUST_200600_302600_NS6detail15normal_iteratorINS8_10device_ptrIiEEEESD_SD_SD_jNS0_19identity_decomposerENS1_16block_id_wrapperIjLb1EEEEE10hipError_tT1_PNSt15iterator_traitsISI_E10value_typeET2_T3_PNSJ_ISO_E10value_typeET4_T5_PST_SU_PNS1_23onesweep_lookback_stateEbbT6_jjT7_P12ihipStream_tbENKUlT_T0_SI_SN_E_clIPiSD_S15_SD_EEDaS11_S12_SI_SN_EUlS11_E_NS1_11comp_targetILNS1_3genE3ELNS1_11target_archE908ELNS1_3gpuE7ELNS1_3repE0EEENS1_47radix_sort_onesweep_sort_config_static_selectorELNS0_4arch9wavefront6targetE0EEEvSI_
    .private_segment_fixed_size: 0
    .sgpr_count:     0
    .sgpr_spill_count: 0
    .symbol:         _ZN7rocprim17ROCPRIM_400000_NS6detail17trampoline_kernelINS0_14default_configENS1_35radix_sort_onesweep_config_selectorIiiEEZZNS1_29radix_sort_onesweep_iterationIS3_Lb1EN6thrust23THRUST_200600_302600_NS6detail15normal_iteratorINS8_10device_ptrIiEEEESD_SD_SD_jNS0_19identity_decomposerENS1_16block_id_wrapperIjLb1EEEEE10hipError_tT1_PNSt15iterator_traitsISI_E10value_typeET2_T3_PNSJ_ISO_E10value_typeET4_T5_PST_SU_PNS1_23onesweep_lookback_stateEbbT6_jjT7_P12ihipStream_tbENKUlT_T0_SI_SN_E_clIPiSD_S15_SD_EEDaS11_S12_SI_SN_EUlS11_E_NS1_11comp_targetILNS1_3genE3ELNS1_11target_archE908ELNS1_3gpuE7ELNS1_3repE0EEENS1_47radix_sort_onesweep_sort_config_static_selectorELNS0_4arch9wavefront6targetE0EEEvSI_.kd
    .uniform_work_group_size: 1
    .uses_dynamic_stack: false
    .vgpr_count:     0
    .vgpr_spill_count: 0
    .wavefront_size: 32
    .workgroup_processor_mode: 1
  - .args:
      - .offset:         0
        .size:           88
        .value_kind:     by_value
    .group_segment_fixed_size: 0
    .kernarg_segment_align: 8
    .kernarg_segment_size: 88
    .language:       OpenCL C
    .language_version:
      - 2
      - 0
    .max_flat_workgroup_size: 1024
    .name:           _ZN7rocprim17ROCPRIM_400000_NS6detail17trampoline_kernelINS0_14default_configENS1_35radix_sort_onesweep_config_selectorIiiEEZZNS1_29radix_sort_onesweep_iterationIS3_Lb1EN6thrust23THRUST_200600_302600_NS6detail15normal_iteratorINS8_10device_ptrIiEEEESD_SD_SD_jNS0_19identity_decomposerENS1_16block_id_wrapperIjLb1EEEEE10hipError_tT1_PNSt15iterator_traitsISI_E10value_typeET2_T3_PNSJ_ISO_E10value_typeET4_T5_PST_SU_PNS1_23onesweep_lookback_stateEbbT6_jjT7_P12ihipStream_tbENKUlT_T0_SI_SN_E_clIPiSD_S15_SD_EEDaS11_S12_SI_SN_EUlS11_E_NS1_11comp_targetILNS1_3genE10ELNS1_11target_archE1201ELNS1_3gpuE5ELNS1_3repE0EEENS1_47radix_sort_onesweep_sort_config_static_selectorELNS0_4arch9wavefront6targetE0EEEvSI_
    .private_segment_fixed_size: 0
    .sgpr_count:     0
    .sgpr_spill_count: 0
    .symbol:         _ZN7rocprim17ROCPRIM_400000_NS6detail17trampoline_kernelINS0_14default_configENS1_35radix_sort_onesweep_config_selectorIiiEEZZNS1_29radix_sort_onesweep_iterationIS3_Lb1EN6thrust23THRUST_200600_302600_NS6detail15normal_iteratorINS8_10device_ptrIiEEEESD_SD_SD_jNS0_19identity_decomposerENS1_16block_id_wrapperIjLb1EEEEE10hipError_tT1_PNSt15iterator_traitsISI_E10value_typeET2_T3_PNSJ_ISO_E10value_typeET4_T5_PST_SU_PNS1_23onesweep_lookback_stateEbbT6_jjT7_P12ihipStream_tbENKUlT_T0_SI_SN_E_clIPiSD_S15_SD_EEDaS11_S12_SI_SN_EUlS11_E_NS1_11comp_targetILNS1_3genE10ELNS1_11target_archE1201ELNS1_3gpuE5ELNS1_3repE0EEENS1_47radix_sort_onesweep_sort_config_static_selectorELNS0_4arch9wavefront6targetE0EEEvSI_.kd
    .uniform_work_group_size: 1
    .uses_dynamic_stack: false
    .vgpr_count:     0
    .vgpr_spill_count: 0
    .wavefront_size: 32
    .workgroup_processor_mode: 1
  - .args:
      - .offset:         0
        .size:           88
        .value_kind:     by_value
    .group_segment_fixed_size: 0
    .kernarg_segment_align: 8
    .kernarg_segment_size: 88
    .language:       OpenCL C
    .language_version:
      - 2
      - 0
    .max_flat_workgroup_size: 1024
    .name:           _ZN7rocprim17ROCPRIM_400000_NS6detail17trampoline_kernelINS0_14default_configENS1_35radix_sort_onesweep_config_selectorIiiEEZZNS1_29radix_sort_onesweep_iterationIS3_Lb1EN6thrust23THRUST_200600_302600_NS6detail15normal_iteratorINS8_10device_ptrIiEEEESD_SD_SD_jNS0_19identity_decomposerENS1_16block_id_wrapperIjLb1EEEEE10hipError_tT1_PNSt15iterator_traitsISI_E10value_typeET2_T3_PNSJ_ISO_E10value_typeET4_T5_PST_SU_PNS1_23onesweep_lookback_stateEbbT6_jjT7_P12ihipStream_tbENKUlT_T0_SI_SN_E_clIPiSD_S15_SD_EEDaS11_S12_SI_SN_EUlS11_E_NS1_11comp_targetILNS1_3genE9ELNS1_11target_archE1100ELNS1_3gpuE3ELNS1_3repE0EEENS1_47radix_sort_onesweep_sort_config_static_selectorELNS0_4arch9wavefront6targetE0EEEvSI_
    .private_segment_fixed_size: 0
    .sgpr_count:     0
    .sgpr_spill_count: 0
    .symbol:         _ZN7rocprim17ROCPRIM_400000_NS6detail17trampoline_kernelINS0_14default_configENS1_35radix_sort_onesweep_config_selectorIiiEEZZNS1_29radix_sort_onesweep_iterationIS3_Lb1EN6thrust23THRUST_200600_302600_NS6detail15normal_iteratorINS8_10device_ptrIiEEEESD_SD_SD_jNS0_19identity_decomposerENS1_16block_id_wrapperIjLb1EEEEE10hipError_tT1_PNSt15iterator_traitsISI_E10value_typeET2_T3_PNSJ_ISO_E10value_typeET4_T5_PST_SU_PNS1_23onesweep_lookback_stateEbbT6_jjT7_P12ihipStream_tbENKUlT_T0_SI_SN_E_clIPiSD_S15_SD_EEDaS11_S12_SI_SN_EUlS11_E_NS1_11comp_targetILNS1_3genE9ELNS1_11target_archE1100ELNS1_3gpuE3ELNS1_3repE0EEENS1_47radix_sort_onesweep_sort_config_static_selectorELNS0_4arch9wavefront6targetE0EEEvSI_.kd
    .uniform_work_group_size: 1
    .uses_dynamic_stack: false
    .vgpr_count:     0
    .vgpr_spill_count: 0
    .wavefront_size: 32
    .workgroup_processor_mode: 1
  - .args:
      - .offset:         0
        .size:           88
        .value_kind:     by_value
      - .offset:         88
        .size:           4
        .value_kind:     hidden_block_count_x
      - .offset:         92
        .size:           4
        .value_kind:     hidden_block_count_y
      - .offset:         96
        .size:           4
        .value_kind:     hidden_block_count_z
      - .offset:         100
        .size:           2
        .value_kind:     hidden_group_size_x
      - .offset:         102
        .size:           2
        .value_kind:     hidden_group_size_y
      - .offset:         104
        .size:           2
        .value_kind:     hidden_group_size_z
      - .offset:         106
        .size:           2
        .value_kind:     hidden_remainder_x
      - .offset:         108
        .size:           2
        .value_kind:     hidden_remainder_y
      - .offset:         110
        .size:           2
        .value_kind:     hidden_remainder_z
      - .offset:         128
        .size:           8
        .value_kind:     hidden_global_offset_x
      - .offset:         136
        .size:           8
        .value_kind:     hidden_global_offset_y
      - .offset:         144
        .size:           8
        .value_kind:     hidden_global_offset_z
      - .offset:         152
        .size:           2
        .value_kind:     hidden_grid_dims
    .group_segment_fixed_size: 37000
    .kernarg_segment_align: 8
    .kernarg_segment_size: 344
    .language:       OpenCL C
    .language_version:
      - 2
      - 0
    .max_flat_workgroup_size: 1024
    .name:           _ZN7rocprim17ROCPRIM_400000_NS6detail17trampoline_kernelINS0_14default_configENS1_35radix_sort_onesweep_config_selectorIiiEEZZNS1_29radix_sort_onesweep_iterationIS3_Lb1EN6thrust23THRUST_200600_302600_NS6detail15normal_iteratorINS8_10device_ptrIiEEEESD_SD_SD_jNS0_19identity_decomposerENS1_16block_id_wrapperIjLb1EEEEE10hipError_tT1_PNSt15iterator_traitsISI_E10value_typeET2_T3_PNSJ_ISO_E10value_typeET4_T5_PST_SU_PNS1_23onesweep_lookback_stateEbbT6_jjT7_P12ihipStream_tbENKUlT_T0_SI_SN_E_clIPiSD_S15_SD_EEDaS11_S12_SI_SN_EUlS11_E_NS1_11comp_targetILNS1_3genE8ELNS1_11target_archE1030ELNS1_3gpuE2ELNS1_3repE0EEENS1_47radix_sort_onesweep_sort_config_static_selectorELNS0_4arch9wavefront6targetE0EEEvSI_
    .private_segment_fixed_size: 64
    .sgpr_count:     53
    .sgpr_spill_count: 0
    .symbol:         _ZN7rocprim17ROCPRIM_400000_NS6detail17trampoline_kernelINS0_14default_configENS1_35radix_sort_onesweep_config_selectorIiiEEZZNS1_29radix_sort_onesweep_iterationIS3_Lb1EN6thrust23THRUST_200600_302600_NS6detail15normal_iteratorINS8_10device_ptrIiEEEESD_SD_SD_jNS0_19identity_decomposerENS1_16block_id_wrapperIjLb1EEEEE10hipError_tT1_PNSt15iterator_traitsISI_E10value_typeET2_T3_PNSJ_ISO_E10value_typeET4_T5_PST_SU_PNS1_23onesweep_lookback_stateEbbT6_jjT7_P12ihipStream_tbENKUlT_T0_SI_SN_E_clIPiSD_S15_SD_EEDaS11_S12_SI_SN_EUlS11_E_NS1_11comp_targetILNS1_3genE8ELNS1_11target_archE1030ELNS1_3gpuE2ELNS1_3repE0EEENS1_47radix_sort_onesweep_sort_config_static_selectorELNS0_4arch9wavefront6targetE0EEEvSI_.kd
    .uniform_work_group_size: 1
    .uses_dynamic_stack: false
    .vgpr_count:     68
    .vgpr_spill_count: 0
    .wavefront_size: 32
    .workgroup_processor_mode: 1
  - .args:
      - .offset:         0
        .size:           88
        .value_kind:     by_value
    .group_segment_fixed_size: 0
    .kernarg_segment_align: 8
    .kernarg_segment_size: 88
    .language:       OpenCL C
    .language_version:
      - 2
      - 0
    .max_flat_workgroup_size: 256
    .name:           _ZN7rocprim17ROCPRIM_400000_NS6detail17trampoline_kernelINS0_14default_configENS1_35radix_sort_onesweep_config_selectorIiiEEZZNS1_29radix_sort_onesweep_iterationIS3_Lb1EN6thrust23THRUST_200600_302600_NS6detail15normal_iteratorINS8_10device_ptrIiEEEESD_SD_SD_jNS0_19identity_decomposerENS1_16block_id_wrapperIjLb0EEEEE10hipError_tT1_PNSt15iterator_traitsISI_E10value_typeET2_T3_PNSJ_ISO_E10value_typeET4_T5_PST_SU_PNS1_23onesweep_lookback_stateEbbT6_jjT7_P12ihipStream_tbENKUlT_T0_SI_SN_E_clISD_SD_SD_SD_EEDaS11_S12_SI_SN_EUlS11_E_NS1_11comp_targetILNS1_3genE0ELNS1_11target_archE4294967295ELNS1_3gpuE0ELNS1_3repE0EEENS1_47radix_sort_onesweep_sort_config_static_selectorELNS0_4arch9wavefront6targetE0EEEvSI_
    .private_segment_fixed_size: 0
    .sgpr_count:     0
    .sgpr_spill_count: 0
    .symbol:         _ZN7rocprim17ROCPRIM_400000_NS6detail17trampoline_kernelINS0_14default_configENS1_35radix_sort_onesweep_config_selectorIiiEEZZNS1_29radix_sort_onesweep_iterationIS3_Lb1EN6thrust23THRUST_200600_302600_NS6detail15normal_iteratorINS8_10device_ptrIiEEEESD_SD_SD_jNS0_19identity_decomposerENS1_16block_id_wrapperIjLb0EEEEE10hipError_tT1_PNSt15iterator_traitsISI_E10value_typeET2_T3_PNSJ_ISO_E10value_typeET4_T5_PST_SU_PNS1_23onesweep_lookback_stateEbbT6_jjT7_P12ihipStream_tbENKUlT_T0_SI_SN_E_clISD_SD_SD_SD_EEDaS11_S12_SI_SN_EUlS11_E_NS1_11comp_targetILNS1_3genE0ELNS1_11target_archE4294967295ELNS1_3gpuE0ELNS1_3repE0EEENS1_47radix_sort_onesweep_sort_config_static_selectorELNS0_4arch9wavefront6targetE0EEEvSI_.kd
    .uniform_work_group_size: 1
    .uses_dynamic_stack: false
    .vgpr_count:     0
    .vgpr_spill_count: 0
    .wavefront_size: 32
    .workgroup_processor_mode: 1
  - .args:
      - .offset:         0
        .size:           88
        .value_kind:     by_value
    .group_segment_fixed_size: 0
    .kernarg_segment_align: 8
    .kernarg_segment_size: 88
    .language:       OpenCL C
    .language_version:
      - 2
      - 0
    .max_flat_workgroup_size: 1024
    .name:           _ZN7rocprim17ROCPRIM_400000_NS6detail17trampoline_kernelINS0_14default_configENS1_35radix_sort_onesweep_config_selectorIiiEEZZNS1_29radix_sort_onesweep_iterationIS3_Lb1EN6thrust23THRUST_200600_302600_NS6detail15normal_iteratorINS8_10device_ptrIiEEEESD_SD_SD_jNS0_19identity_decomposerENS1_16block_id_wrapperIjLb0EEEEE10hipError_tT1_PNSt15iterator_traitsISI_E10value_typeET2_T3_PNSJ_ISO_E10value_typeET4_T5_PST_SU_PNS1_23onesweep_lookback_stateEbbT6_jjT7_P12ihipStream_tbENKUlT_T0_SI_SN_E_clISD_SD_SD_SD_EEDaS11_S12_SI_SN_EUlS11_E_NS1_11comp_targetILNS1_3genE6ELNS1_11target_archE950ELNS1_3gpuE13ELNS1_3repE0EEENS1_47radix_sort_onesweep_sort_config_static_selectorELNS0_4arch9wavefront6targetE0EEEvSI_
    .private_segment_fixed_size: 0
    .sgpr_count:     0
    .sgpr_spill_count: 0
    .symbol:         _ZN7rocprim17ROCPRIM_400000_NS6detail17trampoline_kernelINS0_14default_configENS1_35radix_sort_onesweep_config_selectorIiiEEZZNS1_29radix_sort_onesweep_iterationIS3_Lb1EN6thrust23THRUST_200600_302600_NS6detail15normal_iteratorINS8_10device_ptrIiEEEESD_SD_SD_jNS0_19identity_decomposerENS1_16block_id_wrapperIjLb0EEEEE10hipError_tT1_PNSt15iterator_traitsISI_E10value_typeET2_T3_PNSJ_ISO_E10value_typeET4_T5_PST_SU_PNS1_23onesweep_lookback_stateEbbT6_jjT7_P12ihipStream_tbENKUlT_T0_SI_SN_E_clISD_SD_SD_SD_EEDaS11_S12_SI_SN_EUlS11_E_NS1_11comp_targetILNS1_3genE6ELNS1_11target_archE950ELNS1_3gpuE13ELNS1_3repE0EEENS1_47radix_sort_onesweep_sort_config_static_selectorELNS0_4arch9wavefront6targetE0EEEvSI_.kd
    .uniform_work_group_size: 1
    .uses_dynamic_stack: false
    .vgpr_count:     0
    .vgpr_spill_count: 0
    .wavefront_size: 32
    .workgroup_processor_mode: 1
  - .args:
      - .offset:         0
        .size:           88
        .value_kind:     by_value
    .group_segment_fixed_size: 0
    .kernarg_segment_align: 8
    .kernarg_segment_size: 88
    .language:       OpenCL C
    .language_version:
      - 2
      - 0
    .max_flat_workgroup_size: 1024
    .name:           _ZN7rocprim17ROCPRIM_400000_NS6detail17trampoline_kernelINS0_14default_configENS1_35radix_sort_onesweep_config_selectorIiiEEZZNS1_29radix_sort_onesweep_iterationIS3_Lb1EN6thrust23THRUST_200600_302600_NS6detail15normal_iteratorINS8_10device_ptrIiEEEESD_SD_SD_jNS0_19identity_decomposerENS1_16block_id_wrapperIjLb0EEEEE10hipError_tT1_PNSt15iterator_traitsISI_E10value_typeET2_T3_PNSJ_ISO_E10value_typeET4_T5_PST_SU_PNS1_23onesweep_lookback_stateEbbT6_jjT7_P12ihipStream_tbENKUlT_T0_SI_SN_E_clISD_SD_SD_SD_EEDaS11_S12_SI_SN_EUlS11_E_NS1_11comp_targetILNS1_3genE5ELNS1_11target_archE942ELNS1_3gpuE9ELNS1_3repE0EEENS1_47radix_sort_onesweep_sort_config_static_selectorELNS0_4arch9wavefront6targetE0EEEvSI_
    .private_segment_fixed_size: 0
    .sgpr_count:     0
    .sgpr_spill_count: 0
    .symbol:         _ZN7rocprim17ROCPRIM_400000_NS6detail17trampoline_kernelINS0_14default_configENS1_35radix_sort_onesweep_config_selectorIiiEEZZNS1_29radix_sort_onesweep_iterationIS3_Lb1EN6thrust23THRUST_200600_302600_NS6detail15normal_iteratorINS8_10device_ptrIiEEEESD_SD_SD_jNS0_19identity_decomposerENS1_16block_id_wrapperIjLb0EEEEE10hipError_tT1_PNSt15iterator_traitsISI_E10value_typeET2_T3_PNSJ_ISO_E10value_typeET4_T5_PST_SU_PNS1_23onesweep_lookback_stateEbbT6_jjT7_P12ihipStream_tbENKUlT_T0_SI_SN_E_clISD_SD_SD_SD_EEDaS11_S12_SI_SN_EUlS11_E_NS1_11comp_targetILNS1_3genE5ELNS1_11target_archE942ELNS1_3gpuE9ELNS1_3repE0EEENS1_47radix_sort_onesweep_sort_config_static_selectorELNS0_4arch9wavefront6targetE0EEEvSI_.kd
    .uniform_work_group_size: 1
    .uses_dynamic_stack: false
    .vgpr_count:     0
    .vgpr_spill_count: 0
    .wavefront_size: 32
    .workgroup_processor_mode: 1
  - .args:
      - .offset:         0
        .size:           88
        .value_kind:     by_value
    .group_segment_fixed_size: 0
    .kernarg_segment_align: 8
    .kernarg_segment_size: 88
    .language:       OpenCL C
    .language_version:
      - 2
      - 0
    .max_flat_workgroup_size: 512
    .name:           _ZN7rocprim17ROCPRIM_400000_NS6detail17trampoline_kernelINS0_14default_configENS1_35radix_sort_onesweep_config_selectorIiiEEZZNS1_29radix_sort_onesweep_iterationIS3_Lb1EN6thrust23THRUST_200600_302600_NS6detail15normal_iteratorINS8_10device_ptrIiEEEESD_SD_SD_jNS0_19identity_decomposerENS1_16block_id_wrapperIjLb0EEEEE10hipError_tT1_PNSt15iterator_traitsISI_E10value_typeET2_T3_PNSJ_ISO_E10value_typeET4_T5_PST_SU_PNS1_23onesweep_lookback_stateEbbT6_jjT7_P12ihipStream_tbENKUlT_T0_SI_SN_E_clISD_SD_SD_SD_EEDaS11_S12_SI_SN_EUlS11_E_NS1_11comp_targetILNS1_3genE2ELNS1_11target_archE906ELNS1_3gpuE6ELNS1_3repE0EEENS1_47radix_sort_onesweep_sort_config_static_selectorELNS0_4arch9wavefront6targetE0EEEvSI_
    .private_segment_fixed_size: 0
    .sgpr_count:     0
    .sgpr_spill_count: 0
    .symbol:         _ZN7rocprim17ROCPRIM_400000_NS6detail17trampoline_kernelINS0_14default_configENS1_35radix_sort_onesweep_config_selectorIiiEEZZNS1_29radix_sort_onesweep_iterationIS3_Lb1EN6thrust23THRUST_200600_302600_NS6detail15normal_iteratorINS8_10device_ptrIiEEEESD_SD_SD_jNS0_19identity_decomposerENS1_16block_id_wrapperIjLb0EEEEE10hipError_tT1_PNSt15iterator_traitsISI_E10value_typeET2_T3_PNSJ_ISO_E10value_typeET4_T5_PST_SU_PNS1_23onesweep_lookback_stateEbbT6_jjT7_P12ihipStream_tbENKUlT_T0_SI_SN_E_clISD_SD_SD_SD_EEDaS11_S12_SI_SN_EUlS11_E_NS1_11comp_targetILNS1_3genE2ELNS1_11target_archE906ELNS1_3gpuE6ELNS1_3repE0EEENS1_47radix_sort_onesweep_sort_config_static_selectorELNS0_4arch9wavefront6targetE0EEEvSI_.kd
    .uniform_work_group_size: 1
    .uses_dynamic_stack: false
    .vgpr_count:     0
    .vgpr_spill_count: 0
    .wavefront_size: 32
    .workgroup_processor_mode: 1
  - .args:
      - .offset:         0
        .size:           88
        .value_kind:     by_value
    .group_segment_fixed_size: 0
    .kernarg_segment_align: 8
    .kernarg_segment_size: 88
    .language:       OpenCL C
    .language_version:
      - 2
      - 0
    .max_flat_workgroup_size: 512
    .name:           _ZN7rocprim17ROCPRIM_400000_NS6detail17trampoline_kernelINS0_14default_configENS1_35radix_sort_onesweep_config_selectorIiiEEZZNS1_29radix_sort_onesweep_iterationIS3_Lb1EN6thrust23THRUST_200600_302600_NS6detail15normal_iteratorINS8_10device_ptrIiEEEESD_SD_SD_jNS0_19identity_decomposerENS1_16block_id_wrapperIjLb0EEEEE10hipError_tT1_PNSt15iterator_traitsISI_E10value_typeET2_T3_PNSJ_ISO_E10value_typeET4_T5_PST_SU_PNS1_23onesweep_lookback_stateEbbT6_jjT7_P12ihipStream_tbENKUlT_T0_SI_SN_E_clISD_SD_SD_SD_EEDaS11_S12_SI_SN_EUlS11_E_NS1_11comp_targetILNS1_3genE4ELNS1_11target_archE910ELNS1_3gpuE8ELNS1_3repE0EEENS1_47radix_sort_onesweep_sort_config_static_selectorELNS0_4arch9wavefront6targetE0EEEvSI_
    .private_segment_fixed_size: 0
    .sgpr_count:     0
    .sgpr_spill_count: 0
    .symbol:         _ZN7rocprim17ROCPRIM_400000_NS6detail17trampoline_kernelINS0_14default_configENS1_35radix_sort_onesweep_config_selectorIiiEEZZNS1_29radix_sort_onesweep_iterationIS3_Lb1EN6thrust23THRUST_200600_302600_NS6detail15normal_iteratorINS8_10device_ptrIiEEEESD_SD_SD_jNS0_19identity_decomposerENS1_16block_id_wrapperIjLb0EEEEE10hipError_tT1_PNSt15iterator_traitsISI_E10value_typeET2_T3_PNSJ_ISO_E10value_typeET4_T5_PST_SU_PNS1_23onesweep_lookback_stateEbbT6_jjT7_P12ihipStream_tbENKUlT_T0_SI_SN_E_clISD_SD_SD_SD_EEDaS11_S12_SI_SN_EUlS11_E_NS1_11comp_targetILNS1_3genE4ELNS1_11target_archE910ELNS1_3gpuE8ELNS1_3repE0EEENS1_47radix_sort_onesweep_sort_config_static_selectorELNS0_4arch9wavefront6targetE0EEEvSI_.kd
    .uniform_work_group_size: 1
    .uses_dynamic_stack: false
    .vgpr_count:     0
    .vgpr_spill_count: 0
    .wavefront_size: 32
    .workgroup_processor_mode: 1
  - .args:
      - .offset:         0
        .size:           88
        .value_kind:     by_value
    .group_segment_fixed_size: 0
    .kernarg_segment_align: 8
    .kernarg_segment_size: 88
    .language:       OpenCL C
    .language_version:
      - 2
      - 0
    .max_flat_workgroup_size: 256
    .name:           _ZN7rocprim17ROCPRIM_400000_NS6detail17trampoline_kernelINS0_14default_configENS1_35radix_sort_onesweep_config_selectorIiiEEZZNS1_29radix_sort_onesweep_iterationIS3_Lb1EN6thrust23THRUST_200600_302600_NS6detail15normal_iteratorINS8_10device_ptrIiEEEESD_SD_SD_jNS0_19identity_decomposerENS1_16block_id_wrapperIjLb0EEEEE10hipError_tT1_PNSt15iterator_traitsISI_E10value_typeET2_T3_PNSJ_ISO_E10value_typeET4_T5_PST_SU_PNS1_23onesweep_lookback_stateEbbT6_jjT7_P12ihipStream_tbENKUlT_T0_SI_SN_E_clISD_SD_SD_SD_EEDaS11_S12_SI_SN_EUlS11_E_NS1_11comp_targetILNS1_3genE3ELNS1_11target_archE908ELNS1_3gpuE7ELNS1_3repE0EEENS1_47radix_sort_onesweep_sort_config_static_selectorELNS0_4arch9wavefront6targetE0EEEvSI_
    .private_segment_fixed_size: 0
    .sgpr_count:     0
    .sgpr_spill_count: 0
    .symbol:         _ZN7rocprim17ROCPRIM_400000_NS6detail17trampoline_kernelINS0_14default_configENS1_35radix_sort_onesweep_config_selectorIiiEEZZNS1_29radix_sort_onesweep_iterationIS3_Lb1EN6thrust23THRUST_200600_302600_NS6detail15normal_iteratorINS8_10device_ptrIiEEEESD_SD_SD_jNS0_19identity_decomposerENS1_16block_id_wrapperIjLb0EEEEE10hipError_tT1_PNSt15iterator_traitsISI_E10value_typeET2_T3_PNSJ_ISO_E10value_typeET4_T5_PST_SU_PNS1_23onesweep_lookback_stateEbbT6_jjT7_P12ihipStream_tbENKUlT_T0_SI_SN_E_clISD_SD_SD_SD_EEDaS11_S12_SI_SN_EUlS11_E_NS1_11comp_targetILNS1_3genE3ELNS1_11target_archE908ELNS1_3gpuE7ELNS1_3repE0EEENS1_47radix_sort_onesweep_sort_config_static_selectorELNS0_4arch9wavefront6targetE0EEEvSI_.kd
    .uniform_work_group_size: 1
    .uses_dynamic_stack: false
    .vgpr_count:     0
    .vgpr_spill_count: 0
    .wavefront_size: 32
    .workgroup_processor_mode: 1
  - .args:
      - .offset:         0
        .size:           88
        .value_kind:     by_value
    .group_segment_fixed_size: 0
    .kernarg_segment_align: 8
    .kernarg_segment_size: 88
    .language:       OpenCL C
    .language_version:
      - 2
      - 0
    .max_flat_workgroup_size: 1024
    .name:           _ZN7rocprim17ROCPRIM_400000_NS6detail17trampoline_kernelINS0_14default_configENS1_35radix_sort_onesweep_config_selectorIiiEEZZNS1_29radix_sort_onesweep_iterationIS3_Lb1EN6thrust23THRUST_200600_302600_NS6detail15normal_iteratorINS8_10device_ptrIiEEEESD_SD_SD_jNS0_19identity_decomposerENS1_16block_id_wrapperIjLb0EEEEE10hipError_tT1_PNSt15iterator_traitsISI_E10value_typeET2_T3_PNSJ_ISO_E10value_typeET4_T5_PST_SU_PNS1_23onesweep_lookback_stateEbbT6_jjT7_P12ihipStream_tbENKUlT_T0_SI_SN_E_clISD_SD_SD_SD_EEDaS11_S12_SI_SN_EUlS11_E_NS1_11comp_targetILNS1_3genE10ELNS1_11target_archE1201ELNS1_3gpuE5ELNS1_3repE0EEENS1_47radix_sort_onesweep_sort_config_static_selectorELNS0_4arch9wavefront6targetE0EEEvSI_
    .private_segment_fixed_size: 0
    .sgpr_count:     0
    .sgpr_spill_count: 0
    .symbol:         _ZN7rocprim17ROCPRIM_400000_NS6detail17trampoline_kernelINS0_14default_configENS1_35radix_sort_onesweep_config_selectorIiiEEZZNS1_29radix_sort_onesweep_iterationIS3_Lb1EN6thrust23THRUST_200600_302600_NS6detail15normal_iteratorINS8_10device_ptrIiEEEESD_SD_SD_jNS0_19identity_decomposerENS1_16block_id_wrapperIjLb0EEEEE10hipError_tT1_PNSt15iterator_traitsISI_E10value_typeET2_T3_PNSJ_ISO_E10value_typeET4_T5_PST_SU_PNS1_23onesweep_lookback_stateEbbT6_jjT7_P12ihipStream_tbENKUlT_T0_SI_SN_E_clISD_SD_SD_SD_EEDaS11_S12_SI_SN_EUlS11_E_NS1_11comp_targetILNS1_3genE10ELNS1_11target_archE1201ELNS1_3gpuE5ELNS1_3repE0EEENS1_47radix_sort_onesweep_sort_config_static_selectorELNS0_4arch9wavefront6targetE0EEEvSI_.kd
    .uniform_work_group_size: 1
    .uses_dynamic_stack: false
    .vgpr_count:     0
    .vgpr_spill_count: 0
    .wavefront_size: 32
    .workgroup_processor_mode: 1
  - .args:
      - .offset:         0
        .size:           88
        .value_kind:     by_value
    .group_segment_fixed_size: 0
    .kernarg_segment_align: 8
    .kernarg_segment_size: 88
    .language:       OpenCL C
    .language_version:
      - 2
      - 0
    .max_flat_workgroup_size: 1024
    .name:           _ZN7rocprim17ROCPRIM_400000_NS6detail17trampoline_kernelINS0_14default_configENS1_35radix_sort_onesweep_config_selectorIiiEEZZNS1_29radix_sort_onesweep_iterationIS3_Lb1EN6thrust23THRUST_200600_302600_NS6detail15normal_iteratorINS8_10device_ptrIiEEEESD_SD_SD_jNS0_19identity_decomposerENS1_16block_id_wrapperIjLb0EEEEE10hipError_tT1_PNSt15iterator_traitsISI_E10value_typeET2_T3_PNSJ_ISO_E10value_typeET4_T5_PST_SU_PNS1_23onesweep_lookback_stateEbbT6_jjT7_P12ihipStream_tbENKUlT_T0_SI_SN_E_clISD_SD_SD_SD_EEDaS11_S12_SI_SN_EUlS11_E_NS1_11comp_targetILNS1_3genE9ELNS1_11target_archE1100ELNS1_3gpuE3ELNS1_3repE0EEENS1_47radix_sort_onesweep_sort_config_static_selectorELNS0_4arch9wavefront6targetE0EEEvSI_
    .private_segment_fixed_size: 0
    .sgpr_count:     0
    .sgpr_spill_count: 0
    .symbol:         _ZN7rocprim17ROCPRIM_400000_NS6detail17trampoline_kernelINS0_14default_configENS1_35radix_sort_onesweep_config_selectorIiiEEZZNS1_29radix_sort_onesweep_iterationIS3_Lb1EN6thrust23THRUST_200600_302600_NS6detail15normal_iteratorINS8_10device_ptrIiEEEESD_SD_SD_jNS0_19identity_decomposerENS1_16block_id_wrapperIjLb0EEEEE10hipError_tT1_PNSt15iterator_traitsISI_E10value_typeET2_T3_PNSJ_ISO_E10value_typeET4_T5_PST_SU_PNS1_23onesweep_lookback_stateEbbT6_jjT7_P12ihipStream_tbENKUlT_T0_SI_SN_E_clISD_SD_SD_SD_EEDaS11_S12_SI_SN_EUlS11_E_NS1_11comp_targetILNS1_3genE9ELNS1_11target_archE1100ELNS1_3gpuE3ELNS1_3repE0EEENS1_47radix_sort_onesweep_sort_config_static_selectorELNS0_4arch9wavefront6targetE0EEEvSI_.kd
    .uniform_work_group_size: 1
    .uses_dynamic_stack: false
    .vgpr_count:     0
    .vgpr_spill_count: 0
    .wavefront_size: 32
    .workgroup_processor_mode: 1
  - .args:
      - .offset:         0
        .size:           88
        .value_kind:     by_value
      - .offset:         88
        .size:           4
        .value_kind:     hidden_block_count_x
      - .offset:         92
        .size:           4
        .value_kind:     hidden_block_count_y
      - .offset:         96
        .size:           4
        .value_kind:     hidden_block_count_z
      - .offset:         100
        .size:           2
        .value_kind:     hidden_group_size_x
      - .offset:         102
        .size:           2
        .value_kind:     hidden_group_size_y
      - .offset:         104
        .size:           2
        .value_kind:     hidden_group_size_z
      - .offset:         106
        .size:           2
        .value_kind:     hidden_remainder_x
      - .offset:         108
        .size:           2
        .value_kind:     hidden_remainder_y
      - .offset:         110
        .size:           2
        .value_kind:     hidden_remainder_z
      - .offset:         128
        .size:           8
        .value_kind:     hidden_global_offset_x
      - .offset:         136
        .size:           8
        .value_kind:     hidden_global_offset_y
      - .offset:         144
        .size:           8
        .value_kind:     hidden_global_offset_z
      - .offset:         152
        .size:           2
        .value_kind:     hidden_grid_dims
    .group_segment_fixed_size: 37000
    .kernarg_segment_align: 8
    .kernarg_segment_size: 344
    .language:       OpenCL C
    .language_version:
      - 2
      - 0
    .max_flat_workgroup_size: 1024
    .name:           _ZN7rocprim17ROCPRIM_400000_NS6detail17trampoline_kernelINS0_14default_configENS1_35radix_sort_onesweep_config_selectorIiiEEZZNS1_29radix_sort_onesweep_iterationIS3_Lb1EN6thrust23THRUST_200600_302600_NS6detail15normal_iteratorINS8_10device_ptrIiEEEESD_SD_SD_jNS0_19identity_decomposerENS1_16block_id_wrapperIjLb0EEEEE10hipError_tT1_PNSt15iterator_traitsISI_E10value_typeET2_T3_PNSJ_ISO_E10value_typeET4_T5_PST_SU_PNS1_23onesweep_lookback_stateEbbT6_jjT7_P12ihipStream_tbENKUlT_T0_SI_SN_E_clISD_SD_SD_SD_EEDaS11_S12_SI_SN_EUlS11_E_NS1_11comp_targetILNS1_3genE8ELNS1_11target_archE1030ELNS1_3gpuE2ELNS1_3repE0EEENS1_47radix_sort_onesweep_sort_config_static_selectorELNS0_4arch9wavefront6targetE0EEEvSI_
    .private_segment_fixed_size: 64
    .sgpr_count:     51
    .sgpr_spill_count: 0
    .symbol:         _ZN7rocprim17ROCPRIM_400000_NS6detail17trampoline_kernelINS0_14default_configENS1_35radix_sort_onesweep_config_selectorIiiEEZZNS1_29radix_sort_onesweep_iterationIS3_Lb1EN6thrust23THRUST_200600_302600_NS6detail15normal_iteratorINS8_10device_ptrIiEEEESD_SD_SD_jNS0_19identity_decomposerENS1_16block_id_wrapperIjLb0EEEEE10hipError_tT1_PNSt15iterator_traitsISI_E10value_typeET2_T3_PNSJ_ISO_E10value_typeET4_T5_PST_SU_PNS1_23onesweep_lookback_stateEbbT6_jjT7_P12ihipStream_tbENKUlT_T0_SI_SN_E_clISD_SD_SD_SD_EEDaS11_S12_SI_SN_EUlS11_E_NS1_11comp_targetILNS1_3genE8ELNS1_11target_archE1030ELNS1_3gpuE2ELNS1_3repE0EEENS1_47radix_sort_onesweep_sort_config_static_selectorELNS0_4arch9wavefront6targetE0EEEvSI_.kd
    .uniform_work_group_size: 1
    .uses_dynamic_stack: false
    .vgpr_count:     68
    .vgpr_spill_count: 0
    .wavefront_size: 32
    .workgroup_processor_mode: 1
  - .args:
      - .offset:         0
        .size:           88
        .value_kind:     by_value
    .group_segment_fixed_size: 0
    .kernarg_segment_align: 8
    .kernarg_segment_size: 88
    .language:       OpenCL C
    .language_version:
      - 2
      - 0
    .max_flat_workgroup_size: 256
    .name:           _ZN7rocprim17ROCPRIM_400000_NS6detail17trampoline_kernelINS0_14default_configENS1_35radix_sort_onesweep_config_selectorIiiEEZZNS1_29radix_sort_onesweep_iterationIS3_Lb1EN6thrust23THRUST_200600_302600_NS6detail15normal_iteratorINS8_10device_ptrIiEEEESD_SD_SD_jNS0_19identity_decomposerENS1_16block_id_wrapperIjLb0EEEEE10hipError_tT1_PNSt15iterator_traitsISI_E10value_typeET2_T3_PNSJ_ISO_E10value_typeET4_T5_PST_SU_PNS1_23onesweep_lookback_stateEbbT6_jjT7_P12ihipStream_tbENKUlT_T0_SI_SN_E_clISD_PiSD_S15_EEDaS11_S12_SI_SN_EUlS11_E_NS1_11comp_targetILNS1_3genE0ELNS1_11target_archE4294967295ELNS1_3gpuE0ELNS1_3repE0EEENS1_47radix_sort_onesweep_sort_config_static_selectorELNS0_4arch9wavefront6targetE0EEEvSI_
    .private_segment_fixed_size: 0
    .sgpr_count:     0
    .sgpr_spill_count: 0
    .symbol:         _ZN7rocprim17ROCPRIM_400000_NS6detail17trampoline_kernelINS0_14default_configENS1_35radix_sort_onesweep_config_selectorIiiEEZZNS1_29radix_sort_onesweep_iterationIS3_Lb1EN6thrust23THRUST_200600_302600_NS6detail15normal_iteratorINS8_10device_ptrIiEEEESD_SD_SD_jNS0_19identity_decomposerENS1_16block_id_wrapperIjLb0EEEEE10hipError_tT1_PNSt15iterator_traitsISI_E10value_typeET2_T3_PNSJ_ISO_E10value_typeET4_T5_PST_SU_PNS1_23onesweep_lookback_stateEbbT6_jjT7_P12ihipStream_tbENKUlT_T0_SI_SN_E_clISD_PiSD_S15_EEDaS11_S12_SI_SN_EUlS11_E_NS1_11comp_targetILNS1_3genE0ELNS1_11target_archE4294967295ELNS1_3gpuE0ELNS1_3repE0EEENS1_47radix_sort_onesweep_sort_config_static_selectorELNS0_4arch9wavefront6targetE0EEEvSI_.kd
    .uniform_work_group_size: 1
    .uses_dynamic_stack: false
    .vgpr_count:     0
    .vgpr_spill_count: 0
    .wavefront_size: 32
    .workgroup_processor_mode: 1
  - .args:
      - .offset:         0
        .size:           88
        .value_kind:     by_value
    .group_segment_fixed_size: 0
    .kernarg_segment_align: 8
    .kernarg_segment_size: 88
    .language:       OpenCL C
    .language_version:
      - 2
      - 0
    .max_flat_workgroup_size: 1024
    .name:           _ZN7rocprim17ROCPRIM_400000_NS6detail17trampoline_kernelINS0_14default_configENS1_35radix_sort_onesweep_config_selectorIiiEEZZNS1_29radix_sort_onesweep_iterationIS3_Lb1EN6thrust23THRUST_200600_302600_NS6detail15normal_iteratorINS8_10device_ptrIiEEEESD_SD_SD_jNS0_19identity_decomposerENS1_16block_id_wrapperIjLb0EEEEE10hipError_tT1_PNSt15iterator_traitsISI_E10value_typeET2_T3_PNSJ_ISO_E10value_typeET4_T5_PST_SU_PNS1_23onesweep_lookback_stateEbbT6_jjT7_P12ihipStream_tbENKUlT_T0_SI_SN_E_clISD_PiSD_S15_EEDaS11_S12_SI_SN_EUlS11_E_NS1_11comp_targetILNS1_3genE6ELNS1_11target_archE950ELNS1_3gpuE13ELNS1_3repE0EEENS1_47radix_sort_onesweep_sort_config_static_selectorELNS0_4arch9wavefront6targetE0EEEvSI_
    .private_segment_fixed_size: 0
    .sgpr_count:     0
    .sgpr_spill_count: 0
    .symbol:         _ZN7rocprim17ROCPRIM_400000_NS6detail17trampoline_kernelINS0_14default_configENS1_35radix_sort_onesweep_config_selectorIiiEEZZNS1_29radix_sort_onesweep_iterationIS3_Lb1EN6thrust23THRUST_200600_302600_NS6detail15normal_iteratorINS8_10device_ptrIiEEEESD_SD_SD_jNS0_19identity_decomposerENS1_16block_id_wrapperIjLb0EEEEE10hipError_tT1_PNSt15iterator_traitsISI_E10value_typeET2_T3_PNSJ_ISO_E10value_typeET4_T5_PST_SU_PNS1_23onesweep_lookback_stateEbbT6_jjT7_P12ihipStream_tbENKUlT_T0_SI_SN_E_clISD_PiSD_S15_EEDaS11_S12_SI_SN_EUlS11_E_NS1_11comp_targetILNS1_3genE6ELNS1_11target_archE950ELNS1_3gpuE13ELNS1_3repE0EEENS1_47radix_sort_onesweep_sort_config_static_selectorELNS0_4arch9wavefront6targetE0EEEvSI_.kd
    .uniform_work_group_size: 1
    .uses_dynamic_stack: false
    .vgpr_count:     0
    .vgpr_spill_count: 0
    .wavefront_size: 32
    .workgroup_processor_mode: 1
  - .args:
      - .offset:         0
        .size:           88
        .value_kind:     by_value
    .group_segment_fixed_size: 0
    .kernarg_segment_align: 8
    .kernarg_segment_size: 88
    .language:       OpenCL C
    .language_version:
      - 2
      - 0
    .max_flat_workgroup_size: 1024
    .name:           _ZN7rocprim17ROCPRIM_400000_NS6detail17trampoline_kernelINS0_14default_configENS1_35radix_sort_onesweep_config_selectorIiiEEZZNS1_29radix_sort_onesweep_iterationIS3_Lb1EN6thrust23THRUST_200600_302600_NS6detail15normal_iteratorINS8_10device_ptrIiEEEESD_SD_SD_jNS0_19identity_decomposerENS1_16block_id_wrapperIjLb0EEEEE10hipError_tT1_PNSt15iterator_traitsISI_E10value_typeET2_T3_PNSJ_ISO_E10value_typeET4_T5_PST_SU_PNS1_23onesweep_lookback_stateEbbT6_jjT7_P12ihipStream_tbENKUlT_T0_SI_SN_E_clISD_PiSD_S15_EEDaS11_S12_SI_SN_EUlS11_E_NS1_11comp_targetILNS1_3genE5ELNS1_11target_archE942ELNS1_3gpuE9ELNS1_3repE0EEENS1_47radix_sort_onesweep_sort_config_static_selectorELNS0_4arch9wavefront6targetE0EEEvSI_
    .private_segment_fixed_size: 0
    .sgpr_count:     0
    .sgpr_spill_count: 0
    .symbol:         _ZN7rocprim17ROCPRIM_400000_NS6detail17trampoline_kernelINS0_14default_configENS1_35radix_sort_onesweep_config_selectorIiiEEZZNS1_29radix_sort_onesweep_iterationIS3_Lb1EN6thrust23THRUST_200600_302600_NS6detail15normal_iteratorINS8_10device_ptrIiEEEESD_SD_SD_jNS0_19identity_decomposerENS1_16block_id_wrapperIjLb0EEEEE10hipError_tT1_PNSt15iterator_traitsISI_E10value_typeET2_T3_PNSJ_ISO_E10value_typeET4_T5_PST_SU_PNS1_23onesweep_lookback_stateEbbT6_jjT7_P12ihipStream_tbENKUlT_T0_SI_SN_E_clISD_PiSD_S15_EEDaS11_S12_SI_SN_EUlS11_E_NS1_11comp_targetILNS1_3genE5ELNS1_11target_archE942ELNS1_3gpuE9ELNS1_3repE0EEENS1_47radix_sort_onesweep_sort_config_static_selectorELNS0_4arch9wavefront6targetE0EEEvSI_.kd
    .uniform_work_group_size: 1
    .uses_dynamic_stack: false
    .vgpr_count:     0
    .vgpr_spill_count: 0
    .wavefront_size: 32
    .workgroup_processor_mode: 1
  - .args:
      - .offset:         0
        .size:           88
        .value_kind:     by_value
    .group_segment_fixed_size: 0
    .kernarg_segment_align: 8
    .kernarg_segment_size: 88
    .language:       OpenCL C
    .language_version:
      - 2
      - 0
    .max_flat_workgroup_size: 512
    .name:           _ZN7rocprim17ROCPRIM_400000_NS6detail17trampoline_kernelINS0_14default_configENS1_35radix_sort_onesweep_config_selectorIiiEEZZNS1_29radix_sort_onesweep_iterationIS3_Lb1EN6thrust23THRUST_200600_302600_NS6detail15normal_iteratorINS8_10device_ptrIiEEEESD_SD_SD_jNS0_19identity_decomposerENS1_16block_id_wrapperIjLb0EEEEE10hipError_tT1_PNSt15iterator_traitsISI_E10value_typeET2_T3_PNSJ_ISO_E10value_typeET4_T5_PST_SU_PNS1_23onesweep_lookback_stateEbbT6_jjT7_P12ihipStream_tbENKUlT_T0_SI_SN_E_clISD_PiSD_S15_EEDaS11_S12_SI_SN_EUlS11_E_NS1_11comp_targetILNS1_3genE2ELNS1_11target_archE906ELNS1_3gpuE6ELNS1_3repE0EEENS1_47radix_sort_onesweep_sort_config_static_selectorELNS0_4arch9wavefront6targetE0EEEvSI_
    .private_segment_fixed_size: 0
    .sgpr_count:     0
    .sgpr_spill_count: 0
    .symbol:         _ZN7rocprim17ROCPRIM_400000_NS6detail17trampoline_kernelINS0_14default_configENS1_35radix_sort_onesweep_config_selectorIiiEEZZNS1_29radix_sort_onesweep_iterationIS3_Lb1EN6thrust23THRUST_200600_302600_NS6detail15normal_iteratorINS8_10device_ptrIiEEEESD_SD_SD_jNS0_19identity_decomposerENS1_16block_id_wrapperIjLb0EEEEE10hipError_tT1_PNSt15iterator_traitsISI_E10value_typeET2_T3_PNSJ_ISO_E10value_typeET4_T5_PST_SU_PNS1_23onesweep_lookback_stateEbbT6_jjT7_P12ihipStream_tbENKUlT_T0_SI_SN_E_clISD_PiSD_S15_EEDaS11_S12_SI_SN_EUlS11_E_NS1_11comp_targetILNS1_3genE2ELNS1_11target_archE906ELNS1_3gpuE6ELNS1_3repE0EEENS1_47radix_sort_onesweep_sort_config_static_selectorELNS0_4arch9wavefront6targetE0EEEvSI_.kd
    .uniform_work_group_size: 1
    .uses_dynamic_stack: false
    .vgpr_count:     0
    .vgpr_spill_count: 0
    .wavefront_size: 32
    .workgroup_processor_mode: 1
  - .args:
      - .offset:         0
        .size:           88
        .value_kind:     by_value
    .group_segment_fixed_size: 0
    .kernarg_segment_align: 8
    .kernarg_segment_size: 88
    .language:       OpenCL C
    .language_version:
      - 2
      - 0
    .max_flat_workgroup_size: 512
    .name:           _ZN7rocprim17ROCPRIM_400000_NS6detail17trampoline_kernelINS0_14default_configENS1_35radix_sort_onesweep_config_selectorIiiEEZZNS1_29radix_sort_onesweep_iterationIS3_Lb1EN6thrust23THRUST_200600_302600_NS6detail15normal_iteratorINS8_10device_ptrIiEEEESD_SD_SD_jNS0_19identity_decomposerENS1_16block_id_wrapperIjLb0EEEEE10hipError_tT1_PNSt15iterator_traitsISI_E10value_typeET2_T3_PNSJ_ISO_E10value_typeET4_T5_PST_SU_PNS1_23onesweep_lookback_stateEbbT6_jjT7_P12ihipStream_tbENKUlT_T0_SI_SN_E_clISD_PiSD_S15_EEDaS11_S12_SI_SN_EUlS11_E_NS1_11comp_targetILNS1_3genE4ELNS1_11target_archE910ELNS1_3gpuE8ELNS1_3repE0EEENS1_47radix_sort_onesweep_sort_config_static_selectorELNS0_4arch9wavefront6targetE0EEEvSI_
    .private_segment_fixed_size: 0
    .sgpr_count:     0
    .sgpr_spill_count: 0
    .symbol:         _ZN7rocprim17ROCPRIM_400000_NS6detail17trampoline_kernelINS0_14default_configENS1_35radix_sort_onesweep_config_selectorIiiEEZZNS1_29radix_sort_onesweep_iterationIS3_Lb1EN6thrust23THRUST_200600_302600_NS6detail15normal_iteratorINS8_10device_ptrIiEEEESD_SD_SD_jNS0_19identity_decomposerENS1_16block_id_wrapperIjLb0EEEEE10hipError_tT1_PNSt15iterator_traitsISI_E10value_typeET2_T3_PNSJ_ISO_E10value_typeET4_T5_PST_SU_PNS1_23onesweep_lookback_stateEbbT6_jjT7_P12ihipStream_tbENKUlT_T0_SI_SN_E_clISD_PiSD_S15_EEDaS11_S12_SI_SN_EUlS11_E_NS1_11comp_targetILNS1_3genE4ELNS1_11target_archE910ELNS1_3gpuE8ELNS1_3repE0EEENS1_47radix_sort_onesweep_sort_config_static_selectorELNS0_4arch9wavefront6targetE0EEEvSI_.kd
    .uniform_work_group_size: 1
    .uses_dynamic_stack: false
    .vgpr_count:     0
    .vgpr_spill_count: 0
    .wavefront_size: 32
    .workgroup_processor_mode: 1
  - .args:
      - .offset:         0
        .size:           88
        .value_kind:     by_value
    .group_segment_fixed_size: 0
    .kernarg_segment_align: 8
    .kernarg_segment_size: 88
    .language:       OpenCL C
    .language_version:
      - 2
      - 0
    .max_flat_workgroup_size: 256
    .name:           _ZN7rocprim17ROCPRIM_400000_NS6detail17trampoline_kernelINS0_14default_configENS1_35radix_sort_onesweep_config_selectorIiiEEZZNS1_29radix_sort_onesweep_iterationIS3_Lb1EN6thrust23THRUST_200600_302600_NS6detail15normal_iteratorINS8_10device_ptrIiEEEESD_SD_SD_jNS0_19identity_decomposerENS1_16block_id_wrapperIjLb0EEEEE10hipError_tT1_PNSt15iterator_traitsISI_E10value_typeET2_T3_PNSJ_ISO_E10value_typeET4_T5_PST_SU_PNS1_23onesweep_lookback_stateEbbT6_jjT7_P12ihipStream_tbENKUlT_T0_SI_SN_E_clISD_PiSD_S15_EEDaS11_S12_SI_SN_EUlS11_E_NS1_11comp_targetILNS1_3genE3ELNS1_11target_archE908ELNS1_3gpuE7ELNS1_3repE0EEENS1_47radix_sort_onesweep_sort_config_static_selectorELNS0_4arch9wavefront6targetE0EEEvSI_
    .private_segment_fixed_size: 0
    .sgpr_count:     0
    .sgpr_spill_count: 0
    .symbol:         _ZN7rocprim17ROCPRIM_400000_NS6detail17trampoline_kernelINS0_14default_configENS1_35radix_sort_onesweep_config_selectorIiiEEZZNS1_29radix_sort_onesweep_iterationIS3_Lb1EN6thrust23THRUST_200600_302600_NS6detail15normal_iteratorINS8_10device_ptrIiEEEESD_SD_SD_jNS0_19identity_decomposerENS1_16block_id_wrapperIjLb0EEEEE10hipError_tT1_PNSt15iterator_traitsISI_E10value_typeET2_T3_PNSJ_ISO_E10value_typeET4_T5_PST_SU_PNS1_23onesweep_lookback_stateEbbT6_jjT7_P12ihipStream_tbENKUlT_T0_SI_SN_E_clISD_PiSD_S15_EEDaS11_S12_SI_SN_EUlS11_E_NS1_11comp_targetILNS1_3genE3ELNS1_11target_archE908ELNS1_3gpuE7ELNS1_3repE0EEENS1_47radix_sort_onesweep_sort_config_static_selectorELNS0_4arch9wavefront6targetE0EEEvSI_.kd
    .uniform_work_group_size: 1
    .uses_dynamic_stack: false
    .vgpr_count:     0
    .vgpr_spill_count: 0
    .wavefront_size: 32
    .workgroup_processor_mode: 1
  - .args:
      - .offset:         0
        .size:           88
        .value_kind:     by_value
    .group_segment_fixed_size: 0
    .kernarg_segment_align: 8
    .kernarg_segment_size: 88
    .language:       OpenCL C
    .language_version:
      - 2
      - 0
    .max_flat_workgroup_size: 1024
    .name:           _ZN7rocprim17ROCPRIM_400000_NS6detail17trampoline_kernelINS0_14default_configENS1_35radix_sort_onesweep_config_selectorIiiEEZZNS1_29radix_sort_onesweep_iterationIS3_Lb1EN6thrust23THRUST_200600_302600_NS6detail15normal_iteratorINS8_10device_ptrIiEEEESD_SD_SD_jNS0_19identity_decomposerENS1_16block_id_wrapperIjLb0EEEEE10hipError_tT1_PNSt15iterator_traitsISI_E10value_typeET2_T3_PNSJ_ISO_E10value_typeET4_T5_PST_SU_PNS1_23onesweep_lookback_stateEbbT6_jjT7_P12ihipStream_tbENKUlT_T0_SI_SN_E_clISD_PiSD_S15_EEDaS11_S12_SI_SN_EUlS11_E_NS1_11comp_targetILNS1_3genE10ELNS1_11target_archE1201ELNS1_3gpuE5ELNS1_3repE0EEENS1_47radix_sort_onesweep_sort_config_static_selectorELNS0_4arch9wavefront6targetE0EEEvSI_
    .private_segment_fixed_size: 0
    .sgpr_count:     0
    .sgpr_spill_count: 0
    .symbol:         _ZN7rocprim17ROCPRIM_400000_NS6detail17trampoline_kernelINS0_14default_configENS1_35radix_sort_onesweep_config_selectorIiiEEZZNS1_29radix_sort_onesweep_iterationIS3_Lb1EN6thrust23THRUST_200600_302600_NS6detail15normal_iteratorINS8_10device_ptrIiEEEESD_SD_SD_jNS0_19identity_decomposerENS1_16block_id_wrapperIjLb0EEEEE10hipError_tT1_PNSt15iterator_traitsISI_E10value_typeET2_T3_PNSJ_ISO_E10value_typeET4_T5_PST_SU_PNS1_23onesweep_lookback_stateEbbT6_jjT7_P12ihipStream_tbENKUlT_T0_SI_SN_E_clISD_PiSD_S15_EEDaS11_S12_SI_SN_EUlS11_E_NS1_11comp_targetILNS1_3genE10ELNS1_11target_archE1201ELNS1_3gpuE5ELNS1_3repE0EEENS1_47radix_sort_onesweep_sort_config_static_selectorELNS0_4arch9wavefront6targetE0EEEvSI_.kd
    .uniform_work_group_size: 1
    .uses_dynamic_stack: false
    .vgpr_count:     0
    .vgpr_spill_count: 0
    .wavefront_size: 32
    .workgroup_processor_mode: 1
  - .args:
      - .offset:         0
        .size:           88
        .value_kind:     by_value
    .group_segment_fixed_size: 0
    .kernarg_segment_align: 8
    .kernarg_segment_size: 88
    .language:       OpenCL C
    .language_version:
      - 2
      - 0
    .max_flat_workgroup_size: 1024
    .name:           _ZN7rocprim17ROCPRIM_400000_NS6detail17trampoline_kernelINS0_14default_configENS1_35radix_sort_onesweep_config_selectorIiiEEZZNS1_29radix_sort_onesweep_iterationIS3_Lb1EN6thrust23THRUST_200600_302600_NS6detail15normal_iteratorINS8_10device_ptrIiEEEESD_SD_SD_jNS0_19identity_decomposerENS1_16block_id_wrapperIjLb0EEEEE10hipError_tT1_PNSt15iterator_traitsISI_E10value_typeET2_T3_PNSJ_ISO_E10value_typeET4_T5_PST_SU_PNS1_23onesweep_lookback_stateEbbT6_jjT7_P12ihipStream_tbENKUlT_T0_SI_SN_E_clISD_PiSD_S15_EEDaS11_S12_SI_SN_EUlS11_E_NS1_11comp_targetILNS1_3genE9ELNS1_11target_archE1100ELNS1_3gpuE3ELNS1_3repE0EEENS1_47radix_sort_onesweep_sort_config_static_selectorELNS0_4arch9wavefront6targetE0EEEvSI_
    .private_segment_fixed_size: 0
    .sgpr_count:     0
    .sgpr_spill_count: 0
    .symbol:         _ZN7rocprim17ROCPRIM_400000_NS6detail17trampoline_kernelINS0_14default_configENS1_35radix_sort_onesweep_config_selectorIiiEEZZNS1_29radix_sort_onesweep_iterationIS3_Lb1EN6thrust23THRUST_200600_302600_NS6detail15normal_iteratorINS8_10device_ptrIiEEEESD_SD_SD_jNS0_19identity_decomposerENS1_16block_id_wrapperIjLb0EEEEE10hipError_tT1_PNSt15iterator_traitsISI_E10value_typeET2_T3_PNSJ_ISO_E10value_typeET4_T5_PST_SU_PNS1_23onesweep_lookback_stateEbbT6_jjT7_P12ihipStream_tbENKUlT_T0_SI_SN_E_clISD_PiSD_S15_EEDaS11_S12_SI_SN_EUlS11_E_NS1_11comp_targetILNS1_3genE9ELNS1_11target_archE1100ELNS1_3gpuE3ELNS1_3repE0EEENS1_47radix_sort_onesweep_sort_config_static_selectorELNS0_4arch9wavefront6targetE0EEEvSI_.kd
    .uniform_work_group_size: 1
    .uses_dynamic_stack: false
    .vgpr_count:     0
    .vgpr_spill_count: 0
    .wavefront_size: 32
    .workgroup_processor_mode: 1
  - .args:
      - .offset:         0
        .size:           88
        .value_kind:     by_value
      - .offset:         88
        .size:           4
        .value_kind:     hidden_block_count_x
      - .offset:         92
        .size:           4
        .value_kind:     hidden_block_count_y
      - .offset:         96
        .size:           4
        .value_kind:     hidden_block_count_z
      - .offset:         100
        .size:           2
        .value_kind:     hidden_group_size_x
      - .offset:         102
        .size:           2
        .value_kind:     hidden_group_size_y
      - .offset:         104
        .size:           2
        .value_kind:     hidden_group_size_z
      - .offset:         106
        .size:           2
        .value_kind:     hidden_remainder_x
      - .offset:         108
        .size:           2
        .value_kind:     hidden_remainder_y
      - .offset:         110
        .size:           2
        .value_kind:     hidden_remainder_z
      - .offset:         128
        .size:           8
        .value_kind:     hidden_global_offset_x
      - .offset:         136
        .size:           8
        .value_kind:     hidden_global_offset_y
      - .offset:         144
        .size:           8
        .value_kind:     hidden_global_offset_z
      - .offset:         152
        .size:           2
        .value_kind:     hidden_grid_dims
    .group_segment_fixed_size: 37000
    .kernarg_segment_align: 8
    .kernarg_segment_size: 344
    .language:       OpenCL C
    .language_version:
      - 2
      - 0
    .max_flat_workgroup_size: 1024
    .name:           _ZN7rocprim17ROCPRIM_400000_NS6detail17trampoline_kernelINS0_14default_configENS1_35radix_sort_onesweep_config_selectorIiiEEZZNS1_29radix_sort_onesweep_iterationIS3_Lb1EN6thrust23THRUST_200600_302600_NS6detail15normal_iteratorINS8_10device_ptrIiEEEESD_SD_SD_jNS0_19identity_decomposerENS1_16block_id_wrapperIjLb0EEEEE10hipError_tT1_PNSt15iterator_traitsISI_E10value_typeET2_T3_PNSJ_ISO_E10value_typeET4_T5_PST_SU_PNS1_23onesweep_lookback_stateEbbT6_jjT7_P12ihipStream_tbENKUlT_T0_SI_SN_E_clISD_PiSD_S15_EEDaS11_S12_SI_SN_EUlS11_E_NS1_11comp_targetILNS1_3genE8ELNS1_11target_archE1030ELNS1_3gpuE2ELNS1_3repE0EEENS1_47radix_sort_onesweep_sort_config_static_selectorELNS0_4arch9wavefront6targetE0EEEvSI_
    .private_segment_fixed_size: 64
    .sgpr_count:     51
    .sgpr_spill_count: 0
    .symbol:         _ZN7rocprim17ROCPRIM_400000_NS6detail17trampoline_kernelINS0_14default_configENS1_35radix_sort_onesweep_config_selectorIiiEEZZNS1_29radix_sort_onesweep_iterationIS3_Lb1EN6thrust23THRUST_200600_302600_NS6detail15normal_iteratorINS8_10device_ptrIiEEEESD_SD_SD_jNS0_19identity_decomposerENS1_16block_id_wrapperIjLb0EEEEE10hipError_tT1_PNSt15iterator_traitsISI_E10value_typeET2_T3_PNSJ_ISO_E10value_typeET4_T5_PST_SU_PNS1_23onesweep_lookback_stateEbbT6_jjT7_P12ihipStream_tbENKUlT_T0_SI_SN_E_clISD_PiSD_S15_EEDaS11_S12_SI_SN_EUlS11_E_NS1_11comp_targetILNS1_3genE8ELNS1_11target_archE1030ELNS1_3gpuE2ELNS1_3repE0EEENS1_47radix_sort_onesweep_sort_config_static_selectorELNS0_4arch9wavefront6targetE0EEEvSI_.kd
    .uniform_work_group_size: 1
    .uses_dynamic_stack: false
    .vgpr_count:     68
    .vgpr_spill_count: 0
    .wavefront_size: 32
    .workgroup_processor_mode: 1
  - .args:
      - .offset:         0
        .size:           88
        .value_kind:     by_value
    .group_segment_fixed_size: 0
    .kernarg_segment_align: 8
    .kernarg_segment_size: 88
    .language:       OpenCL C
    .language_version:
      - 2
      - 0
    .max_flat_workgroup_size: 256
    .name:           _ZN7rocprim17ROCPRIM_400000_NS6detail17trampoline_kernelINS0_14default_configENS1_35radix_sort_onesweep_config_selectorIiiEEZZNS1_29radix_sort_onesweep_iterationIS3_Lb1EN6thrust23THRUST_200600_302600_NS6detail15normal_iteratorINS8_10device_ptrIiEEEESD_SD_SD_jNS0_19identity_decomposerENS1_16block_id_wrapperIjLb0EEEEE10hipError_tT1_PNSt15iterator_traitsISI_E10value_typeET2_T3_PNSJ_ISO_E10value_typeET4_T5_PST_SU_PNS1_23onesweep_lookback_stateEbbT6_jjT7_P12ihipStream_tbENKUlT_T0_SI_SN_E_clIPiSD_S15_SD_EEDaS11_S12_SI_SN_EUlS11_E_NS1_11comp_targetILNS1_3genE0ELNS1_11target_archE4294967295ELNS1_3gpuE0ELNS1_3repE0EEENS1_47radix_sort_onesweep_sort_config_static_selectorELNS0_4arch9wavefront6targetE0EEEvSI_
    .private_segment_fixed_size: 0
    .sgpr_count:     0
    .sgpr_spill_count: 0
    .symbol:         _ZN7rocprim17ROCPRIM_400000_NS6detail17trampoline_kernelINS0_14default_configENS1_35radix_sort_onesweep_config_selectorIiiEEZZNS1_29radix_sort_onesweep_iterationIS3_Lb1EN6thrust23THRUST_200600_302600_NS6detail15normal_iteratorINS8_10device_ptrIiEEEESD_SD_SD_jNS0_19identity_decomposerENS1_16block_id_wrapperIjLb0EEEEE10hipError_tT1_PNSt15iterator_traitsISI_E10value_typeET2_T3_PNSJ_ISO_E10value_typeET4_T5_PST_SU_PNS1_23onesweep_lookback_stateEbbT6_jjT7_P12ihipStream_tbENKUlT_T0_SI_SN_E_clIPiSD_S15_SD_EEDaS11_S12_SI_SN_EUlS11_E_NS1_11comp_targetILNS1_3genE0ELNS1_11target_archE4294967295ELNS1_3gpuE0ELNS1_3repE0EEENS1_47radix_sort_onesweep_sort_config_static_selectorELNS0_4arch9wavefront6targetE0EEEvSI_.kd
    .uniform_work_group_size: 1
    .uses_dynamic_stack: false
    .vgpr_count:     0
    .vgpr_spill_count: 0
    .wavefront_size: 32
    .workgroup_processor_mode: 1
  - .args:
      - .offset:         0
        .size:           88
        .value_kind:     by_value
    .group_segment_fixed_size: 0
    .kernarg_segment_align: 8
    .kernarg_segment_size: 88
    .language:       OpenCL C
    .language_version:
      - 2
      - 0
    .max_flat_workgroup_size: 1024
    .name:           _ZN7rocprim17ROCPRIM_400000_NS6detail17trampoline_kernelINS0_14default_configENS1_35radix_sort_onesweep_config_selectorIiiEEZZNS1_29radix_sort_onesweep_iterationIS3_Lb1EN6thrust23THRUST_200600_302600_NS6detail15normal_iteratorINS8_10device_ptrIiEEEESD_SD_SD_jNS0_19identity_decomposerENS1_16block_id_wrapperIjLb0EEEEE10hipError_tT1_PNSt15iterator_traitsISI_E10value_typeET2_T3_PNSJ_ISO_E10value_typeET4_T5_PST_SU_PNS1_23onesweep_lookback_stateEbbT6_jjT7_P12ihipStream_tbENKUlT_T0_SI_SN_E_clIPiSD_S15_SD_EEDaS11_S12_SI_SN_EUlS11_E_NS1_11comp_targetILNS1_3genE6ELNS1_11target_archE950ELNS1_3gpuE13ELNS1_3repE0EEENS1_47radix_sort_onesweep_sort_config_static_selectorELNS0_4arch9wavefront6targetE0EEEvSI_
    .private_segment_fixed_size: 0
    .sgpr_count:     0
    .sgpr_spill_count: 0
    .symbol:         _ZN7rocprim17ROCPRIM_400000_NS6detail17trampoline_kernelINS0_14default_configENS1_35radix_sort_onesweep_config_selectorIiiEEZZNS1_29radix_sort_onesweep_iterationIS3_Lb1EN6thrust23THRUST_200600_302600_NS6detail15normal_iteratorINS8_10device_ptrIiEEEESD_SD_SD_jNS0_19identity_decomposerENS1_16block_id_wrapperIjLb0EEEEE10hipError_tT1_PNSt15iterator_traitsISI_E10value_typeET2_T3_PNSJ_ISO_E10value_typeET4_T5_PST_SU_PNS1_23onesweep_lookback_stateEbbT6_jjT7_P12ihipStream_tbENKUlT_T0_SI_SN_E_clIPiSD_S15_SD_EEDaS11_S12_SI_SN_EUlS11_E_NS1_11comp_targetILNS1_3genE6ELNS1_11target_archE950ELNS1_3gpuE13ELNS1_3repE0EEENS1_47radix_sort_onesweep_sort_config_static_selectorELNS0_4arch9wavefront6targetE0EEEvSI_.kd
    .uniform_work_group_size: 1
    .uses_dynamic_stack: false
    .vgpr_count:     0
    .vgpr_spill_count: 0
    .wavefront_size: 32
    .workgroup_processor_mode: 1
  - .args:
      - .offset:         0
        .size:           88
        .value_kind:     by_value
    .group_segment_fixed_size: 0
    .kernarg_segment_align: 8
    .kernarg_segment_size: 88
    .language:       OpenCL C
    .language_version:
      - 2
      - 0
    .max_flat_workgroup_size: 1024
    .name:           _ZN7rocprim17ROCPRIM_400000_NS6detail17trampoline_kernelINS0_14default_configENS1_35radix_sort_onesweep_config_selectorIiiEEZZNS1_29radix_sort_onesweep_iterationIS3_Lb1EN6thrust23THRUST_200600_302600_NS6detail15normal_iteratorINS8_10device_ptrIiEEEESD_SD_SD_jNS0_19identity_decomposerENS1_16block_id_wrapperIjLb0EEEEE10hipError_tT1_PNSt15iterator_traitsISI_E10value_typeET2_T3_PNSJ_ISO_E10value_typeET4_T5_PST_SU_PNS1_23onesweep_lookback_stateEbbT6_jjT7_P12ihipStream_tbENKUlT_T0_SI_SN_E_clIPiSD_S15_SD_EEDaS11_S12_SI_SN_EUlS11_E_NS1_11comp_targetILNS1_3genE5ELNS1_11target_archE942ELNS1_3gpuE9ELNS1_3repE0EEENS1_47radix_sort_onesweep_sort_config_static_selectorELNS0_4arch9wavefront6targetE0EEEvSI_
    .private_segment_fixed_size: 0
    .sgpr_count:     0
    .sgpr_spill_count: 0
    .symbol:         _ZN7rocprim17ROCPRIM_400000_NS6detail17trampoline_kernelINS0_14default_configENS1_35radix_sort_onesweep_config_selectorIiiEEZZNS1_29radix_sort_onesweep_iterationIS3_Lb1EN6thrust23THRUST_200600_302600_NS6detail15normal_iteratorINS8_10device_ptrIiEEEESD_SD_SD_jNS0_19identity_decomposerENS1_16block_id_wrapperIjLb0EEEEE10hipError_tT1_PNSt15iterator_traitsISI_E10value_typeET2_T3_PNSJ_ISO_E10value_typeET4_T5_PST_SU_PNS1_23onesweep_lookback_stateEbbT6_jjT7_P12ihipStream_tbENKUlT_T0_SI_SN_E_clIPiSD_S15_SD_EEDaS11_S12_SI_SN_EUlS11_E_NS1_11comp_targetILNS1_3genE5ELNS1_11target_archE942ELNS1_3gpuE9ELNS1_3repE0EEENS1_47radix_sort_onesweep_sort_config_static_selectorELNS0_4arch9wavefront6targetE0EEEvSI_.kd
    .uniform_work_group_size: 1
    .uses_dynamic_stack: false
    .vgpr_count:     0
    .vgpr_spill_count: 0
    .wavefront_size: 32
    .workgroup_processor_mode: 1
  - .args:
      - .offset:         0
        .size:           88
        .value_kind:     by_value
    .group_segment_fixed_size: 0
    .kernarg_segment_align: 8
    .kernarg_segment_size: 88
    .language:       OpenCL C
    .language_version:
      - 2
      - 0
    .max_flat_workgroup_size: 512
    .name:           _ZN7rocprim17ROCPRIM_400000_NS6detail17trampoline_kernelINS0_14default_configENS1_35radix_sort_onesweep_config_selectorIiiEEZZNS1_29radix_sort_onesweep_iterationIS3_Lb1EN6thrust23THRUST_200600_302600_NS6detail15normal_iteratorINS8_10device_ptrIiEEEESD_SD_SD_jNS0_19identity_decomposerENS1_16block_id_wrapperIjLb0EEEEE10hipError_tT1_PNSt15iterator_traitsISI_E10value_typeET2_T3_PNSJ_ISO_E10value_typeET4_T5_PST_SU_PNS1_23onesweep_lookback_stateEbbT6_jjT7_P12ihipStream_tbENKUlT_T0_SI_SN_E_clIPiSD_S15_SD_EEDaS11_S12_SI_SN_EUlS11_E_NS1_11comp_targetILNS1_3genE2ELNS1_11target_archE906ELNS1_3gpuE6ELNS1_3repE0EEENS1_47radix_sort_onesweep_sort_config_static_selectorELNS0_4arch9wavefront6targetE0EEEvSI_
    .private_segment_fixed_size: 0
    .sgpr_count:     0
    .sgpr_spill_count: 0
    .symbol:         _ZN7rocprim17ROCPRIM_400000_NS6detail17trampoline_kernelINS0_14default_configENS1_35radix_sort_onesweep_config_selectorIiiEEZZNS1_29radix_sort_onesweep_iterationIS3_Lb1EN6thrust23THRUST_200600_302600_NS6detail15normal_iteratorINS8_10device_ptrIiEEEESD_SD_SD_jNS0_19identity_decomposerENS1_16block_id_wrapperIjLb0EEEEE10hipError_tT1_PNSt15iterator_traitsISI_E10value_typeET2_T3_PNSJ_ISO_E10value_typeET4_T5_PST_SU_PNS1_23onesweep_lookback_stateEbbT6_jjT7_P12ihipStream_tbENKUlT_T0_SI_SN_E_clIPiSD_S15_SD_EEDaS11_S12_SI_SN_EUlS11_E_NS1_11comp_targetILNS1_3genE2ELNS1_11target_archE906ELNS1_3gpuE6ELNS1_3repE0EEENS1_47radix_sort_onesweep_sort_config_static_selectorELNS0_4arch9wavefront6targetE0EEEvSI_.kd
    .uniform_work_group_size: 1
    .uses_dynamic_stack: false
    .vgpr_count:     0
    .vgpr_spill_count: 0
    .wavefront_size: 32
    .workgroup_processor_mode: 1
  - .args:
      - .offset:         0
        .size:           88
        .value_kind:     by_value
    .group_segment_fixed_size: 0
    .kernarg_segment_align: 8
    .kernarg_segment_size: 88
    .language:       OpenCL C
    .language_version:
      - 2
      - 0
    .max_flat_workgroup_size: 512
    .name:           _ZN7rocprim17ROCPRIM_400000_NS6detail17trampoline_kernelINS0_14default_configENS1_35radix_sort_onesweep_config_selectorIiiEEZZNS1_29radix_sort_onesweep_iterationIS3_Lb1EN6thrust23THRUST_200600_302600_NS6detail15normal_iteratorINS8_10device_ptrIiEEEESD_SD_SD_jNS0_19identity_decomposerENS1_16block_id_wrapperIjLb0EEEEE10hipError_tT1_PNSt15iterator_traitsISI_E10value_typeET2_T3_PNSJ_ISO_E10value_typeET4_T5_PST_SU_PNS1_23onesweep_lookback_stateEbbT6_jjT7_P12ihipStream_tbENKUlT_T0_SI_SN_E_clIPiSD_S15_SD_EEDaS11_S12_SI_SN_EUlS11_E_NS1_11comp_targetILNS1_3genE4ELNS1_11target_archE910ELNS1_3gpuE8ELNS1_3repE0EEENS1_47radix_sort_onesweep_sort_config_static_selectorELNS0_4arch9wavefront6targetE0EEEvSI_
    .private_segment_fixed_size: 0
    .sgpr_count:     0
    .sgpr_spill_count: 0
    .symbol:         _ZN7rocprim17ROCPRIM_400000_NS6detail17trampoline_kernelINS0_14default_configENS1_35radix_sort_onesweep_config_selectorIiiEEZZNS1_29radix_sort_onesweep_iterationIS3_Lb1EN6thrust23THRUST_200600_302600_NS6detail15normal_iteratorINS8_10device_ptrIiEEEESD_SD_SD_jNS0_19identity_decomposerENS1_16block_id_wrapperIjLb0EEEEE10hipError_tT1_PNSt15iterator_traitsISI_E10value_typeET2_T3_PNSJ_ISO_E10value_typeET4_T5_PST_SU_PNS1_23onesweep_lookback_stateEbbT6_jjT7_P12ihipStream_tbENKUlT_T0_SI_SN_E_clIPiSD_S15_SD_EEDaS11_S12_SI_SN_EUlS11_E_NS1_11comp_targetILNS1_3genE4ELNS1_11target_archE910ELNS1_3gpuE8ELNS1_3repE0EEENS1_47radix_sort_onesweep_sort_config_static_selectorELNS0_4arch9wavefront6targetE0EEEvSI_.kd
    .uniform_work_group_size: 1
    .uses_dynamic_stack: false
    .vgpr_count:     0
    .vgpr_spill_count: 0
    .wavefront_size: 32
    .workgroup_processor_mode: 1
  - .args:
      - .offset:         0
        .size:           88
        .value_kind:     by_value
    .group_segment_fixed_size: 0
    .kernarg_segment_align: 8
    .kernarg_segment_size: 88
    .language:       OpenCL C
    .language_version:
      - 2
      - 0
    .max_flat_workgroup_size: 256
    .name:           _ZN7rocprim17ROCPRIM_400000_NS6detail17trampoline_kernelINS0_14default_configENS1_35radix_sort_onesweep_config_selectorIiiEEZZNS1_29radix_sort_onesweep_iterationIS3_Lb1EN6thrust23THRUST_200600_302600_NS6detail15normal_iteratorINS8_10device_ptrIiEEEESD_SD_SD_jNS0_19identity_decomposerENS1_16block_id_wrapperIjLb0EEEEE10hipError_tT1_PNSt15iterator_traitsISI_E10value_typeET2_T3_PNSJ_ISO_E10value_typeET4_T5_PST_SU_PNS1_23onesweep_lookback_stateEbbT6_jjT7_P12ihipStream_tbENKUlT_T0_SI_SN_E_clIPiSD_S15_SD_EEDaS11_S12_SI_SN_EUlS11_E_NS1_11comp_targetILNS1_3genE3ELNS1_11target_archE908ELNS1_3gpuE7ELNS1_3repE0EEENS1_47radix_sort_onesweep_sort_config_static_selectorELNS0_4arch9wavefront6targetE0EEEvSI_
    .private_segment_fixed_size: 0
    .sgpr_count:     0
    .sgpr_spill_count: 0
    .symbol:         _ZN7rocprim17ROCPRIM_400000_NS6detail17trampoline_kernelINS0_14default_configENS1_35radix_sort_onesweep_config_selectorIiiEEZZNS1_29radix_sort_onesweep_iterationIS3_Lb1EN6thrust23THRUST_200600_302600_NS6detail15normal_iteratorINS8_10device_ptrIiEEEESD_SD_SD_jNS0_19identity_decomposerENS1_16block_id_wrapperIjLb0EEEEE10hipError_tT1_PNSt15iterator_traitsISI_E10value_typeET2_T3_PNSJ_ISO_E10value_typeET4_T5_PST_SU_PNS1_23onesweep_lookback_stateEbbT6_jjT7_P12ihipStream_tbENKUlT_T0_SI_SN_E_clIPiSD_S15_SD_EEDaS11_S12_SI_SN_EUlS11_E_NS1_11comp_targetILNS1_3genE3ELNS1_11target_archE908ELNS1_3gpuE7ELNS1_3repE0EEENS1_47radix_sort_onesweep_sort_config_static_selectorELNS0_4arch9wavefront6targetE0EEEvSI_.kd
    .uniform_work_group_size: 1
    .uses_dynamic_stack: false
    .vgpr_count:     0
    .vgpr_spill_count: 0
    .wavefront_size: 32
    .workgroup_processor_mode: 1
  - .args:
      - .offset:         0
        .size:           88
        .value_kind:     by_value
    .group_segment_fixed_size: 0
    .kernarg_segment_align: 8
    .kernarg_segment_size: 88
    .language:       OpenCL C
    .language_version:
      - 2
      - 0
    .max_flat_workgroup_size: 1024
    .name:           _ZN7rocprim17ROCPRIM_400000_NS6detail17trampoline_kernelINS0_14default_configENS1_35radix_sort_onesweep_config_selectorIiiEEZZNS1_29radix_sort_onesweep_iterationIS3_Lb1EN6thrust23THRUST_200600_302600_NS6detail15normal_iteratorINS8_10device_ptrIiEEEESD_SD_SD_jNS0_19identity_decomposerENS1_16block_id_wrapperIjLb0EEEEE10hipError_tT1_PNSt15iterator_traitsISI_E10value_typeET2_T3_PNSJ_ISO_E10value_typeET4_T5_PST_SU_PNS1_23onesweep_lookback_stateEbbT6_jjT7_P12ihipStream_tbENKUlT_T0_SI_SN_E_clIPiSD_S15_SD_EEDaS11_S12_SI_SN_EUlS11_E_NS1_11comp_targetILNS1_3genE10ELNS1_11target_archE1201ELNS1_3gpuE5ELNS1_3repE0EEENS1_47radix_sort_onesweep_sort_config_static_selectorELNS0_4arch9wavefront6targetE0EEEvSI_
    .private_segment_fixed_size: 0
    .sgpr_count:     0
    .sgpr_spill_count: 0
    .symbol:         _ZN7rocprim17ROCPRIM_400000_NS6detail17trampoline_kernelINS0_14default_configENS1_35radix_sort_onesweep_config_selectorIiiEEZZNS1_29radix_sort_onesweep_iterationIS3_Lb1EN6thrust23THRUST_200600_302600_NS6detail15normal_iteratorINS8_10device_ptrIiEEEESD_SD_SD_jNS0_19identity_decomposerENS1_16block_id_wrapperIjLb0EEEEE10hipError_tT1_PNSt15iterator_traitsISI_E10value_typeET2_T3_PNSJ_ISO_E10value_typeET4_T5_PST_SU_PNS1_23onesweep_lookback_stateEbbT6_jjT7_P12ihipStream_tbENKUlT_T0_SI_SN_E_clIPiSD_S15_SD_EEDaS11_S12_SI_SN_EUlS11_E_NS1_11comp_targetILNS1_3genE10ELNS1_11target_archE1201ELNS1_3gpuE5ELNS1_3repE0EEENS1_47radix_sort_onesweep_sort_config_static_selectorELNS0_4arch9wavefront6targetE0EEEvSI_.kd
    .uniform_work_group_size: 1
    .uses_dynamic_stack: false
    .vgpr_count:     0
    .vgpr_spill_count: 0
    .wavefront_size: 32
    .workgroup_processor_mode: 1
  - .args:
      - .offset:         0
        .size:           88
        .value_kind:     by_value
    .group_segment_fixed_size: 0
    .kernarg_segment_align: 8
    .kernarg_segment_size: 88
    .language:       OpenCL C
    .language_version:
      - 2
      - 0
    .max_flat_workgroup_size: 1024
    .name:           _ZN7rocprim17ROCPRIM_400000_NS6detail17trampoline_kernelINS0_14default_configENS1_35radix_sort_onesweep_config_selectorIiiEEZZNS1_29radix_sort_onesweep_iterationIS3_Lb1EN6thrust23THRUST_200600_302600_NS6detail15normal_iteratorINS8_10device_ptrIiEEEESD_SD_SD_jNS0_19identity_decomposerENS1_16block_id_wrapperIjLb0EEEEE10hipError_tT1_PNSt15iterator_traitsISI_E10value_typeET2_T3_PNSJ_ISO_E10value_typeET4_T5_PST_SU_PNS1_23onesweep_lookback_stateEbbT6_jjT7_P12ihipStream_tbENKUlT_T0_SI_SN_E_clIPiSD_S15_SD_EEDaS11_S12_SI_SN_EUlS11_E_NS1_11comp_targetILNS1_3genE9ELNS1_11target_archE1100ELNS1_3gpuE3ELNS1_3repE0EEENS1_47radix_sort_onesweep_sort_config_static_selectorELNS0_4arch9wavefront6targetE0EEEvSI_
    .private_segment_fixed_size: 0
    .sgpr_count:     0
    .sgpr_spill_count: 0
    .symbol:         _ZN7rocprim17ROCPRIM_400000_NS6detail17trampoline_kernelINS0_14default_configENS1_35radix_sort_onesweep_config_selectorIiiEEZZNS1_29radix_sort_onesweep_iterationIS3_Lb1EN6thrust23THRUST_200600_302600_NS6detail15normal_iteratorINS8_10device_ptrIiEEEESD_SD_SD_jNS0_19identity_decomposerENS1_16block_id_wrapperIjLb0EEEEE10hipError_tT1_PNSt15iterator_traitsISI_E10value_typeET2_T3_PNSJ_ISO_E10value_typeET4_T5_PST_SU_PNS1_23onesweep_lookback_stateEbbT6_jjT7_P12ihipStream_tbENKUlT_T0_SI_SN_E_clIPiSD_S15_SD_EEDaS11_S12_SI_SN_EUlS11_E_NS1_11comp_targetILNS1_3genE9ELNS1_11target_archE1100ELNS1_3gpuE3ELNS1_3repE0EEENS1_47radix_sort_onesweep_sort_config_static_selectorELNS0_4arch9wavefront6targetE0EEEvSI_.kd
    .uniform_work_group_size: 1
    .uses_dynamic_stack: false
    .vgpr_count:     0
    .vgpr_spill_count: 0
    .wavefront_size: 32
    .workgroup_processor_mode: 1
  - .args:
      - .offset:         0
        .size:           88
        .value_kind:     by_value
      - .offset:         88
        .size:           4
        .value_kind:     hidden_block_count_x
      - .offset:         92
        .size:           4
        .value_kind:     hidden_block_count_y
      - .offset:         96
        .size:           4
        .value_kind:     hidden_block_count_z
      - .offset:         100
        .size:           2
        .value_kind:     hidden_group_size_x
      - .offset:         102
        .size:           2
        .value_kind:     hidden_group_size_y
      - .offset:         104
        .size:           2
        .value_kind:     hidden_group_size_z
      - .offset:         106
        .size:           2
        .value_kind:     hidden_remainder_x
      - .offset:         108
        .size:           2
        .value_kind:     hidden_remainder_y
      - .offset:         110
        .size:           2
        .value_kind:     hidden_remainder_z
      - .offset:         128
        .size:           8
        .value_kind:     hidden_global_offset_x
      - .offset:         136
        .size:           8
        .value_kind:     hidden_global_offset_y
      - .offset:         144
        .size:           8
        .value_kind:     hidden_global_offset_z
      - .offset:         152
        .size:           2
        .value_kind:     hidden_grid_dims
    .group_segment_fixed_size: 37000
    .kernarg_segment_align: 8
    .kernarg_segment_size: 344
    .language:       OpenCL C
    .language_version:
      - 2
      - 0
    .max_flat_workgroup_size: 1024
    .name:           _ZN7rocprim17ROCPRIM_400000_NS6detail17trampoline_kernelINS0_14default_configENS1_35radix_sort_onesweep_config_selectorIiiEEZZNS1_29radix_sort_onesweep_iterationIS3_Lb1EN6thrust23THRUST_200600_302600_NS6detail15normal_iteratorINS8_10device_ptrIiEEEESD_SD_SD_jNS0_19identity_decomposerENS1_16block_id_wrapperIjLb0EEEEE10hipError_tT1_PNSt15iterator_traitsISI_E10value_typeET2_T3_PNSJ_ISO_E10value_typeET4_T5_PST_SU_PNS1_23onesweep_lookback_stateEbbT6_jjT7_P12ihipStream_tbENKUlT_T0_SI_SN_E_clIPiSD_S15_SD_EEDaS11_S12_SI_SN_EUlS11_E_NS1_11comp_targetILNS1_3genE8ELNS1_11target_archE1030ELNS1_3gpuE2ELNS1_3repE0EEENS1_47radix_sort_onesweep_sort_config_static_selectorELNS0_4arch9wavefront6targetE0EEEvSI_
    .private_segment_fixed_size: 64
    .sgpr_count:     51
    .sgpr_spill_count: 0
    .symbol:         _ZN7rocprim17ROCPRIM_400000_NS6detail17trampoline_kernelINS0_14default_configENS1_35radix_sort_onesweep_config_selectorIiiEEZZNS1_29radix_sort_onesweep_iterationIS3_Lb1EN6thrust23THRUST_200600_302600_NS6detail15normal_iteratorINS8_10device_ptrIiEEEESD_SD_SD_jNS0_19identity_decomposerENS1_16block_id_wrapperIjLb0EEEEE10hipError_tT1_PNSt15iterator_traitsISI_E10value_typeET2_T3_PNSJ_ISO_E10value_typeET4_T5_PST_SU_PNS1_23onesweep_lookback_stateEbbT6_jjT7_P12ihipStream_tbENKUlT_T0_SI_SN_E_clIPiSD_S15_SD_EEDaS11_S12_SI_SN_EUlS11_E_NS1_11comp_targetILNS1_3genE8ELNS1_11target_archE1030ELNS1_3gpuE2ELNS1_3repE0EEENS1_47radix_sort_onesweep_sort_config_static_selectorELNS0_4arch9wavefront6targetE0EEEvSI_.kd
    .uniform_work_group_size: 1
    .uses_dynamic_stack: false
    .vgpr_count:     68
    .vgpr_spill_count: 0
    .wavefront_size: 32
    .workgroup_processor_mode: 1
amdhsa.target:   amdgcn-amd-amdhsa--gfx1030
amdhsa.version:
  - 1
  - 2
...

	.end_amdgpu_metadata
